;; amdgpu-corpus repo=pytorch/pytorch kind=compiled arch=gfx90a opt=O3
	.text
	.amdgcn_target "amdgcn-amd-amdhsa--gfx90a"
	.amdhsa_code_object_version 6
	.section	.text._ZN2at6native12_GLOBAL__N_125multi_tensor_apply_kernelINS1_18TensorListMetadataILi2EEENS1_14UnaryOpFunctorIdLi2ELi1ELi1EEEJNS0_4ErfcIdEEEEEvT_T0_DpT1_,"axG",@progbits,_ZN2at6native12_GLOBAL__N_125multi_tensor_apply_kernelINS1_18TensorListMetadataILi2EEENS1_14UnaryOpFunctorIdLi2ELi1ELi1EEEJNS0_4ErfcIdEEEEEvT_T0_DpT1_,comdat
	.globl	_ZN2at6native12_GLOBAL__N_125multi_tensor_apply_kernelINS1_18TensorListMetadataILi2EEENS1_14UnaryOpFunctorIdLi2ELi1ELi1EEEJNS0_4ErfcIdEEEEEvT_T0_DpT1_ ; -- Begin function _ZN2at6native12_GLOBAL__N_125multi_tensor_apply_kernelINS1_18TensorListMetadataILi2EEENS1_14UnaryOpFunctorIdLi2ELi1ELi1EEEJNS0_4ErfcIdEEEEEvT_T0_DpT1_
	.p2align	8
	.type	_ZN2at6native12_GLOBAL__N_125multi_tensor_apply_kernelINS1_18TensorListMetadataILi2EEENS1_14UnaryOpFunctorIdLi2ELi1ELi1EEEJNS0_4ErfcIdEEEEEvT_T0_DpT1_,@function
_ZN2at6native12_GLOBAL__N_125multi_tensor_apply_kernelINS1_18TensorListMetadataILi2EEENS1_14UnaryOpFunctorIdLi2ELi1ELi1EEEJNS0_4ErfcIdEEEEEvT_T0_DpT1_: ; @_ZN2at6native12_GLOBAL__N_125multi_tensor_apply_kernelINS1_18TensorListMetadataILi2EEENS1_14UnaryOpFunctorIdLi2ELi1ELi1EEEJNS0_4ErfcIdEEEEEvT_T0_DpT1_
; %bb.0:
	v_mov_b32_e32 v1, s6
	global_load_ubyte v1, v1, s[4:5] offset:1536
	s_add_u32 s0, s4, s6
	s_mul_hi_u32 s2, s6, 3
	s_mul_i32 s6, s6, 3
	s_addc_u32 s9, s5, 0
	s_add_u32 s8, s0, s6
	s_addc_u32 s9, s9, s2
	s_load_dword s10, s[8:9], 0x740
	s_mov_b32 s1, 0
	s_mov_b32 s7, s1
	;; [unrolled: 1-line block ×3, first 2 shown]
	s_waitcnt lgkmcnt(0)
	s_ashr_i32 s11, s10, 31
	s_lshl_b64 s[8:9], s[10:11], 19
	s_waitcnt vmcnt(0)
	v_readfirstlane_b32 s0, v1
	s_lshl_b32 s0, s0, 3
	s_load_dwordx2 s[12:13], s[4:5], s0 offset:0x0
	s_load_dwordx2 s[16:17], s[4:5], s0 offset:0x400
	;; [unrolled: 1-line block ×3, first 2 shown]
	s_waitcnt lgkmcnt(0)
	s_add_u32 s33, s12, s8
	s_addc_u32 s94, s13, s9
	s_and_b32 s0, s33, 31
	s_add_u32 s95, s38, s8
	s_addc_u32 s14, s39, s9
	s_and_b32 s6, s16, 3
	s_and_b32 s2, s95, 31
	s_or_b64 s[6:7], s[0:1], s[6:7]
	s_or_b64 s[2:3], s[2:3], s[6:7]
	s_lshl_b64 s[6:7], s[10:11], 16
	s_sub_u32 s10, s16, s6
	s_subb_u32 s11, s17, s7
	s_cmp_eq_u64 s[2:3], 0
	s_mov_b64 s[2:3], -1
	s_cbranch_scc0 .LBB0_5
; %bb.1:
                                        ; implicit-def: $vgpr112 : SGPR spill to VGPR lane
	v_mov_b32_e32 v11, 0
	v_writelane_b32 v112, s38, 0
	v_lshlrev_b32_e32 v10, 2, v0
	v_writelane_b32 v112, s39, 1
	v_cmp_gt_i64_e32 vcc, s[10:11], v[10:11]
	s_mov_b64 s[2:3], exec
	v_writelane_b32 v112, s2, 2
	v_writelane_b32 v112, s3, 3
	s_and_b64 s[2:3], s[2:3], vcc
	s_mov_b64 exec, s[2:3]
	s_cbranch_execz .LBB0_4
; %bb.2:
	s_load_dword s0, s[4:5], 0xc5c
	s_mov_b32 s2, 0xfca7ab0c
	s_mov_b32 s3, 0x3e928af3
	v_pk_mov_b32 v[14:15], s[2:3], s[2:3] op_sel:[0,1]
	s_mov_b32 s2, 0x37cfa789
	s_waitcnt lgkmcnt(0)
	s_and_b32 s0, s0, 0xffff
	s_mov_b32 s18, 0x652b82fe
	s_mov_b32 s20, 0xfefa39ef
	s_mov_b32 s22, 0x3b39803f
	s_mov_b32 s24, 0x6a5dcb37
	s_mov_b32 s26, 0x623fde64
	s_mov_b32 s28, 0x7c89e6b0
	s_mov_b32 s30, 0x14761f6e
	s_mov_b32 s34, 0x1852b7b0
	s_mov_b32 s36, 0x11122322
	s_mov_b32 s38, 0x555502a1
	s_mov_b32 s40, 0x55555511
	s_mov_b32 s42, 11
	s_mov_b32 s44, 0
	s_mov_b32 s46, 0
	s_mov_b32 s3, 0xbe411663
	s_mov_b32 s48, 0x54df3c0e
	s_mov_b32 s50, 0xd9802b82
	s_mov_b32 s52, 0x8a03dcdb
	s_mov_b32 s54, 0x2eba62d8
	s_mov_b32 s56, 0xa56e15f1
	s_mov_b32 s58, 0x71c907de
	s_mov_b32 s60, 0x2cd770fb
	s_mov_b32 s62, 0x76d0a51a
	s_mov_b32 s64, 0xc022d0ed
	s_mov_b32 s66, 0x2fdbf62e
	s_mov_b32 s68, 0x3689fc43
	s_mov_b32 s70, 0x192d909b
	s_mov_b32 s72, 0x852ff070
	s_mov_b32 s74, 0xdfadea8f
	s_mov_b32 s76, 0xdff65910
	s_mov_b32 s78, 0x4de8f32
	s_mov_b32 s80, 0x3c3dbeb3
	s_mov_b32 s82, 0xfcfa6930
	s_mov_b32 s84, 0xf66fb8a3
	s_mov_b32 s86, 0xd154a2a8
	s_mov_b32 s88, 0xb74febf8
	s_mov_b32 s90, 0x41e48bfc
	v_lshlrev_b32_e32 v12, 5, v0
	s_mov_b64 s[16:17], 0
	v_add_lshl_u32 v10, v0, s0, 2
	s_lshl_b32 s15, s0, 2
	s_lshl_b32 s6, s0, 5
	s_mov_b32 s19, 0x3ff71547
	s_mov_b32 s21, 0xbfe62e42
	;; [unrolled: 1-line block ×13, first 2 shown]
	v_mov_b32_e32 v1, 0x7ff00000
	s_mov_b32 s47, 0xc090cc00
	s_mov_b32 s49, 0xbe41f39d
	v_pk_mov_b32 v[16:17], s[2:3], s[2:3] op_sel:[0,1]
	s_mov_b32 s51, 0x3e7b45f1
	s_mov_b32 s53, 0x3e6d9048
	;; [unrolled: 1-line block ×21, first 2 shown]
	s_mov_b64 s[92:93], 0xffff
	v_mov_b32_e32 v13, s1
.LBB0_3:                                ; =>This Inner Loop Header: Depth=1
	v_cmp_le_i64_e32 vcc, s[10:11], v[10:11]
	v_cmp_lt_u64_e64 s[0:1], s[92:93], v[10:11]
	v_add_co_u32_e64 v10, s[2:3], s15, v10
	v_addc_co_u32_e64 v11, s[2:3], v11, v13, s[2:3]
	v_mov_b32_e32 v2, s94
	v_add_co_u32_e64 v6, s[2:3], s33, v12
	v_addc_co_u32_e64 v7, s[2:3], 0, v2, s[2:3]
	v_mov_b32_e32 v3, s14
	v_add_co_u32_e64 v18, s[2:3], s95, v12
	v_addc_co_u32_e64 v19, s[2:3], 0, v3, s[2:3]
	global_load_dwordx4 v[2:5], v[6:7], off
	s_nop 0
	global_load_dwordx4 v[6:9], v[6:7], off offset:16
	s_or_b64 s[2:3], vcc, s[0:1]
	s_waitcnt vmcnt(1)
	v_mul_f64 v[36:37], v[2:3], -v[2:3]
	v_add_f64 v[40:41], |v[2:3]|, 4.0
	v_add_f64 v[20:21], |v[2:3]|, |v[2:3]|
	s_waitcnt vmcnt(0)
	v_add_f64 v[52:53], |v[6:7]|, 4.0
	v_mul_f64 v[48:49], v[6:7], -v[6:7]
	v_mul_f64 v[28:29], v[36:37], s[18:19]
	v_rcp_f64_e32 v[62:63], v[40:41]
	v_add_f64 v[64:65], v[20:21], 1.0
	v_rcp_f64_e32 v[70:71], v[52:53]
	v_mul_f64 v[42:43], v[4:5], -v[4:5]
	v_add_f64 v[46:47], |v[4:5]|, 4.0
	v_add_f64 v[22:23], |v[4:5]|, |v[4:5]|
	v_add_f64 v[58:59], |v[8:9]|, 4.0
	v_mul_f64 v[32:33], v[48:49], s[18:19]
	v_rndne_f64_e32 v[84:85], v[28:29]
	v_rcp_f64_e32 v[28:29], v[64:65]
	v_mul_f64 v[54:55], v[8:9], -v[8:9]
	v_mul_f64 v[30:31], v[42:43], s[18:19]
	v_rcp_f64_e32 v[66:67], v[46:47]
	v_add_f64 v[68:69], v[22:23], 1.0
	v_rcp_f64_e32 v[74:75], v[58:59]
	v_rndne_f64_e32 v[88:89], v[32:33]
	v_fma_f64 v[92:93], s[20:21], v[84:85], v[36:37]
	v_add_f64 v[24:25], |v[6:7]|, |v[6:7]|
	v_mul_f64 v[34:35], v[54:55], s[18:19]
	v_rndne_f64_e32 v[86:87], v[30:31]
	v_rcp_f64_e32 v[30:31], v[68:69]
	v_fma_f64 v[96:97], s[20:21], v[88:89], v[48:49]
	v_fmac_f64_e32 v[92:93], s[22:23], v[84:85]
	v_add_f64 v[72:73], v[24:25], 1.0
	v_rndne_f64_e32 v[90:91], v[34:35]
	v_cvt_i32_f64_e32 v108, v[84:85]
	v_fma_f64 v[94:95], s[20:21], v[86:87], v[42:43]
	v_cvt_i32_f64_e32 v110, v[88:89]
	v_fmac_f64_e32 v[96:97], s[22:23], v[88:89]
	v_fma_f64 v[84:85], -v[40:41], v[62:63], 1.0
	v_fma_f64 v[88:89], -v[52:53], v[70:71], 1.0
	v_fma_f64 v[100:101], s[24:25], v[92:93], v[14:15]
	v_add_f64 v[26:27], |v[8:9]|, |v[8:9]|
	v_rcp_f64_e32 v[32:33], v[72:73]
	v_fma_f64 v[98:99], s[20:21], v[90:91], v[54:55]
	v_fmac_f64_e32 v[94:95], s[22:23], v[86:87]
	v_fmac_f64_e32 v[62:63], v[84:85], v[62:63]
	;; [unrolled: 1-line block ×3, first 2 shown]
	v_fma_f64 v[84:85], -v[64:65], v[28:29], 1.0
	v_fma_f64 v[100:101], v[92:93], v[100:101], s[26:27]
	v_add_f64 v[76:77], v[26:27], 1.0
	v_cvt_i32_f64_e32 v109, v[86:87]
	v_cvt_i32_f64_e32 v111, v[90:91]
	v_fmac_f64_e32 v[98:99], s[22:23], v[90:91]
	v_fma_f64 v[86:87], -v[46:47], v[66:67], 1.0
	v_fma_f64 v[90:91], -v[58:59], v[74:75], 1.0
	v_fma_f64 v[102:103], s[24:25], v[94:95], v[14:15]
	v_fmac_f64_e32 v[28:29], v[84:85], v[28:29]
	v_fma_f64 v[40:41], -v[40:41], v[62:63], 1.0
	v_fma_f64 v[52:53], -v[52:53], v[70:71], 1.0
	v_fma_f64 v[84:85], v[92:93], v[100:101], s[28:29]
	v_rcp_f64_e32 v[34:35], v[76:77]
	v_fmac_f64_e32 v[66:67], v[86:87], v[66:67]
	v_fmac_f64_e32 v[74:75], v[90:91], v[74:75]
	v_fma_f64 v[86:87], -v[68:69], v[30:31], 1.0
	v_fma_f64 v[102:103], v[94:95], v[102:103], s[26:27]
	v_fmac_f64_e32 v[62:63], v[40:41], v[62:63]
	v_fmac_f64_e32 v[70:71], v[52:53], v[70:71]
	v_fma_f64 v[40:41], -v[64:65], v[28:29], 1.0
	v_fma_f64 v[52:53], v[92:93], v[84:85], s[30:31]
	v_fma_f64 v[104:105], s[24:25], v[96:97], v[14:15]
	v_fmac_f64_e32 v[30:31], v[86:87], v[30:31]
	v_fma_f64 v[46:47], -v[46:47], v[66:67], 1.0
	v_fma_f64 v[58:59], -v[58:59], v[74:75], 1.0
	v_fma_f64 v[86:87], v[94:95], v[102:103], s[28:29]
	v_fmac_f64_e32 v[28:29], v[40:41], v[28:29]
	v_fma_f64 v[40:41], v[92:93], v[52:53], s[34:35]
	v_fma_f64 v[88:89], -v[72:73], v[32:33], 1.0
	v_fma_f64 v[104:105], v[96:97], v[104:105], s[26:27]
	v_fmac_f64_e32 v[66:67], v[46:47], v[66:67]
	v_fmac_f64_e32 v[74:75], v[58:59], v[74:75]
	v_fma_f64 v[46:47], -v[68:69], v[30:31], 1.0
	v_fma_f64 v[58:59], v[94:95], v[86:87], s[30:31]
	v_fma_f64 v[40:41], v[92:93], v[40:41], s[36:37]
	;; [unrolled: 1-line block ×3, first 2 shown]
	v_fmac_f64_e32 v[32:33], v[88:89], v[32:33]
	v_fma_f64 v[88:89], v[96:97], v[104:105], s[28:29]
	v_fmac_f64_e32 v[30:31], v[46:47], v[30:31]
	v_fma_f64 v[46:47], v[94:95], v[58:59], s[34:35]
	v_fma_f64 v[40:41], v[92:93], v[40:41], s[38:39]
	v_fma_f64 v[90:91], -v[76:77], v[34:35], 1.0
	v_fma_f64 v[106:107], v[98:99], v[106:107], s[26:27]
	v_fma_f64 v[64:65], v[96:97], v[88:89], s[30:31]
	;; [unrolled: 1-line block ×4, first 2 shown]
	v_add_f64 v[38:39], |v[2:3]|, -4.0
	v_fmac_f64_e32 v[34:35], v[90:91], v[34:35]
	v_fma_f64 v[90:91], v[98:99], v[106:107], s[28:29]
	v_fma_f64 v[52:53], v[96:97], v[64:65], s[34:35]
	;; [unrolled: 1-line block ×4, first 2 shown]
	v_add_f64 v[44:45], |v[4:5]|, -4.0
	v_add_f64 v[50:51], |v[6:7]|, -4.0
	v_fma_f64 v[68:69], -v[72:73], v[32:33], 1.0
	v_fma_f64 v[72:73], v[98:99], v[90:91], s[30:31]
	v_mul_f64 v[38:39], v[38:39], v[62:63]
	v_fma_f64 v[52:53], v[96:97], v[52:53], s[36:37]
	v_fma_f64 v[46:47], v[94:95], v[46:47], s[40:41]
	v_fma_f64 v[40:41], v[92:93], v[40:41], 1.0
	v_add_f64 v[56:57], |v[8:9]|, -4.0
	v_mul_f64 v[44:45], v[44:45], v[66:67]
	v_mul_f64 v[50:51], v[50:51], v[70:71]
	v_fma_f64 v[58:59], v[98:99], v[72:73], s[34:35]
	v_add_f64 v[64:65], v[38:39], 1.0
	v_fma_f64 v[52:53], v[96:97], v[52:53], s[38:39]
	v_fma_f64 v[46:47], v[94:95], v[46:47], s[42:43]
	v_fma_f64 v[40:41], v[92:93], v[40:41], 1.0
	v_fma_f64 v[76:77], -v[76:77], v[34:35], 1.0
	v_fmac_f64_e32 v[32:33], v[68:69], v[32:33]
	v_mul_f64 v[56:57], v[56:57], v[74:75]
	v_add_f64 v[68:69], v[44:45], 1.0
	v_add_f64 v[72:73], v[50:51], 1.0
	v_fma_f64 v[58:59], v[98:99], v[58:59], s[36:37]
	v_fma_f64 v[64:65], v[64:65], -4.0, |v[2:3]|
	v_fma_f64 v[52:53], v[96:97], v[52:53], s[40:41]
	v_fma_f64 v[46:47], v[94:95], v[46:47], 1.0
	v_ldexp_f64 v[40:41], v[40:41], v108
	v_cmp_nlt_f64_e32 vcc, s[44:45], v[36:37]
	v_fmac_f64_e32 v[34:35], v[76:77], v[34:35]
	v_add_f64 v[76:77], v[56:57], 1.0
	v_fma_f64 v[68:69], v[68:69], -4.0, |v[4:5]|
	v_fma_f64 v[72:73], v[72:73], -4.0, |v[6:7]|
	v_fma_f64 v[58:59], v[98:99], v[58:59], s[38:39]
	v_fma_f64 v[64:65], -v[38:39], |v[2:3]|, v[64:65]
	v_fma_f64 v[52:53], v[96:97], v[52:53], s[42:43]
	v_fma_f64 v[46:47], v[94:95], v[46:47], 1.0
	v_cndmask_b32_e32 v41, v1, v41, vcc
	v_cmp_ngt_f64_e64 s[0:1], s[46:47], v[36:37]
	v_fma_f64 v[60:61], -v[2:3], v[2:3], -v[36:37]
	v_fma_f64 v[76:77], v[76:77], -4.0, |v[8:9]|
	v_fma_f64 v[68:69], -v[44:45], |v[4:5]|, v[68:69]
	v_fma_f64 v[72:73], -v[50:51], |v[6:7]|, v[72:73]
	v_fma_f64 v[58:59], v[98:99], v[58:59], s[40:41]
	v_fmac_f64_e32 v[38:39], v[62:63], v[64:65]
	v_fma_f64 v[52:53], v[96:97], v[52:53], 1.0
	v_ldexp_f64 v[46:47], v[46:47], v109
	v_cndmask_b32_e64 v37, 0, v41, s[0:1]
	s_and_b64 vcc, s[0:1], vcc
	v_cmp_nlt_f64_e64 s[0:1], s[44:45], v[42:43]
	v_fma_f64 v[76:77], -v[56:57], |v[8:9]|, v[76:77]
	v_fmac_f64_e32 v[44:45], v[66:67], v[68:69]
	v_fmac_f64_e32 v[50:51], v[70:71], v[72:73]
	v_fma_f64 v[58:59], v[98:99], v[58:59], s[42:43]
	v_fma_f64 v[62:63], s[48:49], v[38:39], v[16:17]
	v_fma_f64 v[52:53], v[96:97], v[52:53], 1.0
	v_cndmask_b32_e64 v41, v1, v47, s[0:1]
	v_cndmask_b32_e32 v36, 0, v40, vcc
	v_cmp_ngt_f64_e32 vcc, s[46:47], v[42:43]
	v_fmac_f64_e32 v[56:57], v[74:75], v[76:77]
	v_fma_f64 v[64:65], s[48:49], v[44:45], v[16:17]
	v_fma_f64 v[66:67], s[48:49], v[50:51], v[16:17]
	v_fma_f64 v[58:59], v[98:99], v[58:59], 1.0
	v_fma_f64 v[62:63], v[38:39], v[62:63], s[50:51]
	v_ldexp_f64 v[52:53], v[52:53], v110
	v_cndmask_b32_e32 v41, 0, v41, vcc
	s_and_b64 vcc, vcc, s[0:1]
	v_cmp_nlt_f64_e64 s[0:1], s[44:45], v[48:49]
	v_fma_f64 v[78:79], -v[4:5], v[4:5], -v[42:43]
	v_fma_f64 v[68:69], s[48:49], v[56:57], v[16:17]
	v_fma_f64 v[64:65], v[44:45], v[64:65], s[50:51]
	;; [unrolled: 1-line block ×3, first 2 shown]
	v_fma_f64 v[58:59], v[98:99], v[58:59], 1.0
	v_fma_f64 v[62:63], v[38:39], v[62:63], s[52:53]
	v_cndmask_b32_e64 v42, v1, v53, s[0:1]
	v_cndmask_b32_e32 v40, 0, v46, vcc
	v_cmp_ngt_f64_e32 vcc, s[46:47], v[48:49]
	v_fma_f64 v[68:69], v[56:57], v[68:69], s[50:51]
	v_fma_f64 v[64:65], v[44:45], v[64:65], s[52:53]
	;; [unrolled: 1-line block ×3, first 2 shown]
	v_ldexp_f64 v[58:59], v[58:59], v111
	v_cndmask_b32_e32 v43, 0, v42, vcc
	s_and_b64 vcc, vcc, s[0:1]
	v_cmp_nlt_f64_e64 s[0:1], s[44:45], v[54:55]
	v_fma_f64 v[46:47], v[38:39], v[62:63], s[54:55]
	v_fma_f64 v[80:81], -v[6:7], v[6:7], -v[48:49]
	v_fma_f64 v[68:69], v[56:57], v[68:69], s[52:53]
	v_fma_f64 v[48:49], v[44:45], v[64:65], s[54:55]
	;; [unrolled: 1-line block ×3, first 2 shown]
	v_cndmask_b32_e64 v59, v1, v59, s[0:1]
	v_cndmask_b32_e32 v42, 0, v52, vcc
	v_cmp_ngt_f64_e32 vcc, s[46:47], v[54:55]
	v_fma_f64 v[46:47], v[38:39], v[46:47], s[56:57]
	v_fma_f64 v[82:83], -v[8:9], v[8:9], -v[54:55]
	v_fma_f64 v[64:65], v[56:57], v[68:69], s[54:55]
	v_fma_f64 v[48:49], v[44:45], v[48:49], s[56:57]
	;; [unrolled: 1-line block ×3, first 2 shown]
	v_cndmask_b32_e32 v55, 0, v59, vcc
	s_and_b64 vcc, vcc, s[0:1]
	v_fma_f64 v[46:47], v[38:39], v[46:47], s[58:59]
	v_cndmask_b32_e32 v54, 0, v58, vcc
	v_fma_f64 v[58:59], v[56:57], v[64:65], s[56:57]
	v_fma_f64 v[48:49], v[44:45], v[48:49], s[58:59]
	;; [unrolled: 1-line block ×60, first 2 shown]
	s_add_u32 s33, s33, s6
	v_fma_f64 v[58:59], v[56:57], v[58:59], s[86:87]
	v_fma_f64 v[44:45], v[44:45], v[48:49], s[88:89]
	;; [unrolled: 1-line block ×4, first 2 shown]
	s_addc_u32 s94, s94, 0
	v_fma_f64 v[48:49], v[56:57], v[58:59], s[88:89]
	v_fma_f64 v[52:53], v[44:45], v[30:31], v[30:31]
	v_fma_f64 v[20:21], -v[50:51], v[20:21], 1.0
	v_add_f64 v[38:39], v[38:39], -v[50:51]
	s_add_u32 s95, s95, s6
	v_fma_f64 v[56:57], v[46:47], v[32:33], v[32:33]
	v_fma_f64 v[58:59], v[48:49], v[34:35], v[34:35]
	v_fma_f64 v[22:23], -v[52:53], v[22:23], 1.0
	v_add_f64 v[44:45], v[44:45], -v[52:53]
	v_add_f64 v[20:21], v[20:21], v[38:39]
	v_fmac_f64_e32 v[36:37], v[36:37], v[60:61]
	s_addc_u32 s14, s14, 0
	v_fma_f64 v[24:25], -v[56:57], v[24:25], 1.0
	v_add_f64 v[46:47], v[46:47], -v[56:57]
	v_fma_f64 v[26:27], -v[58:59], v[26:27], 1.0
	v_add_f64 v[48:49], v[48:49], -v[58:59]
	v_add_f64 v[22:23], v[22:23], v[44:45]
	v_fmac_f64_e32 v[50:51], v[28:29], v[20:21]
	v_fmac_f64_e32 v[40:41], v[40:41], v[78:79]
	s_and_b64 s[0:1], exec, s[2:3]
	v_add_f64 v[24:25], v[24:25], v[46:47]
	v_add_f64 v[26:27], v[26:27], v[48:49]
	v_fmac_f64_e32 v[52:53], v[30:31], v[22:23]
	v_mul_f64 v[20:21], v[36:37], v[50:51]
	v_cmp_ngt_f64_e64 s[2:3], |v[2:3]|, s[90:91]
	v_fmac_f64_e32 v[42:43], v[42:43], v[80:81]
	v_fmac_f64_e32 v[54:55], v[54:55], v[82:83]
	;; [unrolled: 1-line block ×4, first 2 shown]
	v_mul_f64 v[22:23], v[40:41], v[52:53]
	v_cndmask_b32_e64 v21, 0, v21, s[2:3]
	v_cndmask_b32_e64 v20, 0, v20, s[2:3]
	v_cmp_ngt_f64_e64 s[2:3], |v[4:5]|, s[90:91]
	s_or_b64 s[16:17], s[0:1], s[16:17]
	v_mul_f64 v[24:25], v[42:43], v[56:57]
	v_cmp_ngt_f64_e64 vcc, |v[6:7]|, s[90:91]
	v_mul_f64 v[26:27], v[54:55], v[58:59]
	v_cmp_ngt_f64_e64 s[0:1], |v[8:9]|, s[90:91]
	v_cndmask_b32_e64 v23, 0, v23, s[2:3]
	v_cndmask_b32_e64 v22, 0, v22, s[2:3]
	v_add_f64 v[28:29], -v[20:21], 2.0
	v_cmp_gt_f64_e64 s[2:3], 0, v[2:3]
	v_cndmask_b32_e32 v25, 0, v25, vcc
	v_cndmask_b32_e32 v24, 0, v24, vcc
	v_cndmask_b32_e64 v27, 0, v27, s[0:1]
	v_cndmask_b32_e64 v26, 0, v26, s[0:1]
	v_add_f64 v[30:31], -v[22:23], 2.0
	v_cndmask_b32_e64 v3, v21, v29, s[2:3]
	v_cndmask_b32_e64 v2, v20, v28, s[2:3]
	v_cmp_gt_f64_e64 s[2:3], 0, v[4:5]
	v_add_f64 v[32:33], -v[24:25], 2.0
	v_cmp_gt_f64_e32 vcc, 0, v[6:7]
	v_add_f64 v[34:35], -v[26:27], 2.0
	v_cmp_gt_f64_e64 s[0:1], 0, v[8:9]
	v_cndmask_b32_e64 v5, v23, v31, s[2:3]
	v_cndmask_b32_e64 v4, v22, v30, s[2:3]
	v_cndmask_b32_e32 v7, v25, v33, vcc
	v_cndmask_b32_e32 v6, v24, v32, vcc
	v_cndmask_b32_e64 v9, v27, v35, s[0:1]
	v_cndmask_b32_e64 v8, v26, v34, s[0:1]
	global_store_dwordx4 v[18:19], v[2:5], off
	global_store_dwordx4 v[18:19], v[6:9], off offset:16
	s_andn2_b64 exec, exec, s[16:17]
	s_cbranch_execnz .LBB0_3
.LBB0_4:
	v_readlane_b32 s0, v112, 2
	v_readlane_b32 s1, v112, 3
	s_or_b64 exec, exec, s[0:1]
	v_readlane_b32 s38, v112, 0
	s_mov_b64 s[2:3], 0
	v_readlane_b32 s39, v112, 1
.LBB0_5:
	s_andn2_b64 vcc, exec, s[2:3]
	s_cbranch_vccnz .LBB0_25
; %bb.6:
	v_cmp_lt_i64_e64 s[0:1], s[10:11], 1
	s_and_b64 vcc, exec, s[0:1]
	s_cbranch_vccnz .LBB0_25
; %bb.7:
	s_load_dword s0, s[4:5], 0xc5c
	v_mov_b32_e32 v2, 0x10000
	v_mov_b32_e32 v75, 0
	;; [unrolled: 1-line block ×3, first 2 shown]
	v_lshlrev_b32_e32 v74, 3, v0
	s_waitcnt lgkmcnt(0)
	s_and_b32 s2, s0, 0xffff
	v_cmp_lt_u64_e32 vcc, s[10:11], v[2:3]
	v_mad_u64_u32 v[4:5], s[0:1], s2, 24, v[74:75]
	s_and_b64 s[0:1], vcc, exec
	v_mov_b32_e32 v71, s13
	v_add_co_u32_e32 v2, vcc, s12, v4
	v_addc_co_u32_e32 v1, vcc, v71, v5, vcc
	v_mov_b32_e32 v78, s39
	v_add_co_u32_e32 v4, vcc, s38, v4
	s_mul_i32 s4, s2, 3
	v_addc_co_u32_e32 v3, vcc, v78, v5, vcc
	s_cselect_b32 s15, s11, 0
	s_cselect_b32 s14, s10, 0x10000
	s_lshl_b32 s5, s2, 4
	v_add_co_u32_e32 v77, vcc, s4, v0
	v_addc_co_u32_e64 v86, s[0:1], 0, 0, vcc
	v_add_co_u32_e32 v67, vcc, s5, v74
	v_addc_co_u32_e64 v69, s[0:1], 0, 0, vcc
	v_add_co_u32_e32 v66, vcc, s12, v67
	v_addc_co_u32_e32 v5, vcc, v71, v69, vcc
	v_add_co_u32_e32 v68, vcc, s38, v67
	s_lshl_b32 s3, s2, 1
	v_addc_co_u32_e32 v67, vcc, v78, v69, vcc
	v_add_co_u32_e32 v87, vcc, s3, v0
	v_addc_co_u32_e64 v88, s[0:1], 0, 0, vcc
	v_add_co_u32_e32 v89, vcc, s2, v0
	v_addc_co_u32_e64 v90, s[0:1], 0, 0, vcc
	v_add_co_u32_e32 v70, vcc, s12, v74
	v_lshlrev_b32_e32 v75, 3, v89
	v_addc_co_u32_e32 v69, vcc, 0, v71, vcc
	v_add_co_u32_e32 v72, vcc, s12, v75
	v_addc_co_u32_e32 v71, vcc, 0, v71, vcc
	v_add_co_u32_e32 v74, vcc, s38, v74
	v_addc_co_u32_e32 v73, vcc, 0, v78, vcc
	s_mov_b32 s18, 0x652b82fe
	s_mov_b32 s20, 0xfefa39ef
	;; [unrolled: 1-line block ×8, first 2 shown]
	v_add_co_u32_e32 v76, vcc, s38, v75
	s_mov_b32 s33, 0
	s_lshl_b32 s36, s2, 2
	s_lshl_b32 s37, s2, 5
	s_mov_b64 s[16:17], 0
	s_mov_b32 s19, 0x3ff71547
	s_mov_b32 s21, 0xbfe62e42
	;; [unrolled: 1-line block ×8, first 2 shown]
	v_mov_b32_e32 v6, 0xfca7ab0c
	v_mov_b32_e32 v7, 0x3e928af3
	;; [unrolled: 1-line block ×60, first 2 shown]
	v_addc_co_u32_e32 v75, vcc, 0, v78, vcc
	v_mov_b32_e32 v91, 0x7ff00000
	s_branch .LBB0_9
.LBB0_8:                                ;   in Loop: Header=BB0_9 Depth=1
	s_or_b64 exec, exec, s[2:3]
	s_add_u32 s16, s16, s36
	s_addc_u32 s17, s17, 0
	s_waitcnt vmcnt(0)
	v_pk_mov_b32 v[78:79], s[10:11], s[10:11] op_sel:[0,1]
	v_cmp_ge_i64_e32 vcc, s[16:17], v[78:79]
	v_mov_b32_e32 v78, 0xffff
	v_mov_b32_e32 v79, 0
	v_cmp_gt_u64_e64 s[0:1], s[16:17], v[78:79]
	s_or_b64 s[0:1], vcc, s[0:1]
	v_mov_b32_e32 v78, s33
	v_add_co_u32_e32 v70, vcc, s37, v70
	v_addc_co_u32_e32 v69, vcc, v69, v78, vcc
	v_add_co_u32_e32 v74, vcc, s37, v74
	v_addc_co_u32_e32 v73, vcc, v73, v78, vcc
	;; [unrolled: 2-line block ×8, first 2 shown]
	s_and_b64 vcc, exec, s[0:1]
	s_cbranch_vccnz .LBB0_25
.LBB0_9:                                ; =>This Inner Loop Header: Depth=1
	v_mov_b32_e32 v79, s17
	v_add_co_u32_e32 v78, vcc, s16, v0
	v_addc_co_u32_e32 v79, vcc, 0, v79, vcc
	v_pk_mov_b32 v[82:83], 0, 0
	v_cmp_gt_u64_e64 s[4:5], s[14:15], v[78:79]
	v_pk_mov_b32 v[84:85], v[82:83], v[82:83] op_sel:[0,1]
	s_and_saveexec_b64 s[0:1], s[4:5]
	s_cbranch_execz .LBB0_11
; %bb.10:                               ;   in Loop: Header=BB0_9 Depth=1
	v_mov_b32_e32 v79, s9
	v_add_co_u32_e32 v78, vcc, s8, v70
	v_addc_co_u32_e32 v79, vcc, v69, v79, vcc
	global_load_dwordx2 v[84:85], v[78:79], off
.LBB0_11:                               ;   in Loop: Header=BB0_9 Depth=1
	s_or_b64 exec, exec, s[0:1]
	v_mov_b32_e32 v79, s17
	v_add_co_u32_e32 v78, vcc, s16, v89
	v_addc_co_u32_e32 v79, vcc, v90, v79, vcc
	v_cmp_gt_u64_e64 s[2:3], s[14:15], v[78:79]
	s_and_saveexec_b64 s[0:1], s[2:3]
	s_cbranch_execz .LBB0_13
; %bb.12:                               ;   in Loop: Header=BB0_9 Depth=1
	v_mov_b32_e32 v79, s9
	v_add_co_u32_e32 v78, vcc, s8, v72
	v_addc_co_u32_e32 v79, vcc, v71, v79, vcc
	global_load_dwordx2 v[82:83], v[78:79], off
.LBB0_13:                               ;   in Loop: Header=BB0_9 Depth=1
	s_or_b64 exec, exec, s[0:1]
	v_mov_b32_e32 v79, s17
	v_add_co_u32_e32 v78, vcc, s16, v87
	v_addc_co_u32_e32 v79, vcc, v88, v79, vcc
	v_cmp_gt_u64_e64 s[0:1], s[14:15], v[78:79]
	v_pk_mov_b32 v[78:79], 0, 0
	v_pk_mov_b32 v[80:81], v[78:79], v[78:79] op_sel:[0,1]
	s_and_saveexec_b64 s[6:7], s[0:1]
	s_cbranch_execz .LBB0_15
; %bb.14:                               ;   in Loop: Header=BB0_9 Depth=1
	v_mov_b32_e32 v81, s9
	v_add_co_u32_e32 v80, vcc, s8, v66
	v_addc_co_u32_e32 v81, vcc, v5, v81, vcc
	global_load_dwordx2 v[80:81], v[80:81], off
.LBB0_15:                               ;   in Loop: Header=BB0_9 Depth=1
	s_or_b64 exec, exec, s[6:7]
	v_mov_b32_e32 v93, s17
	v_add_co_u32_e32 v92, vcc, s16, v77
	v_addc_co_u32_e32 v93, vcc, v86, v93, vcc
	v_cmp_gt_u64_e32 vcc, s[14:15], v[92:93]
	s_and_saveexec_b64 s[12:13], vcc
	s_cbranch_execnz .LBB0_20
; %bb.16:                               ;   in Loop: Header=BB0_9 Depth=1
	s_or_b64 exec, exec, s[12:13]
	s_and_saveexec_b64 s[12:13], s[4:5]
	s_cbranch_execnz .LBB0_21
.LBB0_17:                               ;   in Loop: Header=BB0_9 Depth=1
	s_or_b64 exec, exec, s[12:13]
	s_and_saveexec_b64 s[6:7], s[2:3]
	s_cbranch_execnz .LBB0_22
.LBB0_18:                               ;   in Loop: Header=BB0_9 Depth=1
	s_or_b64 exec, exec, s[6:7]
	s_and_saveexec_b64 s[4:5], s[0:1]
	s_cbranch_execnz .LBB0_23
.LBB0_19:                               ;   in Loop: Header=BB0_9 Depth=1
	s_or_b64 exec, exec, s[4:5]
	s_and_saveexec_b64 s[2:3], vcc
	s_cbranch_execz .LBB0_8
	s_branch .LBB0_24
.LBB0_20:                               ;   in Loop: Header=BB0_9 Depth=1
	v_mov_b32_e32 v79, s9
	v_add_co_u32_e64 v78, s[6:7], s8, v2
	v_addc_co_u32_e64 v79, s[6:7], v1, v79, s[6:7]
	global_load_dwordx2 v[78:79], v[78:79], off
	s_or_b64 exec, exec, s[12:13]
	s_and_saveexec_b64 s[12:13], s[4:5]
	s_cbranch_execz .LBB0_17
.LBB0_21:                               ;   in Loop: Header=BB0_9 Depth=1
	s_waitcnt vmcnt(0)
	v_mul_f64 v[92:93], v[84:85], -v[84:85]
	v_mul_f64 v[94:95], v[92:93], s[18:19]
	v_rndne_f64_e32 v[94:95], v[94:95]
	v_fma_f64 v[96:97], s[20:21], v[94:95], v[92:93]
	v_fmac_f64_e32 v[96:97], s[22:23], v[94:95]
	v_pk_mov_b32 v[98:99], v[6:7], v[6:7] op_sel:[0,1]
	v_fmac_f64_e32 v[98:99], s[24:25], v[96:97]
	v_pk_mov_b32 v[100:101], v[8:9], v[8:9] op_sel:[0,1]
	;; [unrolled: 2-line block ×9, first 2 shown]
	v_fmac_f64_e32 v[98:99], v[96:97], v[100:101]
	v_fma_f64 v[98:99], v[96:97], v[98:99], 1.0
	v_fma_f64 v[96:97], v[96:97], v[98:99], 1.0
	v_cvt_i32_f64_e32 v94, v[94:95]
	v_ldexp_f64 v[94:95], v[96:97], v94
	v_add_f64 v[96:97], |v[84:85]|, |v[84:85]|
	v_add_f64 v[98:99], v[96:97], 1.0
	v_rcp_f64_e32 v[100:101], v[98:99]
	v_cmp_nlt_f64_e64 s[4:5], s[26:27], v[92:93]
	v_cmp_ngt_f64_e64 s[6:7], s[28:29], v[92:93]
	v_cndmask_b32_e64 v95, v91, v95, s[4:5]
	s_and_b64 s[4:5], s[6:7], s[4:5]
	v_add_f64 v[102:103], |v[84:85]|, 4.0
	v_cndmask_b32_e64 v95, 0, v95, s[6:7]
	v_cndmask_b32_e64 v94, 0, v94, s[4:5]
	v_fma_f64 v[92:93], -v[84:85], v[84:85], -v[92:93]
	v_rcp_f64_e32 v[104:105], v[102:103]
	v_fmac_f64_e32 v[94:95], v[94:95], v[92:93]
	v_fma_f64 v[92:93], -v[98:99], v[100:101], 1.0
	v_fmac_f64_e32 v[100:101], v[92:93], v[100:101]
	v_fma_f64 v[92:93], -v[98:99], v[100:101], 1.0
	;; [unrolled: 2-line block ×4, first 2 shown]
	v_fmac_f64_e32 v[104:105], v[92:93], v[104:105]
	v_add_f64 v[92:93], |v[84:85]|, -4.0
	v_mul_f64 v[92:93], v[92:93], v[104:105]
	v_add_f64 v[98:99], v[92:93], 1.0
	v_fma_f64 v[98:99], v[98:99], -4.0, |v[84:85]|
	v_fma_f64 v[98:99], -v[92:93], |v[84:85]|, v[98:99]
	v_fmac_f64_e32 v[92:93], v[104:105], v[98:99]
	v_pk_mov_b32 v[98:99], v[24:25], v[24:25] op_sel:[0,1]
	v_fmac_f64_e32 v[98:99], s[30:31], v[92:93]
	v_pk_mov_b32 v[102:103], v[26:27], v[26:27] op_sel:[0,1]
	;; [unrolled: 2-line block ×21, first 2 shown]
	v_fmac_f64_e32 v[98:99], v[92:93], v[102:103]
	v_fma_f64 v[92:93], v[98:99], v[100:101], v[100:101]
	v_fma_f64 v[96:97], -v[92:93], v[96:97], 1.0
	v_add_f64 v[98:99], v[98:99], -v[92:93]
	v_add_f64 v[96:97], v[96:97], v[98:99]
	v_fmac_f64_e32 v[92:93], v[100:101], v[96:97]
	v_mul_f64 v[92:93], v[94:95], v[92:93]
	v_cmp_ngt_f64_e64 s[4:5], |v[84:85]|, s[34:35]
	v_cndmask_b32_e64 v93, 0, v93, s[4:5]
	v_cndmask_b32_e64 v92, 0, v92, s[4:5]
	v_add_f64 v[94:95], -v[92:93], 2.0
	v_cmp_gt_f64_e64 s[4:5], 0, v[84:85]
	v_cndmask_b32_e64 v85, v93, v95, s[4:5]
	v_cndmask_b32_e64 v84, v92, v94, s[4:5]
	v_mov_b32_e32 v93, s9
	v_add_co_u32_e64 v92, s[4:5], s8, v74
	v_addc_co_u32_e64 v93, s[4:5], v73, v93, s[4:5]
	global_store_dwordx2 v[92:93], v[84:85], off
	s_or_b64 exec, exec, s[12:13]
	s_and_saveexec_b64 s[6:7], s[2:3]
	s_cbranch_execz .LBB0_18
.LBB0_22:                               ;   in Loop: Header=BB0_9 Depth=1
	s_waitcnt vmcnt(0)
	v_mul_f64 v[84:85], v[82:83], -v[82:83]
	v_mul_f64 v[94:95], v[84:85], s[18:19]
	v_rndne_f64_e32 v[94:95], v[94:95]
	v_fma_f64 v[96:97], s[20:21], v[94:95], v[84:85]
	v_fmac_f64_e32 v[96:97], s[22:23], v[94:95]
	v_pk_mov_b32 v[98:99], v[6:7], v[6:7] op_sel:[0,1]
	v_fmac_f64_e32 v[98:99], s[24:25], v[96:97]
	v_pk_mov_b32 v[100:101], v[8:9], v[8:9] op_sel:[0,1]
	;; [unrolled: 2-line block ×9, first 2 shown]
	v_fmac_f64_e32 v[98:99], v[96:97], v[100:101]
	v_fma_f64 v[98:99], v[96:97], v[98:99], 1.0
	v_fma_f64 v[96:97], v[96:97], v[98:99], 1.0
	v_cvt_i32_f64_e32 v94, v[94:95]
	v_ldexp_f64 v[94:95], v[96:97], v94
	v_add_f64 v[96:97], |v[82:83]|, 4.0
	v_rcp_f64_e32 v[98:99], v[96:97]
	v_cmp_nlt_f64_e64 s[2:3], s[26:27], v[84:85]
	v_cmp_ngt_f64_e64 s[4:5], s[28:29], v[84:85]
	v_cndmask_b32_e64 v95, v91, v95, s[2:3]
	s_and_b64 s[2:3], s[4:5], s[2:3]
	v_fma_f64 v[92:93], -v[82:83], v[82:83], -v[84:85]
	v_cndmask_b32_e64 v85, 0, v95, s[4:5]
	v_cndmask_b32_e64 v84, 0, v94, s[2:3]
	v_fma_f64 v[94:95], -v[96:97], v[98:99], 1.0
	v_fmac_f64_e32 v[98:99], v[94:95], v[98:99]
	v_fma_f64 v[94:95], -v[96:97], v[98:99], 1.0
	v_fmac_f64_e32 v[84:85], v[84:85], v[92:93]
	v_add_f64 v[92:93], |v[82:83]|, -4.0
	v_fmac_f64_e32 v[98:99], v[94:95], v[98:99]
	v_mul_f64 v[92:93], v[92:93], v[98:99]
	v_add_f64 v[94:95], v[92:93], 1.0
	v_fma_f64 v[94:95], v[94:95], -4.0, |v[82:83]|
	v_fma_f64 v[94:95], -v[92:93], |v[82:83]|, v[94:95]
	v_fmac_f64_e32 v[92:93], v[98:99], v[94:95]
	v_pk_mov_b32 v[94:95], v[24:25], v[24:25] op_sel:[0,1]
	v_fmac_f64_e32 v[94:95], s[30:31], v[92:93]
	v_pk_mov_b32 v[96:97], v[26:27], v[26:27] op_sel:[0,1]
	;; [unrolled: 2-line block ×16, first 2 shown]
	v_add_f64 v[98:99], |v[82:83]|, |v[82:83]|
	v_fmac_f64_e32 v[96:97], v[92:93], v[94:95]
	v_pk_mov_b32 v[94:95], v[56:57], v[56:57] op_sel:[0,1]
	v_add_f64 v[100:101], v[98:99], 1.0
	v_fmac_f64_e32 v[94:95], v[92:93], v[96:97]
	v_pk_mov_b32 v[96:97], v[58:59], v[58:59] op_sel:[0,1]
	v_rcp_f64_e32 v[102:103], v[100:101]
	v_fmac_f64_e32 v[96:97], v[92:93], v[94:95]
	v_pk_mov_b32 v[94:95], v[60:61], v[60:61] op_sel:[0,1]
	v_fmac_f64_e32 v[94:95], v[92:93], v[96:97]
	v_pk_mov_b32 v[96:97], v[62:63], v[62:63] op_sel:[0,1]
	;; [unrolled: 2-line block ×3, first 2 shown]
	v_fmac_f64_e32 v[94:95], v[92:93], v[96:97]
	v_fma_f64 v[92:93], -v[100:101], v[102:103], 1.0
	v_fmac_f64_e32 v[102:103], v[92:93], v[102:103]
	v_fma_f64 v[92:93], -v[100:101], v[102:103], 1.0
	v_fmac_f64_e32 v[102:103], v[92:93], v[102:103]
	v_fma_f64 v[92:93], v[94:95], v[102:103], v[102:103]
	v_fma_f64 v[96:97], -v[92:93], v[98:99], 1.0
	v_add_f64 v[94:95], v[94:95], -v[92:93]
	v_add_f64 v[94:95], v[96:97], v[94:95]
	v_fmac_f64_e32 v[92:93], v[102:103], v[94:95]
	v_mul_f64 v[84:85], v[84:85], v[92:93]
	v_cmp_ngt_f64_e64 s[2:3], |v[82:83]|, s[34:35]
	v_cndmask_b32_e64 v85, 0, v85, s[2:3]
	v_cndmask_b32_e64 v84, 0, v84, s[2:3]
	v_add_f64 v[92:93], -v[84:85], 2.0
	v_cmp_gt_f64_e64 s[2:3], 0, v[82:83]
	v_cndmask_b32_e64 v83, v85, v93, s[2:3]
	v_cndmask_b32_e64 v82, v84, v92, s[2:3]
	v_mov_b32_e32 v85, s9
	v_add_co_u32_e64 v84, s[2:3], s8, v76
	v_addc_co_u32_e64 v85, s[2:3], v75, v85, s[2:3]
	global_store_dwordx2 v[84:85], v[82:83], off
	s_or_b64 exec, exec, s[6:7]
	s_and_saveexec_b64 s[4:5], s[0:1]
	s_cbranch_execz .LBB0_19
.LBB0_23:                               ;   in Loop: Header=BB0_9 Depth=1
	s_waitcnt vmcnt(0)
	v_mul_f64 v[82:83], v[80:81], -v[80:81]
	v_mul_f64 v[92:93], v[82:83], s[18:19]
	v_rndne_f64_e32 v[92:93], v[92:93]
	v_fma_f64 v[94:95], s[20:21], v[92:93], v[82:83]
	v_fmac_f64_e32 v[94:95], s[22:23], v[92:93]
	v_pk_mov_b32 v[96:97], v[6:7], v[6:7] op_sel:[0,1]
	v_fmac_f64_e32 v[96:97], s[24:25], v[94:95]
	v_pk_mov_b32 v[98:99], v[8:9], v[8:9] op_sel:[0,1]
	;; [unrolled: 2-line block ×9, first 2 shown]
	v_fmac_f64_e32 v[96:97], v[94:95], v[98:99]
	v_fma_f64 v[96:97], v[94:95], v[96:97], 1.0
	v_fma_f64 v[94:95], v[94:95], v[96:97], 1.0
	v_cvt_i32_f64_e32 v92, v[92:93]
	v_ldexp_f64 v[92:93], v[94:95], v92
	v_add_f64 v[94:95], |v[80:81]|, 4.0
	v_rcp_f64_e32 v[96:97], v[94:95]
	v_cmp_nlt_f64_e64 s[0:1], s[26:27], v[82:83]
	v_cmp_ngt_f64_e64 s[2:3], s[28:29], v[82:83]
	v_cndmask_b32_e64 v93, v91, v93, s[0:1]
	s_and_b64 s[0:1], s[2:3], s[0:1]
	v_fma_f64 v[84:85], -v[80:81], v[80:81], -v[82:83]
	v_cndmask_b32_e64 v83, 0, v93, s[2:3]
	v_cndmask_b32_e64 v82, 0, v92, s[0:1]
	v_fma_f64 v[92:93], -v[94:95], v[96:97], 1.0
	v_fmac_f64_e32 v[96:97], v[92:93], v[96:97]
	v_fma_f64 v[92:93], -v[94:95], v[96:97], 1.0
	v_fmac_f64_e32 v[82:83], v[82:83], v[84:85]
	v_add_f64 v[84:85], |v[80:81]|, -4.0
	v_fmac_f64_e32 v[96:97], v[92:93], v[96:97]
	v_mul_f64 v[84:85], v[84:85], v[96:97]
	v_add_f64 v[92:93], v[84:85], 1.0
	v_fma_f64 v[92:93], v[92:93], -4.0, |v[80:81]|
	v_fma_f64 v[92:93], -v[84:85], |v[80:81]|, v[92:93]
	v_fmac_f64_e32 v[84:85], v[96:97], v[92:93]
	v_pk_mov_b32 v[92:93], v[24:25], v[24:25] op_sel:[0,1]
	v_fmac_f64_e32 v[92:93], s[30:31], v[84:85]
	v_pk_mov_b32 v[94:95], v[26:27], v[26:27] op_sel:[0,1]
	;; [unrolled: 2-line block ×16, first 2 shown]
	v_add_f64 v[96:97], |v[80:81]|, |v[80:81]|
	v_fmac_f64_e32 v[94:95], v[84:85], v[92:93]
	v_pk_mov_b32 v[92:93], v[56:57], v[56:57] op_sel:[0,1]
	v_add_f64 v[98:99], v[96:97], 1.0
	v_fmac_f64_e32 v[92:93], v[84:85], v[94:95]
	v_pk_mov_b32 v[94:95], v[58:59], v[58:59] op_sel:[0,1]
	v_rcp_f64_e32 v[100:101], v[98:99]
	v_fmac_f64_e32 v[94:95], v[84:85], v[92:93]
	v_pk_mov_b32 v[92:93], v[60:61], v[60:61] op_sel:[0,1]
	v_fmac_f64_e32 v[92:93], v[84:85], v[94:95]
	v_pk_mov_b32 v[94:95], v[62:63], v[62:63] op_sel:[0,1]
	;; [unrolled: 2-line block ×3, first 2 shown]
	v_fmac_f64_e32 v[92:93], v[84:85], v[94:95]
	v_fma_f64 v[84:85], -v[98:99], v[100:101], 1.0
	v_fmac_f64_e32 v[100:101], v[84:85], v[100:101]
	v_fma_f64 v[84:85], -v[98:99], v[100:101], 1.0
	v_fmac_f64_e32 v[100:101], v[84:85], v[100:101]
	v_fma_f64 v[84:85], v[92:93], v[100:101], v[100:101]
	v_fma_f64 v[94:95], -v[84:85], v[96:97], 1.0
	v_add_f64 v[92:93], v[92:93], -v[84:85]
	v_add_f64 v[92:93], v[94:95], v[92:93]
	v_fmac_f64_e32 v[84:85], v[100:101], v[92:93]
	v_mul_f64 v[82:83], v[82:83], v[84:85]
	v_cmp_ngt_f64_e64 s[0:1], |v[80:81]|, s[34:35]
	v_cndmask_b32_e64 v83, 0, v83, s[0:1]
	v_cndmask_b32_e64 v82, 0, v82, s[0:1]
	v_add_f64 v[84:85], -v[82:83], 2.0
	v_cmp_gt_f64_e64 s[0:1], 0, v[80:81]
	v_cndmask_b32_e64 v81, v83, v85, s[0:1]
	v_cndmask_b32_e64 v80, v82, v84, s[0:1]
	v_mov_b32_e32 v83, s9
	v_add_co_u32_e64 v82, s[0:1], s8, v68
	v_addc_co_u32_e64 v83, s[0:1], v67, v83, s[0:1]
	global_store_dwordx2 v[82:83], v[80:81], off
	s_or_b64 exec, exec, s[4:5]
	s_and_saveexec_b64 s[2:3], vcc
	s_cbranch_execz .LBB0_8
.LBB0_24:                               ;   in Loop: Header=BB0_9 Depth=1
	s_waitcnt vmcnt(0)
	v_mul_f64 v[80:81], v[78:79], -v[78:79]
	v_mul_f64 v[84:85], v[80:81], s[18:19]
	v_rndne_f64_e32 v[84:85], v[84:85]
	v_fma_f64 v[92:93], s[20:21], v[84:85], v[80:81]
	v_fmac_f64_e32 v[92:93], s[22:23], v[84:85]
	v_pk_mov_b32 v[94:95], v[6:7], v[6:7] op_sel:[0,1]
	v_fmac_f64_e32 v[94:95], s[24:25], v[92:93]
	v_pk_mov_b32 v[96:97], v[8:9], v[8:9] op_sel:[0,1]
	;; [unrolled: 2-line block ×9, first 2 shown]
	v_fmac_f64_e32 v[94:95], v[92:93], v[96:97]
	v_fma_f64 v[94:95], v[92:93], v[94:95], 1.0
	v_fma_f64 v[92:93], v[92:93], v[94:95], 1.0
	v_cvt_i32_f64_e32 v84, v[84:85]
	v_ldexp_f64 v[84:85], v[92:93], v84
	v_add_f64 v[92:93], |v[78:79]|, 4.0
	v_rcp_f64_e32 v[94:95], v[92:93]
	v_cmp_nlt_f64_e32 vcc, s[26:27], v[80:81]
	v_cmp_ngt_f64_e64 s[0:1], s[28:29], v[80:81]
	v_cndmask_b32_e32 v85, v91, v85, vcc
	s_and_b64 vcc, s[0:1], vcc
	v_fma_f64 v[82:83], -v[78:79], v[78:79], -v[80:81]
	v_cndmask_b32_e64 v81, 0, v85, s[0:1]
	v_cndmask_b32_e32 v80, 0, v84, vcc
	v_fma_f64 v[84:85], -v[92:93], v[94:95], 1.0
	v_fmac_f64_e32 v[94:95], v[84:85], v[94:95]
	v_fma_f64 v[84:85], -v[92:93], v[94:95], 1.0
	v_fmac_f64_e32 v[80:81], v[80:81], v[82:83]
	v_add_f64 v[82:83], |v[78:79]|, -4.0
	v_fmac_f64_e32 v[94:95], v[84:85], v[94:95]
	v_mul_f64 v[82:83], v[82:83], v[94:95]
	v_add_f64 v[84:85], v[82:83], 1.0
	v_fma_f64 v[84:85], v[84:85], -4.0, |v[78:79]|
	v_fma_f64 v[84:85], -v[82:83], |v[78:79]|, v[84:85]
	v_fmac_f64_e32 v[82:83], v[94:95], v[84:85]
	v_pk_mov_b32 v[84:85], v[24:25], v[24:25] op_sel:[0,1]
	v_fmac_f64_e32 v[84:85], s[30:31], v[82:83]
	v_pk_mov_b32 v[92:93], v[26:27], v[26:27] op_sel:[0,1]
	;; [unrolled: 2-line block ×16, first 2 shown]
	v_add_f64 v[94:95], |v[78:79]|, |v[78:79]|
	v_fmac_f64_e32 v[92:93], v[82:83], v[84:85]
	v_pk_mov_b32 v[84:85], v[56:57], v[56:57] op_sel:[0,1]
	v_add_f64 v[96:97], v[94:95], 1.0
	v_fmac_f64_e32 v[84:85], v[82:83], v[92:93]
	v_pk_mov_b32 v[92:93], v[58:59], v[58:59] op_sel:[0,1]
	v_rcp_f64_e32 v[98:99], v[96:97]
	v_fmac_f64_e32 v[92:93], v[82:83], v[84:85]
	v_pk_mov_b32 v[84:85], v[60:61], v[60:61] op_sel:[0,1]
	v_fmac_f64_e32 v[84:85], v[82:83], v[92:93]
	v_pk_mov_b32 v[92:93], v[62:63], v[62:63] op_sel:[0,1]
	;; [unrolled: 2-line block ×3, first 2 shown]
	v_fmac_f64_e32 v[84:85], v[82:83], v[92:93]
	v_fma_f64 v[82:83], -v[96:97], v[98:99], 1.0
	v_fmac_f64_e32 v[98:99], v[82:83], v[98:99]
	v_fma_f64 v[82:83], -v[96:97], v[98:99], 1.0
	v_fmac_f64_e32 v[98:99], v[82:83], v[98:99]
	v_fma_f64 v[82:83], v[84:85], v[98:99], v[98:99]
	v_fma_f64 v[92:93], -v[82:83], v[94:95], 1.0
	v_add_f64 v[84:85], v[84:85], -v[82:83]
	v_add_f64 v[84:85], v[92:93], v[84:85]
	v_fmac_f64_e32 v[82:83], v[98:99], v[84:85]
	v_mul_f64 v[80:81], v[80:81], v[82:83]
	v_cmp_ngt_f64_e64 vcc, |v[78:79]|, s[34:35]
	v_cndmask_b32_e32 v81, 0, v81, vcc
	v_cndmask_b32_e32 v80, 0, v80, vcc
	v_add_f64 v[82:83], -v[80:81], 2.0
	v_cmp_gt_f64_e32 vcc, 0, v[78:79]
	v_cndmask_b32_e32 v79, v81, v83, vcc
	v_cndmask_b32_e32 v78, v80, v82, vcc
	v_mov_b32_e32 v81, s9
	v_add_co_u32_e32 v80, vcc, s8, v4
	v_addc_co_u32_e32 v81, vcc, v3, v81, vcc
	global_store_dwordx2 v[80:81], v[78:79], off
	s_branch .LBB0_8
.LBB0_25:
	s_endpgm
	.section	.rodata,"a",@progbits
	.p2align	6, 0x0
	.amdhsa_kernel _ZN2at6native12_GLOBAL__N_125multi_tensor_apply_kernelINS1_18TensorListMetadataILi2EEENS1_14UnaryOpFunctorIdLi2ELi1ELi1EEEJNS0_4ErfcIdEEEEEvT_T0_DpT1_
		.amdhsa_group_segment_fixed_size 0
		.amdhsa_private_segment_fixed_size 0
		.amdhsa_kernarg_size 3408
		.amdhsa_user_sgpr_count 6
		.amdhsa_user_sgpr_private_segment_buffer 1
		.amdhsa_user_sgpr_dispatch_ptr 0
		.amdhsa_user_sgpr_queue_ptr 0
		.amdhsa_user_sgpr_kernarg_segment_ptr 1
		.amdhsa_user_sgpr_dispatch_id 0
		.amdhsa_user_sgpr_flat_scratch_init 0
		.amdhsa_user_sgpr_kernarg_preload_length 0
		.amdhsa_user_sgpr_kernarg_preload_offset 0
		.amdhsa_user_sgpr_private_segment_size 0
		.amdhsa_uses_dynamic_stack 0
		.amdhsa_system_sgpr_private_segment_wavefront_offset 0
		.amdhsa_system_sgpr_workgroup_id_x 1
		.amdhsa_system_sgpr_workgroup_id_y 0
		.amdhsa_system_sgpr_workgroup_id_z 0
		.amdhsa_system_sgpr_workgroup_info 0
		.amdhsa_system_vgpr_workitem_id 0
		.amdhsa_next_free_vgpr 113
		.amdhsa_next_free_sgpr 96
		.amdhsa_accum_offset 116
		.amdhsa_reserve_vcc 1
		.amdhsa_reserve_flat_scratch 0
		.amdhsa_float_round_mode_32 0
		.amdhsa_float_round_mode_16_64 0
		.amdhsa_float_denorm_mode_32 3
		.amdhsa_float_denorm_mode_16_64 3
		.amdhsa_dx10_clamp 1
		.amdhsa_ieee_mode 1
		.amdhsa_fp16_overflow 0
		.amdhsa_tg_split 0
		.amdhsa_exception_fp_ieee_invalid_op 0
		.amdhsa_exception_fp_denorm_src 0
		.amdhsa_exception_fp_ieee_div_zero 0
		.amdhsa_exception_fp_ieee_overflow 0
		.amdhsa_exception_fp_ieee_underflow 0
		.amdhsa_exception_fp_ieee_inexact 0
		.amdhsa_exception_int_div_zero 0
	.end_amdhsa_kernel
	.section	.text._ZN2at6native12_GLOBAL__N_125multi_tensor_apply_kernelINS1_18TensorListMetadataILi2EEENS1_14UnaryOpFunctorIdLi2ELi1ELi1EEEJNS0_4ErfcIdEEEEEvT_T0_DpT1_,"axG",@progbits,_ZN2at6native12_GLOBAL__N_125multi_tensor_apply_kernelINS1_18TensorListMetadataILi2EEENS1_14UnaryOpFunctorIdLi2ELi1ELi1EEEJNS0_4ErfcIdEEEEEvT_T0_DpT1_,comdat
.Lfunc_end0:
	.size	_ZN2at6native12_GLOBAL__N_125multi_tensor_apply_kernelINS1_18TensorListMetadataILi2EEENS1_14UnaryOpFunctorIdLi2ELi1ELi1EEEJNS0_4ErfcIdEEEEEvT_T0_DpT1_, .Lfunc_end0-_ZN2at6native12_GLOBAL__N_125multi_tensor_apply_kernelINS1_18TensorListMetadataILi2EEENS1_14UnaryOpFunctorIdLi2ELi1ELi1EEEJNS0_4ErfcIdEEEEEvT_T0_DpT1_
                                        ; -- End function
	.section	.AMDGPU.csdata,"",@progbits
; Kernel info:
; codeLenInByte = 7560
; NumSgprs: 100
; NumVgprs: 113
; NumAgprs: 0
; TotalNumVgprs: 113
; ScratchSize: 0
; MemoryBound: 0
; FloatMode: 240
; IeeeMode: 1
; LDSByteSize: 0 bytes/workgroup (compile time only)
; SGPRBlocks: 12
; VGPRBlocks: 14
; NumSGPRsForWavesPerEU: 100
; NumVGPRsForWavesPerEU: 113
; AccumOffset: 116
; Occupancy: 4
; WaveLimiterHint : 0
; COMPUTE_PGM_RSRC2:SCRATCH_EN: 0
; COMPUTE_PGM_RSRC2:USER_SGPR: 6
; COMPUTE_PGM_RSRC2:TRAP_HANDLER: 0
; COMPUTE_PGM_RSRC2:TGID_X_EN: 1
; COMPUTE_PGM_RSRC2:TGID_Y_EN: 0
; COMPUTE_PGM_RSRC2:TGID_Z_EN: 0
; COMPUTE_PGM_RSRC2:TIDIG_COMP_CNT: 0
; COMPUTE_PGM_RSRC3_GFX90A:ACCUM_OFFSET: 28
; COMPUTE_PGM_RSRC3_GFX90A:TG_SPLIT: 0
	.section	.text._ZN2at6native12_GLOBAL__N_125multi_tensor_apply_kernelINS1_18TensorListMetadataILi2EEENS1_14UnaryOpFunctorIfLi2ELi1ELi1EEEJNS0_4ErfcIfEEEEEvT_T0_DpT1_,"axG",@progbits,_ZN2at6native12_GLOBAL__N_125multi_tensor_apply_kernelINS1_18TensorListMetadataILi2EEENS1_14UnaryOpFunctorIfLi2ELi1ELi1EEEJNS0_4ErfcIfEEEEEvT_T0_DpT1_,comdat
	.globl	_ZN2at6native12_GLOBAL__N_125multi_tensor_apply_kernelINS1_18TensorListMetadataILi2EEENS1_14UnaryOpFunctorIfLi2ELi1ELi1EEEJNS0_4ErfcIfEEEEEvT_T0_DpT1_ ; -- Begin function _ZN2at6native12_GLOBAL__N_125multi_tensor_apply_kernelINS1_18TensorListMetadataILi2EEENS1_14UnaryOpFunctorIfLi2ELi1ELi1EEEJNS0_4ErfcIfEEEEEvT_T0_DpT1_
	.p2align	8
	.type	_ZN2at6native12_GLOBAL__N_125multi_tensor_apply_kernelINS1_18TensorListMetadataILi2EEENS1_14UnaryOpFunctorIfLi2ELi1ELi1EEEJNS0_4ErfcIfEEEEEvT_T0_DpT1_,@function
_ZN2at6native12_GLOBAL__N_125multi_tensor_apply_kernelINS1_18TensorListMetadataILi2EEENS1_14UnaryOpFunctorIfLi2ELi1ELi1EEEJNS0_4ErfcIfEEEEEvT_T0_DpT1_: ; @_ZN2at6native12_GLOBAL__N_125multi_tensor_apply_kernelINS1_18TensorListMetadataILi2EEENS1_14UnaryOpFunctorIfLi2ELi1ELi1EEEJNS0_4ErfcIfEEEEEvT_T0_DpT1_
; %bb.0:
	v_mov_b32_e32 v1, s6
	global_load_ubyte v1, v1, s[4:5] offset:1536
	s_add_u32 s0, s4, s6
	s_mul_hi_u32 s2, s6, 3
	s_mul_i32 s6, s6, 3
	s_addc_u32 s7, s5, 0
	s_add_u32 s6, s0, s6
	s_addc_u32 s7, s7, s2
	s_mov_b32 s1, 0
	s_mov_b32 s3, s1
	s_waitcnt vmcnt(0)
	v_readfirstlane_b32 s0, v1
	s_lshl_b32 s0, s0, 3
	s_load_dword s10, s[6:7], 0x740
	s_load_dwordx2 s[16:17], s[4:5], s0 offset:0x0
	s_load_dwordx2 s[12:13], s[4:5], s0 offset:0x400
	;; [unrolled: 1-line block ×3, first 2 shown]
	s_mov_b32 s7, s1
	s_waitcnt lgkmcnt(0)
	s_ashr_i32 s11, s10, 31
	s_and_b32 s0, s16, 15
	s_and_b32 s6, s12, 3
	;; [unrolled: 1-line block ×3, first 2 shown]
	s_or_b64 s[6:7], s[0:1], s[6:7]
	s_lshl_b64 s[8:9], s[10:11], 18
	s_or_b64 s[2:3], s[2:3], s[6:7]
	s_lshl_b64 s[6:7], s[10:11], 16
	s_sub_u32 s10, s12, s6
	s_subb_u32 s11, s13, s7
	s_cmp_eq_u64 s[2:3], 0
	s_mov_b64 s[2:3], -1
	s_cbranch_scc0 .LBB1_5
; %bb.1:
	v_mov_b32_e32 v3, 0
	v_lshlrev_b32_e32 v2, 2, v0
	v_cmp_gt_i64_e32 vcc, s[10:11], v[2:3]
	s_and_saveexec_b64 s[12:13], vcc
	s_cbranch_execz .LBB1_4
; %bb.2:
	s_load_dword s0, s[4:5], 0xc5c
	v_lshlrev_b32_e32 v1, 4, v0
	v_mov_b32_e32 v4, s9
	v_add_co_u32_e32 v1, vcc, s8, v1
	s_waitcnt lgkmcnt(0)
	s_and_b32 s0, s0, 0xffff
	v_addc_co_u32_e32 v5, vcc, 0, v4, vcc
	v_add_lshl_u32 v2, v0, s0, 2
	s_lshl_b32 s21, s0, 2
	v_add_co_u32_e32 v4, vcc, 8, v1
	s_lshl_b32 s23, s0, 4
	s_mov_b32 s0, 0xbaa2d753
	v_addc_co_u32_e32 v1, vcc, 0, v5, vcc
	s_mov_b64 s[18:19], 0
	v_mov_b32_e32 v5, s17
	v_mov_b32_e32 v10, s15
	s_mov_b32 s25, 0x3fb8aa3b
	s_mov_b32 s27, 0xc2ce8ed0
	;; [unrolled: 1-line block ×3, first 2 shown]
	v_mov_b32_e32 v11, 0x7f800000
	s_mov_b32 s20, 0xb9d6f8c4
	v_pk_mov_b32 v[6:7], s[0:1], s[0:1] op_sel:[0,1]
	s_mov_b32 s22, 0x3aad2fb4
	s_mov_b32 s24, 0x3c0da267
	;; [unrolled: 1-line block ×9, first 2 shown]
	s_mov_b64 s[40:41], 0xffff
	v_mov_b32_e32 v12, s1
	v_mov_b32_e32 v13, s1
.LBB1_3:                                ; =>This Inner Loop Header: Depth=1
	v_add_co_u32_e32 v14, vcc, s16, v4
	v_addc_co_u32_e32 v15, vcc, v5, v1, vcc
	global_load_dwordx4 v[14:17], v[14:15], off offset:-8
	v_add_co_u32_e32 v8, vcc, s14, v4
	v_addc_co_u32_e32 v9, vcc, v10, v1, vcc
	v_cmp_le_i64_e32 vcc, s[10:11], v[2:3]
	v_cmp_lt_u64_e64 s[0:1], s[40:41], v[2:3]
	v_add_co_u32_e64 v2, s[2:3], s21, v2
	v_addc_co_u32_e64 v3, s[2:3], v3, v12, s[2:3]
	v_add_co_u32_e64 v4, s[2:3], s23, v4
	s_or_b64 s[0:1], vcc, s[0:1]
	v_addc_co_u32_e64 v1, s[2:3], v1, v13, s[2:3]
	s_and_b64 s[0:1], exec, s[0:1]
	s_or_b64 s[18:19], s[0:1], s[18:19]
	s_waitcnt vmcnt(0)
	v_and_b32_e32 v18, 0x7fffffff, v14
	v_and_b32_e32 v19, 0x7fffffff, v15
	v_add_f32_e64 v26, |v14|, 2.0
	v_add_f32_e64 v27, |v15|, 2.0
	v_pk_mul_f32 v[20:21], v[14:15], v[14:15] neg_lo:[0,1] neg_hi:[0,1]
	v_add_f32_e64 v34, |v16|, 2.0
	v_add_f32_e64 v35, |v17|, 2.0
	v_pk_mul_f32 v[24:25], v[16:17], v[16:17] neg_lo:[0,1] neg_hi:[0,1]
	v_rcp_f32_e32 v26, v26
	v_rcp_f32_e32 v27, v27
	v_pk_add_f32 v[30:31], v[18:19], v[18:19]
	v_mul_f32_e32 v43, 0x3fb8aa3b, v21
	v_mul_f32_e32 v44, 0x3fb8aa3b, v20
	v_rcp_f32_e32 v34, v34
	v_rcp_f32_e32 v35, v35
	v_mul_f32_e32 v45, 0x3fb8aa3b, v25
	v_mul_f32_e32 v46, 0x3fb8aa3b, v24
	v_and_b32_e32 v22, 0x7fffffff, v16
	v_and_b32_e32 v23, 0x7fffffff, v17
	v_fma_f32 v47, v21, s25, -v43
	v_rndne_f32_e32 v48, v43
	v_fma_f32 v49, v20, s25, -v44
	v_rndne_f32_e32 v50, v44
	v_add_f32_e32 v51, 1.0, v31
	v_fma_f32 v53, v25, s25, -v45
	v_rndne_f32_e32 v54, v45
	v_fma_f32 v55, v24, s25, -v46
	v_rndne_f32_e32 v56, v46
	v_pk_add_f32 v[38:39], v[22:23], v[22:23]
	v_fmac_f32_e32 v47, 0x32a5705f, v21
	v_sub_f32_e32 v58, v43, v48
	v_cvt_i32_f32_e32 v59, v48
	v_fmac_f32_e32 v49, 0x32a5705f, v20
	v_sub_f32_e32 v48, v44, v50
	v_rcp_f32_e32 v43, v51
	v_fmac_f32_e32 v53, 0x32a5705f, v25
	v_sub_f32_e32 v51, v45, v54
	v_fmac_f32_e32 v55, 0x32a5705f, v24
	v_sub_f32_e32 v46, v46, v56
	v_pk_add_f32 v[28:29], -2.0, v[18:19] op_sel_hi:[0,1]
	v_pk_add_f32 v[36:37], -2.0, v[22:23] op_sel_hi:[0,1]
	v_add_f32_e32 v52, 1.0, v38
	v_add_f32_e32 v47, v58, v47
	v_add_f32_e32 v48, v48, v49
	;; [unrolled: 1-line block ×4, first 2 shown]
	v_cvt_i32_f32_e32 v50, v50
	v_rcp_f32_e32 v44, v52
	v_cvt_i32_f32_e32 v52, v54
	v_cvt_i32_f32_e32 v54, v56
	v_pk_mul_f32 v[28:29], v[28:29], v[26:27]
	v_exp_f32_e32 v51, v47
	v_exp_f32_e32 v53, v48
	v_pk_mul_f32 v[36:37], v[36:37], v[34:35]
	v_exp_f32_e32 v55, v49
	v_exp_f32_e32 v56, v46
	v_pk_add_f32 v[46:47], v[28:29], 1.0 op_sel_hi:[1,0]
	v_pk_add_f32 v[48:49], v[36:37], 1.0 op_sel_hi:[1,0]
	v_pk_fma_f32 v[46:47], -2.0, v[46:47], v[18:19] op_sel_hi:[0,1,1]
	v_pk_fma_f32 v[48:49], -2.0, v[48:49], v[22:23] op_sel_hi:[0,1,1]
	v_pk_fma_f32 v[18:19], v[28:29], v[18:19], v[46:47] neg_lo:[1,0,0] neg_hi:[1,0,0]
	v_pk_fma_f32 v[22:23], v[36:37], v[22:23], v[48:49] neg_lo:[1,0,0] neg_hi:[1,0,0]
	v_pk_fma_f32 v[18:19], v[26:27], v[18:19], v[28:29]
	v_ldexp_f32 v26, v51, v59
	v_ldexp_f32 v27, v53, v50
	v_cmp_ngt_f32_e32 vcc, s27, v20
	v_pk_fma_f32 v[22:23], v[34:35], v[22:23], v[36:37]
	v_ldexp_f32 v28, v55, v52
	v_cmp_ngt_f32_e64 s[0:1], s27, v25
	v_ldexp_f32 v29, v56, v54
	v_cmp_ngt_f32_e64 s[2:3], s27, v24
	v_cmp_ngt_f32_e64 s[6:7], s27, v21
	v_pk_fma_f32 v[40:41], v[16:17], v[16:17], v[24:25] neg_lo:[1,0,1] neg_hi:[1,0,1]
	v_cndmask_b32_e64 v34, 0, v26, s[6:7]
	v_cndmask_b32_e32 v35, 0, v27, vcc
	v_pk_fma_f32 v[26:27], v[18:19], s[20:21], v[6:7] op_sel_hi:[1,0,0]
	v_cndmask_b32_e64 v28, 0, v28, s[0:1]
	v_cmp_nlt_f32_e64 s[0:1], s29, v25
	v_cndmask_b32_e64 v36, 0, v29, s[2:3]
	v_cmp_nlt_f32_e64 s[2:3], s29, v24
	v_pk_fma_f32 v[24:25], v[22:23], s[20:21], v[6:7] op_sel_hi:[1,0,0]
	v_pk_fma_f32 v[26:27], v[18:19], v[26:27], s[22:23] op_sel_hi:[1,1,0]
	;; [unrolled: 1-line block ×7, first 2 shown]
	v_add_f32_e32 v42, 1.0, v30
	v_add_f32_e32 v57, 1.0, v39
	v_pk_fma_f32 v[26:27], v[18:19], v[26:27], s[28:29] op_sel_hi:[1,1,0]
	v_pk_fma_f32 v[24:25], v[22:23], v[24:25], s[28:29] op_sel_hi:[1,1,0]
	v_rcp_f32_e32 v42, v42
	v_rcp_f32_e32 v45, v57
	v_pk_fma_f32 v[26:27], v[18:19], v[26:27], s[30:31] op_sel_hi:[1,1,0]
	v_pk_fma_f32 v[24:25], v[22:23], v[24:25], s[30:31] op_sel_hi:[1,1,0]
	;; [unrolled: 1-line block ×6, first 2 shown]
	v_cmp_nlt_f32_e32 vcc, s29, v20
	v_cmp_nlt_f32_e64 s[6:7], s29, v21
	v_pk_fma_f32 v[18:19], v[18:19], v[26:27], s[38:39] op_sel_hi:[1,1,0]
	v_pk_fma_f32 v[22:23], v[22:23], v[24:25], s[38:39] op_sel_hi:[1,1,0]
	v_pk_fma_f32 v[32:33], v[14:15], v[14:15], v[20:21] neg_lo:[1,0,1] neg_hi:[1,0,1]
	v_cndmask_b32_e64 v21, v11, v34, s[6:7]
	v_cndmask_b32_e32 v20, v11, v35, vcc
	v_pk_fma_f32 v[24:25], v[18:19], v[42:43], v[42:43]
	v_pk_fma_f32 v[26:27], v[22:23], v[44:45], v[44:45]
	;; [unrolled: 1-line block ×3, first 2 shown]
	v_pk_fma_f32 v[30:31], v[24:25], v[30:31], 1.0 op_sel_hi:[1,1,0] neg_lo:[1,0,0] neg_hi:[1,0,0]
	v_pk_add_f32 v[18:19], v[18:19], v[24:25] neg_lo:[0,1] neg_hi:[0,1]
	v_pk_fma_f32 v[32:33], v[26:27], v[38:39], 1.0 op_sel_hi:[1,1,0] neg_lo:[1,0,0] neg_hi:[1,0,0]
	v_pk_add_f32 v[22:23], v[22:23], v[26:27] neg_lo:[0,1] neg_hi:[0,1]
	v_cndmask_b32_e64 v29, v11, v28, s[0:1]
	v_cndmask_b32_e64 v28, v11, v36, s[2:3]
	v_pk_add_f32 v[18:19], v[30:31], v[18:19]
	v_pk_add_f32 v[22:23], v[32:33], v[22:23]
	v_pk_fma_f32 v[28:29], v[28:29], v[40:41], v[28:29]
	v_pk_fma_f32 v[18:19], v[42:43], v[18:19], v[24:25]
	;; [unrolled: 1-line block ×3, first 2 shown]
	v_pk_mul_f32 v[18:19], v[20:21], v[18:19]
	v_cmp_ngt_f32_e64 vcc, |v14|, s31
	v_pk_mul_f32 v[20:21], v[28:29], v[22:23]
	v_cmp_ngt_f32_e64 s[0:1], |v17|, s31
	v_cmp_ngt_f32_e64 s[2:3], |v16|, s31
	;; [unrolled: 1-line block ×3, first 2 shown]
	v_cndmask_b32_e64 v19, 0, v19, s[6:7]
	v_cndmask_b32_e32 v18, 0, v18, vcc
	v_cndmask_b32_e64 v21, 0, v21, s[0:1]
	v_cndmask_b32_e64 v20, 0, v20, s[2:3]
	v_pk_add_f32 v[22:23], v[18:19], 2.0 op_sel_hi:[1,0] neg_lo:[1,0] neg_hi:[1,0]
	v_cmp_gt_f32_e32 vcc, 0, v14
	v_pk_add_f32 v[24:25], v[20:21], 2.0 op_sel_hi:[1,0] neg_lo:[1,0] neg_hi:[1,0]
	v_cmp_gt_f32_e64 s[0:1], 0, v16
	v_cmp_gt_f32_e64 s[2:3], 0, v17
	;; [unrolled: 1-line block ×3, first 2 shown]
	v_cndmask_b32_e64 v15, v19, v23, s[6:7]
	v_cndmask_b32_e32 v14, v18, v22, vcc
	v_cndmask_b32_e64 v17, v21, v25, s[2:3]
	v_cndmask_b32_e64 v16, v20, v24, s[0:1]
	global_store_dwordx4 v[8:9], v[14:17], off offset:-8
	s_andn2_b64 exec, exec, s[18:19]
	s_cbranch_execnz .LBB1_3
.LBB1_4:
	s_or_b64 exec, exec, s[12:13]
	s_mov_b64 s[2:3], 0
.LBB1_5:
	s_andn2_b64 vcc, exec, s[2:3]
	s_cbranch_vccnz .LBB1_25
; %bb.6:
	v_cmp_lt_i64_e64 s[0:1], s[10:11], 1
	s_and_b64 vcc, exec, s[0:1]
	s_cbranch_vccnz .LBB1_25
; %bb.7:
	s_load_dword s0, s[4:5], 0xc5c
	v_mov_b32_e32 v2, 0x10000
	v_mov_b32_e32 v3, 0
	v_cmp_lt_u64_e32 vcc, s[10:11], v[2:3]
	v_lshlrev_b32_e32 v10, 2, v0
	s_waitcnt lgkmcnt(0)
	s_and_b32 s2, s0, 0xffff
	s_and_b64 s[0:1], vcc, exec
	v_mov_b32_e32 v13, s17
	v_add_co_u32_e32 v2, vcc, s16, v10
	v_addc_co_u32_e32 v1, vcc, 0, v13, vcc
	v_mov_b32_e32 v11, 0
	v_mov_b32_e32 v15, s15
	v_add_co_u32_e32 v4, vcc, s14, v10
	v_addc_co_u32_e32 v3, vcc, 0, v15, vcc
	v_mad_u64_u32 v[8:9], s[0:1], s2, 12, v[10:11]
	v_add_co_u32_e32 v6, vcc, s16, v8
	v_addc_co_u32_e32 v5, vcc, v13, v9, vcc
	v_add_co_u32_e32 v8, vcc, s14, v8
	s_mul_i32 s4, s2, 3
	v_addc_co_u32_e32 v7, vcc, v15, v9, vcc
	v_add_co_u32_e32 v17, vcc, s4, v0
	v_addc_co_u32_e64 v18, s[0:1], 0, 0, vcc
	s_cselect_b32 s13, s11, 0
	s_cselect_b32 s12, s10, 0x10000
	s_lshl_b32 s0, s2, 3
	v_add_co_u32_e32 v11, vcc, s0, v10
	v_addc_co_u32_e64 v14, s[0:1], 0, 0, vcc
	v_add_co_u32_e32 v10, vcc, s16, v11
	v_addc_co_u32_e32 v9, vcc, v13, v14, vcc
	v_add_co_u32_e32 v12, vcc, s14, v11
	s_lshl_b32 s3, s2, 1
	v_addc_co_u32_e32 v11, vcc, v15, v14, vcc
	v_add_co_u32_e32 v19, vcc, s3, v0
	v_addc_co_u32_e64 v20, s[0:1], 0, 0, vcc
	v_add_co_u32_e32 v21, vcc, s2, v0
	v_lshlrev_b32_e32 v16, 2, v21
	v_addc_co_u32_e64 v22, s[0:1], 0, 0, vcc
	v_add_co_u32_e32 v14, vcc, s16, v16
	v_addc_co_u32_e32 v13, vcc, 0, v13, vcc
	v_add_co_u32_e32 v16, vcc, s14, v16
	s_mov_b32 s18, 0
	s_lshl_b32 s19, s2, 2
	s_lshl_b32 s20, s2, 4
	v_addc_co_u32_e32 v15, vcc, 0, v15, vcc
	s_mov_b64 s[14:15], 0
	s_mov_b32 s21, 0x3fb8aa3b
	s_mov_b32 s22, 0xc2ce8ed0
	;; [unrolled: 1-line block ×3, first 2 shown]
	v_mov_b32_e32 v23, 0x3aad2fb4
	v_mov_b32_e32 v24, 0x3c0da267
	;; [unrolled: 1-line block ×8, first 2 shown]
	s_mov_b32 s24, 0x4120ddfc
	v_mov_b32_e32 v31, 0x7f800000
	s_branch .LBB1_9
.LBB1_8:                                ;   in Loop: Header=BB1_9 Depth=1
	s_or_b64 exec, exec, s[0:1]
	s_add_u32 s14, s14, s19
	s_addc_u32 s15, s15, 0
	s_waitcnt vmcnt(0)
	v_pk_mov_b32 v[32:33], s[10:11], s[10:11] op_sel:[0,1]
	v_cmp_ge_i64_e32 vcc, s[14:15], v[32:33]
	v_mov_b32_e32 v32, 0xffff
	v_mov_b32_e32 v33, 0
	v_cmp_gt_u64_e64 s[0:1], s[14:15], v[32:33]
	s_or_b64 s[0:1], vcc, s[0:1]
	v_mov_b32_e32 v32, s18
	v_add_co_u32_e32 v2, vcc, s20, v2
	v_addc_co_u32_e32 v1, vcc, v1, v32, vcc
	v_add_co_u32_e32 v4, vcc, s20, v4
	v_addc_co_u32_e32 v3, vcc, v3, v32, vcc
	;; [unrolled: 2-line block ×8, first 2 shown]
	s_and_b64 vcc, exec, s[0:1]
	s_cbranch_vccnz .LBB1_25
.LBB1_9:                                ; =>This Inner Loop Header: Depth=1
	v_mov_b32_e32 v33, s15
	v_add_co_u32_e32 v32, vcc, s14, v0
	v_addc_co_u32_e32 v33, vcc, 0, v33, vcc
	v_cmp_gt_u64_e64 s[4:5], s[12:13], v[32:33]
	v_mov_b32_e32 v35, 0
	s_and_saveexec_b64 s[0:1], s[4:5]
	s_cbranch_execz .LBB1_11
; %bb.10:                               ;   in Loop: Header=BB1_9 Depth=1
	v_mov_b32_e32 v33, s9
	v_add_co_u32_e32 v32, vcc, s8, v2
	v_addc_co_u32_e32 v33, vcc, v1, v33, vcc
	global_load_dword v35, v[32:33], off
.LBB1_11:                               ;   in Loop: Header=BB1_9 Depth=1
	s_or_b64 exec, exec, s[0:1]
	v_mov_b32_e32 v33, s15
	v_add_co_u32_e32 v32, vcc, s14, v21
	v_addc_co_u32_e32 v33, vcc, v22, v33, vcc
	v_cmp_gt_u64_e64 s[2:3], s[12:13], v[32:33]
	v_mov_b32_e32 v34, 0
	s_and_saveexec_b64 s[0:1], s[2:3]
	s_cbranch_execz .LBB1_13
; %bb.12:                               ;   in Loop: Header=BB1_9 Depth=1
	v_mov_b32_e32 v33, s9
	v_add_co_u32_e32 v32, vcc, s8, v14
	v_addc_co_u32_e32 v33, vcc, v13, v33, vcc
	global_load_dword v34, v[32:33], off
.LBB1_13:                               ;   in Loop: Header=BB1_9 Depth=1
	s_or_b64 exec, exec, s[0:1]
	v_mov_b32_e32 v33, s15
	v_add_co_u32_e32 v32, vcc, s14, v19
	v_addc_co_u32_e32 v33, vcc, v20, v33, vcc
	v_cmp_gt_u64_e64 s[0:1], s[12:13], v[32:33]
	v_mov_b32_e32 v32, 0
	v_mov_b32_e32 v33, 0
	s_and_saveexec_b64 s[6:7], s[0:1]
	s_cbranch_execz .LBB1_15
; %bb.14:                               ;   in Loop: Header=BB1_9 Depth=1
	v_mov_b32_e32 v33, s9
	v_add_co_u32_e32 v36, vcc, s8, v10
	v_addc_co_u32_e32 v37, vcc, v9, v33, vcc
	global_load_dword v33, v[36:37], off
.LBB1_15:                               ;   in Loop: Header=BB1_9 Depth=1
	s_or_b64 exec, exec, s[6:7]
	v_mov_b32_e32 v37, s15
	v_add_co_u32_e32 v36, vcc, s14, v17
	v_addc_co_u32_e32 v37, vcc, v18, v37, vcc
	v_cmp_gt_u64_e32 vcc, s[12:13], v[36:37]
	s_and_saveexec_b64 s[16:17], vcc
	s_cbranch_execnz .LBB1_20
; %bb.16:                               ;   in Loop: Header=BB1_9 Depth=1
	s_or_b64 exec, exec, s[16:17]
	s_and_saveexec_b64 s[6:7], s[4:5]
	s_cbranch_execnz .LBB1_21
.LBB1_17:                               ;   in Loop: Header=BB1_9 Depth=1
	s_or_b64 exec, exec, s[6:7]
	s_and_saveexec_b64 s[4:5], s[2:3]
	s_cbranch_execnz .LBB1_22
.LBB1_18:                               ;   in Loop: Header=BB1_9 Depth=1
	s_or_b64 exec, exec, s[4:5]
	s_and_saveexec_b64 s[2:3], s[0:1]
	s_cbranch_execnz .LBB1_23
.LBB1_19:                               ;   in Loop: Header=BB1_9 Depth=1
	s_or_b64 exec, exec, s[2:3]
	s_and_saveexec_b64 s[0:1], vcc
	s_cbranch_execz .LBB1_8
	s_branch .LBB1_24
.LBB1_20:                               ;   in Loop: Header=BB1_9 Depth=1
	v_mov_b32_e32 v32, s9
	v_add_co_u32_e64 v36, s[6:7], s8, v6
	v_addc_co_u32_e64 v37, s[6:7], v5, v32, s[6:7]
	global_load_dword v32, v[36:37], off
	s_or_b64 exec, exec, s[16:17]
	s_and_saveexec_b64 s[6:7], s[4:5]
	s_cbranch_execz .LBB1_17
.LBB1_21:                               ;   in Loop: Header=BB1_9 Depth=1
	s_waitcnt vmcnt(0)
	v_mul_f32_e64 v37, v35, -v35
	v_mul_f32_e32 v36, 0x3fb8aa3b, v37
	v_rndne_f32_e32 v38, v36
	v_sub_f32_e32 v39, v36, v38
	v_fma_f32 v36, v37, s21, -v36
	v_fmac_f32_e32 v36, 0x32a5705f, v37
	v_add_f32_e32 v36, v39, v36
	v_cvt_i32_f32_e32 v38, v38
	v_exp_f32_e32 v36, v36
	v_cmp_ngt_f32_e64 s[4:5], s22, v37
	v_add_f32_e64 v41, |v35|, -2.0
	v_add_f32_e64 v39, |v35|, |v35|
	v_ldexp_f32 v36, v36, v38
	v_cndmask_b32_e64 v36, 0, v36, s[4:5]
	v_cmp_nlt_f32_e64 s[4:5], s23, v37
	v_fma_f32 v38, -v35, v35, -v37
	v_add_f32_e64 v37, |v35|, 2.0
	v_rcp_f32_e32 v40, v37
	v_add_f32_e32 v37, 1.0, v39
	v_rcp_f32_e32 v37, v37
	v_cndmask_b32_e64 v36, v31, v36, s[4:5]
	v_mul_f32_e32 v41, v41, v40
	v_add_f32_e32 v42, 1.0, v41
	v_fma_f32 v42, v42, -2.0, |v35|
	v_fma_f32 v42, -v41, |v35|, v42
	v_fmac_f32_e32 v41, v40, v42
	v_mov_b32_e32 v40, 0xbaa2d753
	v_fmac_f32_e32 v40, 0xb9d6f8c4, v41
	v_fma_f32 v40, v41, v40, v23
	v_fma_f32 v40, v41, v40, v24
	;; [unrolled: 1-line block ×9, first 2 shown]
	v_fma_f32 v39, -v41, v39, 1.0
	v_sub_f32_e32 v40, v40, v41
	v_add_f32_e32 v39, v39, v40
	v_mov_b32_e32 v40, v36
	v_pk_fma_f32 v[36:37], v[36:37], v[38:39], v[40:41]
	v_mul_f32_e32 v36, v36, v37
	v_cmp_ngt_f32_e64 s[4:5], |v35|, s24
	v_cndmask_b32_e64 v36, 0, v36, s[4:5]
	v_sub_f32_e32 v37, 2.0, v36
	v_cmp_gt_f32_e64 s[4:5], 0, v35
	v_cndmask_b32_e64 v35, v36, v37, s[4:5]
	v_mov_b32_e32 v37, s9
	v_add_co_u32_e64 v36, s[4:5], s8, v4
	v_addc_co_u32_e64 v37, s[4:5], v3, v37, s[4:5]
	global_store_dword v[36:37], v35, off
	s_or_b64 exec, exec, s[6:7]
	s_and_saveexec_b64 s[4:5], s[2:3]
	s_cbranch_execz .LBB1_18
.LBB1_22:                               ;   in Loop: Header=BB1_9 Depth=1
	s_waitcnt vmcnt(0)
	v_mul_f32_e64 v35, v34, -v34
	v_mul_f32_e32 v36, 0x3fb8aa3b, v35
	v_rndne_f32_e32 v37, v36
	v_sub_f32_e32 v38, v36, v37
	v_fma_f32 v36, v35, s21, -v36
	v_fmac_f32_e32 v36, 0x32a5705f, v35
	v_add_f32_e32 v36, v38, v36
	v_exp_f32_e32 v36, v36
	v_cvt_i32_f32_e32 v37, v37
	v_cmp_ngt_f32_e64 s[2:3], s22, v35
	v_fma_f32 v38, -v34, v34, -v35
	v_ldexp_f32 v36, v36, v37
	v_add_f32_e64 v37, |v34|, 2.0
	v_rcp_f32_e32 v37, v37
	v_cndmask_b32_e64 v36, 0, v36, s[2:3]
	v_cmp_nlt_f32_e64 s[2:3], s23, v35
	v_cndmask_b32_e64 v35, v31, v36, s[2:3]
	v_add_f32_e64 v36, |v34|, -2.0
	v_mul_f32_e32 v36, v36, v37
	v_fmac_f32_e32 v35, v35, v38
	v_add_f32_e32 v38, 1.0, v36
	v_fma_f32 v38, v38, -2.0, |v34|
	v_fma_f32 v38, -v36, |v34|, v38
	v_fmac_f32_e32 v36, v37, v38
	v_mov_b32_e32 v37, 0xbaa2d753
	v_fmac_f32_e32 v37, 0xb9d6f8c4, v36
	v_fma_f32 v37, v36, v37, v23
	v_fma_f32 v37, v36, v37, v24
	;; [unrolled: 1-line block ×3, first 2 shown]
	v_add_f32_e64 v38, |v34|, |v34|
	v_fma_f32 v37, v36, v37, v26
	v_add_f32_e32 v39, 1.0, v38
	v_fma_f32 v37, v36, v37, v27
	v_rcp_f32_e32 v39, v39
	v_fma_f32 v37, v36, v37, v28
	v_fma_f32 v37, v36, v37, v29
	;; [unrolled: 1-line block ×4, first 2 shown]
	v_fma_f32 v38, -v37, v38, 1.0
	v_sub_f32_e32 v36, v36, v37
	v_add_f32_e32 v36, v38, v36
	v_fmac_f32_e32 v37, v39, v36
	v_mul_f32_e32 v35, v35, v37
	v_cmp_ngt_f32_e64 s[2:3], |v34|, s24
	v_cndmask_b32_e64 v35, 0, v35, s[2:3]
	v_sub_f32_e32 v36, 2.0, v35
	v_cmp_gt_f32_e64 s[2:3], 0, v34
	v_cndmask_b32_e64 v36, v35, v36, s[2:3]
	v_mov_b32_e32 v35, s9
	v_add_co_u32_e64 v34, s[2:3], s8, v16
	v_addc_co_u32_e64 v35, s[2:3], v15, v35, s[2:3]
	global_store_dword v[34:35], v36, off
	s_or_b64 exec, exec, s[4:5]
	s_and_saveexec_b64 s[2:3], s[0:1]
	s_cbranch_execz .LBB1_19
.LBB1_23:                               ;   in Loop: Header=BB1_9 Depth=1
	s_waitcnt vmcnt(0)
	v_mul_f32_e64 v34, v33, -v33
	v_mul_f32_e32 v35, 0x3fb8aa3b, v34
	v_rndne_f32_e32 v36, v35
	v_sub_f32_e32 v37, v35, v36
	v_fma_f32 v35, v34, s21, -v35
	v_fmac_f32_e32 v35, 0x32a5705f, v34
	v_add_f32_e32 v35, v37, v35
	v_exp_f32_e32 v35, v35
	v_cvt_i32_f32_e32 v36, v36
	v_cmp_ngt_f32_e64 s[0:1], s22, v34
	v_fma_f32 v37, -v33, v33, -v34
	v_ldexp_f32 v35, v35, v36
	v_add_f32_e64 v36, |v33|, 2.0
	v_rcp_f32_e32 v36, v36
	v_cndmask_b32_e64 v35, 0, v35, s[0:1]
	v_cmp_nlt_f32_e64 s[0:1], s23, v34
	v_cndmask_b32_e64 v34, v31, v35, s[0:1]
	v_add_f32_e64 v35, |v33|, -2.0
	v_mul_f32_e32 v35, v35, v36
	v_fmac_f32_e32 v34, v34, v37
	v_add_f32_e32 v37, 1.0, v35
	v_fma_f32 v37, v37, -2.0, |v33|
	v_fma_f32 v37, -v35, |v33|, v37
	v_fmac_f32_e32 v35, v36, v37
	v_mov_b32_e32 v36, 0xbaa2d753
	v_fmac_f32_e32 v36, 0xb9d6f8c4, v35
	v_fma_f32 v36, v35, v36, v23
	v_fma_f32 v36, v35, v36, v24
	;; [unrolled: 1-line block ×3, first 2 shown]
	v_add_f32_e64 v37, |v33|, |v33|
	v_fma_f32 v36, v35, v36, v26
	v_add_f32_e32 v38, 1.0, v37
	v_fma_f32 v36, v35, v36, v27
	v_rcp_f32_e32 v38, v38
	v_fma_f32 v36, v35, v36, v28
	v_fma_f32 v36, v35, v36, v29
	;; [unrolled: 1-line block ×4, first 2 shown]
	v_fma_f32 v37, -v36, v37, 1.0
	v_sub_f32_e32 v35, v35, v36
	v_add_f32_e32 v35, v37, v35
	v_fmac_f32_e32 v36, v38, v35
	v_mul_f32_e32 v34, v34, v36
	v_cmp_ngt_f32_e64 s[0:1], |v33|, s24
	v_cndmask_b32_e64 v34, 0, v34, s[0:1]
	v_sub_f32_e32 v35, 2.0, v34
	v_cmp_gt_f32_e64 s[0:1], 0, v33
	v_cndmask_b32_e64 v33, v34, v35, s[0:1]
	v_mov_b32_e32 v35, s9
	v_add_co_u32_e64 v34, s[0:1], s8, v12
	v_addc_co_u32_e64 v35, s[0:1], v11, v35, s[0:1]
	global_store_dword v[34:35], v33, off
	s_or_b64 exec, exec, s[2:3]
	s_and_saveexec_b64 s[0:1], vcc
	s_cbranch_execz .LBB1_8
.LBB1_24:                               ;   in Loop: Header=BB1_9 Depth=1
	s_waitcnt vmcnt(0)
	v_mul_f32_e64 v33, v32, -v32
	v_mul_f32_e32 v34, 0x3fb8aa3b, v33
	v_rndne_f32_e32 v35, v34
	v_sub_f32_e32 v36, v34, v35
	v_fma_f32 v34, v33, s21, -v34
	v_fmac_f32_e32 v34, 0x32a5705f, v33
	v_add_f32_e32 v34, v36, v34
	v_exp_f32_e32 v34, v34
	v_cvt_i32_f32_e32 v35, v35
	v_cmp_ngt_f32_e32 vcc, s22, v33
	v_fma_f32 v36, -v32, v32, -v33
	v_ldexp_f32 v34, v34, v35
	v_add_f32_e64 v35, |v32|, 2.0
	v_rcp_f32_e32 v35, v35
	v_cndmask_b32_e32 v34, 0, v34, vcc
	v_cmp_nlt_f32_e32 vcc, s23, v33
	v_cndmask_b32_e32 v33, v31, v34, vcc
	v_add_f32_e64 v34, |v32|, -2.0
	v_mul_f32_e32 v34, v34, v35
	v_fmac_f32_e32 v33, v33, v36
	v_add_f32_e32 v36, 1.0, v34
	v_fma_f32 v36, v36, -2.0, |v32|
	v_fma_f32 v36, -v34, |v32|, v36
	v_fmac_f32_e32 v34, v35, v36
	v_mov_b32_e32 v35, 0xbaa2d753
	v_fmac_f32_e32 v35, 0xb9d6f8c4, v34
	v_fma_f32 v35, v34, v35, v23
	v_fma_f32 v35, v34, v35, v24
	;; [unrolled: 1-line block ×3, first 2 shown]
	v_add_f32_e64 v36, |v32|, |v32|
	v_fma_f32 v35, v34, v35, v26
	v_add_f32_e32 v37, 1.0, v36
	v_fma_f32 v35, v34, v35, v27
	v_rcp_f32_e32 v37, v37
	v_fma_f32 v35, v34, v35, v28
	v_fma_f32 v35, v34, v35, v29
	;; [unrolled: 1-line block ×4, first 2 shown]
	v_fma_f32 v36, -v35, v36, 1.0
	v_sub_f32_e32 v34, v34, v35
	v_add_f32_e32 v34, v36, v34
	v_fmac_f32_e32 v35, v37, v34
	v_mul_f32_e32 v33, v33, v35
	v_cmp_ngt_f32_e64 vcc, |v32|, s24
	v_cndmask_b32_e32 v33, 0, v33, vcc
	v_sub_f32_e32 v34, 2.0, v33
	v_cmp_gt_f32_e32 vcc, 0, v32
	v_cndmask_b32_e32 v34, v33, v34, vcc
	v_mov_b32_e32 v33, s9
	v_add_co_u32_e32 v32, vcc, s8, v8
	v_addc_co_u32_e32 v33, vcc, v7, v33, vcc
	global_store_dword v[32:33], v34, off
	s_branch .LBB1_8
.LBB1_25:
	s_endpgm
	.section	.rodata,"a",@progbits
	.p2align	6, 0x0
	.amdhsa_kernel _ZN2at6native12_GLOBAL__N_125multi_tensor_apply_kernelINS1_18TensorListMetadataILi2EEENS1_14UnaryOpFunctorIfLi2ELi1ELi1EEEJNS0_4ErfcIfEEEEEvT_T0_DpT1_
		.amdhsa_group_segment_fixed_size 0
		.amdhsa_private_segment_fixed_size 0
		.amdhsa_kernarg_size 3408
		.amdhsa_user_sgpr_count 6
		.amdhsa_user_sgpr_private_segment_buffer 1
		.amdhsa_user_sgpr_dispatch_ptr 0
		.amdhsa_user_sgpr_queue_ptr 0
		.amdhsa_user_sgpr_kernarg_segment_ptr 1
		.amdhsa_user_sgpr_dispatch_id 0
		.amdhsa_user_sgpr_flat_scratch_init 0
		.amdhsa_user_sgpr_kernarg_preload_length 0
		.amdhsa_user_sgpr_kernarg_preload_offset 0
		.amdhsa_user_sgpr_private_segment_size 0
		.amdhsa_uses_dynamic_stack 0
		.amdhsa_system_sgpr_private_segment_wavefront_offset 0
		.amdhsa_system_sgpr_workgroup_id_x 1
		.amdhsa_system_sgpr_workgroup_id_y 0
		.amdhsa_system_sgpr_workgroup_id_z 0
		.amdhsa_system_sgpr_workgroup_info 0
		.amdhsa_system_vgpr_workitem_id 0
		.amdhsa_next_free_vgpr 60
		.amdhsa_next_free_sgpr 42
		.amdhsa_accum_offset 60
		.amdhsa_reserve_vcc 1
		.amdhsa_reserve_flat_scratch 0
		.amdhsa_float_round_mode_32 0
		.amdhsa_float_round_mode_16_64 0
		.amdhsa_float_denorm_mode_32 3
		.amdhsa_float_denorm_mode_16_64 3
		.amdhsa_dx10_clamp 1
		.amdhsa_ieee_mode 1
		.amdhsa_fp16_overflow 0
		.amdhsa_tg_split 0
		.amdhsa_exception_fp_ieee_invalid_op 0
		.amdhsa_exception_fp_denorm_src 0
		.amdhsa_exception_fp_ieee_div_zero 0
		.amdhsa_exception_fp_ieee_overflow 0
		.amdhsa_exception_fp_ieee_underflow 0
		.amdhsa_exception_fp_ieee_inexact 0
		.amdhsa_exception_int_div_zero 0
	.end_amdhsa_kernel
	.section	.text._ZN2at6native12_GLOBAL__N_125multi_tensor_apply_kernelINS1_18TensorListMetadataILi2EEENS1_14UnaryOpFunctorIfLi2ELi1ELi1EEEJNS0_4ErfcIfEEEEEvT_T0_DpT1_,"axG",@progbits,_ZN2at6native12_GLOBAL__N_125multi_tensor_apply_kernelINS1_18TensorListMetadataILi2EEENS1_14UnaryOpFunctorIfLi2ELi1ELi1EEEJNS0_4ErfcIfEEEEEvT_T0_DpT1_,comdat
.Lfunc_end1:
	.size	_ZN2at6native12_GLOBAL__N_125multi_tensor_apply_kernelINS1_18TensorListMetadataILi2EEENS1_14UnaryOpFunctorIfLi2ELi1ELi1EEEJNS0_4ErfcIfEEEEEvT_T0_DpT1_, .Lfunc_end1-_ZN2at6native12_GLOBAL__N_125multi_tensor_apply_kernelINS1_18TensorListMetadataILi2EEENS1_14UnaryOpFunctorIfLi2ELi1ELi1EEEJNS0_4ErfcIfEEEEEvT_T0_DpT1_
                                        ; -- End function
	.section	.AMDGPU.csdata,"",@progbits
; Kernel info:
; codeLenInByte = 3628
; NumSgprs: 46
; NumVgprs: 60
; NumAgprs: 0
; TotalNumVgprs: 60
; ScratchSize: 0
; MemoryBound: 0
; FloatMode: 240
; IeeeMode: 1
; LDSByteSize: 0 bytes/workgroup (compile time only)
; SGPRBlocks: 5
; VGPRBlocks: 7
; NumSGPRsForWavesPerEU: 46
; NumVGPRsForWavesPerEU: 60
; AccumOffset: 60
; Occupancy: 8
; WaveLimiterHint : 0
; COMPUTE_PGM_RSRC2:SCRATCH_EN: 0
; COMPUTE_PGM_RSRC2:USER_SGPR: 6
; COMPUTE_PGM_RSRC2:TRAP_HANDLER: 0
; COMPUTE_PGM_RSRC2:TGID_X_EN: 1
; COMPUTE_PGM_RSRC2:TGID_Y_EN: 0
; COMPUTE_PGM_RSRC2:TGID_Z_EN: 0
; COMPUTE_PGM_RSRC2:TIDIG_COMP_CNT: 0
; COMPUTE_PGM_RSRC3_GFX90A:ACCUM_OFFSET: 14
; COMPUTE_PGM_RSRC3_GFX90A:TG_SPLIT: 0
	.section	.text._ZN2at6native12_GLOBAL__N_125multi_tensor_apply_kernelINS1_18TensorListMetadataILi2EEENS1_14UnaryOpFunctorIN3c104HalfELi2ELi1ELi1EEEJNS0_4ErfcIfEEEEEvT_T0_DpT1_,"axG",@progbits,_ZN2at6native12_GLOBAL__N_125multi_tensor_apply_kernelINS1_18TensorListMetadataILi2EEENS1_14UnaryOpFunctorIN3c104HalfELi2ELi1ELi1EEEJNS0_4ErfcIfEEEEEvT_T0_DpT1_,comdat
	.globl	_ZN2at6native12_GLOBAL__N_125multi_tensor_apply_kernelINS1_18TensorListMetadataILi2EEENS1_14UnaryOpFunctorIN3c104HalfELi2ELi1ELi1EEEJNS0_4ErfcIfEEEEEvT_T0_DpT1_ ; -- Begin function _ZN2at6native12_GLOBAL__N_125multi_tensor_apply_kernelINS1_18TensorListMetadataILi2EEENS1_14UnaryOpFunctorIN3c104HalfELi2ELi1ELi1EEEJNS0_4ErfcIfEEEEEvT_T0_DpT1_
	.p2align	8
	.type	_ZN2at6native12_GLOBAL__N_125multi_tensor_apply_kernelINS1_18TensorListMetadataILi2EEENS1_14UnaryOpFunctorIN3c104HalfELi2ELi1ELi1EEEJNS0_4ErfcIfEEEEEvT_T0_DpT1_,@function
_ZN2at6native12_GLOBAL__N_125multi_tensor_apply_kernelINS1_18TensorListMetadataILi2EEENS1_14UnaryOpFunctorIN3c104HalfELi2ELi1ELi1EEEJNS0_4ErfcIfEEEEEvT_T0_DpT1_: ; @_ZN2at6native12_GLOBAL__N_125multi_tensor_apply_kernelINS1_18TensorListMetadataILi2EEENS1_14UnaryOpFunctorIN3c104HalfELi2ELi1ELi1EEEJNS0_4ErfcIfEEEEEvT_T0_DpT1_
; %bb.0:
	v_mov_b32_e32 v1, s6
	global_load_ubyte v1, v1, s[4:5] offset:1536
	s_add_u32 s0, s4, s6
	s_mul_hi_u32 s2, s6, 3
	s_mul_i32 s6, s6, 3
	s_addc_u32 s7, s5, 0
	s_add_u32 s6, s0, s6
	s_addc_u32 s7, s7, s2
	s_mov_b32 s1, 0
	s_mov_b32 s3, s1
	s_waitcnt vmcnt(0)
	v_readfirstlane_b32 s0, v1
	s_lshl_b32 s0, s0, 3
	s_load_dword s10, s[6:7], 0x740
	s_load_dwordx2 s[16:17], s[4:5], s0 offset:0x0
	s_load_dwordx2 s[12:13], s[4:5], s0 offset:0x400
	s_load_dwordx2 s[14:15], s[4:5], s0 offset:0x200
	s_mov_b32 s7, s1
	s_waitcnt lgkmcnt(0)
	s_ashr_i32 s11, s10, 31
	s_and_b32 s0, s16, 7
	s_and_b32 s6, s12, 3
	;; [unrolled: 1-line block ×3, first 2 shown]
	s_or_b64 s[6:7], s[0:1], s[6:7]
	s_lshl_b64 s[8:9], s[10:11], 17
	s_or_b64 s[2:3], s[2:3], s[6:7]
	s_lshl_b64 s[6:7], s[10:11], 16
	s_sub_u32 s10, s12, s6
	s_subb_u32 s11, s13, s7
	s_cmp_eq_u64 s[2:3], 0
	s_mov_b64 s[2:3], -1
	s_cbranch_scc0 .LBB2_5
; %bb.1:
	v_mov_b32_e32 v3, 0
	v_lshlrev_b32_e32 v2, 2, v0
	v_cmp_gt_i64_e32 vcc, s[10:11], v[2:3]
	s_and_saveexec_b64 s[12:13], vcc
	s_cbranch_execz .LBB2_4
; %bb.2:
	s_load_dword s0, s[4:5], 0xc5c
	v_lshlrev_b32_e32 v1, 3, v0
	v_mov_b32_e32 v2, s9
	v_add_co_u32_e32 v4, vcc, s8, v1
	s_waitcnt lgkmcnt(0)
	s_and_b32 s0, s0, 0xffff
	v_addc_co_u32_e32 v1, vcc, 0, v2, vcc
	s_lshl_b32 s21, s0, 3
	v_add_lshl_u32 v2, v0, s0, 2
	s_lshl_b32 s23, s0, 2
	s_mov_b32 s0, 0xbaa2d753
	s_mov_b64 s[18:19], 0
	v_mov_b32_e32 v5, s17
	v_mov_b32_e32 v12, s15
	s_mov_b32 s25, 0x3fb8aa3b
	s_mov_b32 s27, 0xc2ce8ed0
	;; [unrolled: 1-line block ×3, first 2 shown]
	v_mov_b32_e32 v13, 0x7f800000
	s_mov_b32 s20, 0xb9d6f8c4
	v_pk_mov_b32 v[6:7], s[0:1], s[0:1] op_sel:[0,1]
	s_mov_b32 s22, 0x3aad2fb4
	s_mov_b32 s24, 0x3c0da267
	s_mov_b32 s26, 0xbc0415b1
	s_mov_b32 s28, 0xbd5e0a18
	s_mov_b32 s30, 0x3e27fe2a
	s_mov_b32 s34, 0xbe2a03fd
	s_mov_b32 s36, 0xbdbdfb0b
	s_mov_b32 s38, 0x3e8dd01c
	s_mov_b32 s31, 0x4120ddfc
	s_mov_b64 s[40:41], 0xffff
	v_mov_b32_e32 v14, s1
	v_mov_b32_e32 v15, s1
	v_pk_mov_b32 v[8:9], v[2:3], v[2:3] op_sel:[0,1]
.LBB2_3:                                ; =>This Inner Loop Header: Depth=1
	v_add_co_u32_e32 v16, vcc, s16, v4
	v_addc_co_u32_e32 v17, vcc, v5, v1, vcc
	global_load_dwordx2 v[16:17], v[16:17], off
	v_add_co_u32_e32 v10, vcc, s14, v4
	v_add_co_u32_e64 v4, s[2:3], s21, v4
	v_addc_co_u32_e32 v11, vcc, v12, v1, vcc
	v_addc_co_u32_e64 v1, s[2:3], v1, v14, s[2:3]
	v_cmp_le_i64_e32 vcc, s[10:11], v[8:9]
	v_cmp_lt_u64_e64 s[0:1], s[40:41], v[8:9]
	v_add_co_u32_e64 v8, s[2:3], s23, v8
	v_addc_co_u32_e64 v9, s[2:3], v9, v15, s[2:3]
	s_or_b64 s[42:43], vcc, s[0:1]
	s_waitcnt vmcnt(0)
	v_cvt_f32_f16_e32 v18, v16
	v_cvt_f32_f16_sdwa v19, v16 dst_sel:DWORD dst_unused:UNUSED_PAD src0_sel:WORD_1
	v_cvt_f32_f16_e32 v20, v17
	v_cvt_f32_f16_sdwa v21, v17 dst_sel:DWORD dst_unused:UNUSED_PAD src0_sel:WORD_1
	v_add_f32_e64 v2, |v18|, 2.0
	v_add_f32_e64 v31, |v19|, 2.0
	v_rcp_f32_e32 v30, v2
	v_rcp_f32_e32 v31, v31
	v_add_f32_e64 v38, |v20|, 2.0
	v_add_f32_e64 v39, |v21|, 2.0
	v_and_b32_e32 v22, 0x7fffffff, v18
	v_and_b32_e32 v23, 0x7fffffff, v19
	v_rcp_f32_e32 v38, v38
	v_rcp_f32_e32 v39, v39
	v_pk_add_f32 v[36:37], -2.0, v[22:23] op_sel_hi:[0,1]
	v_and_b32_e32 v24, 0x7fffffff, v20
	v_and_b32_e32 v25, 0x7fffffff, v21
	v_pk_mul_f32 v[36:37], v[36:37], v[30:31]
	v_pk_add_f32 v[44:45], -2.0, v[24:25] op_sel_hi:[0,1]
	v_pk_add_f32 v[50:51], v[36:37], 1.0 op_sel_hi:[1,0]
	v_xor_b32_e32 v26, 0x80000000, v20
	v_xor_b32_e32 v27, 0x80000000, v21
	v_pk_mul_f32 v[44:45], v[44:45], v[38:39]
	v_pk_fma_f32 v[50:51], -2.0, v[50:51], v[22:23] op_sel_hi:[0,1,1]
	v_pk_add_f32 v[34:35], v[22:23], v[22:23]
	v_pk_mul_f32 v[42:43], v[26:27], v[20:21]
	v_pk_fma_f32 v[22:23], v[36:37], v[22:23], v[50:51] neg_lo:[1,0,0] neg_hi:[1,0,0]
	v_pk_add_f32 v[50:51], v[44:45], 1.0 op_sel_hi:[1,0]
	v_xor_b32_e32 v28, 0x80000000, v18
	v_xor_b32_e32 v29, 0x80000000, v19
	v_add_f32_e32 v2, 1.0, v34
	v_mul_f32_e32 v52, 0x3fb8aa3b, v43
	v_pk_fma_f32 v[50:51], -2.0, v[50:51], v[24:25] op_sel_hi:[0,1,1]
	v_pk_add_f32 v[32:33], v[24:25], v[24:25]
	v_pk_mul_f32 v[40:41], v[28:29], v[18:19]
	v_rcp_f32_e32 v46, v2
	v_fma_f32 v2, v43, s25, -v52
	v_rndne_f32_e32 v56, v52
	v_pk_fma_f32 v[24:25], v[44:45], v[24:25], v[50:51] neg_lo:[1,0,0] neg_hi:[1,0,0]
	v_mul_f32_e32 v53, 0x3fb8aa3b, v42
	v_mul_f32_e32 v54, 0x3fb8aa3b, v41
	v_fmac_f32_e32 v2, 0x32a5705f, v43
	v_sub_f32_e32 v52, v52, v56
	v_pk_fma_f32 v[22:23], v[30:31], v[22:23], v[36:37]
	v_pk_fma_f32 v[24:25], v[38:39], v[24:25], v[44:45]
	v_fma_f32 v50, v42, s25, -v53
	v_rndne_f32_e32 v51, v53
	v_fma_f32 v57, v41, s25, -v54
	v_add_f32_e32 v2, v52, v2
	v_rndne_f32_e32 v52, v54
	v_pk_fma_f32 v[30:31], v[22:23], s[20:21], v[6:7] op_sel_hi:[1,0,0]
	v_pk_fma_f32 v[36:37], v[24:25], s[20:21], v[6:7] op_sel_hi:[1,0,0]
	v_mul_f32_e32 v55, 0x3fb8aa3b, v40
	v_fmac_f32_e32 v50, 0x32a5705f, v42
	v_sub_f32_e32 v53, v53, v51
	v_fmac_f32_e32 v57, 0x32a5705f, v41
	v_sub_f32_e32 v54, v54, v52
	v_pk_fma_f32 v[36:37], v[24:25], v[36:37], s[22:23] op_sel_hi:[1,1,0]
	v_pk_fma_f32 v[30:31], v[22:23], v[30:31], s[22:23] op_sel_hi:[1,1,0]
	v_add_f32_e32 v50, v53, v50
	v_fma_f32 v53, v40, s25, -v55
	v_add_f32_e32 v54, v54, v57
	v_rndne_f32_e32 v57, v55
	v_pk_fma_f32 v[30:31], v[22:23], v[30:31], s[24:25] op_sel_hi:[1,1,0]
	v_pk_fma_f32 v[36:37], v[24:25], v[36:37], s[24:25] op_sel_hi:[1,1,0]
	v_fmac_f32_e32 v53, 0x32a5705f, v40
	v_sub_f32_e32 v55, v55, v57
	v_pk_fma_f32 v[36:37], v[24:25], v[36:37], s[26:27] op_sel_hi:[1,1,0]
	v_pk_fma_f32 v[30:31], v[22:23], v[30:31], s[26:27] op_sel_hi:[1,1,0]
	v_add_f32_e32 v47, 1.0, v35
	v_add_f32_e32 v48, 1.0, v32
	;; [unrolled: 1-line block ×3, first 2 shown]
	v_add_f32_e32 v53, v55, v53
	v_pk_fma_f32 v[30:31], v[22:23], v[30:31], s[28:29] op_sel_hi:[1,1,0]
	v_pk_fma_f32 v[36:37], v[24:25], v[36:37], s[28:29] op_sel_hi:[1,1,0]
	v_rcp_f32_e32 v47, v47
	v_rcp_f32_e32 v48, v48
	v_rcp_f32_e32 v49, v49
	v_cvt_i32_f32_e32 v56, v56
	v_cvt_i32_f32_e32 v51, v51
	v_cvt_i32_f32_e32 v52, v52
	v_cvt_i32_f32_e32 v57, v57
	v_exp_f32_e32 v2, v2
	v_exp_f32_e32 v50, v50
	;; [unrolled: 1-line block ×4, first 2 shown]
	v_pk_fma_f32 v[36:37], v[24:25], v[36:37], s[30:31] op_sel_hi:[1,1,0]
	v_pk_fma_f32 v[30:31], v[22:23], v[30:31], s[30:31] op_sel_hi:[1,1,0]
	;; [unrolled: 1-line block ×8, first 2 shown]
	v_ldexp_f32 v2, v2, v56
	v_ldexp_f32 v38, v50, v51
	v_cmp_ngt_f32_e32 vcc, s27, v42
	v_ldexp_f32 v39, v54, v52
	v_cmp_ngt_f32_e64 s[0:1], s27, v41
	v_ldexp_f32 v44, v53, v57
	v_cmp_ngt_f32_e64 s[2:3], s27, v40
	v_cmp_ngt_f32_e64 s[6:7], s27, v43
	v_pk_fma_f32 v[30:31], v[24:25], v[48:49], v[48:49]
	v_pk_fma_f32 v[36:37], v[22:23], v[46:47], v[46:47]
	v_pk_fma_f32 v[26:27], v[26:27], v[20:21], v[42:43] neg_lo:[0,0,1] neg_hi:[0,0,1]
	v_cndmask_b32_e64 v2, 0, v2, s[6:7]
	v_cndmask_b32_e32 v38, 0, v38, vcc
	v_cmp_nlt_f32_e32 vcc, s29, v42
	v_cndmask_b32_e64 v42, 0, v39, s[0:1]
	v_cmp_nlt_f32_e64 s[0:1], s29, v41
	v_cndmask_b32_e64 v44, 0, v44, s[2:3]
	v_cmp_nlt_f32_e64 s[2:3], s29, v40
	v_cmp_nlt_f32_e64 s[6:7], s29, v43
	v_pk_fma_f32 v[34:35], v[36:37], v[34:35], 1.0 op_sel_hi:[1,1,0] neg_lo:[1,0,0] neg_hi:[1,0,0]
	v_pk_fma_f32 v[32:33], v[30:31], v[32:33], 1.0 op_sel_hi:[1,1,0] neg_lo:[1,0,0] neg_hi:[1,0,0]
	v_sub_f32_e32 v23, v23, v37
	v_sub_f32_e32 v22, v22, v36
	;; [unrolled: 1-line block ×4, first 2 shown]
	v_pk_fma_f32 v[28:29], v[28:29], v[18:19], v[40:41] neg_lo:[0,0,1] neg_hi:[0,0,1]
	v_cndmask_b32_e64 v39, v13, v2, s[6:7]
	v_cndmask_b32_e32 v38, v13, v38, vcc
	v_cndmask_b32_e64 v41, v13, v42, s[0:1]
	v_cndmask_b32_e64 v40, v13, v44, s[2:3]
	v_pk_add_f32 v[24:25], v[32:33], v[24:25]
	v_pk_add_f32 v[22:23], v[34:35], v[22:23]
	v_pk_fma_f32 v[28:29], v[40:41], v[28:29], v[40:41]
	v_pk_fma_f32 v[26:27], v[38:39], v[26:27], v[38:39]
	;; [unrolled: 1-line block ×4, first 2 shown]
	v_pk_mul_f32 v[24:25], v[26:27], v[24:25]
	v_pk_mul_f32 v[22:23], v[28:29], v[22:23]
	v_cmp_ngt_f32_e64 vcc, |v19|, s31
	v_cmp_ngt_f32_e64 s[0:1], |v20|, s31
	v_cmp_ngt_f32_e64 s[2:3], |v21|, s31
	;; [unrolled: 1-line block ×3, first 2 shown]
	v_cndmask_b32_e64 v2, 0, v22, s[6:7]
	v_cndmask_b32_e32 v18, 0, v23, vcc
	v_cndmask_b32_e64 v19, 0, v24, s[0:1]
	v_cndmask_b32_e64 v20, 0, v25, s[2:3]
	v_sub_f32_e32 v21, 2.0, v20
	v_sub_f32_e32 v22, 2.0, v19
	;; [unrolled: 1-line block ×4, first 2 shown]
	v_cmp_lt_f16_sdwa vcc, v17, v3 src0_sel:WORD_1 src1_sel:DWORD
	v_cmp_gt_f16_e64 s[0:1], 0, v17
	v_cmp_lt_f16_sdwa s[2:3], v16, v3 src0_sel:WORD_1 src1_sel:DWORD
	v_cmp_gt_f16_e64 s[6:7], 0, v16
	v_cndmask_b32_e64 v2, v2, v24, s[6:7]
	v_cndmask_b32_e64 v16, v18, v23, s[2:3]
	;; [unrolled: 1-line block ×3, first 2 shown]
	v_cndmask_b32_e32 v18, v20, v21, vcc
	v_cvt_f16_f32_e32 v18, v18
	v_cvt_f16_f32_e32 v17, v17
	;; [unrolled: 1-line block ×4, first 2 shown]
	s_and_b64 s[0:1], exec, s[42:43]
	s_or_b64 s[18:19], s[0:1], s[18:19]
	v_pack_b32_f16 v17, v17, v18
	v_pack_b32_f16 v16, v2, v16
	global_store_dwordx2 v[10:11], v[16:17], off
	s_andn2_b64 exec, exec, s[18:19]
	s_cbranch_execnz .LBB2_3
.LBB2_4:
	s_or_b64 exec, exec, s[12:13]
	s_mov_b64 s[2:3], 0
.LBB2_5:
	s_andn2_b64 vcc, exec, s[2:3]
	s_cbranch_vccnz .LBB2_25
; %bb.6:
	v_cmp_lt_i64_e64 s[0:1], s[10:11], 1
	s_and_b64 vcc, exec, s[0:1]
	s_cbranch_vccnz .LBB2_25
; %bb.7:
	s_load_dword s0, s[4:5], 0xc5c
	v_mov_b32_e32 v2, 0x10000
	v_mov_b32_e32 v3, 0
	v_cmp_lt_u64_e32 vcc, s[10:11], v[2:3]
	v_lshlrev_b32_e32 v10, 1, v0
	s_waitcnt lgkmcnt(0)
	s_and_b32 s2, s0, 0xffff
	s_and_b64 s[0:1], vcc, exec
	v_mov_b32_e32 v13, s17
	v_add_co_u32_e32 v2, vcc, s16, v10
	v_addc_co_u32_e32 v1, vcc, 0, v13, vcc
	v_mov_b32_e32 v11, 0
	v_mov_b32_e32 v15, s15
	v_add_co_u32_e32 v4, vcc, s14, v10
	v_addc_co_u32_e32 v3, vcc, 0, v15, vcc
	v_mad_u64_u32 v[8:9], s[0:1], s2, 6, v[10:11]
	v_add_co_u32_e32 v6, vcc, s16, v8
	v_addc_co_u32_e32 v5, vcc, v13, v9, vcc
	v_add_co_u32_e32 v8, vcc, s14, v8
	s_mul_i32 s4, s2, 3
	v_addc_co_u32_e32 v7, vcc, v15, v9, vcc
	s_cselect_b32 s13, s11, 0
	s_cselect_b32 s12, s10, 0x10000
	s_lshl_b32 s19, s2, 2
	v_add_co_u32_e32 v17, vcc, s4, v0
	v_addc_co_u32_e64 v18, s[0:1], 0, 0, vcc
	v_add_co_u32_e32 v11, vcc, s19, v10
	v_addc_co_u32_e64 v14, s[0:1], 0, 0, vcc
	v_add_co_u32_e32 v10, vcc, s16, v11
	v_addc_co_u32_e32 v9, vcc, v13, v14, vcc
	v_add_co_u32_e32 v12, vcc, s14, v11
	s_lshl_b32 s3, s2, 1
	v_addc_co_u32_e32 v11, vcc, v15, v14, vcc
	v_add_co_u32_e32 v19, vcc, s3, v0
	v_addc_co_u32_e64 v20, s[0:1], 0, 0, vcc
	v_add_co_u32_e32 v21, vcc, s2, v0
	v_lshlrev_b32_e32 v16, 1, v21
	v_addc_co_u32_e64 v22, s[0:1], 0, 0, vcc
	v_add_co_u32_e32 v14, vcc, s16, v16
	v_addc_co_u32_e32 v13, vcc, 0, v13, vcc
	v_add_co_u32_e32 v16, vcc, s14, v16
	s_mov_b32 s18, 0
	s_lshl_b32 s20, s2, 3
	v_addc_co_u32_e32 v15, vcc, 0, v15, vcc
	s_mov_b64 s[14:15], 0
	s_mov_b32 s21, 0x3fb8aa3b
	s_mov_b32 s22, 0xc2ce8ed0
	;; [unrolled: 1-line block ×3, first 2 shown]
	s_mov_b32 s24, -2.0
	v_mov_b32_e32 v23, 0x3aad2fb4
	v_mov_b32_e32 v24, 0x3c0da267
	v_mov_b32_e32 v25, 0xbc0415b1
	v_mov_b32_e32 v26, 0xbd5e0a18
	v_mov_b32_e32 v27, 0x3e27fe2a
	v_mov_b32_e32 v28, 0xbe2a03fd
	v_mov_b32_e32 v29, 0xbdbdfb0b
	v_mov_b32_e32 v30, 0x3e8dd01c
	s_mov_b32 s25, 0x4120ddfc
	v_mov_b32_e32 v31, 0x7f800000
	s_branch .LBB2_9
.LBB2_8:                                ;   in Loop: Header=BB2_9 Depth=1
	s_or_b64 exec, exec, s[0:1]
	s_add_u32 s14, s14, s19
	s_addc_u32 s15, s15, 0
	s_waitcnt vmcnt(0)
	v_pk_mov_b32 v[32:33], s[10:11], s[10:11] op_sel:[0,1]
	v_cmp_ge_i64_e32 vcc, s[14:15], v[32:33]
	v_mov_b32_e32 v32, 0xffff
	v_mov_b32_e32 v33, 0
	v_cmp_gt_u64_e64 s[0:1], s[14:15], v[32:33]
	s_or_b64 s[0:1], vcc, s[0:1]
	v_mov_b32_e32 v32, s18
	v_add_co_u32_e32 v2, vcc, s20, v2
	v_addc_co_u32_e32 v1, vcc, v1, v32, vcc
	v_add_co_u32_e32 v4, vcc, s20, v4
	v_addc_co_u32_e32 v3, vcc, v3, v32, vcc
	;; [unrolled: 2-line block ×8, first 2 shown]
	s_and_b64 vcc, exec, s[0:1]
	s_cbranch_vccnz .LBB2_25
.LBB2_9:                                ; =>This Inner Loop Header: Depth=1
	v_mov_b32_e32 v33, s15
	v_add_co_u32_e32 v32, vcc, s14, v0
	v_addc_co_u32_e32 v33, vcc, 0, v33, vcc
	v_cmp_gt_u64_e64 s[4:5], s[12:13], v[32:33]
	v_mov_b32_e32 v35, 0
	s_and_saveexec_b64 s[0:1], s[4:5]
	s_cbranch_execz .LBB2_11
; %bb.10:                               ;   in Loop: Header=BB2_9 Depth=1
	v_mov_b32_e32 v33, s9
	v_add_co_u32_e32 v32, vcc, s8, v2
	v_addc_co_u32_e32 v33, vcc, v1, v33, vcc
	global_load_ushort v35, v[32:33], off
.LBB2_11:                               ;   in Loop: Header=BB2_9 Depth=1
	s_or_b64 exec, exec, s[0:1]
	v_mov_b32_e32 v33, s15
	v_add_co_u32_e32 v32, vcc, s14, v21
	v_addc_co_u32_e32 v33, vcc, v22, v33, vcc
	v_cmp_gt_u64_e64 s[2:3], s[12:13], v[32:33]
	v_mov_b32_e32 v34, 0
	s_and_saveexec_b64 s[0:1], s[2:3]
	s_cbranch_execz .LBB2_13
; %bb.12:                               ;   in Loop: Header=BB2_9 Depth=1
	v_mov_b32_e32 v33, s9
	v_add_co_u32_e32 v32, vcc, s8, v14
	v_addc_co_u32_e32 v33, vcc, v13, v33, vcc
	global_load_ushort v34, v[32:33], off
.LBB2_13:                               ;   in Loop: Header=BB2_9 Depth=1
	s_or_b64 exec, exec, s[0:1]
	v_mov_b32_e32 v33, s15
	v_add_co_u32_e32 v32, vcc, s14, v19
	v_addc_co_u32_e32 v33, vcc, v20, v33, vcc
	v_cmp_gt_u64_e64 s[0:1], s[12:13], v[32:33]
	v_mov_b32_e32 v32, 0
	v_mov_b32_e32 v33, 0
	s_and_saveexec_b64 s[6:7], s[0:1]
	s_cbranch_execz .LBB2_15
; %bb.14:                               ;   in Loop: Header=BB2_9 Depth=1
	v_mov_b32_e32 v33, s9
	v_add_co_u32_e32 v36, vcc, s8, v10
	v_addc_co_u32_e32 v37, vcc, v9, v33, vcc
	global_load_ushort v33, v[36:37], off
.LBB2_15:                               ;   in Loop: Header=BB2_9 Depth=1
	s_or_b64 exec, exec, s[6:7]
	v_mov_b32_e32 v37, s15
	v_add_co_u32_e32 v36, vcc, s14, v17
	v_addc_co_u32_e32 v37, vcc, v18, v37, vcc
	v_cmp_gt_u64_e32 vcc, s[12:13], v[36:37]
	s_and_saveexec_b64 s[16:17], vcc
	s_cbranch_execnz .LBB2_20
; %bb.16:                               ;   in Loop: Header=BB2_9 Depth=1
	s_or_b64 exec, exec, s[16:17]
	s_and_saveexec_b64 s[6:7], s[4:5]
	s_cbranch_execnz .LBB2_21
.LBB2_17:                               ;   in Loop: Header=BB2_9 Depth=1
	s_or_b64 exec, exec, s[6:7]
	s_and_saveexec_b64 s[4:5], s[2:3]
	s_cbranch_execnz .LBB2_22
.LBB2_18:                               ;   in Loop: Header=BB2_9 Depth=1
	s_or_b64 exec, exec, s[4:5]
	s_and_saveexec_b64 s[2:3], s[0:1]
	s_cbranch_execnz .LBB2_23
.LBB2_19:                               ;   in Loop: Header=BB2_9 Depth=1
	s_or_b64 exec, exec, s[2:3]
	s_and_saveexec_b64 s[0:1], vcc
	s_cbranch_execz .LBB2_8
	s_branch .LBB2_24
.LBB2_20:                               ;   in Loop: Header=BB2_9 Depth=1
	v_mov_b32_e32 v32, s9
	v_add_co_u32_e64 v36, s[6:7], s8, v6
	v_addc_co_u32_e64 v37, s[6:7], v5, v32, s[6:7]
	global_load_ushort v32, v[36:37], off
	s_or_b64 exec, exec, s[16:17]
	s_and_saveexec_b64 s[6:7], s[4:5]
	s_cbranch_execz .LBB2_17
.LBB2_21:                               ;   in Loop: Header=BB2_9 Depth=1
	s_waitcnt vmcnt(0)
	v_cvt_f32_f16_e32 v42, v35
	v_mul_f32_e64 v37, -v42, v42
	v_mul_f32_e32 v36, 0x3fb8aa3b, v37
	v_rndne_f32_e32 v38, v36
	v_fma_f32 v39, v37, s21, -v36
	v_sub_f32_e32 v36, v36, v38
	v_fmac_f32_e32 v39, 0x32a5705f, v37
	v_add_f32_e32 v36, v36, v39
	v_cvt_i32_f32_e32 v38, v38
	v_exp_f32_e32 v39, v36
	v_add_f32_e64 v41, |v42|, -2.0
	v_cmp_ngt_f32_e64 s[4:5], s22, v37
	v_fma_mix_f32 v36, -v35, v35, -v37 op_sel_hi:[1,1,0]
	v_ldexp_f32 v38, v39, v38
	v_add_f32_e64 v39, |v42|, 2.0
	v_rcp_f32_e32 v40, v39
	v_cndmask_b32_e64 v38, 0, v38, s[4:5]
	v_cmp_nlt_f32_e64 s[4:5], s23, v37
	v_add_f32_e64 v37, |v42|, |v42|
	v_mul_f32_e32 v41, v41, v40
	v_add_f32_e32 v43, 1.0, v41
	v_fma_mix_f32 v43, v43, s24, |v35| op_sel_hi:[0,0,1]
	v_fma_mix_f32 v43, -v41, |v35|, v43 op_sel_hi:[0,1,0]
	v_fmac_f32_e32 v41, v40, v43
	v_mov_b32_e32 v40, 0xbaa2d753
	v_fmac_f32_e32 v40, 0xb9d6f8c4, v41
	v_fma_f32 v40, v41, v40, v23
	v_fma_f32 v40, v41, v40, v24
	;; [unrolled: 1-line block ×3, first 2 shown]
	v_add_f32_e32 v39, 1.0, v37
	v_fma_f32 v40, v41, v40, v26
	v_rcp_f32_e32 v39, v39
	v_fma_f32 v40, v41, v40, v27
	v_fma_f32 v40, v41, v40, v28
	;; [unrolled: 1-line block ×5, first 2 shown]
	v_cndmask_b32_e64 v38, v31, v38, s[4:5]
	v_fma_f32 v37, -v41, v37, 1.0
	v_sub_f32_e32 v40, v40, v41
	v_add_f32_e32 v37, v37, v40
	v_mov_b32_e32 v40, v38
	v_pk_fma_f32 v[36:37], v[38:39], v[36:37], v[40:41]
	v_mul_f32_e32 v36, v36, v37
	v_cmp_ngt_f32_e64 s[4:5], |v42|, s25
	v_cndmask_b32_e64 v36, 0, v36, s[4:5]
	v_sub_f32_e32 v37, 2.0, v36
	v_cmp_gt_f16_e64 s[4:5], 0, v35
	v_cndmask_b32_e64 v35, v36, v37, s[4:5]
	v_cvt_f16_f32_e32 v35, v35
	v_mov_b32_e32 v37, s9
	v_add_co_u32_e64 v36, s[4:5], s8, v4
	v_addc_co_u32_e64 v37, s[4:5], v3, v37, s[4:5]
	global_store_short v[36:37], v35, off
	s_or_b64 exec, exec, s[6:7]
	s_and_saveexec_b64 s[4:5], s[2:3]
	s_cbranch_execz .LBB2_18
.LBB2_22:                               ;   in Loop: Header=BB2_9 Depth=1
	s_waitcnt vmcnt(0)
	v_cvt_f32_f16_e32 v35, v34
	v_mul_f32_e64 v36, -v35, v35
	v_mul_f32_e32 v37, 0x3fb8aa3b, v36
	v_rndne_f32_e32 v38, v37
	v_fma_f32 v39, v36, s21, -v37
	v_sub_f32_e32 v37, v37, v38
	v_fmac_f32_e32 v39, 0x32a5705f, v36
	v_add_f32_e32 v37, v37, v39
	v_cvt_i32_f32_e32 v38, v38
	v_exp_f32_e32 v37, v37
	v_add_f32_e64 v39, |v35|, 2.0
	v_cmp_ngt_f32_e64 s[2:3], s22, v36
	v_fma_mix_f32 v40, -v34, v34, -v36 op_sel_hi:[1,1,0]
	v_ldexp_f32 v37, v37, v38
	v_rcp_f32_e32 v38, v39
	v_cndmask_b32_e64 v37, 0, v37, s[2:3]
	v_cmp_nlt_f32_e64 s[2:3], s23, v36
	v_cndmask_b32_e64 v36, v31, v37, s[2:3]
	v_add_f32_e64 v37, |v35|, -2.0
	v_mul_f32_e32 v37, v37, v38
	v_add_f32_e32 v39, 1.0, v37
	v_fma_mix_f32 v39, v39, s24, |v34| op_sel_hi:[0,0,1]
	v_fma_mix_f32 v39, -v37, |v34|, v39 op_sel_hi:[0,1,0]
	v_fmac_f32_e32 v37, v38, v39
	v_mov_b32_e32 v38, 0xbaa2d753
	v_fmac_f32_e32 v38, 0xb9d6f8c4, v37
	v_fma_f32 v38, v37, v38, v23
	v_fma_f32 v38, v37, v38, v24
	;; [unrolled: 1-line block ×3, first 2 shown]
	v_add_f32_e64 v39, |v35|, |v35|
	v_fmac_f32_e32 v36, v36, v40
	v_fma_f32 v38, v37, v38, v26
	v_add_f32_e32 v40, 1.0, v39
	v_fma_f32 v38, v37, v38, v27
	v_rcp_f32_e32 v40, v40
	v_fma_f32 v38, v37, v38, v28
	v_fma_f32 v38, v37, v38, v29
	v_fma_f32 v37, v37, v38, v30
	v_fma_f32 v38, v37, v40, v40
	v_fma_f32 v39, -v38, v39, 1.0
	v_sub_f32_e32 v37, v37, v38
	v_add_f32_e32 v37, v39, v37
	v_fmac_f32_e32 v38, v40, v37
	v_mul_f32_e32 v36, v36, v38
	v_cmp_ngt_f32_e64 s[2:3], |v35|, s25
	v_cndmask_b32_e64 v35, 0, v36, s[2:3]
	v_sub_f32_e32 v36, 2.0, v35
	v_cmp_gt_f16_e64 s[2:3], 0, v34
	v_cndmask_b32_e64 v34, v35, v36, s[2:3]
	v_cvt_f16_f32_e32 v36, v34
	v_mov_b32_e32 v35, s9
	v_add_co_u32_e64 v34, s[2:3], s8, v16
	v_addc_co_u32_e64 v35, s[2:3], v15, v35, s[2:3]
	global_store_short v[34:35], v36, off
	s_or_b64 exec, exec, s[4:5]
	s_and_saveexec_b64 s[2:3], s[0:1]
	s_cbranch_execz .LBB2_19
.LBB2_23:                               ;   in Loop: Header=BB2_9 Depth=1
	s_waitcnt vmcnt(0)
	v_cvt_f32_f16_e32 v34, v33
	v_mul_f32_e64 v35, -v34, v34
	v_mul_f32_e32 v36, 0x3fb8aa3b, v35
	v_rndne_f32_e32 v37, v36
	v_fma_f32 v38, v35, s21, -v36
	v_sub_f32_e32 v36, v36, v37
	v_fmac_f32_e32 v38, 0x32a5705f, v35
	v_add_f32_e32 v36, v36, v38
	v_cvt_i32_f32_e32 v37, v37
	v_exp_f32_e32 v36, v36
	v_add_f32_e64 v38, |v34|, 2.0
	v_cmp_ngt_f32_e64 s[0:1], s22, v35
	v_fma_mix_f32 v39, -v33, v33, -v35 op_sel_hi:[1,1,0]
	v_ldexp_f32 v36, v36, v37
	v_rcp_f32_e32 v37, v38
	v_cndmask_b32_e64 v36, 0, v36, s[0:1]
	v_cmp_nlt_f32_e64 s[0:1], s23, v35
	v_cndmask_b32_e64 v35, v31, v36, s[0:1]
	v_add_f32_e64 v36, |v34|, -2.0
	v_mul_f32_e32 v36, v36, v37
	v_add_f32_e32 v38, 1.0, v36
	v_fma_mix_f32 v38, v38, s24, |v33| op_sel_hi:[0,0,1]
	v_fma_mix_f32 v38, -v36, |v33|, v38 op_sel_hi:[0,1,0]
	v_fmac_f32_e32 v36, v37, v38
	v_mov_b32_e32 v37, 0xbaa2d753
	v_fmac_f32_e32 v37, 0xb9d6f8c4, v36
	v_fma_f32 v37, v36, v37, v23
	v_fma_f32 v37, v36, v37, v24
	;; [unrolled: 1-line block ×3, first 2 shown]
	v_add_f32_e64 v38, |v34|, |v34|
	v_fmac_f32_e32 v35, v35, v39
	v_fma_f32 v37, v36, v37, v26
	v_add_f32_e32 v39, 1.0, v38
	v_fma_f32 v37, v36, v37, v27
	v_rcp_f32_e32 v39, v39
	v_fma_f32 v37, v36, v37, v28
	v_fma_f32 v37, v36, v37, v29
	;; [unrolled: 1-line block ×4, first 2 shown]
	v_fma_f32 v38, -v37, v38, 1.0
	v_sub_f32_e32 v36, v36, v37
	v_add_f32_e32 v36, v38, v36
	v_fmac_f32_e32 v37, v39, v36
	v_mul_f32_e32 v35, v35, v37
	v_cmp_ngt_f32_e64 s[0:1], |v34|, s25
	v_cndmask_b32_e64 v34, 0, v35, s[0:1]
	v_sub_f32_e32 v35, 2.0, v34
	v_cmp_gt_f16_e64 s[0:1], 0, v33
	v_cndmask_b32_e64 v33, v34, v35, s[0:1]
	v_cvt_f16_f32_e32 v33, v33
	v_mov_b32_e32 v35, s9
	v_add_co_u32_e64 v34, s[0:1], s8, v12
	v_addc_co_u32_e64 v35, s[0:1], v11, v35, s[0:1]
	global_store_short v[34:35], v33, off
	s_or_b64 exec, exec, s[2:3]
	s_and_saveexec_b64 s[0:1], vcc
	s_cbranch_execz .LBB2_8
.LBB2_24:                               ;   in Loop: Header=BB2_9 Depth=1
	s_waitcnt vmcnt(0)
	v_cvt_f32_f16_e32 v33, v32
	v_mul_f32_e64 v34, -v33, v33
	v_mul_f32_e32 v35, 0x3fb8aa3b, v34
	v_rndne_f32_e32 v36, v35
	v_fma_f32 v37, v34, s21, -v35
	v_sub_f32_e32 v35, v35, v36
	v_fmac_f32_e32 v37, 0x32a5705f, v34
	v_add_f32_e32 v35, v35, v37
	v_cvt_i32_f32_e32 v36, v36
	v_exp_f32_e32 v35, v35
	v_add_f32_e64 v37, |v33|, 2.0
	v_cmp_ngt_f32_e32 vcc, s22, v34
	v_fma_mix_f32 v38, -v32, v32, -v34 op_sel_hi:[1,1,0]
	v_ldexp_f32 v35, v35, v36
	v_rcp_f32_e32 v36, v37
	v_cndmask_b32_e32 v35, 0, v35, vcc
	v_cmp_nlt_f32_e32 vcc, s23, v34
	v_cndmask_b32_e32 v34, v31, v35, vcc
	v_add_f32_e64 v35, |v33|, -2.0
	v_mul_f32_e32 v35, v35, v36
	v_add_f32_e32 v37, 1.0, v35
	v_fma_mix_f32 v37, v37, s24, |v32| op_sel_hi:[0,0,1]
	v_fma_mix_f32 v37, -v35, |v32|, v37 op_sel_hi:[0,1,0]
	v_fmac_f32_e32 v35, v36, v37
	v_mov_b32_e32 v36, 0xbaa2d753
	v_fmac_f32_e32 v36, 0xb9d6f8c4, v35
	v_fma_f32 v36, v35, v36, v23
	v_fma_f32 v36, v35, v36, v24
	;; [unrolled: 1-line block ×3, first 2 shown]
	v_add_f32_e64 v37, |v33|, |v33|
	v_fmac_f32_e32 v34, v34, v38
	v_fma_f32 v36, v35, v36, v26
	v_add_f32_e32 v38, 1.0, v37
	v_fma_f32 v36, v35, v36, v27
	v_rcp_f32_e32 v38, v38
	v_fma_f32 v36, v35, v36, v28
	v_fma_f32 v36, v35, v36, v29
	;; [unrolled: 1-line block ×4, first 2 shown]
	v_fma_f32 v37, -v36, v37, 1.0
	v_sub_f32_e32 v35, v35, v36
	v_add_f32_e32 v35, v37, v35
	v_fmac_f32_e32 v36, v38, v35
	v_mul_f32_e32 v34, v34, v36
	v_cmp_ngt_f32_e64 vcc, |v33|, s25
	v_cndmask_b32_e32 v33, 0, v34, vcc
	v_sub_f32_e32 v34, 2.0, v33
	v_cmp_gt_f16_e32 vcc, 0, v32
	v_cndmask_b32_e32 v32, v33, v34, vcc
	v_cvt_f16_f32_e32 v34, v32
	v_mov_b32_e32 v33, s9
	v_add_co_u32_e32 v32, vcc, s8, v8
	v_addc_co_u32_e32 v33, vcc, v7, v33, vcc
	global_store_short v[32:33], v34, off
	s_branch .LBB2_8
.LBB2_25:
	s_endpgm
	.section	.rodata,"a",@progbits
	.p2align	6, 0x0
	.amdhsa_kernel _ZN2at6native12_GLOBAL__N_125multi_tensor_apply_kernelINS1_18TensorListMetadataILi2EEENS1_14UnaryOpFunctorIN3c104HalfELi2ELi1ELi1EEEJNS0_4ErfcIfEEEEEvT_T0_DpT1_
		.amdhsa_group_segment_fixed_size 0
		.amdhsa_private_segment_fixed_size 0
		.amdhsa_kernarg_size 3408
		.amdhsa_user_sgpr_count 6
		.amdhsa_user_sgpr_private_segment_buffer 1
		.amdhsa_user_sgpr_dispatch_ptr 0
		.amdhsa_user_sgpr_queue_ptr 0
		.amdhsa_user_sgpr_kernarg_segment_ptr 1
		.amdhsa_user_sgpr_dispatch_id 0
		.amdhsa_user_sgpr_flat_scratch_init 0
		.amdhsa_user_sgpr_kernarg_preload_length 0
		.amdhsa_user_sgpr_kernarg_preload_offset 0
		.amdhsa_user_sgpr_private_segment_size 0
		.amdhsa_uses_dynamic_stack 0
		.amdhsa_system_sgpr_private_segment_wavefront_offset 0
		.amdhsa_system_sgpr_workgroup_id_x 1
		.amdhsa_system_sgpr_workgroup_id_y 0
		.amdhsa_system_sgpr_workgroup_id_z 0
		.amdhsa_system_sgpr_workgroup_info 0
		.amdhsa_system_vgpr_workitem_id 0
		.amdhsa_next_free_vgpr 58
		.amdhsa_next_free_sgpr 44
		.amdhsa_accum_offset 60
		.amdhsa_reserve_vcc 1
		.amdhsa_reserve_flat_scratch 0
		.amdhsa_float_round_mode_32 0
		.amdhsa_float_round_mode_16_64 0
		.amdhsa_float_denorm_mode_32 3
		.amdhsa_float_denorm_mode_16_64 3
		.amdhsa_dx10_clamp 1
		.amdhsa_ieee_mode 1
		.amdhsa_fp16_overflow 0
		.amdhsa_tg_split 0
		.amdhsa_exception_fp_ieee_invalid_op 0
		.amdhsa_exception_fp_denorm_src 0
		.amdhsa_exception_fp_ieee_div_zero 0
		.amdhsa_exception_fp_ieee_overflow 0
		.amdhsa_exception_fp_ieee_underflow 0
		.amdhsa_exception_fp_ieee_inexact 0
		.amdhsa_exception_int_div_zero 0
	.end_amdhsa_kernel
	.section	.text._ZN2at6native12_GLOBAL__N_125multi_tensor_apply_kernelINS1_18TensorListMetadataILi2EEENS1_14UnaryOpFunctorIN3c104HalfELi2ELi1ELi1EEEJNS0_4ErfcIfEEEEEvT_T0_DpT1_,"axG",@progbits,_ZN2at6native12_GLOBAL__N_125multi_tensor_apply_kernelINS1_18TensorListMetadataILi2EEENS1_14UnaryOpFunctorIN3c104HalfELi2ELi1ELi1EEEJNS0_4ErfcIfEEEEEvT_T0_DpT1_,comdat
.Lfunc_end2:
	.size	_ZN2at6native12_GLOBAL__N_125multi_tensor_apply_kernelINS1_18TensorListMetadataILi2EEENS1_14UnaryOpFunctorIN3c104HalfELi2ELi1ELi1EEEJNS0_4ErfcIfEEEEEvT_T0_DpT1_, .Lfunc_end2-_ZN2at6native12_GLOBAL__N_125multi_tensor_apply_kernelINS1_18TensorListMetadataILi2EEENS1_14UnaryOpFunctorIN3c104HalfELi2ELi1ELi1EEEJNS0_4ErfcIfEEEEEvT_T0_DpT1_
                                        ; -- End function
	.section	.AMDGPU.csdata,"",@progbits
; Kernel info:
; codeLenInByte = 3752
; NumSgprs: 48
; NumVgprs: 58
; NumAgprs: 0
; TotalNumVgprs: 58
; ScratchSize: 0
; MemoryBound: 0
; FloatMode: 240
; IeeeMode: 1
; LDSByteSize: 0 bytes/workgroup (compile time only)
; SGPRBlocks: 5
; VGPRBlocks: 7
; NumSGPRsForWavesPerEU: 48
; NumVGPRsForWavesPerEU: 58
; AccumOffset: 60
; Occupancy: 8
; WaveLimiterHint : 0
; COMPUTE_PGM_RSRC2:SCRATCH_EN: 0
; COMPUTE_PGM_RSRC2:USER_SGPR: 6
; COMPUTE_PGM_RSRC2:TRAP_HANDLER: 0
; COMPUTE_PGM_RSRC2:TGID_X_EN: 1
; COMPUTE_PGM_RSRC2:TGID_Y_EN: 0
; COMPUTE_PGM_RSRC2:TGID_Z_EN: 0
; COMPUTE_PGM_RSRC2:TIDIG_COMP_CNT: 0
; COMPUTE_PGM_RSRC3_GFX90A:ACCUM_OFFSET: 14
; COMPUTE_PGM_RSRC3_GFX90A:TG_SPLIT: 0
	.section	.text._ZN2at6native12_GLOBAL__N_125multi_tensor_apply_kernelINS1_18TensorListMetadataILi2EEENS1_14UnaryOpFunctorIN3c108BFloat16ELi2ELi1ELi1EEEJNS0_4ErfcIfEEEEEvT_T0_DpT1_,"axG",@progbits,_ZN2at6native12_GLOBAL__N_125multi_tensor_apply_kernelINS1_18TensorListMetadataILi2EEENS1_14UnaryOpFunctorIN3c108BFloat16ELi2ELi1ELi1EEEJNS0_4ErfcIfEEEEEvT_T0_DpT1_,comdat
	.globl	_ZN2at6native12_GLOBAL__N_125multi_tensor_apply_kernelINS1_18TensorListMetadataILi2EEENS1_14UnaryOpFunctorIN3c108BFloat16ELi2ELi1ELi1EEEJNS0_4ErfcIfEEEEEvT_T0_DpT1_ ; -- Begin function _ZN2at6native12_GLOBAL__N_125multi_tensor_apply_kernelINS1_18TensorListMetadataILi2EEENS1_14UnaryOpFunctorIN3c108BFloat16ELi2ELi1ELi1EEEJNS0_4ErfcIfEEEEEvT_T0_DpT1_
	.p2align	8
	.type	_ZN2at6native12_GLOBAL__N_125multi_tensor_apply_kernelINS1_18TensorListMetadataILi2EEENS1_14UnaryOpFunctorIN3c108BFloat16ELi2ELi1ELi1EEEJNS0_4ErfcIfEEEEEvT_T0_DpT1_,@function
_ZN2at6native12_GLOBAL__N_125multi_tensor_apply_kernelINS1_18TensorListMetadataILi2EEENS1_14UnaryOpFunctorIN3c108BFloat16ELi2ELi1ELi1EEEJNS0_4ErfcIfEEEEEvT_T0_DpT1_: ; @_ZN2at6native12_GLOBAL__N_125multi_tensor_apply_kernelINS1_18TensorListMetadataILi2EEENS1_14UnaryOpFunctorIN3c108BFloat16ELi2ELi1ELi1EEEJNS0_4ErfcIfEEEEEvT_T0_DpT1_
; %bb.0:
	v_mov_b32_e32 v1, s6
	global_load_ubyte v1, v1, s[4:5] offset:1536
	s_add_u32 s0, s4, s6
	s_mul_hi_u32 s2, s6, 3
	s_mul_i32 s6, s6, 3
	s_addc_u32 s7, s5, 0
	s_add_u32 s6, s0, s6
	s_addc_u32 s7, s7, s2
	s_mov_b32 s1, 0
	s_mov_b32 s3, s1
	s_waitcnt vmcnt(0)
	v_readfirstlane_b32 s0, v1
	s_lshl_b32 s0, s0, 3
	s_load_dword s10, s[6:7], 0x740
	s_load_dwordx2 s[14:15], s[4:5], s0 offset:0x0
	s_load_dwordx2 s[16:17], s[4:5], s0 offset:0x400
	;; [unrolled: 1-line block ×3, first 2 shown]
	s_mov_b32 s7, s1
	s_waitcnt lgkmcnt(0)
	s_ashr_i32 s11, s10, 31
	s_and_b32 s0, s14, 7
	s_and_b32 s6, s16, 3
	;; [unrolled: 1-line block ×3, first 2 shown]
	s_or_b64 s[6:7], s[0:1], s[6:7]
	s_lshl_b64 s[8:9], s[10:11], 17
	s_or_b64 s[2:3], s[2:3], s[6:7]
	s_lshl_b64 s[6:7], s[10:11], 16
	s_sub_u32 s10, s16, s6
	s_subb_u32 s11, s17, s7
	s_cmp_eq_u64 s[2:3], 0
	s_mov_b64 s[2:3], -1
	s_cbranch_scc0 .LBB3_5
; %bb.1:
	v_mov_b32_e32 v3, 0
	v_lshlrev_b32_e32 v2, 2, v0
	v_cmp_gt_i64_e32 vcc, s[10:11], v[2:3]
	s_and_saveexec_b64 s[16:17], vcc
	s_cbranch_execz .LBB3_4
; %bb.2:
	s_load_dword s0, s[4:5], 0xc5c
	v_lshlrev_b32_e32 v1, 3, v0
	v_mov_b32_e32 v2, s9
	v_add_co_u32_e32 v4, vcc, s8, v1
	s_waitcnt lgkmcnt(0)
	s_and_b32 s0, s0, 0xffff
	v_addc_co_u32_e32 v1, vcc, 0, v2, vcc
	s_lshl_b32 s21, s0, 3
	v_add_lshl_u32 v2, v0, s0, 2
	s_lshl_b32 s23, s0, 2
	s_mov_b32 s0, 0xbaa2d753
	s_mov_b64 s[18:19], 0
	v_mov_b32_e32 v5, s15
	v_mov_b32_e32 v10, s13
	s_mov_b32 s25, 0x3fb8aa3b
	s_mov_b32 s27, 0xc2ce8ed0
	;; [unrolled: 1-line block ×3, first 2 shown]
	v_mov_b32_e32 v11, 0x7f800000
	s_mov_b32 s20, 0xb9d6f8c4
	v_pk_mov_b32 v[6:7], s[0:1], s[0:1] op_sel:[0,1]
	s_mov_b32 s22, 0x3aad2fb4
	s_mov_b32 s24, 0x3c0da267
	;; [unrolled: 1-line block ×9, first 2 shown]
	s_movk_i32 s33, 0x7fff
	v_mov_b32_e32 v12, 0x7fc0
	v_mov_b32_e32 v13, 0x7fc00000
	s_mov_b64 s[40:41], 0xffff
	v_mov_b32_e32 v14, s1
	v_mov_b32_e32 v15, s1
.LBB3_3:                                ; =>This Inner Loop Header: Depth=1
	v_add_co_u32_e32 v16, vcc, s14, v4
	v_addc_co_u32_e32 v17, vcc, v5, v1, vcc
	global_load_dwordx2 v[16:17], v[16:17], off
	v_add_co_u32_e32 v8, vcc, s12, v4
	v_addc_co_u32_e32 v9, vcc, v10, v1, vcc
	v_cmp_le_i64_e32 vcc, s[10:11], v[2:3]
	v_cmp_lt_u64_e64 s[0:1], s[40:41], v[2:3]
	s_or_b64 s[0:1], vcc, s[0:1]
	s_and_b64 s[0:1], exec, s[0:1]
	s_or_b64 s[18:19], s[0:1], s[18:19]
	v_add_co_u32_e64 v4, s[2:3], s21, v4
	v_addc_co_u32_e64 v1, s[2:3], v1, v14, s[2:3]
	v_add_co_u32_e64 v2, s[2:3], s23, v2
	v_addc_co_u32_e64 v3, s[2:3], v3, v15, s[2:3]
	s_waitcnt vmcnt(0)
	v_alignbit_b32 v20, v17, v16, 16
	v_lshlrev_b32_e32 v18, 16, v16
	v_and_b32_e32 v19, 0xffff0000, v16
	v_and_b32_e32 v17, 0xffff0000, v17
	;; [unrolled: 1-line block ×3, first 2 shown]
	v_add_f32_e64 v22, |v18|, 2.0
	v_add_f32_e64 v26, |v19|, 2.0
	v_xor_b32_e32 v25, 0x80000000, v19
	v_xor_b32_e32 v24, 0x80000000, v18
	;; [unrolled: 1-line block ×3, first 2 shown]
	v_add_f32_e64 v36, |v17|, 2.0
	v_rcp_f32_e32 v28, v22
	v_rcp_f32_e32 v29, v26
	v_add_f32_e64 v40, |v16|, 2.0
	v_xor_b32_e32 v26, 0x80000000, v16
	v_pk_mul_f32 v[34:35], v[24:25], v[18:19]
	v_rcp_f32_e32 v37, v36
	v_rcp_f32_e32 v36, v40
	v_pk_mul_f32 v[40:41], v[26:27], v[16:17]
	v_mul_f32_e32 v47, 0x3fb8aa3b, v35
	v_mul_f32_e32 v48, 0x3fb8aa3b, v34
	v_and_b32_e32 v20, 0x7fffffff, v18
	v_and_b32_e32 v23, 0x7fffffff, v17
	;; [unrolled: 1-line block ×4, first 2 shown]
	v_fma_f32 v49, v35, s25, -v47
	v_rndne_f32_e32 v50, v47
	v_fma_f32 v51, v34, s25, -v48
	v_rndne_f32_e32 v52, v48
	v_mul_f32_e32 v53, 0x3fb8aa3b, v41
	v_pk_add_f32 v[32:33], -2.0, v[20:21] op_sel_hi:[0,1]
	v_pk_add_f32 v[38:39], v[22:23], v[22:23]
	v_mul_f32_e32 v54, 0x3fb8aa3b, v40
	v_fmac_f32_e32 v49, 0x32a5705f, v35
	v_sub_f32_e32 v56, v47, v50
	v_fmac_f32_e32 v51, 0x32a5705f, v34
	v_sub_f32_e32 v48, v48, v52
	v_fma_f32 v57, v41, s25, -v53
	v_rndne_f32_e32 v58, v53
	v_add_f32_e32 v55, 1.0, v39
	v_add_f32_e32 v56, v56, v49
	v_rndne_f32_e32 v49, v54
	v_pk_mul_f32 v[32:33], v[32:33], v[28:29]
	v_add_f32_e32 v51, v48, v51
	v_fmac_f32_e32 v57, 0x32a5705f, v41
	v_sub_f32_e32 v48, v53, v58
	v_pk_add_f32 v[42:43], -2.0, v[22:23] op_sel_hi:[0,1]
	v_rcp_f32_e32 v47, v55
	v_fma_f32 v55, v40, s25, -v54
	v_cvt_i32_f32_e32 v53, v58
	v_sub_f32_e32 v54, v54, v49
	v_cvt_i32_f32_e32 v58, v49
	v_add_f32_e32 v57, v48, v57
	v_pk_add_f32 v[48:49], v[32:33], 1.0 op_sel_hi:[1,0]
	v_cvt_i32_f32_e32 v50, v50
	v_cvt_i32_f32_e32 v52, v52
	v_exp_f32_e32 v56, v56
	v_exp_f32_e32 v51, v51
	v_pk_mul_f32 v[42:43], v[42:43], v[36:37]
	v_pk_fma_f32 v[48:49], -2.0, v[48:49], v[20:21] op_sel_hi:[0,1,1]
	v_pk_add_f32 v[30:31], v[20:21], v[20:21]
	v_pk_fma_f32 v[20:21], v[32:33], v[20:21], v[48:49] neg_lo:[1,0,0] neg_hi:[1,0,0]
	v_pk_add_f32 v[48:49], v[42:43], 1.0 op_sel_hi:[1,0]
	v_pk_fma_f32 v[48:49], -2.0, v[48:49], v[22:23] op_sel_hi:[0,1,1]
	v_pk_fma_f32 v[20:21], v[28:29], v[20:21], v[32:33]
	v_pk_fma_f32 v[22:23], v[42:43], v[22:23], v[48:49] neg_lo:[1,0,0] neg_hi:[1,0,0]
	v_ldexp_f32 v32, v56, v50
	v_ldexp_f32 v33, v51, v52
	v_cmp_ngt_f32_e32 vcc, s27, v34
	v_pk_fma_f32 v[22:23], v[36:37], v[22:23], v[42:43]
	v_pk_fma_f32 v[28:29], v[20:21], s[20:21], v[6:7] op_sel_hi:[1,0,0]
	v_cmp_ngt_f32_e64 s[0:1], s27, v35
	v_cndmask_b32_e64 v36, 0, v32, s[0:1]
	v_cndmask_b32_e32 v37, 0, v33, vcc
	v_pk_fma_f32 v[32:33], v[22:23], s[20:21], v[6:7] op_sel_hi:[1,0,0]
	v_pk_fma_f32 v[28:29], v[20:21], v[28:29], s[22:23] op_sel_hi:[1,1,0]
	;; [unrolled: 1-line block ×6, first 2 shown]
	v_add_f32_e32 v44, 1.0, v30
	v_add_f32_e32 v45, 1.0, v31
	v_fmac_f32_e32 v55, 0x32a5705f, v40
	v_pk_fma_f32 v[32:33], v[22:23], v[32:33], s[26:27] op_sel_hi:[1,1,0]
	v_pk_fma_f32 v[28:29], v[20:21], v[28:29], s[28:29] op_sel_hi:[1,1,0]
	v_rcp_f32_e32 v44, v44
	v_rcp_f32_e32 v45, v45
	v_add_f32_e32 v46, 1.0, v38
	v_add_f32_e32 v54, v54, v55
	v_pk_fma_f32 v[32:33], v[22:23], v[32:33], s[28:29] op_sel_hi:[1,1,0]
	v_pk_fma_f32 v[28:29], v[20:21], v[28:29], s[30:31] op_sel_hi:[1,1,0]
	v_rcp_f32_e32 v46, v46
	v_exp_f32_e32 v55, v57
	v_exp_f32_e32 v54, v54
	v_pk_fma_f32 v[32:33], v[22:23], v[32:33], s[30:31] op_sel_hi:[1,1,0]
	v_pk_fma_f32 v[28:29], v[20:21], v[28:29], s[34:35] op_sel_hi:[1,1,0]
	;; [unrolled: 1-line block ×6, first 2 shown]
	v_cmp_nlt_f32_e32 vcc, s29, v34
	v_cmp_nlt_f32_e64 s[6:7], s29, v35
	v_pk_fma_f32 v[22:23], v[22:23], v[32:33], s[38:39] op_sel_hi:[1,1,0]
	v_pk_fma_f32 v[28:29], v[20:21], v[44:45], v[44:45]
	v_pk_fma_f32 v[24:25], v[24:25], v[18:19], v[34:35] neg_lo:[0,0,1] neg_hi:[0,0,1]
	v_ldexp_f32 v42, v55, v53
	v_cmp_ngt_f32_e64 s[0:1], s27, v41
	v_ldexp_f32 v43, v54, v58
	v_cmp_ngt_f32_e64 s[2:3], s27, v40
	v_cndmask_b32_e64 v35, v11, v36, s[6:7]
	v_cndmask_b32_e32 v34, v11, v37, vcc
	v_pk_fma_f32 v[32:33], v[22:23], v[46:47], v[46:47]
	v_pk_fma_f32 v[30:31], v[28:29], v[30:31], 1.0 op_sel_hi:[1,1,0] neg_lo:[1,0,0] neg_hi:[1,0,0]
	v_sub_f32_e32 v21, v21, v29
	v_sub_f32_e32 v20, v20, v28
	v_cndmask_b32_e64 v36, 0, v42, s[0:1]
	v_cndmask_b32_e64 v42, 0, v43, s[2:3]
	v_cmp_nlt_f32_e32 vcc, s29, v40
	v_cmp_nlt_f32_e64 s[0:1], s29, v41
	v_pk_fma_f32 v[24:25], v[34:35], v[24:25], v[34:35]
	v_pk_fma_f32 v[34:35], v[32:33], v[38:39], 1.0 op_sel_hi:[1,1,0] neg_lo:[1,0,0] neg_hi:[1,0,0]
	v_sub_f32_e32 v23, v23, v33
	v_sub_f32_e32 v22, v22, v32
	v_pk_add_f32 v[20:21], v[30:31], v[20:21]
	v_pk_fma_f32 v[26:27], v[26:27], v[16:17], v[40:41] neg_lo:[0,0,1] neg_hi:[0,0,1]
	v_cndmask_b32_e64 v37, v11, v36, s[0:1]
	v_cndmask_b32_e32 v36, v11, v42, vcc
	v_pk_add_f32 v[22:23], v[34:35], v[22:23]
	v_pk_fma_f32 v[20:21], v[44:45], v[20:21], v[28:29]
	v_pk_fma_f32 v[26:27], v[36:37], v[26:27], v[36:37]
	;; [unrolled: 1-line block ×3, first 2 shown]
	v_pk_mul_f32 v[20:21], v[24:25], v[20:21]
	v_cmp_ngt_f32_e64 vcc, |v18|, s31
	v_cmp_ngt_f32_e64 s[0:1], |v19|, s31
	v_pk_mul_f32 v[22:23], v[26:27], v[22:23]
	v_cmp_ngt_f32_e64 s[2:3], |v16|, s31
	v_cndmask_b32_e64 v21, 0, v21, s[0:1]
	v_cndmask_b32_e32 v20, 0, v20, vcc
	v_cmp_ngt_f32_e64 vcc, |v17|, s31
	v_cndmask_b32_e32 v23, 0, v23, vcc
	v_cndmask_b32_e64 v22, 0, v22, s[2:3]
	v_sub_f32_e32 v24, 2.0, v20
	v_sub_f32_e32 v25, 2.0, v21
	v_cmp_gt_f32_e32 vcc, 0, v18
	v_cmp_gt_f32_e64 s[0:1], 0, v19
	v_sub_f32_e32 v18, 2.0, v22
	v_sub_f32_e32 v19, 2.0, v23
	v_cmp_gt_f32_e64 s[2:3], 0, v16
	v_cndmask_b32_e64 v16, v21, v25, s[0:1]
	v_cndmask_b32_e32 v20, v20, v24, vcc
	v_cmp_gt_f32_e32 vcc, 0, v17
	v_cndmask_b32_e32 v17, v23, v19, vcc
	v_cndmask_b32_e64 v18, v22, v18, s[2:3]
	v_bfe_u32 v19, v20, 16, 1
	v_bfe_u32 v21, v16, 16, 1
	v_add3_u32 v19, v20, v19, s33
	v_add3_u32 v21, v16, v21, s33
	v_bfe_u32 v22, v18, 16, 1
	v_bfe_u32 v23, v17, 16, 1
	v_lshrrev_b32_e32 v19, 16, v19
	v_and_b32_e32 v21, 0xffff0000, v21
	v_add3_u32 v23, v17, v23, s33
	v_add3_u32 v22, v18, v22, s33
	v_cmp_o_f32_e32 vcc, v16, v16
	v_cmp_o_f32_e64 s[0:1], v20, v20
	v_lshrrev_b32_e32 v16, 16, v22
	v_and_b32_e32 v20, 0xffff0000, v23
	v_cndmask_b32_e64 v19, v12, v19, s[0:1]
	v_cmp_o_f32_e64 s[0:1], v17, v17
	v_cndmask_b32_e32 v17, v13, v21, vcc
	v_cmp_o_f32_e32 vcc, v18, v18
	v_cndmask_b32_e32 v18, v12, v16, vcc
	v_cndmask_b32_e64 v20, v13, v20, s[0:1]
	v_or3_b32 v16, v19, 0, v17
	v_or3_b32 v17, 0, v18, v20
	global_store_dwordx2 v[8:9], v[16:17], off
	s_andn2_b64 exec, exec, s[18:19]
	s_cbranch_execnz .LBB3_3
.LBB3_4:
	s_or_b64 exec, exec, s[16:17]
	s_mov_b64 s[2:3], 0
.LBB3_5:
	s_andn2_b64 vcc, exec, s[2:3]
	s_cbranch_vccnz .LBB3_25
; %bb.6:
	v_cmp_lt_i64_e64 s[0:1], s[10:11], 1
	s_and_b64 vcc, exec, s[0:1]
	s_cbranch_vccnz .LBB3_25
; %bb.7:
	s_load_dword s0, s[4:5], 0xc5c
	v_mov_b32_e32 v2, 0x10000
	v_mov_b32_e32 v3, 0
	v_cmp_lt_u64_e32 vcc, s[10:11], v[2:3]
	v_lshlrev_b32_e32 v10, 1, v0
	s_waitcnt lgkmcnt(0)
	s_and_b32 s2, s0, 0xffff
	s_and_b64 s[0:1], vcc, exec
	v_mov_b32_e32 v13, s15
	v_add_co_u32_e32 v2, vcc, s14, v10
	v_addc_co_u32_e32 v1, vcc, 0, v13, vcc
	v_mov_b32_e32 v11, 0
	v_mov_b32_e32 v15, s13
	v_add_co_u32_e32 v4, vcc, s12, v10
	v_addc_co_u32_e32 v3, vcc, 0, v15, vcc
	v_mad_u64_u32 v[8:9], s[0:1], s2, 6, v[10:11]
	v_add_co_u32_e32 v6, vcc, s14, v8
	v_addc_co_u32_e32 v5, vcc, v13, v9, vcc
	v_add_co_u32_e32 v8, vcc, s12, v8
	s_mul_i32 s4, s2, 3
	v_addc_co_u32_e32 v7, vcc, v15, v9, vcc
	s_cselect_b32 s17, s11, 0
	s_cselect_b32 s16, s10, 0x10000
	s_lshl_b32 s19, s2, 2
	v_add_co_u32_e32 v17, vcc, s4, v0
	v_addc_co_u32_e64 v18, s[0:1], 0, 0, vcc
	v_add_co_u32_e32 v11, vcc, s19, v10
	v_addc_co_u32_e64 v14, s[0:1], 0, 0, vcc
	v_add_co_u32_e32 v10, vcc, s14, v11
	v_addc_co_u32_e32 v9, vcc, v13, v14, vcc
	v_add_co_u32_e32 v12, vcc, s12, v11
	s_lshl_b32 s3, s2, 1
	v_addc_co_u32_e32 v11, vcc, v15, v14, vcc
	v_add_co_u32_e32 v19, vcc, s3, v0
	v_addc_co_u32_e64 v20, s[0:1], 0, 0, vcc
	v_add_co_u32_e32 v21, vcc, s2, v0
	v_lshlrev_b32_e32 v16, 1, v21
	v_addc_co_u32_e64 v22, s[0:1], 0, 0, vcc
	v_add_co_u32_e32 v14, vcc, s14, v16
	v_addc_co_u32_e32 v13, vcc, 0, v13, vcc
	v_add_co_u32_e32 v16, vcc, s12, v16
	s_mov_b32 s18, 0
	s_lshl_b32 s20, s2, 3
	v_addc_co_u32_e32 v15, vcc, 0, v15, vcc
	s_mov_b64 s[12:13], 0
	s_mov_b32 s21, 0x3fb8aa3b
	s_mov_b32 s22, 0xc2ce8ed0
	;; [unrolled: 1-line block ×3, first 2 shown]
	v_mov_b32_e32 v23, 0x3aad2fb4
	v_mov_b32_e32 v24, 0x3c0da267
	;; [unrolled: 1-line block ×8, first 2 shown]
	s_mov_b32 s24, 0x4120ddfc
	s_movk_i32 s25, 0x7fff
	v_mov_b32_e32 v31, 0x7f800000
	v_mov_b32_e32 v32, 0x7fc0
	s_branch .LBB3_9
.LBB3_8:                                ;   in Loop: Header=BB3_9 Depth=1
	s_or_b64 exec, exec, s[0:1]
	s_add_u32 s12, s12, s19
	s_addc_u32 s13, s13, 0
	s_waitcnt vmcnt(0)
	v_pk_mov_b32 v[34:35], s[10:11], s[10:11] op_sel:[0,1]
	v_cmp_ge_i64_e32 vcc, s[12:13], v[34:35]
	v_mov_b32_e32 v34, 0xffff
	v_mov_b32_e32 v35, 0
	v_cmp_gt_u64_e64 s[0:1], s[12:13], v[34:35]
	s_or_b64 s[0:1], vcc, s[0:1]
	v_mov_b32_e32 v33, s18
	v_add_co_u32_e32 v2, vcc, s20, v2
	v_addc_co_u32_e32 v1, vcc, v1, v33, vcc
	v_add_co_u32_e32 v4, vcc, s20, v4
	v_addc_co_u32_e32 v3, vcc, v3, v33, vcc
	;; [unrolled: 2-line block ×8, first 2 shown]
	s_and_b64 vcc, exec, s[0:1]
	s_cbranch_vccnz .LBB3_25
.LBB3_9:                                ; =>This Inner Loop Header: Depth=1
	v_mov_b32_e32 v33, s13
	v_add_co_u32_e32 v34, vcc, s12, v0
	v_addc_co_u32_e32 v35, vcc, 0, v33, vcc
	v_cmp_gt_u64_e64 s[4:5], s[16:17], v[34:35]
	v_mov_b32_e32 v36, 0
	s_and_saveexec_b64 s[0:1], s[4:5]
	s_cbranch_execz .LBB3_11
; %bb.10:                               ;   in Loop: Header=BB3_9 Depth=1
	v_mov_b32_e32 v33, s9
	v_add_co_u32_e32 v34, vcc, s8, v2
	v_addc_co_u32_e32 v35, vcc, v1, v33, vcc
	global_load_ushort v36, v[34:35], off
.LBB3_11:                               ;   in Loop: Header=BB3_9 Depth=1
	s_or_b64 exec, exec, s[0:1]
	v_mov_b32_e32 v33, s13
	v_add_co_u32_e32 v34, vcc, s12, v21
	v_addc_co_u32_e32 v35, vcc, v22, v33, vcc
	v_cmp_gt_u64_e64 s[2:3], s[16:17], v[34:35]
	v_mov_b32_e32 v35, 0
	s_and_saveexec_b64 s[0:1], s[2:3]
	s_cbranch_execz .LBB3_13
; %bb.12:                               ;   in Loop: Header=BB3_9 Depth=1
	v_mov_b32_e32 v33, s9
	v_add_co_u32_e32 v34, vcc, s8, v14
	v_addc_co_u32_e32 v35, vcc, v13, v33, vcc
	global_load_ushort v35, v[34:35], off
.LBB3_13:                               ;   in Loop: Header=BB3_9 Depth=1
	s_or_b64 exec, exec, s[0:1]
	v_mov_b32_e32 v33, s13
	v_add_co_u32_e32 v38, vcc, s12, v19
	v_addc_co_u32_e32 v39, vcc, v20, v33, vcc
	v_cmp_gt_u64_e64 s[0:1], s[16:17], v[38:39]
	v_mov_b32_e32 v33, 0
	v_mov_b32_e32 v34, 0
	s_and_saveexec_b64 s[6:7], s[0:1]
	s_cbranch_execz .LBB3_15
; %bb.14:                               ;   in Loop: Header=BB3_9 Depth=1
	v_mov_b32_e32 v34, s9
	v_add_co_u32_e32 v38, vcc, s8, v10
	v_addc_co_u32_e32 v39, vcc, v9, v34, vcc
	global_load_ushort v34, v[38:39], off
.LBB3_15:                               ;   in Loop: Header=BB3_9 Depth=1
	s_or_b64 exec, exec, s[6:7]
	v_mov_b32_e32 v37, s13
	v_add_co_u32_e32 v38, vcc, s12, v17
	v_addc_co_u32_e32 v39, vcc, v18, v37, vcc
	v_cmp_gt_u64_e32 vcc, s[16:17], v[38:39]
	s_and_saveexec_b64 s[14:15], vcc
	s_cbranch_execnz .LBB3_20
; %bb.16:                               ;   in Loop: Header=BB3_9 Depth=1
	s_or_b64 exec, exec, s[14:15]
	s_and_saveexec_b64 s[6:7], s[4:5]
	s_cbranch_execnz .LBB3_21
.LBB3_17:                               ;   in Loop: Header=BB3_9 Depth=1
	s_or_b64 exec, exec, s[6:7]
	s_and_saveexec_b64 s[4:5], s[2:3]
	s_cbranch_execnz .LBB3_22
.LBB3_18:                               ;   in Loop: Header=BB3_9 Depth=1
	s_or_b64 exec, exec, s[4:5]
	s_and_saveexec_b64 s[2:3], s[0:1]
	s_cbranch_execnz .LBB3_23
.LBB3_19:                               ;   in Loop: Header=BB3_9 Depth=1
	s_or_b64 exec, exec, s[2:3]
	s_and_saveexec_b64 s[0:1], vcc
	s_cbranch_execz .LBB3_8
	s_branch .LBB3_24
.LBB3_20:                               ;   in Loop: Header=BB3_9 Depth=1
	v_mov_b32_e32 v33, s9
	v_add_co_u32_e64 v38, s[6:7], s8, v6
	v_addc_co_u32_e64 v39, s[6:7], v5, v33, s[6:7]
	global_load_ushort v33, v[38:39], off
	s_or_b64 exec, exec, s[14:15]
	s_and_saveexec_b64 s[6:7], s[4:5]
	s_cbranch_execz .LBB3_17
.LBB3_21:                               ;   in Loop: Header=BB3_9 Depth=1
	s_waitcnt vmcnt(0)
	v_lshlrev_b32_e32 v42, 16, v36
	v_mul_f32_e64 v37, -v42, v42
	v_mul_f32_e32 v36, 0x3fb8aa3b, v37
	v_rndne_f32_e32 v38, v36
	v_sub_f32_e32 v39, v36, v38
	v_fma_f32 v36, v37, s21, -v36
	v_fmac_f32_e32 v36, 0x32a5705f, v37
	v_add_f32_e32 v36, v39, v36
	v_cvt_i32_f32_e32 v38, v38
	v_exp_f32_e32 v36, v36
	v_cmp_ngt_f32_e64 s[4:5], s22, v37
	v_add_f32_e64 v41, |v42|, -2.0
	v_add_f32_e64 v39, |v42|, |v42|
	v_ldexp_f32 v36, v36, v38
	v_cndmask_b32_e64 v36, 0, v36, s[4:5]
	v_cmp_nlt_f32_e64 s[4:5], s23, v37
	v_fma_f32 v38, -v42, v42, -v37
	v_add_f32_e64 v37, |v42|, 2.0
	v_rcp_f32_e32 v40, v37
	v_add_f32_e32 v37, 1.0, v39
	v_rcp_f32_e32 v37, v37
	v_cndmask_b32_e64 v36, v31, v36, s[4:5]
	v_mul_f32_e32 v41, v41, v40
	v_add_f32_e32 v43, 1.0, v41
	v_fma_f32 v43, v43, -2.0, |v42|
	v_fma_f32 v43, -v41, |v42|, v43
	v_fmac_f32_e32 v41, v40, v43
	v_mov_b32_e32 v40, 0xbaa2d753
	v_fmac_f32_e32 v40, 0xb9d6f8c4, v41
	v_fma_f32 v40, v41, v40, v23
	v_fma_f32 v40, v41, v40, v24
	;; [unrolled: 1-line block ×9, first 2 shown]
	v_fma_f32 v39, -v41, v39, 1.0
	v_sub_f32_e32 v40, v40, v41
	v_add_f32_e32 v39, v39, v40
	v_mov_b32_e32 v40, v36
	v_pk_fma_f32 v[36:37], v[36:37], v[38:39], v[40:41]
	v_mul_f32_e32 v36, v36, v37
	v_cmp_ngt_f32_e64 s[4:5], |v42|, s24
	v_cndmask_b32_e64 v36, 0, v36, s[4:5]
	v_sub_f32_e32 v37, 2.0, v36
	v_cmp_gt_f32_e64 s[4:5], 0, v42
	v_cndmask_b32_e64 v36, v36, v37, s[4:5]
	v_bfe_u32 v37, v36, 16, 1
	v_add3_u32 v37, v36, v37, s25
	v_lshrrev_b32_e32 v37, 16, v37
	v_cmp_o_f32_e64 s[4:5], v36, v36
	v_cndmask_b32_e64 v38, v32, v37, s[4:5]
	v_mov_b32_e32 v37, s9
	v_add_co_u32_e64 v36, s[4:5], s8, v4
	v_addc_co_u32_e64 v37, s[4:5], v3, v37, s[4:5]
	global_store_short v[36:37], v38, off
	s_or_b64 exec, exec, s[6:7]
	s_and_saveexec_b64 s[4:5], s[2:3]
	s_cbranch_execz .LBB3_18
.LBB3_22:                               ;   in Loop: Header=BB3_9 Depth=1
	s_waitcnt vmcnt(0)
	v_lshlrev_b32_e32 v35, 16, v35
	v_mul_f32_e64 v37, -v35, v35
	v_mul_f32_e32 v36, 0x3fb8aa3b, v37
	v_rndne_f32_e32 v38, v36
	v_sub_f32_e32 v39, v36, v38
	v_fma_f32 v36, v37, s21, -v36
	v_fmac_f32_e32 v36, 0x32a5705f, v37
	v_add_f32_e32 v36, v39, v36
	v_exp_f32_e32 v39, v36
	v_cvt_i32_f32_e32 v38, v38
	v_cmp_ngt_f32_e64 s[2:3], s22, v37
	v_fma_f32 v36, -v35, v35, -v37
	v_add_f32_e64 v42, |v35|, |v35|
	v_ldexp_f32 v38, v39, v38
	v_add_f32_e64 v39, |v35|, 2.0
	v_rcp_f32_e32 v39, v39
	v_cndmask_b32_e64 v38, 0, v38, s[2:3]
	v_cmp_nlt_f32_e64 s[2:3], s23, v37
	v_add_f32_e64 v37, |v35|, -2.0
	v_mul_f32_e32 v37, v37, v39
	v_add_f32_e32 v40, 1.0, v37
	v_fma_f32 v40, v40, -2.0, |v35|
	v_fma_f32 v40, -v37, |v35|, v40
	v_fmac_f32_e32 v37, v39, v40
	v_mov_b32_e32 v39, 0xbaa2d753
	v_fmac_f32_e32 v39, 0xb9d6f8c4, v37
	v_fma_f32 v39, v37, v39, v23
	v_fma_f32 v39, v37, v39, v24
	;; [unrolled: 1-line block ×5, first 2 shown]
	v_add_f32_e32 v39, 1.0, v42
	v_rcp_f32_e32 v39, v39
	v_fma_f32 v40, v37, v40, v28
	v_fma_f32 v40, v37, v40, v29
	;; [unrolled: 1-line block ×4, first 2 shown]
	v_cndmask_b32_e64 v38, v31, v38, s[2:3]
	v_fma_f32 v40, -v41, v42, 1.0
	v_sub_f32_e32 v37, v37, v41
	v_add_f32_e32 v37, v40, v37
	v_mov_b32_e32 v40, v38
	v_pk_fma_f32 v[36:37], v[38:39], v[36:37], v[40:41]
	v_mul_f32_e32 v36, v36, v37
	v_cmp_ngt_f32_e64 s[2:3], |v35|, s24
	v_cndmask_b32_e64 v36, 0, v36, s[2:3]
	v_sub_f32_e32 v37, 2.0, v36
	v_cmp_gt_f32_e64 s[2:3], 0, v35
	v_cndmask_b32_e64 v35, v36, v37, s[2:3]
	v_bfe_u32 v36, v35, 16, 1
	v_add3_u32 v36, v35, v36, s25
	v_lshrrev_b32_e32 v36, 16, v36
	v_cmp_o_f32_e64 s[2:3], v35, v35
	v_cndmask_b32_e64 v35, v32, v36, s[2:3]
	v_mov_b32_e32 v37, s9
	v_add_co_u32_e64 v36, s[2:3], s8, v16
	v_addc_co_u32_e64 v37, s[2:3], v15, v37, s[2:3]
	global_store_short v[36:37], v35, off
	s_or_b64 exec, exec, s[4:5]
	s_and_saveexec_b64 s[2:3], s[0:1]
	s_cbranch_execz .LBB3_19
.LBB3_23:                               ;   in Loop: Header=BB3_9 Depth=1
	s_waitcnt vmcnt(0)
	v_lshlrev_b32_e32 v40, 16, v34
	v_mul_f32_e64 v35, -v40, v40
	v_mul_f32_e32 v34, 0x3fb8aa3b, v35
	v_rndne_f32_e32 v36, v34
	v_sub_f32_e32 v37, v34, v36
	v_fma_f32 v34, v35, s21, -v34
	v_fmac_f32_e32 v34, 0x32a5705f, v35
	v_add_f32_e32 v34, v37, v34
	v_exp_f32_e32 v37, v34
	v_cvt_i32_f32_e32 v36, v36
	v_cmp_ngt_f32_e64 s[0:1], s22, v35
	v_fma_f32 v34, -v40, v40, -v35
	v_add_f32_e64 v41, |v40|, |v40|
	v_ldexp_f32 v36, v37, v36
	v_add_f32_e64 v37, |v40|, 2.0
	v_rcp_f32_e32 v37, v37
	v_cndmask_b32_e64 v36, 0, v36, s[0:1]
	v_cmp_nlt_f32_e64 s[0:1], s23, v35
	v_add_f32_e64 v35, |v40|, -2.0
	v_mul_f32_e32 v35, v35, v37
	v_add_f32_e32 v38, 1.0, v35
	v_fma_f32 v38, v38, -2.0, |v40|
	v_fma_f32 v38, -v35, |v40|, v38
	v_fmac_f32_e32 v35, v37, v38
	v_mov_b32_e32 v37, 0xbaa2d753
	v_fmac_f32_e32 v37, 0xb9d6f8c4, v35
	v_fma_f32 v37, v35, v37, v23
	v_fma_f32 v37, v35, v37, v24
	;; [unrolled: 1-line block ×5, first 2 shown]
	v_add_f32_e32 v37, 1.0, v41
	v_rcp_f32_e32 v37, v37
	v_fma_f32 v38, v35, v38, v28
	v_fma_f32 v38, v35, v38, v29
	;; [unrolled: 1-line block ×4, first 2 shown]
	v_cndmask_b32_e64 v36, v31, v36, s[0:1]
	v_fma_f32 v38, -v39, v41, 1.0
	v_sub_f32_e32 v35, v35, v39
	v_add_f32_e32 v35, v38, v35
	v_mov_b32_e32 v38, v36
	v_pk_fma_f32 v[34:35], v[36:37], v[34:35], v[38:39]
	v_mul_f32_e32 v34, v34, v35
	v_cmp_ngt_f32_e64 s[0:1], |v40|, s24
	v_cndmask_b32_e64 v34, 0, v34, s[0:1]
	v_sub_f32_e32 v35, 2.0, v34
	v_cmp_gt_f32_e64 s[0:1], 0, v40
	v_cndmask_b32_e64 v34, v34, v35, s[0:1]
	v_bfe_u32 v35, v34, 16, 1
	v_add3_u32 v35, v34, v35, s25
	v_lshrrev_b32_e32 v35, 16, v35
	v_cmp_o_f32_e64 s[0:1], v34, v34
	v_cndmask_b32_e64 v36, v32, v35, s[0:1]
	v_mov_b32_e32 v35, s9
	v_add_co_u32_e64 v34, s[0:1], s8, v12
	v_addc_co_u32_e64 v35, s[0:1], v11, v35, s[0:1]
	global_store_short v[34:35], v36, off
	s_or_b64 exec, exec, s[2:3]
	s_and_saveexec_b64 s[0:1], vcc
	s_cbranch_execz .LBB3_8
.LBB3_24:                               ;   in Loop: Header=BB3_9 Depth=1
	s_waitcnt vmcnt(0)
	v_lshlrev_b32_e32 v33, 16, v33
	v_mul_f32_e64 v35, -v33, v33
	v_mul_f32_e32 v34, 0x3fb8aa3b, v35
	v_rndne_f32_e32 v36, v34
	v_sub_f32_e32 v37, v34, v36
	v_fma_f32 v34, v35, s21, -v34
	v_fmac_f32_e32 v34, 0x32a5705f, v35
	v_add_f32_e32 v34, v37, v34
	v_exp_f32_e32 v37, v34
	v_cvt_i32_f32_e32 v36, v36
	v_cmp_ngt_f32_e32 vcc, s22, v35
	v_fma_f32 v34, -v33, v33, -v35
	v_add_f32_e64 v40, |v33|, |v33|
	v_ldexp_f32 v36, v37, v36
	v_add_f32_e64 v37, |v33|, 2.0
	v_rcp_f32_e32 v37, v37
	v_cndmask_b32_e32 v36, 0, v36, vcc
	v_cmp_nlt_f32_e32 vcc, s23, v35
	v_add_f32_e64 v35, |v33|, -2.0
	v_mul_f32_e32 v35, v35, v37
	v_add_f32_e32 v38, 1.0, v35
	v_fma_f32 v38, v38, -2.0, |v33|
	v_fma_f32 v38, -v35, |v33|, v38
	v_fmac_f32_e32 v35, v37, v38
	v_mov_b32_e32 v37, 0xbaa2d753
	v_fmac_f32_e32 v37, 0xb9d6f8c4, v35
	v_fma_f32 v37, v35, v37, v23
	v_fma_f32 v37, v35, v37, v24
	;; [unrolled: 1-line block ×5, first 2 shown]
	v_add_f32_e32 v37, 1.0, v40
	v_rcp_f32_e32 v37, v37
	v_fma_f32 v38, v35, v38, v28
	v_fma_f32 v38, v35, v38, v29
	;; [unrolled: 1-line block ×4, first 2 shown]
	v_cndmask_b32_e32 v36, v31, v36, vcc
	v_fma_f32 v38, -v39, v40, 1.0
	v_sub_f32_e32 v35, v35, v39
	v_add_f32_e32 v35, v38, v35
	v_mov_b32_e32 v38, v36
	v_pk_fma_f32 v[34:35], v[36:37], v[34:35], v[38:39]
	v_mul_f32_e32 v34, v34, v35
	v_cmp_ngt_f32_e64 vcc, |v33|, s24
	v_cndmask_b32_e32 v34, 0, v34, vcc
	v_sub_f32_e32 v35, 2.0, v34
	v_cmp_gt_f32_e32 vcc, 0, v33
	v_cndmask_b32_e32 v33, v34, v35, vcc
	v_bfe_u32 v34, v33, 16, 1
	v_add3_u32 v34, v33, v34, s25
	v_lshrrev_b32_e32 v34, 16, v34
	v_cmp_o_f32_e32 vcc, v33, v33
	v_cndmask_b32_e32 v33, v32, v34, vcc
	v_mov_b32_e32 v35, s9
	v_add_co_u32_e32 v34, vcc, s8, v8
	v_addc_co_u32_e32 v35, vcc, v7, v35, vcc
	global_store_short v[34:35], v33, off
	s_branch .LBB3_8
.LBB3_25:
	s_endpgm
	.section	.rodata,"a",@progbits
	.p2align	6, 0x0
	.amdhsa_kernel _ZN2at6native12_GLOBAL__N_125multi_tensor_apply_kernelINS1_18TensorListMetadataILi2EEENS1_14UnaryOpFunctorIN3c108BFloat16ELi2ELi1ELi1EEEJNS0_4ErfcIfEEEEEvT_T0_DpT1_
		.amdhsa_group_segment_fixed_size 0
		.amdhsa_private_segment_fixed_size 0
		.amdhsa_kernarg_size 3408
		.amdhsa_user_sgpr_count 6
		.amdhsa_user_sgpr_private_segment_buffer 1
		.amdhsa_user_sgpr_dispatch_ptr 0
		.amdhsa_user_sgpr_queue_ptr 0
		.amdhsa_user_sgpr_kernarg_segment_ptr 1
		.amdhsa_user_sgpr_dispatch_id 0
		.amdhsa_user_sgpr_flat_scratch_init 0
		.amdhsa_user_sgpr_kernarg_preload_length 0
		.amdhsa_user_sgpr_kernarg_preload_offset 0
		.amdhsa_user_sgpr_private_segment_size 0
		.amdhsa_uses_dynamic_stack 0
		.amdhsa_system_sgpr_private_segment_wavefront_offset 0
		.amdhsa_system_sgpr_workgroup_id_x 1
		.amdhsa_system_sgpr_workgroup_id_y 0
		.amdhsa_system_sgpr_workgroup_id_z 0
		.amdhsa_system_sgpr_workgroup_info 0
		.amdhsa_system_vgpr_workitem_id 0
		.amdhsa_next_free_vgpr 59
		.amdhsa_next_free_sgpr 42
		.amdhsa_accum_offset 60
		.amdhsa_reserve_vcc 1
		.amdhsa_reserve_flat_scratch 0
		.amdhsa_float_round_mode_32 0
		.amdhsa_float_round_mode_16_64 0
		.amdhsa_float_denorm_mode_32 3
		.amdhsa_float_denorm_mode_16_64 3
		.amdhsa_dx10_clamp 1
		.amdhsa_ieee_mode 1
		.amdhsa_fp16_overflow 0
		.amdhsa_tg_split 0
		.amdhsa_exception_fp_ieee_invalid_op 0
		.amdhsa_exception_fp_denorm_src 0
		.amdhsa_exception_fp_ieee_div_zero 0
		.amdhsa_exception_fp_ieee_overflow 0
		.amdhsa_exception_fp_ieee_underflow 0
		.amdhsa_exception_fp_ieee_inexact 0
		.amdhsa_exception_int_div_zero 0
	.end_amdhsa_kernel
	.section	.text._ZN2at6native12_GLOBAL__N_125multi_tensor_apply_kernelINS1_18TensorListMetadataILi2EEENS1_14UnaryOpFunctorIN3c108BFloat16ELi2ELi1ELi1EEEJNS0_4ErfcIfEEEEEvT_T0_DpT1_,"axG",@progbits,_ZN2at6native12_GLOBAL__N_125multi_tensor_apply_kernelINS1_18TensorListMetadataILi2EEENS1_14UnaryOpFunctorIN3c108BFloat16ELi2ELi1ELi1EEEJNS0_4ErfcIfEEEEEvT_T0_DpT1_,comdat
.Lfunc_end3:
	.size	_ZN2at6native12_GLOBAL__N_125multi_tensor_apply_kernelINS1_18TensorListMetadataILi2EEENS1_14UnaryOpFunctorIN3c108BFloat16ELi2ELi1ELi1EEEJNS0_4ErfcIfEEEEEvT_T0_DpT1_, .Lfunc_end3-_ZN2at6native12_GLOBAL__N_125multi_tensor_apply_kernelINS1_18TensorListMetadataILi2EEENS1_14UnaryOpFunctorIN3c108BFloat16ELi2ELi1ELi1EEEJNS0_4ErfcIfEEEEEvT_T0_DpT1_
                                        ; -- End function
	.section	.AMDGPU.csdata,"",@progbits
; Kernel info:
; codeLenInByte = 4012
; NumSgprs: 46
; NumVgprs: 59
; NumAgprs: 0
; TotalNumVgprs: 59
; ScratchSize: 0
; MemoryBound: 0
; FloatMode: 240
; IeeeMode: 1
; LDSByteSize: 0 bytes/workgroup (compile time only)
; SGPRBlocks: 5
; VGPRBlocks: 7
; NumSGPRsForWavesPerEU: 46
; NumVGPRsForWavesPerEU: 59
; AccumOffset: 60
; Occupancy: 8
; WaveLimiterHint : 0
; COMPUTE_PGM_RSRC2:SCRATCH_EN: 0
; COMPUTE_PGM_RSRC2:USER_SGPR: 6
; COMPUTE_PGM_RSRC2:TRAP_HANDLER: 0
; COMPUTE_PGM_RSRC2:TGID_X_EN: 1
; COMPUTE_PGM_RSRC2:TGID_Y_EN: 0
; COMPUTE_PGM_RSRC2:TGID_Z_EN: 0
; COMPUTE_PGM_RSRC2:TIDIG_COMP_CNT: 0
; COMPUTE_PGM_RSRC3_GFX90A:ACCUM_OFFSET: 14
; COMPUTE_PGM_RSRC3_GFX90A:TG_SPLIT: 0
	.section	.text._ZN2at6native12_GLOBAL__N_125multi_tensor_apply_kernelINS1_18TensorListMetadataILi1EEENS1_14UnaryOpFunctorIdLi1ELi1ELi0EEEJNS0_4ErfcIdEEEEEvT_T0_DpT1_,"axG",@progbits,_ZN2at6native12_GLOBAL__N_125multi_tensor_apply_kernelINS1_18TensorListMetadataILi1EEENS1_14UnaryOpFunctorIdLi1ELi1ELi0EEEJNS0_4ErfcIdEEEEEvT_T0_DpT1_,comdat
	.globl	_ZN2at6native12_GLOBAL__N_125multi_tensor_apply_kernelINS1_18TensorListMetadataILi1EEENS1_14UnaryOpFunctorIdLi1ELi1ELi0EEEJNS0_4ErfcIdEEEEEvT_T0_DpT1_ ; -- Begin function _ZN2at6native12_GLOBAL__N_125multi_tensor_apply_kernelINS1_18TensorListMetadataILi1EEENS1_14UnaryOpFunctorIdLi1ELi1ELi0EEEJNS0_4ErfcIdEEEEEvT_T0_DpT1_
	.p2align	8
	.type	_ZN2at6native12_GLOBAL__N_125multi_tensor_apply_kernelINS1_18TensorListMetadataILi1EEENS1_14UnaryOpFunctorIdLi1ELi1ELi0EEEJNS0_4ErfcIdEEEEEvT_T0_DpT1_,@function
_ZN2at6native12_GLOBAL__N_125multi_tensor_apply_kernelINS1_18TensorListMetadataILi1EEENS1_14UnaryOpFunctorIdLi1ELi1ELi0EEEJNS0_4ErfcIdEEEEEvT_T0_DpT1_: ; @_ZN2at6native12_GLOBAL__N_125multi_tensor_apply_kernelINS1_18TensorListMetadataILi1EEENS1_14UnaryOpFunctorIdLi1ELi1ELi0EEEJNS0_4ErfcIdEEEEEvT_T0_DpT1_
; %bb.0:
	v_mov_b32_e32 v1, s6
	global_load_ubyte v1, v1, s[4:5] offset:1760
	s_add_u32 s0, s4, s6
	s_mul_hi_u32 s1, s6, 3
	s_mul_i32 s6, s6, 3
	s_addc_u32 s2, s5, 0
	s_add_u32 s0, s0, s6
	s_addc_u32 s1, s2, s1
	s_load_dword s0, s[0:1], 0x820
	s_mov_b32 s7, 0
	s_waitcnt vmcnt(0)
	v_readfirstlane_b32 s2, v1
	s_lshl_b32 s1, s2, 3
	s_load_dwordx2 s[2:3], s[4:5], s1 offset:0x370
	s_load_dwordx2 s[12:13], s[4:5], s1 offset:0x0
	s_waitcnt lgkmcnt(0)
	s_ashr_i32 s1, s0, 31
	s_lshl_b64 s[14:15], s[0:1], 19
	s_lshl_b64 s[0:1], s[0:1], 16
	s_and_b32 s6, s12, 31
	s_sub_u32 s10, s2, s0
	s_subb_u32 s11, s3, s1
	s_and_b32 s0, s2, 3
	s_mov_b32 s1, s7
	s_or_b64 s[0:1], s[6:7], s[0:1]
	s_cmp_eq_u64 s[0:1], 0
	s_cbranch_scc1 .LBB4_21
; %bb.1:
	v_cmp_lt_i64_e64 s[0:1], s[10:11], 1
	s_and_b64 vcc, exec, s[0:1]
	s_cbranch_vccnz .LBB4_20
; %bb.2:
	s_load_dword s0, s[4:5], 0xd3c
	v_mov_b32_e32 v2, 0x10000
	v_mov_b32_e32 v3, 0
	v_cmp_lt_u64_e32 vcc, s[10:11], v[2:3]
	v_lshlrev_b32_e32 v1, 3, v0
	s_waitcnt lgkmcnt(0)
	s_and_b32 s2, s0, 0xffff
	s_and_b64 s[0:1], vcc, exec
	s_cselect_b32 s17, s11, 0
	s_cselect_b32 s16, s10, 0x10000
	s_lshl_b32 s3, s2, 1
	s_lshl_b32 s40, s2, 2
	s_add_u32 s7, s12, s14
	s_addc_u32 s8, s13, s15
	v_mov_b32_e32 v3, s8
	v_add_co_u32_e32 v2, vcc, s7, v1
	v_addc_co_u32_e32 v3, vcc, 0, v3, vcc
	v_add_co_u32_e32 v1, vcc, s2, v0
	v_lshlrev_b32_e32 v4, 3, v1
	v_addc_co_u32_e64 v74, s[0:1], 0, 0, vcc
	v_mov_b32_e32 v5, s8
	v_add_co_u32_e32 v4, vcc, s7, v4
	s_mul_i32 s6, s2, 3
	v_addc_co_u32_e32 v5, vcc, 0, v5, vcc
	v_add_co_u32_e32 v75, vcc, s6, v0
	s_mov_b32 s33, 0
	s_mov_b32 s20, 0x652b82fe
	;; [unrolled: 1-line block ×9, first 2 shown]
	v_addc_co_u32_e64 v76, s[0:1], 0, 0, vcc
	v_add_co_u32_e32 v77, vcc, s3, v0
	s_lshl_b32 s41, s2, 5
	s_mul_i32 s42, s2, 24
	s_mov_b32 s43, s33
	s_lshl_b32 s44, s2, 4
	s_mov_b32 s45, s33
	s_mov_b64 s[18:19], 0
	s_mov_b32 s21, 0x3ff71547
	s_mov_b32 s23, 0xbfe62e42
	;; [unrolled: 1-line block ×8, first 2 shown]
	v_mov_b32_e32 v6, 0xfca7ab0c
	v_mov_b32_e32 v7, 0x3e928af3
	;; [unrolled: 1-line block ×60, first 2 shown]
	v_addc_co_u32_e64 v78, s[0:1], 0, 0, vcc
	v_mov_b32_e32 v79, 0x7ff00000
	s_branch .LBB4_4
.LBB4_3:                                ;   in Loop: Header=BB4_4 Depth=1
	s_or_b64 exec, exec, s[2:3]
	s_add_u32 s18, s18, s40
	s_addc_u32 s19, s19, 0
	s_waitcnt vmcnt(0)
	v_pk_mov_b32 v[66:67], s[10:11], s[10:11] op_sel:[0,1]
	v_cmp_lt_i64_e32 vcc, s[18:19], v[66:67]
	v_mov_b32_e32 v66, 0x10000
	v_mov_b32_e32 v67, 0
	v_cmp_lt_u64_e64 s[0:1], s[18:19], v[66:67]
	s_and_b64 s[0:1], vcc, s[0:1]
	v_mov_b32_e32 v66, s33
	v_add_co_u32_e32 v2, vcc, s41, v2
	v_addc_co_u32_e32 v3, vcc, v3, v66, vcc
	v_add_co_u32_e32 v4, vcc, s41, v4
	v_addc_co_u32_e32 v5, vcc, v5, v66, vcc
	s_and_b64 vcc, exec, s[0:1]
	s_cbranch_vccz .LBB4_20
.LBB4_4:                                ; =>This Inner Loop Header: Depth=1
	v_mov_b32_e32 v67, s19
	v_add_co_u32_e32 v66, vcc, s18, v0
	v_addc_co_u32_e32 v67, vcc, 0, v67, vcc
	v_pk_mov_b32 v[70:71], 0, 0
	v_cmp_gt_u64_e64 s[6:7], s[16:17], v[66:67]
	v_pk_mov_b32 v[72:73], v[70:71], v[70:71] op_sel:[0,1]
	s_and_saveexec_b64 s[0:1], s[6:7]
	s_cbranch_execz .LBB4_6
; %bb.5:                                ;   in Loop: Header=BB4_4 Depth=1
	global_load_dwordx2 v[72:73], v[2:3], off
.LBB4_6:                                ;   in Loop: Header=BB4_4 Depth=1
	s_or_b64 exec, exec, s[0:1]
	v_mov_b32_e32 v67, s19
	v_add_co_u32_e32 v66, vcc, s18, v1
	v_addc_co_u32_e32 v67, vcc, v74, v67, vcc
	v_cmp_gt_u64_e64 s[2:3], s[16:17], v[66:67]
	s_and_saveexec_b64 s[0:1], s[2:3]
	s_cbranch_execz .LBB4_8
; %bb.7:                                ;   in Loop: Header=BB4_4 Depth=1
	global_load_dwordx2 v[70:71], v[4:5], off
.LBB4_8:                                ;   in Loop: Header=BB4_4 Depth=1
	s_or_b64 exec, exec, s[0:1]
	v_mov_b32_e32 v67, s19
	v_add_co_u32_e32 v66, vcc, s18, v77
	v_addc_co_u32_e32 v67, vcc, v78, v67, vcc
	v_cmp_gt_u64_e64 s[0:1], s[16:17], v[66:67]
	v_pk_mov_b32 v[66:67], 0, 0
	v_pk_mov_b32 v[68:69], v[66:67], v[66:67] op_sel:[0,1]
	s_and_saveexec_b64 s[8:9], s[0:1]
	s_cbranch_execz .LBB4_10
; %bb.9:                                ;   in Loop: Header=BB4_4 Depth=1
	v_mov_b32_e32 v69, s45
	v_add_co_u32_e32 v68, vcc, s44, v2
	v_addc_co_u32_e32 v69, vcc, v3, v69, vcc
	global_load_dwordx2 v[68:69], v[68:69], off
.LBB4_10:                               ;   in Loop: Header=BB4_4 Depth=1
	s_or_b64 exec, exec, s[8:9]
	v_mov_b32_e32 v81, s19
	v_add_co_u32_e32 v80, vcc, s18, v75
	v_addc_co_u32_e32 v81, vcc, v76, v81, vcc
	v_cmp_gt_u64_e32 vcc, s[16:17], v[80:81]
	s_and_saveexec_b64 s[38:39], vcc
	s_cbranch_execnz .LBB4_15
; %bb.11:                               ;   in Loop: Header=BB4_4 Depth=1
	s_or_b64 exec, exec, s[38:39]
	s_and_saveexec_b64 s[38:39], s[6:7]
	s_cbranch_execnz .LBB4_16
.LBB4_12:                               ;   in Loop: Header=BB4_4 Depth=1
	s_or_b64 exec, exec, s[38:39]
	s_and_saveexec_b64 s[8:9], s[2:3]
	s_cbranch_execnz .LBB4_17
.LBB4_13:                               ;   in Loop: Header=BB4_4 Depth=1
	s_or_b64 exec, exec, s[8:9]
	s_and_saveexec_b64 s[6:7], s[0:1]
	s_cbranch_execnz .LBB4_18
.LBB4_14:                               ;   in Loop: Header=BB4_4 Depth=1
	s_or_b64 exec, exec, s[6:7]
	s_and_saveexec_b64 s[2:3], vcc
	s_cbranch_execz .LBB4_3
	s_branch .LBB4_19
.LBB4_15:                               ;   in Loop: Header=BB4_4 Depth=1
	v_mov_b32_e32 v67, s43
	v_add_co_u32_e64 v66, s[8:9], s42, v2
	v_addc_co_u32_e64 v67, s[8:9], v3, v67, s[8:9]
	global_load_dwordx2 v[66:67], v[66:67], off
	s_or_b64 exec, exec, s[38:39]
	s_and_saveexec_b64 s[38:39], s[6:7]
	s_cbranch_execz .LBB4_12
.LBB4_16:                               ;   in Loop: Header=BB4_4 Depth=1
	s_waitcnt vmcnt(0)
	v_mul_f64 v[80:81], v[72:73], -v[72:73]
	v_mul_f64 v[82:83], v[80:81], s[20:21]
	v_rndne_f64_e32 v[82:83], v[82:83]
	v_fma_f64 v[84:85], s[22:23], v[82:83], v[80:81]
	v_fmac_f64_e32 v[84:85], s[24:25], v[82:83]
	v_pk_mov_b32 v[86:87], v[6:7], v[6:7] op_sel:[0,1]
	v_fmac_f64_e32 v[86:87], s[26:27], v[84:85]
	v_pk_mov_b32 v[88:89], v[8:9], v[8:9] op_sel:[0,1]
	;; [unrolled: 2-line block ×9, first 2 shown]
	v_fmac_f64_e32 v[86:87], v[84:85], v[88:89]
	v_fma_f64 v[86:87], v[84:85], v[86:87], 1.0
	v_fma_f64 v[84:85], v[84:85], v[86:87], 1.0
	v_cvt_i32_f64_e32 v82, v[82:83]
	v_ldexp_f64 v[82:83], v[84:85], v82
	v_add_f64 v[84:85], |v[72:73]|, |v[72:73]|
	v_add_f64 v[86:87], v[84:85], 1.0
	v_rcp_f64_e32 v[88:89], v[86:87]
	v_cmp_nlt_f64_e64 s[6:7], s[28:29], v[80:81]
	v_cmp_ngt_f64_e64 s[8:9], s[30:31], v[80:81]
	v_cndmask_b32_e64 v83, v79, v83, s[6:7]
	s_and_b64 s[6:7], s[8:9], s[6:7]
	v_add_f64 v[90:91], |v[72:73]|, 4.0
	v_cndmask_b32_e64 v83, 0, v83, s[8:9]
	v_cndmask_b32_e64 v82, 0, v82, s[6:7]
	v_fma_f64 v[80:81], -v[72:73], v[72:73], -v[80:81]
	v_rcp_f64_e32 v[92:93], v[90:91]
	v_fmac_f64_e32 v[82:83], v[82:83], v[80:81]
	v_fma_f64 v[80:81], -v[86:87], v[88:89], 1.0
	v_fmac_f64_e32 v[88:89], v[80:81], v[88:89]
	v_fma_f64 v[80:81], -v[86:87], v[88:89], 1.0
	;; [unrolled: 2-line block ×4, first 2 shown]
	v_fmac_f64_e32 v[92:93], v[80:81], v[92:93]
	v_add_f64 v[80:81], |v[72:73]|, -4.0
	v_mul_f64 v[80:81], v[80:81], v[92:93]
	v_add_f64 v[86:87], v[80:81], 1.0
	v_fma_f64 v[86:87], v[86:87], -4.0, |v[72:73]|
	v_fma_f64 v[86:87], -v[80:81], |v[72:73]|, v[86:87]
	v_fmac_f64_e32 v[80:81], v[92:93], v[86:87]
	v_pk_mov_b32 v[86:87], v[24:25], v[24:25] op_sel:[0,1]
	v_fmac_f64_e32 v[86:87], s[34:35], v[80:81]
	v_pk_mov_b32 v[90:91], v[26:27], v[26:27] op_sel:[0,1]
	;; [unrolled: 2-line block ×21, first 2 shown]
	v_fmac_f64_e32 v[86:87], v[80:81], v[90:91]
	v_fma_f64 v[80:81], v[86:87], v[88:89], v[88:89]
	v_fma_f64 v[84:85], -v[80:81], v[84:85], 1.0
	v_add_f64 v[86:87], v[86:87], -v[80:81]
	v_add_f64 v[84:85], v[84:85], v[86:87]
	v_fmac_f64_e32 v[80:81], v[88:89], v[84:85]
	v_mul_f64 v[80:81], v[82:83], v[80:81]
	v_cmp_ngt_f64_e64 s[6:7], |v[72:73]|, s[36:37]
	v_cndmask_b32_e64 v81, 0, v81, s[6:7]
	v_cndmask_b32_e64 v80, 0, v80, s[6:7]
	v_add_f64 v[82:83], -v[80:81], 2.0
	v_cmp_gt_f64_e64 s[6:7], 0, v[72:73]
	v_cndmask_b32_e64 v73, v81, v83, s[6:7]
	v_cndmask_b32_e64 v72, v80, v82, s[6:7]
	global_store_dwordx2 v[2:3], v[72:73], off
	s_or_b64 exec, exec, s[38:39]
	s_and_saveexec_b64 s[8:9], s[2:3]
	s_cbranch_execz .LBB4_13
.LBB4_17:                               ;   in Loop: Header=BB4_4 Depth=1
	s_waitcnt vmcnt(0)
	v_mul_f64 v[72:73], v[70:71], -v[70:71]
	v_mul_f64 v[82:83], v[72:73], s[20:21]
	v_rndne_f64_e32 v[82:83], v[82:83]
	v_fma_f64 v[84:85], s[22:23], v[82:83], v[72:73]
	v_fmac_f64_e32 v[84:85], s[24:25], v[82:83]
	v_pk_mov_b32 v[86:87], v[6:7], v[6:7] op_sel:[0,1]
	v_fmac_f64_e32 v[86:87], s[26:27], v[84:85]
	v_pk_mov_b32 v[88:89], v[8:9], v[8:9] op_sel:[0,1]
	;; [unrolled: 2-line block ×9, first 2 shown]
	v_fmac_f64_e32 v[86:87], v[84:85], v[88:89]
	v_fma_f64 v[86:87], v[84:85], v[86:87], 1.0
	v_fma_f64 v[84:85], v[84:85], v[86:87], 1.0
	v_cvt_i32_f64_e32 v82, v[82:83]
	v_ldexp_f64 v[82:83], v[84:85], v82
	v_add_f64 v[84:85], |v[70:71]|, 4.0
	v_rcp_f64_e32 v[86:87], v[84:85]
	v_cmp_nlt_f64_e64 s[2:3], s[28:29], v[72:73]
	v_cmp_ngt_f64_e64 s[6:7], s[30:31], v[72:73]
	v_cndmask_b32_e64 v83, v79, v83, s[2:3]
	s_and_b64 s[2:3], s[6:7], s[2:3]
	v_fma_f64 v[80:81], -v[70:71], v[70:71], -v[72:73]
	v_cndmask_b32_e64 v73, 0, v83, s[6:7]
	v_cndmask_b32_e64 v72, 0, v82, s[2:3]
	v_fma_f64 v[82:83], -v[84:85], v[86:87], 1.0
	v_fmac_f64_e32 v[86:87], v[82:83], v[86:87]
	v_fma_f64 v[82:83], -v[84:85], v[86:87], 1.0
	v_fmac_f64_e32 v[72:73], v[72:73], v[80:81]
	v_add_f64 v[80:81], |v[70:71]|, -4.0
	v_fmac_f64_e32 v[86:87], v[82:83], v[86:87]
	v_mul_f64 v[80:81], v[80:81], v[86:87]
	v_add_f64 v[82:83], v[80:81], 1.0
	v_fma_f64 v[82:83], v[82:83], -4.0, |v[70:71]|
	v_fma_f64 v[82:83], -v[80:81], |v[70:71]|, v[82:83]
	v_fmac_f64_e32 v[80:81], v[86:87], v[82:83]
	v_pk_mov_b32 v[82:83], v[24:25], v[24:25] op_sel:[0,1]
	v_fmac_f64_e32 v[82:83], s[34:35], v[80:81]
	v_pk_mov_b32 v[84:85], v[26:27], v[26:27] op_sel:[0,1]
	;; [unrolled: 2-line block ×16, first 2 shown]
	v_add_f64 v[86:87], |v[70:71]|, |v[70:71]|
	v_fmac_f64_e32 v[84:85], v[80:81], v[82:83]
	v_pk_mov_b32 v[82:83], v[56:57], v[56:57] op_sel:[0,1]
	v_add_f64 v[88:89], v[86:87], 1.0
	v_fmac_f64_e32 v[82:83], v[80:81], v[84:85]
	v_pk_mov_b32 v[84:85], v[58:59], v[58:59] op_sel:[0,1]
	v_rcp_f64_e32 v[90:91], v[88:89]
	v_fmac_f64_e32 v[84:85], v[80:81], v[82:83]
	v_pk_mov_b32 v[82:83], v[60:61], v[60:61] op_sel:[0,1]
	v_fmac_f64_e32 v[82:83], v[80:81], v[84:85]
	v_pk_mov_b32 v[84:85], v[62:63], v[62:63] op_sel:[0,1]
	;; [unrolled: 2-line block ×3, first 2 shown]
	v_fmac_f64_e32 v[82:83], v[80:81], v[84:85]
	v_fma_f64 v[80:81], -v[88:89], v[90:91], 1.0
	v_fmac_f64_e32 v[90:91], v[80:81], v[90:91]
	v_fma_f64 v[80:81], -v[88:89], v[90:91], 1.0
	v_fmac_f64_e32 v[90:91], v[80:81], v[90:91]
	v_fma_f64 v[80:81], v[82:83], v[90:91], v[90:91]
	v_fma_f64 v[84:85], -v[80:81], v[86:87], 1.0
	v_add_f64 v[82:83], v[82:83], -v[80:81]
	v_add_f64 v[82:83], v[84:85], v[82:83]
	v_fmac_f64_e32 v[80:81], v[90:91], v[82:83]
	v_mul_f64 v[72:73], v[72:73], v[80:81]
	v_cmp_ngt_f64_e64 s[2:3], |v[70:71]|, s[36:37]
	v_cndmask_b32_e64 v73, 0, v73, s[2:3]
	v_cndmask_b32_e64 v72, 0, v72, s[2:3]
	v_add_f64 v[80:81], -v[72:73], 2.0
	v_cmp_gt_f64_e64 s[2:3], 0, v[70:71]
	v_cndmask_b32_e64 v71, v73, v81, s[2:3]
	v_cndmask_b32_e64 v70, v72, v80, s[2:3]
	global_store_dwordx2 v[4:5], v[70:71], off
	s_or_b64 exec, exec, s[8:9]
	s_and_saveexec_b64 s[6:7], s[0:1]
	s_cbranch_execz .LBB4_14
.LBB4_18:                               ;   in Loop: Header=BB4_4 Depth=1
	s_waitcnt vmcnt(0)
	v_mul_f64 v[70:71], v[68:69], -v[68:69]
	v_mul_f64 v[80:81], v[70:71], s[20:21]
	v_rndne_f64_e32 v[80:81], v[80:81]
	v_fma_f64 v[82:83], s[22:23], v[80:81], v[70:71]
	v_fmac_f64_e32 v[82:83], s[24:25], v[80:81]
	v_pk_mov_b32 v[84:85], v[6:7], v[6:7] op_sel:[0,1]
	v_fmac_f64_e32 v[84:85], s[26:27], v[82:83]
	v_pk_mov_b32 v[86:87], v[8:9], v[8:9] op_sel:[0,1]
	;; [unrolled: 2-line block ×9, first 2 shown]
	v_fmac_f64_e32 v[84:85], v[82:83], v[86:87]
	v_fma_f64 v[84:85], v[82:83], v[84:85], 1.0
	v_fma_f64 v[82:83], v[82:83], v[84:85], 1.0
	v_cvt_i32_f64_e32 v80, v[80:81]
	v_ldexp_f64 v[80:81], v[82:83], v80
	v_add_f64 v[82:83], |v[68:69]|, 4.0
	v_rcp_f64_e32 v[84:85], v[82:83]
	v_cmp_nlt_f64_e64 s[0:1], s[28:29], v[70:71]
	v_cmp_ngt_f64_e64 s[2:3], s[30:31], v[70:71]
	v_cndmask_b32_e64 v81, v79, v81, s[0:1]
	s_and_b64 s[0:1], s[2:3], s[0:1]
	v_fma_f64 v[72:73], -v[68:69], v[68:69], -v[70:71]
	v_cndmask_b32_e64 v71, 0, v81, s[2:3]
	v_cndmask_b32_e64 v70, 0, v80, s[0:1]
	v_fma_f64 v[80:81], -v[82:83], v[84:85], 1.0
	v_fmac_f64_e32 v[84:85], v[80:81], v[84:85]
	v_fma_f64 v[80:81], -v[82:83], v[84:85], 1.0
	v_fmac_f64_e32 v[70:71], v[70:71], v[72:73]
	v_add_f64 v[72:73], |v[68:69]|, -4.0
	v_fmac_f64_e32 v[84:85], v[80:81], v[84:85]
	v_mul_f64 v[72:73], v[72:73], v[84:85]
	v_add_f64 v[80:81], v[72:73], 1.0
	v_fma_f64 v[80:81], v[80:81], -4.0, |v[68:69]|
	v_fma_f64 v[80:81], -v[72:73], |v[68:69]|, v[80:81]
	v_fmac_f64_e32 v[72:73], v[84:85], v[80:81]
	v_pk_mov_b32 v[80:81], v[24:25], v[24:25] op_sel:[0,1]
	v_fmac_f64_e32 v[80:81], s[34:35], v[72:73]
	v_pk_mov_b32 v[82:83], v[26:27], v[26:27] op_sel:[0,1]
	v_fmac_f64_e32 v[82:83], v[72:73], v[80:81]
	v_pk_mov_b32 v[80:81], v[28:29], v[28:29] op_sel:[0,1]
	v_fmac_f64_e32 v[80:81], v[72:73], v[82:83]
	v_pk_mov_b32 v[82:83], v[30:31], v[30:31] op_sel:[0,1]
	v_fmac_f64_e32 v[82:83], v[72:73], v[80:81]
	v_pk_mov_b32 v[80:81], v[32:33], v[32:33] op_sel:[0,1]
	v_fmac_f64_e32 v[80:81], v[72:73], v[82:83]
	v_pk_mov_b32 v[82:83], v[34:35], v[34:35] op_sel:[0,1]
	v_fmac_f64_e32 v[82:83], v[72:73], v[80:81]
	v_pk_mov_b32 v[80:81], v[36:37], v[36:37] op_sel:[0,1]
	v_fmac_f64_e32 v[80:81], v[72:73], v[82:83]
	v_pk_mov_b32 v[82:83], v[38:39], v[38:39] op_sel:[0,1]
	v_fmac_f64_e32 v[82:83], v[72:73], v[80:81]
	v_pk_mov_b32 v[80:81], v[40:41], v[40:41] op_sel:[0,1]
	v_fmac_f64_e32 v[80:81], v[72:73], v[82:83]
	v_pk_mov_b32 v[82:83], v[42:43], v[42:43] op_sel:[0,1]
	v_fmac_f64_e32 v[82:83], v[72:73], v[80:81]
	v_pk_mov_b32 v[80:81], v[44:45], v[44:45] op_sel:[0,1]
	v_fmac_f64_e32 v[80:81], v[72:73], v[82:83]
	v_pk_mov_b32 v[82:83], v[46:47], v[46:47] op_sel:[0,1]
	v_fmac_f64_e32 v[82:83], v[72:73], v[80:81]
	v_pk_mov_b32 v[80:81], v[48:49], v[48:49] op_sel:[0,1]
	v_fmac_f64_e32 v[80:81], v[72:73], v[82:83]
	v_pk_mov_b32 v[82:83], v[50:51], v[50:51] op_sel:[0,1]
	v_fmac_f64_e32 v[82:83], v[72:73], v[80:81]
	v_pk_mov_b32 v[80:81], v[52:53], v[52:53] op_sel:[0,1]
	v_fmac_f64_e32 v[80:81], v[72:73], v[82:83]
	v_pk_mov_b32 v[82:83], v[54:55], v[54:55] op_sel:[0,1]
	v_add_f64 v[84:85], |v[68:69]|, |v[68:69]|
	v_fmac_f64_e32 v[82:83], v[72:73], v[80:81]
	v_pk_mov_b32 v[80:81], v[56:57], v[56:57] op_sel:[0,1]
	v_add_f64 v[86:87], v[84:85], 1.0
	v_fmac_f64_e32 v[80:81], v[72:73], v[82:83]
	v_pk_mov_b32 v[82:83], v[58:59], v[58:59] op_sel:[0,1]
	v_rcp_f64_e32 v[88:89], v[86:87]
	v_fmac_f64_e32 v[82:83], v[72:73], v[80:81]
	v_pk_mov_b32 v[80:81], v[60:61], v[60:61] op_sel:[0,1]
	v_fmac_f64_e32 v[80:81], v[72:73], v[82:83]
	v_pk_mov_b32 v[82:83], v[62:63], v[62:63] op_sel:[0,1]
	;; [unrolled: 2-line block ×3, first 2 shown]
	v_fmac_f64_e32 v[80:81], v[72:73], v[82:83]
	v_fma_f64 v[72:73], -v[86:87], v[88:89], 1.0
	v_fmac_f64_e32 v[88:89], v[72:73], v[88:89]
	v_fma_f64 v[72:73], -v[86:87], v[88:89], 1.0
	v_fmac_f64_e32 v[88:89], v[72:73], v[88:89]
	v_fma_f64 v[72:73], v[80:81], v[88:89], v[88:89]
	v_fma_f64 v[82:83], -v[72:73], v[84:85], 1.0
	v_add_f64 v[80:81], v[80:81], -v[72:73]
	v_add_f64 v[80:81], v[82:83], v[80:81]
	v_fmac_f64_e32 v[72:73], v[88:89], v[80:81]
	v_mul_f64 v[70:71], v[70:71], v[72:73]
	v_cmp_ngt_f64_e64 s[0:1], |v[68:69]|, s[36:37]
	v_cndmask_b32_e64 v71, 0, v71, s[0:1]
	v_cndmask_b32_e64 v70, 0, v70, s[0:1]
	v_add_f64 v[72:73], -v[70:71], 2.0
	v_cmp_gt_f64_e64 s[0:1], 0, v[68:69]
	v_cndmask_b32_e64 v69, v71, v73, s[0:1]
	v_cndmask_b32_e64 v68, v70, v72, s[0:1]
	v_mov_b32_e32 v71, s45
	v_add_co_u32_e64 v70, s[0:1], s44, v2
	v_addc_co_u32_e64 v71, s[0:1], v3, v71, s[0:1]
	global_store_dwordx2 v[70:71], v[68:69], off
	s_or_b64 exec, exec, s[6:7]
	s_and_saveexec_b64 s[2:3], vcc
	s_cbranch_execz .LBB4_3
.LBB4_19:                               ;   in Loop: Header=BB4_4 Depth=1
	s_waitcnt vmcnt(0)
	v_mul_f64 v[68:69], v[66:67], -v[66:67]
	v_mul_f64 v[72:73], v[68:69], s[20:21]
	v_rndne_f64_e32 v[72:73], v[72:73]
	v_fma_f64 v[80:81], s[22:23], v[72:73], v[68:69]
	v_fmac_f64_e32 v[80:81], s[24:25], v[72:73]
	v_pk_mov_b32 v[82:83], v[6:7], v[6:7] op_sel:[0,1]
	v_fmac_f64_e32 v[82:83], s[26:27], v[80:81]
	v_pk_mov_b32 v[84:85], v[8:9], v[8:9] op_sel:[0,1]
	;; [unrolled: 2-line block ×9, first 2 shown]
	v_fmac_f64_e32 v[82:83], v[80:81], v[84:85]
	v_fma_f64 v[82:83], v[80:81], v[82:83], 1.0
	v_fma_f64 v[80:81], v[80:81], v[82:83], 1.0
	v_cvt_i32_f64_e32 v72, v[72:73]
	v_ldexp_f64 v[72:73], v[80:81], v72
	v_add_f64 v[80:81], |v[66:67]|, 4.0
	v_rcp_f64_e32 v[82:83], v[80:81]
	v_cmp_nlt_f64_e32 vcc, s[28:29], v[68:69]
	v_cmp_ngt_f64_e64 s[0:1], s[30:31], v[68:69]
	v_cndmask_b32_e32 v73, v79, v73, vcc
	s_and_b64 vcc, s[0:1], vcc
	v_fma_f64 v[70:71], -v[66:67], v[66:67], -v[68:69]
	v_cndmask_b32_e64 v69, 0, v73, s[0:1]
	v_cndmask_b32_e32 v68, 0, v72, vcc
	v_fma_f64 v[72:73], -v[80:81], v[82:83], 1.0
	v_fmac_f64_e32 v[82:83], v[72:73], v[82:83]
	v_fma_f64 v[72:73], -v[80:81], v[82:83], 1.0
	v_fmac_f64_e32 v[68:69], v[68:69], v[70:71]
	v_add_f64 v[70:71], |v[66:67]|, -4.0
	v_fmac_f64_e32 v[82:83], v[72:73], v[82:83]
	v_mul_f64 v[70:71], v[70:71], v[82:83]
	v_add_f64 v[72:73], v[70:71], 1.0
	v_fma_f64 v[72:73], v[72:73], -4.0, |v[66:67]|
	v_fma_f64 v[72:73], -v[70:71], |v[66:67]|, v[72:73]
	v_fmac_f64_e32 v[70:71], v[82:83], v[72:73]
	v_pk_mov_b32 v[72:73], v[24:25], v[24:25] op_sel:[0,1]
	v_fmac_f64_e32 v[72:73], s[34:35], v[70:71]
	v_pk_mov_b32 v[80:81], v[26:27], v[26:27] op_sel:[0,1]
	;; [unrolled: 2-line block ×16, first 2 shown]
	v_add_f64 v[82:83], |v[66:67]|, |v[66:67]|
	v_fmac_f64_e32 v[80:81], v[70:71], v[72:73]
	v_pk_mov_b32 v[72:73], v[56:57], v[56:57] op_sel:[0,1]
	v_add_f64 v[84:85], v[82:83], 1.0
	v_fmac_f64_e32 v[72:73], v[70:71], v[80:81]
	v_pk_mov_b32 v[80:81], v[58:59], v[58:59] op_sel:[0,1]
	v_rcp_f64_e32 v[86:87], v[84:85]
	v_fmac_f64_e32 v[80:81], v[70:71], v[72:73]
	v_pk_mov_b32 v[72:73], v[60:61], v[60:61] op_sel:[0,1]
	v_fmac_f64_e32 v[72:73], v[70:71], v[80:81]
	v_pk_mov_b32 v[80:81], v[62:63], v[62:63] op_sel:[0,1]
	;; [unrolled: 2-line block ×3, first 2 shown]
	v_fmac_f64_e32 v[72:73], v[70:71], v[80:81]
	v_fma_f64 v[70:71], -v[84:85], v[86:87], 1.0
	v_fmac_f64_e32 v[86:87], v[70:71], v[86:87]
	v_fma_f64 v[70:71], -v[84:85], v[86:87], 1.0
	v_fmac_f64_e32 v[86:87], v[70:71], v[86:87]
	v_fma_f64 v[70:71], v[72:73], v[86:87], v[86:87]
	v_fma_f64 v[80:81], -v[70:71], v[82:83], 1.0
	v_add_f64 v[72:73], v[72:73], -v[70:71]
	v_add_f64 v[72:73], v[80:81], v[72:73]
	v_fmac_f64_e32 v[70:71], v[86:87], v[72:73]
	v_mul_f64 v[68:69], v[68:69], v[70:71]
	v_cmp_ngt_f64_e64 vcc, |v[66:67]|, s[36:37]
	v_cndmask_b32_e32 v69, 0, v69, vcc
	v_cndmask_b32_e32 v68, 0, v68, vcc
	v_add_f64 v[70:71], -v[68:69], 2.0
	v_cmp_gt_f64_e32 vcc, 0, v[66:67]
	v_cndmask_b32_e32 v67, v69, v71, vcc
	v_cndmask_b32_e32 v66, v68, v70, vcc
	v_mov_b32_e32 v69, s43
	v_add_co_u32_e32 v68, vcc, s42, v2
	v_addc_co_u32_e32 v69, vcc, v3, v69, vcc
	global_store_dwordx2 v[68:69], v[66:67], off
	s_branch .LBB4_3
.LBB4_20:
	s_cbranch_execz .LBB4_22
	s_branch .LBB4_25
.LBB4_21:
.LBB4_22:
	v_mov_b32_e32 v9, 0
	v_lshlrev_b32_e32 v8, 2, v0
	s_mov_b32 s0, 0
	v_cmp_gt_i64_e32 vcc, s[10:11], v[8:9]
	s_and_saveexec_b64 s[2:3], vcc
	s_cbranch_execz .LBB4_25
; %bb.23:
	s_load_dword s1, s[4:5], 0xd3c
	v_lshlrev_b32_e32 v1, 5, v0
	s_mov_b32 s6, 0x652b82fe
	s_mov_b32 s8, 0xfefa39ef
	s_mov_b32 s16, 0x623fde64
	s_waitcnt lgkmcnt(0)
	s_and_b32 s1, s1, 0xffff
	s_lshl_b32 s33, s1, 2
	s_add_u32 s2, s12, s14
	s_addc_u32 s3, s13, s15
	v_add_lshl_u32 v8, v0, s1, 2
	v_mov_b32_e32 v0, s3
	v_add_co_u32_e32 v1, vcc, s2, v1
	s_mov_b32 s2, 0xfca7ab0c
	s_mov_b32 s3, 0x3e928af3
	v_addc_co_u32_e32 v0, vcc, 0, v0, vcc
	v_pk_mov_b32 v[12:13], s[2:3], s[2:3] op_sel:[0,1]
	s_mov_b32 s2, 0x37cfa789
	v_add_co_u32_e32 v10, vcc, 16, v1
	s_mov_b32 s12, 0x3b39803f
	s_mov_b32 s14, 0x6a5dcb37
	s_mov_b32 s18, 0x7c89e6b0
	s_mov_b32 s20, 0x14761f6e
	s_mov_b32 s22, 0x1852b7b0
	s_mov_b32 s24, 0x11122322
	s_mov_b32 s26, 0x555502a1
	s_mov_b32 s28, 0x55555511
	s_mov_b32 s30, 11
	s_mov_b32 s34, 0
	s_mov_b32 s36, 0
	s_mov_b32 s3, 0xbe411663
	s_mov_b32 s38, 0x54df3c0e
	s_mov_b32 s40, 0xd9802b82
	s_mov_b32 s42, 0x8a03dcdb
	s_mov_b32 s44, 0x2eba62d8
	s_mov_b32 s46, 0xa56e15f1
	s_mov_b32 s48, 0x71c907de
	s_mov_b32 s50, 0x2cd770fb
	s_mov_b32 s52, 0x76d0a51a
	s_mov_b32 s54, 0xc022d0ed
	s_mov_b32 s56, 0x2fdbf62e
	s_mov_b32 s58, 0x3689fc43
	s_mov_b32 s60, 0x192d909b
	s_mov_b32 s62, 0x852ff070
	s_mov_b32 s64, 0xdfadea8f
	s_mov_b32 s66, 0xdff65910
	s_mov_b32 s68, 0x4de8f32
	s_mov_b32 s70, 0x3c3dbeb3
	s_mov_b32 s72, 0xfcfa6930
	s_mov_b32 s74, 0xf66fb8a3
	s_mov_b32 s76, 0xd154a2a8
	s_mov_b32 s78, 0xb74febf8
	s_mov_b32 s80, 0x41e48bfc
	v_addc_co_u32_e32 v11, vcc, 0, v0, vcc
	s_lshl_b32 s84, s1, 5
	s_mov_b64 s[4:5], 0
	s_mov_b32 s7, 0x3ff71547
	s_mov_b32 s9, 0xbfe62e42
	;; [unrolled: 1-line block ×13, first 2 shown]
	v_mov_b32_e32 v16, 0x7ff00000
	s_mov_b32 s37, 0xc090cc00
	s_mov_b32 s39, 0xbe41f39d
	v_pk_mov_b32 v[14:15], s[2:3], s[2:3] op_sel:[0,1]
	s_mov_b32 s41, 0x3e7b45f1
	s_mov_b32 s43, 0x3e6d9048
	;; [unrolled: 1-line block ×21, first 2 shown]
	s_mov_b64 s[82:83], 0xffff
	v_mov_b32_e32 v17, s0
	v_mov_b32_e32 v18, s0
.LBB4_24:                               ; =>This Inner Loop Header: Depth=1
	global_load_dwordx4 v[4:7], v[10:11], off offset:-16
	global_load_dwordx4 v[0:3], v[10:11], off
	s_waitcnt vmcnt(1)
	v_mul_f64 v[20:21], v[4:5], -v[4:5]
	v_add_f64 v[24:25], |v[4:5]|, 4.0
	v_mul_f64 v[28:29], v[6:7], -v[6:7]
	v_add_f64 v[32:33], |v[6:7]|, 4.0
	v_mul_f64 v[36:37], v[20:21], s[6:7]
	v_rcp_f64_e32 v[38:39], v[24:25]
	v_mul_f64 v[44:45], v[28:29], s[6:7]
	v_rcp_f64_e32 v[46:47], v[32:33]
	v_rndne_f64_e32 v[36:37], v[36:37]
	v_rndne_f64_e32 v[44:45], v[44:45]
	v_fma_f64 v[50:51], s[8:9], v[36:37], v[20:21]
	v_fma_f64 v[52:53], s[8:9], v[44:45], v[28:29]
	v_fmac_f64_e32 v[50:51], s[12:13], v[36:37]
	v_cvt_i32_f64_e32 v19, v[36:37]
	v_cvt_i32_f64_e32 v58, v[44:45]
	v_fmac_f64_e32 v[52:53], s[12:13], v[44:45]
	v_fma_f64 v[36:37], s[14:15], v[50:51], v[12:13]
	v_fma_f64 v[44:45], -v[24:25], v[38:39], 1.0
	v_fma_f64 v[56:57], -v[32:33], v[46:47], 1.0
	v_fma_f64 v[36:37], v[50:51], v[36:37], s[16:17]
	v_fmac_f64_e32 v[38:39], v[44:45], v[38:39]
	v_fmac_f64_e32 v[46:47], v[56:57], v[46:47]
	v_fma_f64 v[36:37], v[50:51], v[36:37], s[18:19]
	v_fma_f64 v[24:25], -v[24:25], v[38:39], 1.0
	v_add_f64 v[22:23], |v[4:5]|, -4.0
	v_fma_f64 v[32:33], -v[32:33], v[46:47], 1.0
	v_fma_f64 v[36:37], v[50:51], v[36:37], s[20:21]
	v_fmac_f64_e32 v[38:39], v[24:25], v[38:39]
	v_fmac_f64_e32 v[46:47], v[32:33], v[46:47]
	v_fma_f64 v[32:33], v[50:51], v[36:37], s[22:23]
	v_mul_f64 v[22:23], v[22:23], v[38:39]
	v_fma_f64 v[32:33], v[50:51], v[32:33], s[24:25]
	v_add_f64 v[36:37], v[22:23], 1.0
	v_fma_f64 v[32:33], v[50:51], v[32:33], s[26:27]
	v_fma_f64 v[36:37], v[36:37], -4.0, |v[4:5]|
	v_fma_f64 v[32:33], v[50:51], v[32:33], s[28:29]
	v_fma_f64 v[36:37], -v[22:23], |v[4:5]|, v[36:37]
	v_fma_f64 v[32:33], v[50:51], v[32:33], s[30:31]
	v_fmac_f64_e32 v[22:23], v[38:39], v[36:37]
	v_fma_f64 v[32:33], v[50:51], v[32:33], 1.0
	v_fma_f64 v[36:37], s[38:39], v[22:23], v[14:15]
	v_fma_f64 v[32:33], v[50:51], v[32:33], 1.0
	v_fma_f64 v[36:37], v[22:23], v[36:37], s[40:41]
	v_ldexp_f64 v[32:33], v[32:33], v19
	v_fma_f64 v[36:37], v[22:23], v[36:37], s[42:43]
	v_cmp_nlt_f64_e32 vcc, s[34:35], v[20:21]
	v_cmp_ngt_f64_e64 s[2:3], s[36:37], v[20:21]
	v_cndmask_b32_e32 v19, v16, v33, vcc
	v_fma_f64 v[36:37], v[22:23], v[36:37], s[44:45]
	s_and_b64 vcc, s[2:3], vcc
	v_fma_f64 v[34:35], -v[4:5], v[4:5], -v[20:21]
	v_cndmask_b32_e32 v20, 0, v32, vcc
	v_fma_f64 v[32:33], v[22:23], v[36:37], s[46:47]
	v_fma_f64 v[42:43], -v[6:7], v[6:7], -v[28:29]
	v_cmp_nlt_f64_e64 s[0:1], s[34:35], v[28:29]
	v_cmp_ngt_f64_e32 vcc, s[36:37], v[28:29]
	v_fma_f64 v[28:29], v[22:23], v[32:33], s[48:49]
	v_add_f64 v[26:27], |v[4:5]|, |v[4:5]|
	v_fma_f64 v[28:29], v[22:23], v[28:29], s[50:51]
	v_add_f64 v[40:41], v[26:27], 1.0
	v_fma_f64 v[28:29], v[22:23], v[28:29], s[52:53]
	v_rcp_f64_e32 v[48:49], v[40:41]
	v_fma_f64 v[28:29], v[22:23], v[28:29], s[54:55]
	v_fma_f64 v[28:29], v[22:23], v[28:29], s[56:57]
	;; [unrolled: 1-line block ×5, first 2 shown]
	v_fma_f64 v[44:45], -v[40:41], v[48:49], 1.0
	v_fma_f64 v[54:55], v[52:53], v[54:55], s[16:17]
	v_fma_f64 v[28:29], v[22:23], v[28:29], s[62:63]
	v_fmac_f64_e32 v[48:49], v[44:45], v[48:49]
	v_fma_f64 v[44:45], v[52:53], v[54:55], s[18:19]
	v_fma_f64 v[28:29], v[22:23], v[28:29], s[64:65]
	v_fma_f64 v[24:25], -v[40:41], v[48:49], 1.0
	v_fma_f64 v[40:41], v[52:53], v[44:45], s[20:21]
	v_fma_f64 v[28:29], v[22:23], v[28:29], s[66:67]
	v_fmac_f64_e32 v[48:49], v[24:25], v[48:49]
	v_fma_f64 v[24:25], v[52:53], v[40:41], s[22:23]
	v_fma_f64 v[28:29], v[22:23], v[28:29], s[68:69]
	;; [unrolled: 1-line block ×6, first 2 shown]
	v_add_f64 v[30:31], |v[6:7]|, -4.0
	v_fma_f64 v[24:25], v[52:53], v[24:25], s[28:29]
	v_fma_f64 v[28:29], v[22:23], v[28:29], s[74:75]
	v_mul_f64 v[30:31], v[30:31], v[46:47]
	v_fma_f64 v[24:25], v[52:53], v[24:25], s[30:31]
	v_fma_f64 v[28:29], v[22:23], v[28:29], s[76:77]
	v_add_f64 v[40:41], v[30:31], 1.0
	v_fma_f64 v[24:25], v[52:53], v[24:25], 1.0
	v_fma_f64 v[22:23], v[22:23], v[28:29], s[78:79]
	v_fma_f64 v[40:41], v[40:41], -4.0, |v[6:7]|
	v_fma_f64 v[24:25], v[52:53], v[24:25], 1.0
	v_fma_f64 v[28:29], v[22:23], v[48:49], v[48:49]
	v_fma_f64 v[40:41], -v[30:31], |v[6:7]|, v[40:41]
	v_ldexp_f64 v[24:25], v[24:25], v58
	v_fma_f64 v[26:27], -v[28:29], v[26:27], 1.0
	v_add_f64 v[22:23], v[22:23], -v[28:29]
	v_fmac_f64_e32 v[30:31], v[46:47], v[40:41]
	v_cndmask_b32_e64 v25, v16, v25, s[0:1]
	v_cndmask_b32_e64 v21, 0, v19, s[2:3]
	v_add_f64 v[22:23], v[26:27], v[22:23]
	v_fma_f64 v[38:39], s[38:39], v[30:31], v[14:15]
	v_cndmask_b32_e32 v25, 0, v25, vcc
	s_and_b64 vcc, vcc, s[0:1]
	v_fmac_f64_e32 v[20:21], v[20:21], v[34:35]
	v_fmac_f64_e32 v[28:29], v[48:49], v[22:23]
	v_fma_f64 v[38:39], v[30:31], v[38:39], s[40:41]
	v_cndmask_b32_e32 v24, 0, v24, vcc
	v_mul_f64 v[20:21], v[20:21], v[28:29]
	v_cmp_ngt_f64_e64 vcc, |v[4:5]|, s[80:81]
	v_fma_f64 v[38:39], v[30:31], v[38:39], s[42:43]
	v_cndmask_b32_e32 v21, 0, v21, vcc
	v_cndmask_b32_e32 v20, 0, v20, vcc
	v_fma_f64 v[38:39], v[30:31], v[38:39], s[44:45]
	v_add_f64 v[22:23], -v[20:21], 2.0
	v_cmp_gt_f64_e32 vcc, 0, v[4:5]
	v_cndmask_b32_e32 v5, v21, v23, vcc
	v_cndmask_b32_e32 v4, v20, v22, vcc
	v_fma_f64 v[20:21], v[30:31], v[38:39], s[46:47]
	v_fma_f64 v[20:21], v[30:31], v[20:21], s[48:49]
	;; [unrolled: 1-line block ×11, first 2 shown]
	v_add_f64 v[22:23], |v[6:7]|, |v[6:7]|
	v_fma_f64 v[20:21], v[30:31], v[20:21], s[68:69]
	v_add_f64 v[26:27], v[22:23], 1.0
	v_fma_f64 v[20:21], v[30:31], v[20:21], s[70:71]
	v_rcp_f64_e32 v[28:29], v[26:27]
	v_fma_f64 v[20:21], v[30:31], v[20:21], s[72:73]
	v_fma_f64 v[20:21], v[30:31], v[20:21], s[74:75]
	;; [unrolled: 1-line block ×4, first 2 shown]
	v_fma_f64 v[30:31], -v[26:27], v[28:29], 1.0
	v_fmac_f64_e32 v[28:29], v[30:31], v[28:29]
	v_fma_f64 v[26:27], -v[26:27], v[28:29], 1.0
	v_fmac_f64_e32 v[28:29], v[26:27], v[28:29]
	v_fma_f64 v[26:27], v[20:21], v[28:29], v[28:29]
	v_fma_f64 v[22:23], -v[26:27], v[22:23], 1.0
	v_add_f64 v[20:21], v[20:21], -v[26:27]
	v_add_f64 v[20:21], v[22:23], v[20:21]
	v_fmac_f64_e32 v[24:25], v[24:25], v[42:43]
	v_fmac_f64_e32 v[26:27], v[28:29], v[20:21]
	v_mul_f64 v[20:21], v[24:25], v[26:27]
	v_cmp_ngt_f64_e64 vcc, |v[6:7]|, s[80:81]
	v_cndmask_b32_e32 v21, 0, v21, vcc
	v_cndmask_b32_e32 v20, 0, v20, vcc
	v_add_f64 v[22:23], -v[20:21], 2.0
	v_cmp_gt_f64_e32 vcc, 0, v[6:7]
	v_cndmask_b32_e32 v7, v21, v23, vcc
	v_cndmask_b32_e32 v6, v20, v22, vcc
	s_waitcnt vmcnt(0)
	v_mul_f64 v[20:21], v[0:1], -v[0:1]
	v_mul_f64 v[24:25], v[20:21], s[6:7]
	v_rndne_f64_e32 v[24:25], v[24:25]
	v_fma_f64 v[26:27], s[8:9], v[24:25], v[20:21]
	v_fmac_f64_e32 v[26:27], s[12:13], v[24:25]
	v_fma_f64 v[28:29], s[14:15], v[26:27], v[12:13]
	v_fma_f64 v[28:29], v[26:27], v[28:29], s[16:17]
	;; [unrolled: 1-line block ×9, first 2 shown]
	v_fma_f64 v[28:29], v[26:27], v[28:29], 1.0
	v_fma_f64 v[26:27], v[26:27], v[28:29], 1.0
	v_cvt_i32_f64_e32 v19, v[24:25]
	v_ldexp_f64 v[24:25], v[26:27], v19
	v_add_f64 v[26:27], |v[0:1]|, 4.0
	v_rcp_f64_e32 v[28:29], v[26:27]
	v_cmp_nlt_f64_e32 vcc, s[34:35], v[20:21]
	v_cmp_ngt_f64_e64 s[0:1], s[36:37], v[20:21]
	v_cndmask_b32_e32 v19, v16, v25, vcc
	s_and_b64 vcc, s[0:1], vcc
	v_fma_f64 v[22:23], -v[0:1], v[0:1], -v[20:21]
	v_cndmask_b32_e32 v20, 0, v24, vcc
	v_fma_f64 v[24:25], -v[26:27], v[28:29], 1.0
	v_fmac_f64_e32 v[28:29], v[24:25], v[28:29]
	v_cndmask_b32_e64 v21, 0, v19, s[0:1]
	v_fma_f64 v[24:25], -v[26:27], v[28:29], 1.0
	v_fmac_f64_e32 v[20:21], v[20:21], v[22:23]
	v_add_f64 v[22:23], |v[0:1]|, -4.0
	v_fmac_f64_e32 v[28:29], v[24:25], v[28:29]
	v_mul_f64 v[22:23], v[22:23], v[28:29]
	v_add_f64 v[24:25], v[22:23], 1.0
	v_fma_f64 v[24:25], v[24:25], -4.0, |v[0:1]|
	v_fma_f64 v[24:25], -v[22:23], |v[0:1]|, v[24:25]
	v_fmac_f64_e32 v[22:23], v[28:29], v[24:25]
	v_fma_f64 v[24:25], s[38:39], v[22:23], v[14:15]
	v_fma_f64 v[24:25], v[22:23], v[24:25], s[40:41]
	;; [unrolled: 1-line block ×15, first 2 shown]
	v_add_f64 v[26:27], |v[0:1]|, |v[0:1]|
	v_fma_f64 v[24:25], v[22:23], v[24:25], s[68:69]
	v_add_f64 v[28:29], v[26:27], 1.0
	v_fma_f64 v[24:25], v[22:23], v[24:25], s[70:71]
	v_rcp_f64_e32 v[30:31], v[28:29]
	v_fma_f64 v[24:25], v[22:23], v[24:25], s[72:73]
	v_fma_f64 v[24:25], v[22:23], v[24:25], s[74:75]
	;; [unrolled: 1-line block ×4, first 2 shown]
	v_fma_f64 v[24:25], -v[28:29], v[30:31], 1.0
	v_fmac_f64_e32 v[30:31], v[24:25], v[30:31]
	v_fma_f64 v[24:25], -v[28:29], v[30:31], 1.0
	v_fmac_f64_e32 v[30:31], v[24:25], v[30:31]
	v_fma_f64 v[24:25], v[22:23], v[30:31], v[30:31]
	v_fma_f64 v[26:27], -v[24:25], v[26:27], 1.0
	v_add_f64 v[22:23], v[22:23], -v[24:25]
	v_add_f64 v[22:23], v[26:27], v[22:23]
	v_fmac_f64_e32 v[24:25], v[30:31], v[22:23]
	v_mul_f64 v[20:21], v[20:21], v[24:25]
	v_cmp_ngt_f64_e64 vcc, |v[0:1]|, s[80:81]
	v_cndmask_b32_e32 v21, 0, v21, vcc
	v_cndmask_b32_e32 v20, 0, v20, vcc
	v_add_f64 v[22:23], -v[20:21], 2.0
	v_cmp_gt_f64_e32 vcc, 0, v[0:1]
	v_cndmask_b32_e32 v1, v21, v23, vcc
	v_cndmask_b32_e32 v0, v20, v22, vcc
	v_mul_f64 v[20:21], v[2:3], -v[2:3]
	v_mul_f64 v[24:25], v[20:21], s[6:7]
	v_rndne_f64_e32 v[24:25], v[24:25]
	v_fma_f64 v[26:27], s[8:9], v[24:25], v[20:21]
	v_fmac_f64_e32 v[26:27], s[12:13], v[24:25]
	v_fma_f64 v[28:29], s[14:15], v[26:27], v[12:13]
	v_fma_f64 v[28:29], v[26:27], v[28:29], s[16:17]
	;; [unrolled: 1-line block ×9, first 2 shown]
	v_fma_f64 v[28:29], v[26:27], v[28:29], 1.0
	v_fma_f64 v[26:27], v[26:27], v[28:29], 1.0
	v_cvt_i32_f64_e32 v19, v[24:25]
	v_ldexp_f64 v[24:25], v[26:27], v19
	v_add_f64 v[26:27], |v[2:3]|, 4.0
	v_rcp_f64_e32 v[28:29], v[26:27]
	v_cmp_nlt_f64_e32 vcc, s[34:35], v[20:21]
	v_cmp_ngt_f64_e64 s[0:1], s[36:37], v[20:21]
	v_cndmask_b32_e32 v19, v16, v25, vcc
	s_and_b64 vcc, s[0:1], vcc
	v_fma_f64 v[22:23], -v[2:3], v[2:3], -v[20:21]
	v_cndmask_b32_e32 v20, 0, v24, vcc
	v_fma_f64 v[24:25], -v[26:27], v[28:29], 1.0
	v_fmac_f64_e32 v[28:29], v[24:25], v[28:29]
	v_cndmask_b32_e64 v21, 0, v19, s[0:1]
	v_fma_f64 v[24:25], -v[26:27], v[28:29], 1.0
	v_fmac_f64_e32 v[20:21], v[20:21], v[22:23]
	v_add_f64 v[22:23], |v[2:3]|, -4.0
	v_fmac_f64_e32 v[28:29], v[24:25], v[28:29]
	v_mul_f64 v[22:23], v[22:23], v[28:29]
	v_add_f64 v[24:25], v[22:23], 1.0
	v_fma_f64 v[24:25], v[24:25], -4.0, |v[2:3]|
	v_fma_f64 v[24:25], -v[22:23], |v[2:3]|, v[24:25]
	v_fmac_f64_e32 v[22:23], v[28:29], v[24:25]
	v_fma_f64 v[24:25], s[38:39], v[22:23], v[14:15]
	v_fma_f64 v[24:25], v[22:23], v[24:25], s[40:41]
	;; [unrolled: 1-line block ×15, first 2 shown]
	v_add_f64 v[26:27], |v[2:3]|, |v[2:3]|
	v_fma_f64 v[24:25], v[22:23], v[24:25], s[68:69]
	v_add_f64 v[28:29], v[26:27], 1.0
	v_fma_f64 v[24:25], v[22:23], v[24:25], s[70:71]
	v_rcp_f64_e32 v[30:31], v[28:29]
	v_fma_f64 v[24:25], v[22:23], v[24:25], s[72:73]
	v_fma_f64 v[24:25], v[22:23], v[24:25], s[74:75]
	;; [unrolled: 1-line block ×4, first 2 shown]
	v_fma_f64 v[24:25], -v[28:29], v[30:31], 1.0
	v_fmac_f64_e32 v[30:31], v[24:25], v[30:31]
	v_fma_f64 v[24:25], -v[28:29], v[30:31], 1.0
	v_fmac_f64_e32 v[30:31], v[24:25], v[30:31]
	v_fma_f64 v[24:25], v[22:23], v[30:31], v[30:31]
	v_fma_f64 v[26:27], -v[24:25], v[26:27], 1.0
	v_add_f64 v[22:23], v[22:23], -v[24:25]
	v_add_f64 v[22:23], v[26:27], v[22:23]
	v_fmac_f64_e32 v[24:25], v[30:31], v[22:23]
	v_mul_f64 v[20:21], v[20:21], v[24:25]
	v_cmp_ngt_f64_e64 vcc, |v[2:3]|, s[80:81]
	v_cndmask_b32_e32 v21, 0, v21, vcc
	v_cndmask_b32_e32 v20, 0, v20, vcc
	v_add_f64 v[22:23], -v[20:21], 2.0
	v_cmp_gt_f64_e32 vcc, 0, v[2:3]
	v_cndmask_b32_e32 v3, v21, v23, vcc
	v_cndmask_b32_e32 v2, v20, v22, vcc
	v_cmp_le_i64_e32 vcc, s[10:11], v[8:9]
	v_cmp_lt_u64_e64 s[0:1], s[82:83], v[8:9]
	s_or_b64 s[0:1], vcc, s[0:1]
	v_add_co_u32_e32 v8, vcc, s33, v8
	v_addc_co_u32_e32 v9, vcc, v9, v17, vcc
	global_store_dwordx4 v[10:11], v[4:7], off offset:-16
	global_store_dwordx4 v[10:11], v[0:3], off
	s_and_b64 s[0:1], exec, s[0:1]
	v_add_co_u32_e32 v10, vcc, s84, v10
	s_or_b64 s[4:5], s[0:1], s[4:5]
	v_addc_co_u32_e32 v11, vcc, v11, v18, vcc
	s_andn2_b64 exec, exec, s[4:5]
	s_cbranch_execnz .LBB4_24
.LBB4_25:
	s_endpgm
	.section	.rodata,"a",@progbits
	.p2align	6, 0x0
	.amdhsa_kernel _ZN2at6native12_GLOBAL__N_125multi_tensor_apply_kernelINS1_18TensorListMetadataILi1EEENS1_14UnaryOpFunctorIdLi1ELi1ELi0EEEJNS0_4ErfcIdEEEEEvT_T0_DpT1_
		.amdhsa_group_segment_fixed_size 0
		.amdhsa_private_segment_fixed_size 0
		.amdhsa_kernarg_size 3632
		.amdhsa_user_sgpr_count 6
		.amdhsa_user_sgpr_private_segment_buffer 1
		.amdhsa_user_sgpr_dispatch_ptr 0
		.amdhsa_user_sgpr_queue_ptr 0
		.amdhsa_user_sgpr_kernarg_segment_ptr 1
		.amdhsa_user_sgpr_dispatch_id 0
		.amdhsa_user_sgpr_flat_scratch_init 0
		.amdhsa_user_sgpr_kernarg_preload_length 0
		.amdhsa_user_sgpr_kernarg_preload_offset 0
		.amdhsa_user_sgpr_private_segment_size 0
		.amdhsa_uses_dynamic_stack 0
		.amdhsa_system_sgpr_private_segment_wavefront_offset 0
		.amdhsa_system_sgpr_workgroup_id_x 1
		.amdhsa_system_sgpr_workgroup_id_y 0
		.amdhsa_system_sgpr_workgroup_id_z 0
		.amdhsa_system_sgpr_workgroup_info 0
		.amdhsa_system_vgpr_workitem_id 0
		.amdhsa_next_free_vgpr 94
		.amdhsa_next_free_sgpr 85
		.amdhsa_accum_offset 96
		.amdhsa_reserve_vcc 1
		.amdhsa_reserve_flat_scratch 0
		.amdhsa_float_round_mode_32 0
		.amdhsa_float_round_mode_16_64 0
		.amdhsa_float_denorm_mode_32 3
		.amdhsa_float_denorm_mode_16_64 3
		.amdhsa_dx10_clamp 1
		.amdhsa_ieee_mode 1
		.amdhsa_fp16_overflow 0
		.amdhsa_tg_split 0
		.amdhsa_exception_fp_ieee_invalid_op 0
		.amdhsa_exception_fp_denorm_src 0
		.amdhsa_exception_fp_ieee_div_zero 0
		.amdhsa_exception_fp_ieee_overflow 0
		.amdhsa_exception_fp_ieee_underflow 0
		.amdhsa_exception_fp_ieee_inexact 0
		.amdhsa_exception_int_div_zero 0
	.end_amdhsa_kernel
	.section	.text._ZN2at6native12_GLOBAL__N_125multi_tensor_apply_kernelINS1_18TensorListMetadataILi1EEENS1_14UnaryOpFunctorIdLi1ELi1ELi0EEEJNS0_4ErfcIdEEEEEvT_T0_DpT1_,"axG",@progbits,_ZN2at6native12_GLOBAL__N_125multi_tensor_apply_kernelINS1_18TensorListMetadataILi1EEENS1_14UnaryOpFunctorIdLi1ELi1ELi0EEEJNS0_4ErfcIdEEEEEvT_T0_DpT1_,comdat
.Lfunc_end4:
	.size	_ZN2at6native12_GLOBAL__N_125multi_tensor_apply_kernelINS1_18TensorListMetadataILi1EEENS1_14UnaryOpFunctorIdLi1ELi1ELi0EEEJNS0_4ErfcIdEEEEEvT_T0_DpT1_, .Lfunc_end4-_ZN2at6native12_GLOBAL__N_125multi_tensor_apply_kernelINS1_18TensorListMetadataILi1EEENS1_14UnaryOpFunctorIdLi1ELi1ELi0EEEJNS0_4ErfcIdEEEEEvT_T0_DpT1_
                                        ; -- End function
	.section	.AMDGPU.csdata,"",@progbits
; Kernel info:
; codeLenInByte = 7188
; NumSgprs: 89
; NumVgprs: 94
; NumAgprs: 0
; TotalNumVgprs: 94
; ScratchSize: 0
; MemoryBound: 0
; FloatMode: 240
; IeeeMode: 1
; LDSByteSize: 0 bytes/workgroup (compile time only)
; SGPRBlocks: 11
; VGPRBlocks: 11
; NumSGPRsForWavesPerEU: 89
; NumVGPRsForWavesPerEU: 94
; AccumOffset: 96
; Occupancy: 5
; WaveLimiterHint : 0
; COMPUTE_PGM_RSRC2:SCRATCH_EN: 0
; COMPUTE_PGM_RSRC2:USER_SGPR: 6
; COMPUTE_PGM_RSRC2:TRAP_HANDLER: 0
; COMPUTE_PGM_RSRC2:TGID_X_EN: 1
; COMPUTE_PGM_RSRC2:TGID_Y_EN: 0
; COMPUTE_PGM_RSRC2:TGID_Z_EN: 0
; COMPUTE_PGM_RSRC2:TIDIG_COMP_CNT: 0
; COMPUTE_PGM_RSRC3_GFX90A:ACCUM_OFFSET: 23
; COMPUTE_PGM_RSRC3_GFX90A:TG_SPLIT: 0
	.section	.text._ZN2at6native12_GLOBAL__N_125multi_tensor_apply_kernelINS1_18TensorListMetadataILi1EEENS1_14UnaryOpFunctorIfLi1ELi1ELi0EEEJNS0_4ErfcIfEEEEEvT_T0_DpT1_,"axG",@progbits,_ZN2at6native12_GLOBAL__N_125multi_tensor_apply_kernelINS1_18TensorListMetadataILi1EEENS1_14UnaryOpFunctorIfLi1ELi1ELi0EEEJNS0_4ErfcIfEEEEEvT_T0_DpT1_,comdat
	.globl	_ZN2at6native12_GLOBAL__N_125multi_tensor_apply_kernelINS1_18TensorListMetadataILi1EEENS1_14UnaryOpFunctorIfLi1ELi1ELi0EEEJNS0_4ErfcIfEEEEEvT_T0_DpT1_ ; -- Begin function _ZN2at6native12_GLOBAL__N_125multi_tensor_apply_kernelINS1_18TensorListMetadataILi1EEENS1_14UnaryOpFunctorIfLi1ELi1ELi0EEEJNS0_4ErfcIfEEEEEvT_T0_DpT1_
	.p2align	8
	.type	_ZN2at6native12_GLOBAL__N_125multi_tensor_apply_kernelINS1_18TensorListMetadataILi1EEENS1_14UnaryOpFunctorIfLi1ELi1ELi0EEEJNS0_4ErfcIfEEEEEvT_T0_DpT1_,@function
_ZN2at6native12_GLOBAL__N_125multi_tensor_apply_kernelINS1_18TensorListMetadataILi1EEENS1_14UnaryOpFunctorIfLi1ELi1ELi0EEEJNS0_4ErfcIfEEEEEvT_T0_DpT1_: ; @_ZN2at6native12_GLOBAL__N_125multi_tensor_apply_kernelINS1_18TensorListMetadataILi1EEENS1_14UnaryOpFunctorIfLi1ELi1ELi0EEEJNS0_4ErfcIfEEEEEvT_T0_DpT1_
; %bb.0:
	v_mov_b32_e32 v1, s6
	global_load_ubyte v1, v1, s[4:5] offset:1760
	s_add_u32 s0, s4, s6
	s_mul_hi_u32 s1, s6, 3
	s_mul_i32 s6, s6, 3
	s_addc_u32 s2, s5, 0
	s_add_u32 s0, s0, s6
	s_addc_u32 s1, s2, s1
	s_load_dword s0, s[0:1], 0x820
	s_mov_b32 s7, 0
	s_waitcnt vmcnt(0)
	v_readfirstlane_b32 s2, v1
	s_lshl_b32 s1, s2, 3
	s_load_dwordx2 s[2:3], s[4:5], s1 offset:0x370
	s_load_dwordx2 s[12:13], s[4:5], s1 offset:0x0
	s_waitcnt lgkmcnt(0)
	s_ashr_i32 s1, s0, 31
	s_lshl_b64 s[14:15], s[0:1], 18
	s_lshl_b64 s[0:1], s[0:1], 16
	s_and_b32 s6, s12, 15
	s_sub_u32 s10, s2, s0
	s_subb_u32 s11, s3, s1
	s_and_b32 s0, s2, 3
	s_mov_b32 s1, s7
	s_or_b64 s[0:1], s[6:7], s[0:1]
	s_cmp_eq_u64 s[0:1], 0
	s_cbranch_scc1 .LBB5_21
; %bb.1:
	v_cmp_lt_i64_e64 s[0:1], s[10:11], 1
	s_and_b64 vcc, exec, s[0:1]
	s_cbranch_vccnz .LBB5_20
; %bb.2:
	s_load_dword s0, s[4:5], 0xd3c
	v_mov_b32_e32 v2, 0x10000
	v_mov_b32_e32 v3, 0
	v_cmp_lt_u64_e32 vcc, s[10:11], v[2:3]
	v_lshlrev_b32_e32 v1, 2, v0
	s_waitcnt lgkmcnt(0)
	s_and_b32 s2, s0, 0xffff
	s_and_b64 s[0:1], vcc, exec
	s_cselect_b32 s17, s11, 0
	s_cselect_b32 s16, s10, 0x10000
	s_lshl_b32 s3, s2, 1
	s_lshl_b32 s23, s2, 2
	s_add_u32 s6, s12, s14
	s_addc_u32 s7, s13, s15
	v_mov_b32_e32 v3, s7
	v_add_co_u32_e32 v2, vcc, s6, v1
	s_mul_i32 s0, s2, 3
	v_addc_co_u32_e32 v3, vcc, 0, v3, vcc
	v_add_co_u32_e32 v1, vcc, s0, v0
	v_addc_co_u32_e64 v6, s[0:1], 0, 0, vcc
	v_add_co_u32_e32 v7, vcc, s3, v0
	v_addc_co_u32_e64 v8, s[0:1], 0, 0, vcc
	v_add_co_u32_e32 v9, vcc, s2, v0
	v_lshlrev_b32_e32 v4, 2, v9
	s_mov_b32 s22, 0
	v_addc_co_u32_e64 v10, s[0:1], 0, 0, vcc
	v_mov_b32_e32 v5, s7
	v_add_co_u32_e32 v4, vcc, s6, v4
	s_lshl_b32 s24, s2, 4
	s_mul_i32 s25, s2, 12
	s_mov_b32 s26, s22
	s_lshl_b32 s27, s2, 3
	s_mov_b32 s28, s22
	v_addc_co_u32_e32 v5, vcc, 0, v5, vcc
	s_mov_b64 s[18:19], 0
	s_mov_b32 s29, 0x3fb8aa3b
	s_mov_b32 s30, 0xc2ce8ed0
	;; [unrolled: 1-line block ×3, first 2 shown]
	v_mov_b32_e32 v11, 0x3aad2fb4
	v_mov_b32_e32 v12, 0x3c0da267
	;; [unrolled: 1-line block ×8, first 2 shown]
	s_mov_b32 s33, 0x4120ddfc
	v_mov_b32_e32 v19, 0x7f800000
	s_branch .LBB5_4
.LBB5_3:                                ;   in Loop: Header=BB5_4 Depth=1
	s_or_b64 exec, exec, s[0:1]
	s_add_u32 s18, s18, s23
	s_addc_u32 s19, s19, 0
	s_waitcnt vmcnt(0)
	v_pk_mov_b32 v[20:21], s[10:11], s[10:11] op_sel:[0,1]
	v_cmp_lt_i64_e32 vcc, s[18:19], v[20:21]
	v_mov_b32_e32 v20, 0x10000
	v_mov_b32_e32 v21, 0
	v_cmp_lt_u64_e64 s[0:1], s[18:19], v[20:21]
	s_and_b64 s[0:1], vcc, s[0:1]
	v_mov_b32_e32 v20, s22
	v_add_co_u32_e32 v2, vcc, s24, v2
	v_addc_co_u32_e32 v3, vcc, v3, v20, vcc
	v_add_co_u32_e32 v4, vcc, s24, v4
	v_addc_co_u32_e32 v5, vcc, v5, v20, vcc
	s_and_b64 vcc, exec, s[0:1]
	s_cbranch_vccz .LBB5_20
.LBB5_4:                                ; =>This Inner Loop Header: Depth=1
	v_mov_b32_e32 v21, s19
	v_add_co_u32_e32 v20, vcc, s18, v0
	v_addc_co_u32_e32 v21, vcc, 0, v21, vcc
	v_cmp_gt_u64_e64 s[6:7], s[16:17], v[20:21]
	v_mov_b32_e32 v23, 0
	s_and_saveexec_b64 s[0:1], s[6:7]
	s_cbranch_execz .LBB5_6
; %bb.5:                                ;   in Loop: Header=BB5_4 Depth=1
	global_load_dword v23, v[2:3], off
.LBB5_6:                                ;   in Loop: Header=BB5_4 Depth=1
	s_or_b64 exec, exec, s[0:1]
	v_mov_b32_e32 v21, s19
	v_add_co_u32_e32 v20, vcc, s18, v9
	v_addc_co_u32_e32 v21, vcc, v10, v21, vcc
	v_cmp_gt_u64_e64 s[2:3], s[16:17], v[20:21]
	v_mov_b32_e32 v22, 0
	s_and_saveexec_b64 s[0:1], s[2:3]
	s_cbranch_execz .LBB5_8
; %bb.7:                                ;   in Loop: Header=BB5_4 Depth=1
	global_load_dword v22, v[4:5], off
.LBB5_8:                                ;   in Loop: Header=BB5_4 Depth=1
	s_or_b64 exec, exec, s[0:1]
	v_mov_b32_e32 v21, s19
	v_add_co_u32_e32 v20, vcc, s18, v7
	v_addc_co_u32_e32 v21, vcc, v8, v21, vcc
	v_cmp_gt_u64_e64 s[0:1], s[16:17], v[20:21]
	v_mov_b32_e32 v20, 0
	v_mov_b32_e32 v21, 0
	s_and_saveexec_b64 s[8:9], s[0:1]
	s_cbranch_execz .LBB5_10
; %bb.9:                                ;   in Loop: Header=BB5_4 Depth=1
	v_mov_b32_e32 v21, s28
	v_add_co_u32_e32 v24, vcc, s27, v2
	v_addc_co_u32_e32 v25, vcc, v3, v21, vcc
	global_load_dword v21, v[24:25], off
.LBB5_10:                               ;   in Loop: Header=BB5_4 Depth=1
	s_or_b64 exec, exec, s[8:9]
	v_mov_b32_e32 v25, s19
	v_add_co_u32_e32 v24, vcc, s18, v1
	v_addc_co_u32_e32 v25, vcc, v6, v25, vcc
	v_cmp_gt_u64_e32 vcc, s[16:17], v[24:25]
	s_and_saveexec_b64 s[20:21], vcc
	s_cbranch_execnz .LBB5_15
; %bb.11:                               ;   in Loop: Header=BB5_4 Depth=1
	s_or_b64 exec, exec, s[20:21]
	s_and_saveexec_b64 s[8:9], s[6:7]
	s_cbranch_execnz .LBB5_16
.LBB5_12:                               ;   in Loop: Header=BB5_4 Depth=1
	s_or_b64 exec, exec, s[8:9]
	s_and_saveexec_b64 s[6:7], s[2:3]
	s_cbranch_execnz .LBB5_17
.LBB5_13:                               ;   in Loop: Header=BB5_4 Depth=1
	s_or_b64 exec, exec, s[6:7]
	s_and_saveexec_b64 s[2:3], s[0:1]
	s_cbranch_execnz .LBB5_18
.LBB5_14:                               ;   in Loop: Header=BB5_4 Depth=1
	s_or_b64 exec, exec, s[2:3]
	s_and_saveexec_b64 s[0:1], vcc
	s_cbranch_execz .LBB5_3
	s_branch .LBB5_19
.LBB5_15:                               ;   in Loop: Header=BB5_4 Depth=1
	v_mov_b32_e32 v20, s26
	v_add_co_u32_e64 v24, s[8:9], s25, v2
	v_addc_co_u32_e64 v25, s[8:9], v3, v20, s[8:9]
	global_load_dword v20, v[24:25], off
	s_or_b64 exec, exec, s[20:21]
	s_and_saveexec_b64 s[8:9], s[6:7]
	s_cbranch_execz .LBB5_12
.LBB5_16:                               ;   in Loop: Header=BB5_4 Depth=1
	s_waitcnt vmcnt(0)
	v_mul_f32_e64 v25, v23, -v23
	v_mul_f32_e32 v24, 0x3fb8aa3b, v25
	v_rndne_f32_e32 v26, v24
	v_sub_f32_e32 v27, v24, v26
	v_fma_f32 v24, v25, s29, -v24
	v_fmac_f32_e32 v24, 0x32a5705f, v25
	v_add_f32_e32 v24, v27, v24
	v_cvt_i32_f32_e32 v26, v26
	v_exp_f32_e32 v24, v24
	v_cmp_ngt_f32_e64 s[6:7], s30, v25
	v_add_f32_e64 v29, |v23|, -2.0
	v_add_f32_e64 v27, |v23|, |v23|
	v_ldexp_f32 v24, v24, v26
	v_cndmask_b32_e64 v24, 0, v24, s[6:7]
	v_cmp_nlt_f32_e64 s[6:7], s31, v25
	v_fma_f32 v26, -v23, v23, -v25
	v_add_f32_e64 v25, |v23|, 2.0
	v_rcp_f32_e32 v28, v25
	v_add_f32_e32 v25, 1.0, v27
	v_rcp_f32_e32 v25, v25
	v_cndmask_b32_e64 v24, v19, v24, s[6:7]
	v_mul_f32_e32 v29, v29, v28
	v_add_f32_e32 v30, 1.0, v29
	v_fma_f32 v30, v30, -2.0, |v23|
	v_fma_f32 v30, -v29, |v23|, v30
	v_fmac_f32_e32 v29, v28, v30
	v_mov_b32_e32 v28, 0xbaa2d753
	v_fmac_f32_e32 v28, 0xb9d6f8c4, v29
	v_fma_f32 v28, v29, v28, v11
	v_fma_f32 v28, v29, v28, v12
	;; [unrolled: 1-line block ×9, first 2 shown]
	v_fma_f32 v27, -v29, v27, 1.0
	v_sub_f32_e32 v28, v28, v29
	v_add_f32_e32 v27, v27, v28
	v_mov_b32_e32 v28, v24
	v_pk_fma_f32 v[24:25], v[24:25], v[26:27], v[28:29]
	v_mul_f32_e32 v24, v24, v25
	v_cmp_ngt_f32_e64 s[6:7], |v23|, s33
	v_cndmask_b32_e64 v24, 0, v24, s[6:7]
	v_sub_f32_e32 v25, 2.0, v24
	v_cmp_gt_f32_e64 s[6:7], 0, v23
	v_cndmask_b32_e64 v23, v24, v25, s[6:7]
	global_store_dword v[2:3], v23, off
	s_or_b64 exec, exec, s[8:9]
	s_and_saveexec_b64 s[6:7], s[2:3]
	s_cbranch_execz .LBB5_13
.LBB5_17:                               ;   in Loop: Header=BB5_4 Depth=1
	s_waitcnt vmcnt(0)
	v_mul_f32_e64 v23, v22, -v22
	v_mul_f32_e32 v24, 0x3fb8aa3b, v23
	v_rndne_f32_e32 v25, v24
	v_sub_f32_e32 v26, v24, v25
	v_fma_f32 v24, v23, s29, -v24
	v_fmac_f32_e32 v24, 0x32a5705f, v23
	v_add_f32_e32 v24, v26, v24
	v_exp_f32_e32 v24, v24
	v_cvt_i32_f32_e32 v25, v25
	v_cmp_ngt_f32_e64 s[2:3], s30, v23
	v_fma_f32 v26, -v22, v22, -v23
	v_ldexp_f32 v24, v24, v25
	v_add_f32_e64 v25, |v22|, 2.0
	v_rcp_f32_e32 v25, v25
	v_cndmask_b32_e64 v24, 0, v24, s[2:3]
	v_cmp_nlt_f32_e64 s[2:3], s31, v23
	v_cndmask_b32_e64 v23, v19, v24, s[2:3]
	v_add_f32_e64 v24, |v22|, -2.0
	v_mul_f32_e32 v24, v24, v25
	v_fmac_f32_e32 v23, v23, v26
	v_add_f32_e32 v26, 1.0, v24
	v_fma_f32 v26, v26, -2.0, |v22|
	v_fma_f32 v26, -v24, |v22|, v26
	v_fmac_f32_e32 v24, v25, v26
	v_mov_b32_e32 v25, 0xbaa2d753
	v_fmac_f32_e32 v25, 0xb9d6f8c4, v24
	v_fma_f32 v25, v24, v25, v11
	v_fma_f32 v25, v24, v25, v12
	;; [unrolled: 1-line block ×3, first 2 shown]
	v_add_f32_e64 v26, |v22|, |v22|
	v_fma_f32 v25, v24, v25, v14
	v_add_f32_e32 v27, 1.0, v26
	v_fma_f32 v25, v24, v25, v15
	v_rcp_f32_e32 v27, v27
	v_fma_f32 v25, v24, v25, v16
	v_fma_f32 v25, v24, v25, v17
	;; [unrolled: 1-line block ×4, first 2 shown]
	v_fma_f32 v26, -v25, v26, 1.0
	v_sub_f32_e32 v24, v24, v25
	v_add_f32_e32 v24, v26, v24
	v_fmac_f32_e32 v25, v27, v24
	v_mul_f32_e32 v23, v23, v25
	v_cmp_ngt_f32_e64 s[2:3], |v22|, s33
	v_cndmask_b32_e64 v23, 0, v23, s[2:3]
	v_sub_f32_e32 v24, 2.0, v23
	v_cmp_gt_f32_e64 s[2:3], 0, v22
	v_cndmask_b32_e64 v22, v23, v24, s[2:3]
	global_store_dword v[4:5], v22, off
	s_or_b64 exec, exec, s[6:7]
	s_and_saveexec_b64 s[2:3], s[0:1]
	s_cbranch_execz .LBB5_14
.LBB5_18:                               ;   in Loop: Header=BB5_4 Depth=1
	s_waitcnt vmcnt(0)
	v_mul_f32_e64 v22, v21, -v21
	v_mul_f32_e32 v23, 0x3fb8aa3b, v22
	v_rndne_f32_e32 v24, v23
	v_sub_f32_e32 v25, v23, v24
	v_fma_f32 v23, v22, s29, -v23
	v_fmac_f32_e32 v23, 0x32a5705f, v22
	v_add_f32_e32 v23, v25, v23
	v_exp_f32_e32 v23, v23
	v_cvt_i32_f32_e32 v24, v24
	v_cmp_ngt_f32_e64 s[0:1], s30, v22
	v_fma_f32 v25, -v21, v21, -v22
	v_ldexp_f32 v23, v23, v24
	v_add_f32_e64 v24, |v21|, 2.0
	v_rcp_f32_e32 v24, v24
	v_cndmask_b32_e64 v23, 0, v23, s[0:1]
	v_cmp_nlt_f32_e64 s[0:1], s31, v22
	v_cndmask_b32_e64 v22, v19, v23, s[0:1]
	v_add_f32_e64 v23, |v21|, -2.0
	v_mul_f32_e32 v23, v23, v24
	v_fmac_f32_e32 v22, v22, v25
	v_add_f32_e32 v25, 1.0, v23
	v_fma_f32 v25, v25, -2.0, |v21|
	v_fma_f32 v25, -v23, |v21|, v25
	v_fmac_f32_e32 v23, v24, v25
	v_mov_b32_e32 v24, 0xbaa2d753
	v_fmac_f32_e32 v24, 0xb9d6f8c4, v23
	v_fma_f32 v24, v23, v24, v11
	v_fma_f32 v24, v23, v24, v12
	;; [unrolled: 1-line block ×3, first 2 shown]
	v_add_f32_e64 v25, |v21|, |v21|
	v_fma_f32 v24, v23, v24, v14
	v_add_f32_e32 v26, 1.0, v25
	v_fma_f32 v24, v23, v24, v15
	v_rcp_f32_e32 v26, v26
	v_fma_f32 v24, v23, v24, v16
	v_fma_f32 v24, v23, v24, v17
	;; [unrolled: 1-line block ×4, first 2 shown]
	v_fma_f32 v25, -v24, v25, 1.0
	v_sub_f32_e32 v23, v23, v24
	v_add_f32_e32 v23, v25, v23
	v_fmac_f32_e32 v24, v26, v23
	v_mul_f32_e32 v22, v22, v24
	v_cmp_ngt_f32_e64 s[0:1], |v21|, s33
	v_cndmask_b32_e64 v22, 0, v22, s[0:1]
	v_sub_f32_e32 v23, 2.0, v22
	v_cmp_gt_f32_e64 s[0:1], 0, v21
	v_cndmask_b32_e64 v21, v22, v23, s[0:1]
	v_mov_b32_e32 v23, s28
	v_add_co_u32_e64 v22, s[0:1], s27, v2
	v_addc_co_u32_e64 v23, s[0:1], v3, v23, s[0:1]
	global_store_dword v[22:23], v21, off
	s_or_b64 exec, exec, s[2:3]
	s_and_saveexec_b64 s[0:1], vcc
	s_cbranch_execz .LBB5_3
.LBB5_19:                               ;   in Loop: Header=BB5_4 Depth=1
	s_waitcnt vmcnt(0)
	v_mul_f32_e64 v21, v20, -v20
	v_mul_f32_e32 v22, 0x3fb8aa3b, v21
	v_rndne_f32_e32 v23, v22
	v_sub_f32_e32 v24, v22, v23
	v_fma_f32 v22, v21, s29, -v22
	v_fmac_f32_e32 v22, 0x32a5705f, v21
	v_add_f32_e32 v22, v24, v22
	v_exp_f32_e32 v22, v22
	v_cvt_i32_f32_e32 v23, v23
	v_cmp_ngt_f32_e32 vcc, s30, v21
	v_fma_f32 v24, -v20, v20, -v21
	v_ldexp_f32 v22, v22, v23
	v_add_f32_e64 v23, |v20|, 2.0
	v_rcp_f32_e32 v23, v23
	v_cndmask_b32_e32 v22, 0, v22, vcc
	v_cmp_nlt_f32_e32 vcc, s31, v21
	v_cndmask_b32_e32 v21, v19, v22, vcc
	v_add_f32_e64 v22, |v20|, -2.0
	v_mul_f32_e32 v22, v22, v23
	v_fmac_f32_e32 v21, v21, v24
	v_add_f32_e32 v24, 1.0, v22
	v_fma_f32 v24, v24, -2.0, |v20|
	v_fma_f32 v24, -v22, |v20|, v24
	v_fmac_f32_e32 v22, v23, v24
	v_mov_b32_e32 v23, 0xbaa2d753
	v_fmac_f32_e32 v23, 0xb9d6f8c4, v22
	v_fma_f32 v23, v22, v23, v11
	v_fma_f32 v23, v22, v23, v12
	;; [unrolled: 1-line block ×3, first 2 shown]
	v_add_f32_e64 v24, |v20|, |v20|
	v_fma_f32 v23, v22, v23, v14
	v_add_f32_e32 v25, 1.0, v24
	v_fma_f32 v23, v22, v23, v15
	v_rcp_f32_e32 v25, v25
	v_fma_f32 v23, v22, v23, v16
	v_fma_f32 v23, v22, v23, v17
	;; [unrolled: 1-line block ×4, first 2 shown]
	v_fma_f32 v24, -v23, v24, 1.0
	v_sub_f32_e32 v22, v22, v23
	v_add_f32_e32 v22, v24, v22
	v_fmac_f32_e32 v23, v25, v22
	v_mul_f32_e32 v21, v21, v23
	v_cmp_ngt_f32_e64 vcc, |v20|, s33
	v_cndmask_b32_e32 v21, 0, v21, vcc
	v_sub_f32_e32 v22, 2.0, v21
	v_cmp_gt_f32_e32 vcc, 0, v20
	v_cndmask_b32_e32 v22, v21, v22, vcc
	v_mov_b32_e32 v21, s26
	v_add_co_u32_e32 v20, vcc, s25, v2
	v_addc_co_u32_e32 v21, vcc, v3, v21, vcc
	global_store_dword v[20:21], v22, off
	s_branch .LBB5_3
.LBB5_20:
	s_cbranch_execz .LBB5_22
	s_branch .LBB5_25
.LBB5_21:
.LBB5_22:
	v_mov_b32_e32 v5, 0
	v_lshlrev_b32_e32 v4, 2, v0
	s_mov_b32 s0, 0
	v_cmp_gt_i64_e32 vcc, s[10:11], v[4:5]
	s_and_saveexec_b64 s[2:3], vcc
	s_cbranch_execz .LBB5_25
; %bb.23:
	s_load_dword s1, s[4:5], 0xd3c
	v_lshlrev_b32_e32 v1, 4, v0
	s_mov_b32 s6, 0xbaa2d753
	s_mov_b32 s9, 0x3fb8aa3b
	v_mov_b32_e32 v10, 0x7f800000
	s_waitcnt lgkmcnt(0)
	s_and_b32 s1, s1, 0xffff
	s_add_u32 s2, s12, s14
	s_addc_u32 s3, s13, s15
	v_mov_b32_e32 v2, s3
	v_add_co_u32_e32 v1, vcc, s2, v1
	v_addc_co_u32_e32 v2, vcc, 0, v2, vcc
	v_add_co_u32_e32 v6, vcc, 8, v1
	s_lshl_b32 s7, s1, 2
	v_addc_co_u32_e32 v7, vcc, 0, v2, vcc
	s_lshl_b32 s5, s1, 4
	v_add_lshl_u32 v4, v0, s1, 2
	s_mov_b64 s[2:3], 0
	s_mov_b32 s13, 0xc2ce8ed0
	s_mov_b32 s15, 0x42b17218
	;; [unrolled: 1-line block ×3, first 2 shown]
	v_pk_mov_b32 v[8:9], s[6:7], s[6:7] op_sel:[0,1]
	s_mov_b32 s6, 0x3aad2fb4
	s_mov_b32 s8, 0x3c0da267
	;; [unrolled: 1-line block ×9, first 2 shown]
	s_mov_b64 s[24:25], 0xffff
	v_mov_b32_e32 v11, s0
	v_mov_b32_e32 v12, s0
.LBB5_24:                               ; =>This Inner Loop Header: Depth=1
	global_load_dwordx4 v[0:3], v[6:7], off offset:-8
	v_cmp_lt_u64_e64 s[0:1], s[24:25], v[4:5]
	s_waitcnt vmcnt(0)
	v_add_f32_e64 v13, |v0|, 2.0
	v_pk_mul_f32 v[16:17], v[0:1], v[0:1] neg_lo:[0,1] neg_hi:[0,1]
	v_add_f32_e64 v23, |v1|, 2.0
	v_rcp_f32_e32 v22, v13
	v_mul_f32_e32 v13, 0x3fb8aa3b, v17
	v_pk_mul_f32 v[20:21], v[2:3], v[2:3] neg_lo:[0,1] neg_hi:[0,1]
	v_rcp_f32_e32 v23, v23
	v_mul_f32_e32 v39, 0x3fb8aa3b, v16
	v_rndne_f32_e32 v40, v13
	v_fma_f32 v43, v17, s9, -v13
	v_mul_f32_e32 v41, 0x3fb8aa3b, v21
	v_mul_f32_e32 v42, 0x3fb8aa3b, v20
	v_rndne_f32_e32 v44, v39
	v_fma_f32 v45, v16, s9, -v39
	v_sub_f32_e32 v13, v13, v40
	v_fmac_f32_e32 v43, 0x32a5705f, v17
	v_and_b32_e32 v14, 0x7fffffff, v0
	v_and_b32_e32 v15, 0x7fffffff, v1
	v_fma_f32 v48, v21, s9, -v41
	v_rndne_f32_e32 v49, v41
	v_fma_f32 v50, v20, s9, -v42
	v_rndne_f32_e32 v51, v42
	v_sub_f32_e32 v53, v39, v44
	v_fmac_f32_e32 v45, 0x32a5705f, v16
	v_add_f32_e32 v13, v13, v43
	v_pk_add_f32 v[24:25], -2.0, v[14:15] op_sel_hi:[0,1]
	v_pk_add_f32 v[26:27], v[14:15], v[14:15]
	v_cvt_i32_f32_e32 v52, v40
	v_fmac_f32_e32 v48, 0x32a5705f, v21
	v_sub_f32_e32 v41, v41, v49
	v_fmac_f32_e32 v50, 0x32a5705f, v20
	v_sub_f32_e32 v42, v42, v51
	v_add_f32_e32 v43, v53, v45
	v_exp_f32_e32 v13, v13
	v_add_f32_e32 v46, 1.0, v27
	v_cvt_i32_f32_e32 v54, v44
	v_add_f32_e32 v41, v41, v48
	v_add_f32_e32 v42, v42, v50
	v_pk_mul_f32 v[24:25], v[24:25], v[22:23]
	v_exp_f32_e32 v48, v43
	v_rcp_f32_e32 v39, v46
	v_cvt_i32_f32_e32 v46, v49
	v_exp_f32_e32 v49, v42
	v_pk_add_f32 v[42:43], v[24:25], 1.0 op_sel_hi:[1,0]
	v_pk_fma_f32 v[42:43], -2.0, v[42:43], v[14:15] op_sel_hi:[0,1,1]
	v_pk_fma_f32 v[14:15], v[24:25], v[14:15], v[42:43] neg_lo:[1,0,0] neg_hi:[1,0,0]
	v_ldexp_f32 v13, v13, v52
	v_cmp_ngt_f32_e32 vcc, s13, v17
	v_add_f32_e64 v30, |v2|, 2.0
	v_add_f32_e64 v31, |v3|, 2.0
	v_pk_fma_f32 v[14:15], v[22:23], v[14:15], v[24:25]
	v_ldexp_f32 v22, v48, v54
	v_cndmask_b32_e32 v13, 0, v13, vcc
	v_cmp_ngt_f32_e32 vcc, s13, v16
	v_rcp_f32_e32 v30, v30
	v_rcp_f32_e32 v31, v31
	v_cndmask_b32_e32 v25, 0, v22, vcc
	v_pk_fma_f32 v[22:23], v[14:15], s[4:5], v[8:9] op_sel_hi:[1,0,0]
	v_pk_fma_f32 v[22:23], v[14:15], v[22:23], s[6:7] op_sel_hi:[1,1,0]
	v_and_b32_e32 v18, 0x7fffffff, v2
	v_and_b32_e32 v19, 0x7fffffff, v3
	v_pk_fma_f32 v[22:23], v[14:15], v[22:23], s[8:9] op_sel_hi:[1,1,0]
	v_pk_add_f32 v[32:33], -2.0, v[18:19] op_sel_hi:[0,1]
	v_exp_f32_e32 v41, v41
	v_pk_fma_f32 v[22:23], v[14:15], v[22:23], s[12:13] op_sel_hi:[1,1,0]
	v_add_f32_e32 v38, 1.0, v26
	v_pk_mul_f32 v[32:33], v[32:33], v[30:31]
	v_pk_fma_f32 v[22:23], v[14:15], v[22:23], s[14:15] op_sel_hi:[1,1,0]
	v_rcp_f32_e32 v38, v38
	v_pk_add_f32 v[44:45], v[32:33], 1.0 op_sel_hi:[1,0]
	v_pk_fma_f32 v[22:23], v[14:15], v[22:23], s[16:17] op_sel_hi:[1,1,0]
	v_pk_fma_f32 v[44:45], -2.0, v[44:45], v[18:19] op_sel_hi:[0,1,1]
	v_pk_fma_f32 v[22:23], v[14:15], v[22:23], s[18:19] op_sel_hi:[1,1,0]
	v_pk_add_f32 v[34:35], v[18:19], v[18:19]
	v_pk_fma_f32 v[18:19], v[32:33], v[18:19], v[44:45] neg_lo:[1,0,0] neg_hi:[1,0,0]
	v_ldexp_f32 v24, v41, v46
	v_cmp_ngt_f32_e32 vcc, s13, v21
	v_pk_fma_f32 v[22:23], v[14:15], v[22:23], s[20:21] op_sel_hi:[1,1,0]
	v_pk_fma_f32 v[18:19], v[30:31], v[18:19], v[32:33]
	v_cndmask_b32_e32 v30, 0, v24, vcc
	v_cmp_nlt_f32_e32 vcc, s15, v17
	v_pk_fma_f32 v[14:15], v[14:15], v[22:23], s[22:23] op_sel_hi:[1,1,0]
	v_pk_fma_f32 v[28:29], v[0:1], v[0:1], v[16:17] neg_lo:[1,0,1] neg_hi:[1,0,1]
	v_cndmask_b32_e32 v17, v10, v13, vcc
	v_cmp_nlt_f32_e32 vcc, s15, v16
	v_pk_fma_f32 v[22:23], v[14:15], v[38:39], v[38:39]
	v_cndmask_b32_e32 v16, v10, v25, vcc
	v_pk_fma_f32 v[24:25], v[22:23], v[26:27], 1.0 op_sel_hi:[1,1,0] neg_lo:[1,0,0] neg_hi:[1,0,0]
	v_pk_add_f32 v[14:15], v[14:15], v[22:23] neg_lo:[0,1] neg_hi:[0,1]
	v_pk_add_f32 v[14:15], v[24:25], v[14:15]
	v_pk_fma_f32 v[16:17], v[16:17], v[28:29], v[16:17]
	v_pk_fma_f32 v[14:15], v[38:39], v[14:15], v[22:23]
	v_pk_mul_f32 v[14:15], v[16:17], v[14:15]
	v_cmp_ngt_f32_e64 vcc, |v1|, s17
	v_cndmask_b32_e32 v15, 0, v15, vcc
	v_cmp_ngt_f32_e64 vcc, |v0|, s17
	v_add_f32_e32 v47, 1.0, v34
	v_cndmask_b32_e32 v14, 0, v14, vcc
	v_rcp_f32_e32 v40, v47
	v_cvt_i32_f32_e32 v47, v51
	v_pk_add_f32 v[16:17], v[14:15], 2.0 op_sel_hi:[1,0] neg_lo:[1,0] neg_hi:[1,0]
	v_cmp_gt_f32_e32 vcc, 0, v1
	v_cndmask_b32_e32 v1, v15, v17, vcc
	v_cmp_gt_f32_e32 vcc, 0, v0
	v_cndmask_b32_e32 v0, v14, v16, vcc
	v_pk_fma_f32 v[16:17], v[18:19], s[4:5], v[8:9] op_sel_hi:[1,0,0]
	v_cmp_nlt_f32_e32 vcc, s15, v21
	v_pk_fma_f32 v[16:17], v[18:19], v[16:17], s[6:7] op_sel_hi:[1,1,0]
	v_cndmask_b32_e32 v15, v10, v30, vcc
	v_ldexp_f32 v13, v49, v47
	v_cmp_ngt_f32_e32 vcc, s13, v20
	v_pk_fma_f32 v[16:17], v[18:19], v[16:17], s[8:9] op_sel_hi:[1,1,0]
	v_cndmask_b32_e32 v13, 0, v13, vcc
	v_cmp_nlt_f32_e32 vcc, s15, v20
	v_pk_fma_f32 v[16:17], v[18:19], v[16:17], s[12:13] op_sel_hi:[1,1,0]
	v_cndmask_b32_e32 v14, v10, v13, vcc
	v_pk_fma_f32 v[16:17], v[18:19], v[16:17], s[14:15] op_sel_hi:[1,1,0]
	v_add_f32_e32 v13, 1.0, v35
	v_pk_fma_f32 v[16:17], v[18:19], v[16:17], s[16:17] op_sel_hi:[1,1,0]
	v_rcp_f32_e32 v41, v13
	v_pk_fma_f32 v[16:17], v[18:19], v[16:17], s[18:19] op_sel_hi:[1,1,0]
	v_pk_fma_f32 v[16:17], v[18:19], v[16:17], s[20:21] op_sel_hi:[1,1,0]
	;; [unrolled: 1-line block ×3, first 2 shown]
	v_pk_fma_f32 v[18:19], v[16:17], v[40:41], v[40:41]
	v_pk_fma_f32 v[36:37], v[2:3], v[2:3], v[20:21] neg_lo:[1,0,1] neg_hi:[1,0,1]
	v_pk_fma_f32 v[20:21], v[18:19], v[34:35], 1.0 op_sel_hi:[1,1,0] neg_lo:[1,0,0] neg_hi:[1,0,0]
	v_pk_add_f32 v[16:17], v[16:17], v[18:19] neg_lo:[0,1] neg_hi:[0,1]
	v_pk_add_f32 v[16:17], v[20:21], v[16:17]
	v_pk_fma_f32 v[14:15], v[14:15], v[36:37], v[14:15]
	v_pk_fma_f32 v[16:17], v[40:41], v[16:17], v[18:19]
	v_pk_mul_f32 v[14:15], v[14:15], v[16:17]
	v_cmp_ngt_f32_e64 vcc, |v3|, s17
	v_cndmask_b32_e32 v15, 0, v15, vcc
	v_cmp_ngt_f32_e64 vcc, |v2|, s17
	v_cndmask_b32_e32 v14, 0, v14, vcc
	v_pk_add_f32 v[16:17], v[14:15], 2.0 op_sel_hi:[1,0] neg_lo:[1,0] neg_hi:[1,0]
	v_cmp_gt_f32_e32 vcc, 0, v3
	v_cndmask_b32_e32 v3, v15, v17, vcc
	v_cmp_gt_f32_e32 vcc, 0, v2
	v_cndmask_b32_e32 v2, v14, v16, vcc
	v_cmp_le_i64_e32 vcc, s[10:11], v[4:5]
	global_store_dwordx4 v[6:7], v[0:3], off offset:-8
	s_or_b64 s[0:1], vcc, s[0:1]
	v_add_co_u32_e32 v6, vcc, s5, v6
	v_addc_co_u32_e32 v7, vcc, v7, v11, vcc
	s_and_b64 s[0:1], exec, s[0:1]
	v_add_co_u32_e32 v4, vcc, s7, v4
	s_or_b64 s[2:3], s[0:1], s[2:3]
	v_addc_co_u32_e32 v5, vcc, v5, v12, vcc
	s_andn2_b64 exec, exec, s[2:3]
	s_cbranch_execnz .LBB5_24
.LBB5_25:
	s_endpgm
	.section	.rodata,"a",@progbits
	.p2align	6, 0x0
	.amdhsa_kernel _ZN2at6native12_GLOBAL__N_125multi_tensor_apply_kernelINS1_18TensorListMetadataILi1EEENS1_14UnaryOpFunctorIfLi1ELi1ELi0EEEJNS0_4ErfcIfEEEEEvT_T0_DpT1_
		.amdhsa_group_segment_fixed_size 0
		.amdhsa_private_segment_fixed_size 0
		.amdhsa_kernarg_size 3632
		.amdhsa_user_sgpr_count 6
		.amdhsa_user_sgpr_private_segment_buffer 1
		.amdhsa_user_sgpr_dispatch_ptr 0
		.amdhsa_user_sgpr_queue_ptr 0
		.amdhsa_user_sgpr_kernarg_segment_ptr 1
		.amdhsa_user_sgpr_dispatch_id 0
		.amdhsa_user_sgpr_flat_scratch_init 0
		.amdhsa_user_sgpr_kernarg_preload_length 0
		.amdhsa_user_sgpr_kernarg_preload_offset 0
		.amdhsa_user_sgpr_private_segment_size 0
		.amdhsa_uses_dynamic_stack 0
		.amdhsa_system_sgpr_private_segment_wavefront_offset 0
		.amdhsa_system_sgpr_workgroup_id_x 1
		.amdhsa_system_sgpr_workgroup_id_y 0
		.amdhsa_system_sgpr_workgroup_id_z 0
		.amdhsa_system_sgpr_workgroup_info 0
		.amdhsa_system_vgpr_workitem_id 0
		.amdhsa_next_free_vgpr 55
		.amdhsa_next_free_sgpr 34
		.amdhsa_accum_offset 56
		.amdhsa_reserve_vcc 1
		.amdhsa_reserve_flat_scratch 0
		.amdhsa_float_round_mode_32 0
		.amdhsa_float_round_mode_16_64 0
		.amdhsa_float_denorm_mode_32 3
		.amdhsa_float_denorm_mode_16_64 3
		.amdhsa_dx10_clamp 1
		.amdhsa_ieee_mode 1
		.amdhsa_fp16_overflow 0
		.amdhsa_tg_split 0
		.amdhsa_exception_fp_ieee_invalid_op 0
		.amdhsa_exception_fp_denorm_src 0
		.amdhsa_exception_fp_ieee_div_zero 0
		.amdhsa_exception_fp_ieee_overflow 0
		.amdhsa_exception_fp_ieee_underflow 0
		.amdhsa_exception_fp_ieee_inexact 0
		.amdhsa_exception_int_div_zero 0
	.end_amdhsa_kernel
	.section	.text._ZN2at6native12_GLOBAL__N_125multi_tensor_apply_kernelINS1_18TensorListMetadataILi1EEENS1_14UnaryOpFunctorIfLi1ELi1ELi0EEEJNS0_4ErfcIfEEEEEvT_T0_DpT1_,"axG",@progbits,_ZN2at6native12_GLOBAL__N_125multi_tensor_apply_kernelINS1_18TensorListMetadataILi1EEENS1_14UnaryOpFunctorIfLi1ELi1ELi0EEEJNS0_4ErfcIfEEEEEvT_T0_DpT1_,comdat
.Lfunc_end5:
	.size	_ZN2at6native12_GLOBAL__N_125multi_tensor_apply_kernelINS1_18TensorListMetadataILi1EEENS1_14UnaryOpFunctorIfLi1ELi1ELi0EEEJNS0_4ErfcIfEEEEEvT_T0_DpT1_, .Lfunc_end5-_ZN2at6native12_GLOBAL__N_125multi_tensor_apply_kernelINS1_18TensorListMetadataILi1EEENS1_14UnaryOpFunctorIfLi1ELi1ELi0EEEJNS0_4ErfcIfEEEEEvT_T0_DpT1_
                                        ; -- End function
	.section	.AMDGPU.csdata,"",@progbits
; Kernel info:
; codeLenInByte = 3320
; NumSgprs: 38
; NumVgprs: 55
; NumAgprs: 0
; TotalNumVgprs: 55
; ScratchSize: 0
; MemoryBound: 0
; FloatMode: 240
; IeeeMode: 1
; LDSByteSize: 0 bytes/workgroup (compile time only)
; SGPRBlocks: 4
; VGPRBlocks: 6
; NumSGPRsForWavesPerEU: 38
; NumVGPRsForWavesPerEU: 55
; AccumOffset: 56
; Occupancy: 8
; WaveLimiterHint : 0
; COMPUTE_PGM_RSRC2:SCRATCH_EN: 0
; COMPUTE_PGM_RSRC2:USER_SGPR: 6
; COMPUTE_PGM_RSRC2:TRAP_HANDLER: 0
; COMPUTE_PGM_RSRC2:TGID_X_EN: 1
; COMPUTE_PGM_RSRC2:TGID_Y_EN: 0
; COMPUTE_PGM_RSRC2:TGID_Z_EN: 0
; COMPUTE_PGM_RSRC2:TIDIG_COMP_CNT: 0
; COMPUTE_PGM_RSRC3_GFX90A:ACCUM_OFFSET: 13
; COMPUTE_PGM_RSRC3_GFX90A:TG_SPLIT: 0
	.section	.text._ZN2at6native12_GLOBAL__N_125multi_tensor_apply_kernelINS1_18TensorListMetadataILi1EEENS1_14UnaryOpFunctorIN3c104HalfELi1ELi1ELi0EEEJNS0_4ErfcIfEEEEEvT_T0_DpT1_,"axG",@progbits,_ZN2at6native12_GLOBAL__N_125multi_tensor_apply_kernelINS1_18TensorListMetadataILi1EEENS1_14UnaryOpFunctorIN3c104HalfELi1ELi1ELi0EEEJNS0_4ErfcIfEEEEEvT_T0_DpT1_,comdat
	.globl	_ZN2at6native12_GLOBAL__N_125multi_tensor_apply_kernelINS1_18TensorListMetadataILi1EEENS1_14UnaryOpFunctorIN3c104HalfELi1ELi1ELi0EEEJNS0_4ErfcIfEEEEEvT_T0_DpT1_ ; -- Begin function _ZN2at6native12_GLOBAL__N_125multi_tensor_apply_kernelINS1_18TensorListMetadataILi1EEENS1_14UnaryOpFunctorIN3c104HalfELi1ELi1ELi0EEEJNS0_4ErfcIfEEEEEvT_T0_DpT1_
	.p2align	8
	.type	_ZN2at6native12_GLOBAL__N_125multi_tensor_apply_kernelINS1_18TensorListMetadataILi1EEENS1_14UnaryOpFunctorIN3c104HalfELi1ELi1ELi0EEEJNS0_4ErfcIfEEEEEvT_T0_DpT1_,@function
_ZN2at6native12_GLOBAL__N_125multi_tensor_apply_kernelINS1_18TensorListMetadataILi1EEENS1_14UnaryOpFunctorIN3c104HalfELi1ELi1ELi0EEEJNS0_4ErfcIfEEEEEvT_T0_DpT1_: ; @_ZN2at6native12_GLOBAL__N_125multi_tensor_apply_kernelINS1_18TensorListMetadataILi1EEENS1_14UnaryOpFunctorIN3c104HalfELi1ELi1ELi0EEEJNS0_4ErfcIfEEEEEvT_T0_DpT1_
; %bb.0:
	v_mov_b32_e32 v1, s6
	global_load_ubyte v1, v1, s[4:5] offset:1760
	s_add_u32 s0, s4, s6
	s_mul_hi_u32 s1, s6, 3
	s_mul_i32 s6, s6, 3
	s_addc_u32 s2, s5, 0
	s_add_u32 s0, s0, s6
	s_addc_u32 s1, s2, s1
	s_load_dword s0, s[0:1], 0x820
	s_mov_b32 s7, 0
	s_waitcnt vmcnt(0)
	v_readfirstlane_b32 s2, v1
	s_lshl_b32 s1, s2, 3
	s_load_dwordx2 s[2:3], s[4:5], s1 offset:0x370
	s_load_dwordx2 s[12:13], s[4:5], s1 offset:0x0
	s_waitcnt lgkmcnt(0)
	s_ashr_i32 s1, s0, 31
	s_lshl_b64 s[14:15], s[0:1], 17
	s_lshl_b64 s[0:1], s[0:1], 16
	s_and_b32 s6, s12, 7
	s_sub_u32 s10, s2, s0
	s_subb_u32 s11, s3, s1
	s_and_b32 s0, s2, 3
	s_mov_b32 s1, s7
	s_or_b64 s[0:1], s[6:7], s[0:1]
	s_cmp_eq_u64 s[0:1], 0
	s_cbranch_scc1 .LBB6_21
; %bb.1:
	v_cmp_lt_i64_e64 s[0:1], s[10:11], 1
	s_and_b64 vcc, exec, s[0:1]
	s_cbranch_vccnz .LBB6_20
; %bb.2:
	s_load_dword s0, s[4:5], 0xd3c
	v_mov_b32_e32 v2, 0x10000
	v_mov_b32_e32 v3, 0
	v_cmp_lt_u64_e32 vcc, s[10:11], v[2:3]
	v_lshlrev_b32_e32 v1, 1, v0
	s_waitcnt lgkmcnt(0)
	s_and_b32 s2, s0, 0xffff
	s_and_b64 s[0:1], vcc, exec
	s_cselect_b32 s17, s11, 0
	s_cselect_b32 s16, s10, 0x10000
	s_lshl_b32 s3, s2, 1
	s_lshl_b32 s23, s2, 2
	s_add_u32 s6, s12, s14
	s_addc_u32 s7, s13, s15
	v_mov_b32_e32 v3, s7
	v_add_co_u32_e32 v2, vcc, s6, v1
	s_mul_i32 s0, s2, 3
	v_addc_co_u32_e32 v3, vcc, 0, v3, vcc
	v_add_co_u32_e32 v1, vcc, s0, v0
	v_addc_co_u32_e64 v6, s[0:1], 0, 0, vcc
	v_add_co_u32_e32 v7, vcc, s3, v0
	v_addc_co_u32_e64 v8, s[0:1], 0, 0, vcc
	v_add_co_u32_e32 v9, vcc, s2, v0
	v_lshlrev_b32_e32 v4, 1, v9
	s_mov_b32 s22, 0
	v_addc_co_u32_e64 v10, s[0:1], 0, 0, vcc
	v_mov_b32_e32 v5, s7
	v_add_co_u32_e32 v4, vcc, s6, v4
	s_lshl_b32 s24, s2, 3
	s_mov_b32 s25, s22
	s_mul_i32 s26, s2, 6
	s_mov_b32 s27, s22
	v_addc_co_u32_e32 v5, vcc, 0, v5, vcc
	s_mov_b64 s[18:19], 0
	s_mov_b32 s28, 0x3fb8aa3b
	s_mov_b32 s29, 0xc2ce8ed0
	;; [unrolled: 1-line block ×3, first 2 shown]
	s_mov_b32 s31, -2.0
	v_mov_b32_e32 v11, 0x3aad2fb4
	v_mov_b32_e32 v12, 0x3c0da267
	;; [unrolled: 1-line block ×8, first 2 shown]
	s_mov_b32 s33, 0x4120ddfc
	v_mov_b32_e32 v19, 0x7f800000
	s_branch .LBB6_4
.LBB6_3:                                ;   in Loop: Header=BB6_4 Depth=1
	s_or_b64 exec, exec, s[0:1]
	s_add_u32 s18, s18, s23
	s_addc_u32 s19, s19, 0
	s_waitcnt vmcnt(0)
	v_pk_mov_b32 v[20:21], s[10:11], s[10:11] op_sel:[0,1]
	v_cmp_lt_i64_e32 vcc, s[18:19], v[20:21]
	v_mov_b32_e32 v20, 0x10000
	v_mov_b32_e32 v21, 0
	v_cmp_lt_u64_e64 s[0:1], s[18:19], v[20:21]
	s_and_b64 s[0:1], vcc, s[0:1]
	v_mov_b32_e32 v20, s25
	v_add_co_u32_e32 v2, vcc, s24, v2
	v_addc_co_u32_e32 v3, vcc, v3, v20, vcc
	v_add_co_u32_e32 v4, vcc, s24, v4
	v_addc_co_u32_e32 v5, vcc, v5, v20, vcc
	s_and_b64 vcc, exec, s[0:1]
	s_cbranch_vccz .LBB6_20
.LBB6_4:                                ; =>This Inner Loop Header: Depth=1
	v_mov_b32_e32 v21, s19
	v_add_co_u32_e32 v20, vcc, s18, v0
	v_addc_co_u32_e32 v21, vcc, 0, v21, vcc
	v_cmp_gt_u64_e64 s[6:7], s[16:17], v[20:21]
	v_mov_b32_e32 v23, 0
	s_and_saveexec_b64 s[0:1], s[6:7]
	s_cbranch_execz .LBB6_6
; %bb.5:                                ;   in Loop: Header=BB6_4 Depth=1
	global_load_ushort v23, v[2:3], off
.LBB6_6:                                ;   in Loop: Header=BB6_4 Depth=1
	s_or_b64 exec, exec, s[0:1]
	v_mov_b32_e32 v21, s19
	v_add_co_u32_e32 v20, vcc, s18, v9
	v_addc_co_u32_e32 v21, vcc, v10, v21, vcc
	v_cmp_gt_u64_e64 s[2:3], s[16:17], v[20:21]
	v_mov_b32_e32 v22, 0
	s_and_saveexec_b64 s[0:1], s[2:3]
	s_cbranch_execz .LBB6_8
; %bb.7:                                ;   in Loop: Header=BB6_4 Depth=1
	global_load_ushort v22, v[4:5], off
.LBB6_8:                                ;   in Loop: Header=BB6_4 Depth=1
	s_or_b64 exec, exec, s[0:1]
	v_mov_b32_e32 v21, s19
	v_add_co_u32_e32 v20, vcc, s18, v7
	v_addc_co_u32_e32 v21, vcc, v8, v21, vcc
	v_cmp_gt_u64_e64 s[0:1], s[16:17], v[20:21]
	v_mov_b32_e32 v20, 0
	v_mov_b32_e32 v21, 0
	s_and_saveexec_b64 s[8:9], s[0:1]
	s_cbranch_execz .LBB6_10
; %bb.9:                                ;   in Loop: Header=BB6_4 Depth=1
	v_mov_b32_e32 v21, s22
	v_add_co_u32_e32 v24, vcc, s23, v2
	v_addc_co_u32_e32 v25, vcc, v3, v21, vcc
	global_load_ushort v21, v[24:25], off
.LBB6_10:                               ;   in Loop: Header=BB6_4 Depth=1
	s_or_b64 exec, exec, s[8:9]
	v_mov_b32_e32 v25, s19
	v_add_co_u32_e32 v24, vcc, s18, v1
	v_addc_co_u32_e32 v25, vcc, v6, v25, vcc
	v_cmp_gt_u64_e32 vcc, s[16:17], v[24:25]
	s_and_saveexec_b64 s[20:21], vcc
	s_cbranch_execnz .LBB6_15
; %bb.11:                               ;   in Loop: Header=BB6_4 Depth=1
	s_or_b64 exec, exec, s[20:21]
	s_and_saveexec_b64 s[8:9], s[6:7]
	s_cbranch_execnz .LBB6_16
.LBB6_12:                               ;   in Loop: Header=BB6_4 Depth=1
	s_or_b64 exec, exec, s[8:9]
	s_and_saveexec_b64 s[6:7], s[2:3]
	s_cbranch_execnz .LBB6_17
.LBB6_13:                               ;   in Loop: Header=BB6_4 Depth=1
	s_or_b64 exec, exec, s[6:7]
	s_and_saveexec_b64 s[2:3], s[0:1]
	s_cbranch_execnz .LBB6_18
.LBB6_14:                               ;   in Loop: Header=BB6_4 Depth=1
	s_or_b64 exec, exec, s[2:3]
	s_and_saveexec_b64 s[0:1], vcc
	s_cbranch_execz .LBB6_3
	s_branch .LBB6_19
.LBB6_15:                               ;   in Loop: Header=BB6_4 Depth=1
	v_mov_b32_e32 v20, s27
	v_add_co_u32_e64 v24, s[8:9], s26, v2
	v_addc_co_u32_e64 v25, s[8:9], v3, v20, s[8:9]
	global_load_ushort v20, v[24:25], off
	s_or_b64 exec, exec, s[20:21]
	s_and_saveexec_b64 s[8:9], s[6:7]
	s_cbranch_execz .LBB6_12
.LBB6_16:                               ;   in Loop: Header=BB6_4 Depth=1
	s_waitcnt vmcnt(0)
	v_cvt_f32_f16_e32 v30, v23
	v_mul_f32_e64 v25, -v30, v30
	v_mul_f32_e32 v24, 0x3fb8aa3b, v25
	v_rndne_f32_e32 v26, v24
	v_fma_f32 v27, v25, s28, -v24
	v_sub_f32_e32 v24, v24, v26
	v_fmac_f32_e32 v27, 0x32a5705f, v25
	v_add_f32_e32 v24, v24, v27
	v_cvt_i32_f32_e32 v26, v26
	v_exp_f32_e32 v27, v24
	v_add_f32_e64 v29, |v30|, -2.0
	v_cmp_ngt_f32_e64 s[6:7], s29, v25
	v_fma_mix_f32 v24, -v23, v23, -v25 op_sel_hi:[1,1,0]
	v_ldexp_f32 v26, v27, v26
	v_add_f32_e64 v27, |v30|, 2.0
	v_rcp_f32_e32 v28, v27
	v_cndmask_b32_e64 v26, 0, v26, s[6:7]
	v_cmp_nlt_f32_e64 s[6:7], s30, v25
	v_add_f32_e64 v25, |v30|, |v30|
	v_mul_f32_e32 v29, v29, v28
	v_add_f32_e32 v31, 1.0, v29
	v_fma_mix_f32 v31, v31, s31, |v23| op_sel_hi:[0,0,1]
	v_fma_mix_f32 v31, -v29, |v23|, v31 op_sel_hi:[0,1,0]
	v_fmac_f32_e32 v29, v28, v31
	v_mov_b32_e32 v28, 0xbaa2d753
	v_fmac_f32_e32 v28, 0xb9d6f8c4, v29
	v_fma_f32 v28, v29, v28, v11
	v_fma_f32 v28, v29, v28, v12
	;; [unrolled: 1-line block ×3, first 2 shown]
	v_add_f32_e32 v27, 1.0, v25
	v_fma_f32 v28, v29, v28, v14
	v_rcp_f32_e32 v27, v27
	v_fma_f32 v28, v29, v28, v15
	v_fma_f32 v28, v29, v28, v16
	;; [unrolled: 1-line block ×5, first 2 shown]
	v_cndmask_b32_e64 v26, v19, v26, s[6:7]
	v_fma_f32 v25, -v29, v25, 1.0
	v_sub_f32_e32 v28, v28, v29
	v_add_f32_e32 v25, v25, v28
	v_mov_b32_e32 v28, v26
	v_pk_fma_f32 v[24:25], v[26:27], v[24:25], v[28:29]
	v_mul_f32_e32 v24, v24, v25
	v_cmp_ngt_f32_e64 s[6:7], |v30|, s33
	v_cndmask_b32_e64 v24, 0, v24, s[6:7]
	v_sub_f32_e32 v25, 2.0, v24
	v_cmp_gt_f16_e64 s[6:7], 0, v23
	v_cndmask_b32_e64 v23, v24, v25, s[6:7]
	v_cvt_f16_f32_e32 v23, v23
	global_store_short v[2:3], v23, off
	s_or_b64 exec, exec, s[8:9]
	s_and_saveexec_b64 s[6:7], s[2:3]
	s_cbranch_execz .LBB6_13
.LBB6_17:                               ;   in Loop: Header=BB6_4 Depth=1
	s_waitcnt vmcnt(0)
	v_cvt_f32_f16_e32 v23, v22
	v_mul_f32_e64 v24, -v23, v23
	v_mul_f32_e32 v25, 0x3fb8aa3b, v24
	v_rndne_f32_e32 v26, v25
	v_fma_f32 v27, v24, s28, -v25
	v_sub_f32_e32 v25, v25, v26
	v_fmac_f32_e32 v27, 0x32a5705f, v24
	v_add_f32_e32 v25, v25, v27
	v_cvt_i32_f32_e32 v26, v26
	v_exp_f32_e32 v25, v25
	v_add_f32_e64 v27, |v23|, 2.0
	v_cmp_ngt_f32_e64 s[2:3], s29, v24
	v_fma_mix_f32 v28, -v22, v22, -v24 op_sel_hi:[1,1,0]
	v_ldexp_f32 v25, v25, v26
	v_rcp_f32_e32 v26, v27
	v_cndmask_b32_e64 v25, 0, v25, s[2:3]
	v_cmp_nlt_f32_e64 s[2:3], s30, v24
	v_cndmask_b32_e64 v24, v19, v25, s[2:3]
	v_add_f32_e64 v25, |v23|, -2.0
	v_mul_f32_e32 v25, v25, v26
	v_add_f32_e32 v27, 1.0, v25
	v_fma_mix_f32 v27, v27, s31, |v22| op_sel_hi:[0,0,1]
	v_fma_mix_f32 v27, -v25, |v22|, v27 op_sel_hi:[0,1,0]
	v_fmac_f32_e32 v25, v26, v27
	v_mov_b32_e32 v26, 0xbaa2d753
	v_fmac_f32_e32 v26, 0xb9d6f8c4, v25
	v_fma_f32 v26, v25, v26, v11
	v_fma_f32 v26, v25, v26, v12
	;; [unrolled: 1-line block ×3, first 2 shown]
	v_add_f32_e64 v27, |v23|, |v23|
	v_fmac_f32_e32 v24, v24, v28
	v_fma_f32 v26, v25, v26, v14
	v_add_f32_e32 v28, 1.0, v27
	v_fma_f32 v26, v25, v26, v15
	v_rcp_f32_e32 v28, v28
	v_fma_f32 v26, v25, v26, v16
	v_fma_f32 v26, v25, v26, v17
	;; [unrolled: 1-line block ×4, first 2 shown]
	v_fma_f32 v27, -v26, v27, 1.0
	v_sub_f32_e32 v25, v25, v26
	v_add_f32_e32 v25, v27, v25
	v_fmac_f32_e32 v26, v28, v25
	v_mul_f32_e32 v24, v24, v26
	v_cmp_ngt_f32_e64 s[2:3], |v23|, s33
	v_cndmask_b32_e64 v23, 0, v24, s[2:3]
	v_sub_f32_e32 v24, 2.0, v23
	v_cmp_gt_f16_e64 s[2:3], 0, v22
	v_cndmask_b32_e64 v22, v23, v24, s[2:3]
	v_cvt_f16_f32_e32 v22, v22
	global_store_short v[4:5], v22, off
	s_or_b64 exec, exec, s[6:7]
	s_and_saveexec_b64 s[2:3], s[0:1]
	s_cbranch_execz .LBB6_14
.LBB6_18:                               ;   in Loop: Header=BB6_4 Depth=1
	s_waitcnt vmcnt(0)
	v_cvt_f32_f16_e32 v22, v21
	v_mul_f32_e64 v23, -v22, v22
	v_mul_f32_e32 v24, 0x3fb8aa3b, v23
	v_rndne_f32_e32 v25, v24
	v_fma_f32 v26, v23, s28, -v24
	v_sub_f32_e32 v24, v24, v25
	v_fmac_f32_e32 v26, 0x32a5705f, v23
	v_add_f32_e32 v24, v24, v26
	v_cvt_i32_f32_e32 v25, v25
	v_exp_f32_e32 v24, v24
	v_add_f32_e64 v26, |v22|, 2.0
	v_cmp_ngt_f32_e64 s[0:1], s29, v23
	v_fma_mix_f32 v27, -v21, v21, -v23 op_sel_hi:[1,1,0]
	v_ldexp_f32 v24, v24, v25
	v_rcp_f32_e32 v25, v26
	v_cndmask_b32_e64 v24, 0, v24, s[0:1]
	v_cmp_nlt_f32_e64 s[0:1], s30, v23
	v_cndmask_b32_e64 v23, v19, v24, s[0:1]
	v_add_f32_e64 v24, |v22|, -2.0
	v_mul_f32_e32 v24, v24, v25
	v_add_f32_e32 v26, 1.0, v24
	v_fma_mix_f32 v26, v26, s31, |v21| op_sel_hi:[0,0,1]
	v_fma_mix_f32 v26, -v24, |v21|, v26 op_sel_hi:[0,1,0]
	v_fmac_f32_e32 v24, v25, v26
	v_mov_b32_e32 v25, 0xbaa2d753
	v_fmac_f32_e32 v25, 0xb9d6f8c4, v24
	v_fma_f32 v25, v24, v25, v11
	v_fma_f32 v25, v24, v25, v12
	;; [unrolled: 1-line block ×3, first 2 shown]
	v_add_f32_e64 v26, |v22|, |v22|
	v_fmac_f32_e32 v23, v23, v27
	v_fma_f32 v25, v24, v25, v14
	v_add_f32_e32 v27, 1.0, v26
	v_fma_f32 v25, v24, v25, v15
	v_rcp_f32_e32 v27, v27
	v_fma_f32 v25, v24, v25, v16
	v_fma_f32 v25, v24, v25, v17
	v_fma_f32 v24, v24, v25, v18
	v_fma_f32 v25, v24, v27, v27
	v_fma_f32 v26, -v25, v26, 1.0
	v_sub_f32_e32 v24, v24, v25
	v_add_f32_e32 v24, v26, v24
	v_fmac_f32_e32 v25, v27, v24
	v_mul_f32_e32 v23, v23, v25
	v_cmp_ngt_f32_e64 s[0:1], |v22|, s33
	v_cndmask_b32_e64 v22, 0, v23, s[0:1]
	v_sub_f32_e32 v23, 2.0, v22
	v_cmp_gt_f16_e64 s[0:1], 0, v21
	v_cndmask_b32_e64 v21, v22, v23, s[0:1]
	v_cvt_f16_f32_e32 v21, v21
	v_mov_b32_e32 v23, s22
	v_add_co_u32_e64 v22, s[0:1], s23, v2
	v_addc_co_u32_e64 v23, s[0:1], v3, v23, s[0:1]
	global_store_short v[22:23], v21, off
	s_or_b64 exec, exec, s[2:3]
	s_and_saveexec_b64 s[0:1], vcc
	s_cbranch_execz .LBB6_3
.LBB6_19:                               ;   in Loop: Header=BB6_4 Depth=1
	s_waitcnt vmcnt(0)
	v_cvt_f32_f16_e32 v21, v20
	v_mul_f32_e64 v22, -v21, v21
	v_mul_f32_e32 v23, 0x3fb8aa3b, v22
	v_rndne_f32_e32 v24, v23
	v_fma_f32 v25, v22, s28, -v23
	v_sub_f32_e32 v23, v23, v24
	v_fmac_f32_e32 v25, 0x32a5705f, v22
	v_add_f32_e32 v23, v23, v25
	v_cvt_i32_f32_e32 v24, v24
	v_exp_f32_e32 v23, v23
	v_add_f32_e64 v25, |v21|, 2.0
	v_cmp_ngt_f32_e32 vcc, s29, v22
	v_fma_mix_f32 v26, -v20, v20, -v22 op_sel_hi:[1,1,0]
	v_ldexp_f32 v23, v23, v24
	v_rcp_f32_e32 v24, v25
	v_cndmask_b32_e32 v23, 0, v23, vcc
	v_cmp_nlt_f32_e32 vcc, s30, v22
	v_cndmask_b32_e32 v22, v19, v23, vcc
	v_add_f32_e64 v23, |v21|, -2.0
	v_mul_f32_e32 v23, v23, v24
	v_add_f32_e32 v25, 1.0, v23
	v_fma_mix_f32 v25, v25, s31, |v20| op_sel_hi:[0,0,1]
	v_fma_mix_f32 v25, -v23, |v20|, v25 op_sel_hi:[0,1,0]
	v_fmac_f32_e32 v23, v24, v25
	v_mov_b32_e32 v24, 0xbaa2d753
	v_fmac_f32_e32 v24, 0xb9d6f8c4, v23
	v_fma_f32 v24, v23, v24, v11
	v_fma_f32 v24, v23, v24, v12
	;; [unrolled: 1-line block ×3, first 2 shown]
	v_add_f32_e64 v25, |v21|, |v21|
	v_fmac_f32_e32 v22, v22, v26
	v_fma_f32 v24, v23, v24, v14
	v_add_f32_e32 v26, 1.0, v25
	v_fma_f32 v24, v23, v24, v15
	v_rcp_f32_e32 v26, v26
	v_fma_f32 v24, v23, v24, v16
	v_fma_f32 v24, v23, v24, v17
	;; [unrolled: 1-line block ×4, first 2 shown]
	v_fma_f32 v25, -v24, v25, 1.0
	v_sub_f32_e32 v23, v23, v24
	v_add_f32_e32 v23, v25, v23
	v_fmac_f32_e32 v24, v26, v23
	v_mul_f32_e32 v22, v22, v24
	v_cmp_ngt_f32_e64 vcc, |v21|, s33
	v_cndmask_b32_e32 v21, 0, v22, vcc
	v_sub_f32_e32 v22, 2.0, v21
	v_cmp_gt_f16_e32 vcc, 0, v20
	v_cndmask_b32_e32 v20, v21, v22, vcc
	v_cvt_f16_f32_e32 v22, v20
	v_mov_b32_e32 v21, s27
	v_add_co_u32_e32 v20, vcc, s26, v2
	v_addc_co_u32_e32 v21, vcc, v3, v21, vcc
	global_store_short v[20:21], v22, off
	s_branch .LBB6_3
.LBB6_20:
	s_cbranch_execz .LBB6_22
	s_branch .LBB6_25
.LBB6_21:
.LBB6_22:
	v_mov_b32_e32 v3, 0
	v_lshlrev_b32_e32 v2, 2, v0
	s_mov_b32 s0, 0
	v_cmp_gt_i64_e32 vcc, s[10:11], v[2:3]
	s_and_saveexec_b64 s[2:3], vcc
	s_cbranch_execz .LBB6_25
; %bb.23:
	s_load_dword s1, s[4:5], 0xd3c
	v_lshlrev_b32_e32 v1, 3, v0
	s_mov_b32 s6, 0xbaa2d753
	s_mov_b32 s9, 0x3fb8aa3b
	v_mov_b32_e32 v10, 0x7f800000
	s_waitcnt lgkmcnt(0)
	s_and_b32 s1, s1, 0xffff
	s_add_u32 s2, s12, s14
	s_addc_u32 s3, s13, s15
	v_mov_b32_e32 v2, s3
	v_add_co_u32_e32 v4, vcc, s2, v1
	v_addc_co_u32_e32 v5, vcc, 0, v2, vcc
	v_add_lshl_u32 v2, v0, s1, 2
	s_lshl_b32 s7, s1, 2
	s_lshl_b32 s5, s1, 3
	s_mov_b64 s[2:3], 0
	s_mov_b32 s13, 0xc2ce8ed0
	s_mov_b32 s15, 0x42b17218
	;; [unrolled: 1-line block ×3, first 2 shown]
	v_pk_mov_b32 v[0:1], s[6:7], s[6:7] op_sel:[0,1]
	s_mov_b32 s6, 0x3aad2fb4
	s_mov_b32 s8, 0x3c0da267
	;; [unrolled: 1-line block ×9, first 2 shown]
	s_mov_b64 s[24:25], 0xffff
	v_mov_b32_e32 v11, s0
	v_mov_b32_e32 v12, s0
	v_pk_mov_b32 v[6:7], v[2:3], v[2:3] op_sel:[0,1]
.LBB6_24:                               ; =>This Inner Loop Header: Depth=1
	global_load_dwordx2 v[8:9], v[4:5], off
	v_cmp_lt_u64_e64 s[0:1], s[24:25], v[6:7]
	s_waitcnt vmcnt(0)
	v_cvt_f32_f16_e32 v14, v8
	v_cvt_f32_f16_sdwa v15, v8 dst_sel:DWORD dst_unused:UNUSED_PAD src0_sel:WORD_1
	v_cvt_f32_f16_e32 v16, v9
	v_cvt_f32_f16_sdwa v17, v9 dst_sel:DWORD dst_unused:UNUSED_PAD src0_sel:WORD_1
	v_and_b32_e32 v18, 0x7fffffff, v14
	v_and_b32_e32 v19, 0x7fffffff, v15
	v_xor_b32_e32 v22, 0x80000000, v16
	v_xor_b32_e32 v23, 0x80000000, v17
	v_add_f32_e64 v2, |v14|, 2.0
	v_add_f32_e64 v13, |v15|, 2.0
	v_pk_add_f32 v[30:31], v[18:19], v[18:19]
	v_pk_mul_f32 v[38:39], v[22:23], v[16:17]
	v_xor_b32_e32 v24, 0x80000000, v14
	v_xor_b32_e32 v25, 0x80000000, v15
	v_rcp_f32_e32 v26, v2
	v_rcp_f32_e32 v27, v13
	v_add_f32_e32 v2, 1.0, v30
	v_add_f32_e32 v13, 1.0, v31
	v_mul_f32_e32 v45, 0x3fb8aa3b, v39
	v_pk_mul_f32 v[36:37], v[24:25], v[14:15]
	v_mul_f32_e32 v46, 0x3fb8aa3b, v38
	v_rcp_f32_e32 v42, v2
	v_rcp_f32_e32 v43, v13
	v_fma_f32 v2, v39, s9, -v45
	v_rndne_f32_e32 v13, v45
	v_mul_f32_e32 v47, 0x3fb8aa3b, v37
	v_fma_f32 v49, v38, s9, -v46
	v_rndne_f32_e32 v50, v46
	v_fmac_f32_e32 v2, 0x32a5705f, v39
	v_sub_f32_e32 v45, v45, v13
	v_mul_f32_e32 v48, 0x3fb8aa3b, v36
	v_fma_f32 v51, v37, s9, -v47
	v_rndne_f32_e32 v52, v47
	v_fmac_f32_e32 v49, 0x32a5705f, v38
	v_sub_f32_e32 v46, v46, v50
	v_add_f32_e32 v2, v45, v2
	v_fma_f32 v53, v36, s9, -v48
	v_rndne_f32_e32 v54, v48
	v_cvt_i32_f32_e32 v13, v13
	v_fmac_f32_e32 v51, 0x32a5705f, v37
	v_sub_f32_e32 v47, v47, v52
	v_add_f32_e32 v45, v46, v49
	v_exp_f32_e32 v2, v2
	v_pk_add_f32 v[32:33], -2.0, v[18:19] op_sel_hi:[0,1]
	v_cvt_i32_f32_e32 v50, v50
	v_fmac_f32_e32 v53, 0x32a5705f, v36
	v_sub_f32_e32 v48, v48, v54
	v_add_f32_e32 v49, v47, v51
	v_exp_f32_e32 v45, v45
	v_cvt_i32_f32_e32 v52, v52
	v_pk_mul_f32 v[32:33], v[32:33], v[26:27]
	v_add_f32_e32 v48, v48, v53
	v_exp_f32_e32 v51, v49
	v_add_f32_e64 v34, |v16|, 2.0
	v_add_f32_e64 v35, |v17|, 2.0
	v_cvt_i32_f32_e32 v54, v54
	v_pk_add_f32 v[46:47], v[32:33], 1.0 op_sel_hi:[1,0]
	v_exp_f32_e32 v53, v48
	v_rcp_f32_e32 v34, v34
	v_rcp_f32_e32 v35, v35
	v_pk_fma_f32 v[46:47], -2.0, v[46:47], v[18:19] op_sel_hi:[0,1,1]
	v_ldexp_f32 v2, v2, v13
	v_cmp_ngt_f32_e32 vcc, s13, v39
	v_pk_fma_f32 v[18:19], v[32:33], v[18:19], v[46:47] neg_lo:[1,0,0] neg_hi:[1,0,0]
	v_ldexp_f32 v13, v45, v50
	v_cndmask_b32_e32 v2, 0, v2, vcc
	v_cmp_ngt_f32_e32 vcc, s13, v38
	v_and_b32_e32 v20, 0x7fffffff, v16
	v_and_b32_e32 v21, 0x7fffffff, v17
	v_pk_fma_f32 v[18:19], v[26:27], v[18:19], v[32:33]
	v_ldexp_f32 v26, v51, v52
	v_cndmask_b32_e32 v13, 0, v13, vcc
	v_cmp_ngt_f32_e32 vcc, s13, v37
	v_pk_add_f32 v[40:41], -2.0, v[20:21] op_sel_hi:[0,1]
	v_ldexp_f32 v27, v53, v54
	v_cndmask_b32_e32 v32, 0, v26, vcc
	v_cmp_ngt_f32_e32 vcc, s13, v36
	v_pk_mul_f32 v[40:41], v[40:41], v[34:35]
	v_cndmask_b32_e32 v45, 0, v27, vcc
	v_cmp_nlt_f32_e32 vcc, s15, v39
	v_pk_add_f32 v[48:49], v[40:41], 1.0 op_sel_hi:[1,0]
	v_cndmask_b32_e32 v27, v10, v2, vcc
	v_cmp_nlt_f32_e32 vcc, s15, v38
	v_pk_fma_f32 v[48:49], -2.0, v[48:49], v[20:21] op_sel_hi:[0,1,1]
	v_cndmask_b32_e32 v26, v10, v13, vcc
	v_cmp_nlt_f32_e32 vcc, s15, v37
	v_pk_add_f32 v[28:29], v[20:21], v[20:21]
	v_pk_fma_f32 v[22:23], v[22:23], v[16:17], v[38:39] neg_lo:[0,0,1] neg_hi:[0,0,1]
	v_pk_fma_f32 v[20:21], v[40:41], v[20:21], v[48:49] neg_lo:[1,0,0] neg_hi:[1,0,0]
	v_cndmask_b32_e32 v33, v10, v32, vcc
	v_cmp_nlt_f32_e32 vcc, s15, v36
	v_pk_fma_f32 v[24:25], v[24:25], v[14:15], v[36:37] neg_lo:[0,0,1] neg_hi:[0,0,1]
	v_cndmask_b32_e32 v32, v10, v45, vcc
	v_pk_fma_f32 v[22:23], v[26:27], v[22:23], v[26:27]
	v_pk_fma_f32 v[20:21], v[34:35], v[20:21], v[40:41]
	v_pk_fma_f32 v[26:27], v[18:19], s[4:5], v[0:1] op_sel_hi:[1,0,0]
	v_pk_fma_f32 v[24:25], v[32:33], v[24:25], v[32:33]
	v_pk_fma_f32 v[32:33], v[20:21], s[4:5], v[0:1] op_sel_hi:[1,0,0]
	v_pk_fma_f32 v[26:27], v[18:19], v[26:27], s[6:7] op_sel_hi:[1,1,0]
	;; [unrolled: 1-line block ×10, first 2 shown]
	v_add_f32_e32 v44, 1.0, v28
	v_pk_fma_f32 v[32:33], v[20:21], v[32:33], s[16:17] op_sel_hi:[1,1,0]
	v_pk_fma_f32 v[26:27], v[18:19], v[26:27], s[18:19] op_sel_hi:[1,1,0]
	v_add_f32_e32 v2, 1.0, v29
	v_rcp_f32_e32 v44, v44
	v_pk_fma_f32 v[32:33], v[20:21], v[32:33], s[18:19] op_sel_hi:[1,1,0]
	v_rcp_f32_e32 v45, v2
	v_pk_fma_f32 v[26:27], v[18:19], v[26:27], s[20:21] op_sel_hi:[1,1,0]
	v_pk_fma_f32 v[32:33], v[20:21], v[32:33], s[20:21] op_sel_hi:[1,1,0]
	;; [unrolled: 1-line block ×4, first 2 shown]
	v_pk_fma_f32 v[32:33], v[18:19], v[42:43], v[42:43]
	v_pk_fma_f32 v[30:31], v[32:33], v[30:31], 1.0 op_sel_hi:[1,1,0] neg_lo:[1,0,0] neg_hi:[1,0,0]
	v_sub_f32_e32 v19, v19, v33
	v_sub_f32_e32 v18, v18, v32
	v_pk_fma_f32 v[26:27], v[20:21], v[44:45], v[44:45]
	v_pk_add_f32 v[18:19], v[30:31], v[18:19]
	v_pk_fma_f32 v[28:29], v[26:27], v[28:29], 1.0 op_sel_hi:[1,1,0] neg_lo:[1,0,0] neg_hi:[1,0,0]
	v_sub_f32_e32 v21, v21, v27
	v_sub_f32_e32 v20, v20, v26
	v_pk_fma_f32 v[18:19], v[42:43], v[18:19], v[32:33]
	v_pk_add_f32 v[20:21], v[28:29], v[20:21]
	v_pk_mul_f32 v[18:19], v[24:25], v[18:19]
	v_cmp_ngt_f32_e64 vcc, |v14|, s17
	v_pk_fma_f32 v[20:21], v[44:45], v[20:21], v[26:27]
	v_cndmask_b32_e32 v2, 0, v18, vcc
	v_cmp_ngt_f32_e64 vcc, |v15|, s17
	v_pk_mul_f32 v[20:21], v[22:23], v[20:21]
	v_cndmask_b32_e32 v13, 0, v19, vcc
	v_cmp_ngt_f32_e64 vcc, |v16|, s17
	v_cndmask_b32_e32 v14, 0, v20, vcc
	v_cmp_ngt_f32_e64 vcc, |v17|, s17
	v_cndmask_b32_e32 v15, 0, v21, vcc
	v_sub_f32_e32 v19, 2.0, v2
	v_cmp_gt_f16_e32 vcc, 0, v8
	v_sub_f32_e32 v18, 2.0, v13
	v_cndmask_b32_e32 v2, v2, v19, vcc
	v_cmp_lt_f16_sdwa vcc, v8, v3 src0_sel:WORD_1 src1_sel:DWORD
	v_sub_f32_e32 v17, 2.0, v14
	v_cndmask_b32_e32 v8, v13, v18, vcc
	v_cmp_gt_f16_e32 vcc, 0, v9
	v_sub_f32_e32 v16, 2.0, v15
	v_cndmask_b32_e32 v13, v14, v17, vcc
	v_cmp_lt_f16_sdwa vcc, v9, v3 src0_sel:WORD_1 src1_sel:DWORD
	v_cndmask_b32_e32 v9, v15, v16, vcc
	v_cvt_f16_f32_e32 v9, v9
	v_cvt_f16_f32_e32 v13, v13
	;; [unrolled: 1-line block ×4, first 2 shown]
	v_cmp_le_i64_e32 vcc, s[10:11], v[6:7]
	v_pack_b32_f16 v9, v13, v9
	s_or_b64 s[0:1], vcc, s[0:1]
	v_pack_b32_f16 v8, v2, v8
	global_store_dwordx2 v[4:5], v[8:9], off
	v_add_co_u32_e32 v4, vcc, s5, v4
	v_addc_co_u32_e32 v5, vcc, v5, v11, vcc
	s_and_b64 s[0:1], exec, s[0:1]
	v_add_co_u32_e32 v6, vcc, s7, v6
	s_or_b64 s[2:3], s[0:1], s[2:3]
	v_addc_co_u32_e32 v7, vcc, v7, v12, vcc
	s_andn2_b64 exec, exec, s[2:3]
	s_cbranch_execnz .LBB6_24
.LBB6_25:
	s_endpgm
	.section	.rodata,"a",@progbits
	.p2align	6, 0x0
	.amdhsa_kernel _ZN2at6native12_GLOBAL__N_125multi_tensor_apply_kernelINS1_18TensorListMetadataILi1EEENS1_14UnaryOpFunctorIN3c104HalfELi1ELi1ELi0EEEJNS0_4ErfcIfEEEEEvT_T0_DpT1_
		.amdhsa_group_segment_fixed_size 0
		.amdhsa_private_segment_fixed_size 0
		.amdhsa_kernarg_size 3632
		.amdhsa_user_sgpr_count 6
		.amdhsa_user_sgpr_private_segment_buffer 1
		.amdhsa_user_sgpr_dispatch_ptr 0
		.amdhsa_user_sgpr_queue_ptr 0
		.amdhsa_user_sgpr_kernarg_segment_ptr 1
		.amdhsa_user_sgpr_dispatch_id 0
		.amdhsa_user_sgpr_flat_scratch_init 0
		.amdhsa_user_sgpr_kernarg_preload_length 0
		.amdhsa_user_sgpr_kernarg_preload_offset 0
		.amdhsa_user_sgpr_private_segment_size 0
		.amdhsa_uses_dynamic_stack 0
		.amdhsa_system_sgpr_private_segment_wavefront_offset 0
		.amdhsa_system_sgpr_workgroup_id_x 1
		.amdhsa_system_sgpr_workgroup_id_y 0
		.amdhsa_system_sgpr_workgroup_id_z 0
		.amdhsa_system_sgpr_workgroup_info 0
		.amdhsa_system_vgpr_workitem_id 0
		.amdhsa_next_free_vgpr 55
		.amdhsa_next_free_sgpr 34
		.amdhsa_accum_offset 56
		.amdhsa_reserve_vcc 1
		.amdhsa_reserve_flat_scratch 0
		.amdhsa_float_round_mode_32 0
		.amdhsa_float_round_mode_16_64 0
		.amdhsa_float_denorm_mode_32 3
		.amdhsa_float_denorm_mode_16_64 3
		.amdhsa_dx10_clamp 1
		.amdhsa_ieee_mode 1
		.amdhsa_fp16_overflow 0
		.amdhsa_tg_split 0
		.amdhsa_exception_fp_ieee_invalid_op 0
		.amdhsa_exception_fp_denorm_src 0
		.amdhsa_exception_fp_ieee_div_zero 0
		.amdhsa_exception_fp_ieee_overflow 0
		.amdhsa_exception_fp_ieee_underflow 0
		.amdhsa_exception_fp_ieee_inexact 0
		.amdhsa_exception_int_div_zero 0
	.end_amdhsa_kernel
	.section	.text._ZN2at6native12_GLOBAL__N_125multi_tensor_apply_kernelINS1_18TensorListMetadataILi1EEENS1_14UnaryOpFunctorIN3c104HalfELi1ELi1ELi0EEEJNS0_4ErfcIfEEEEEvT_T0_DpT1_,"axG",@progbits,_ZN2at6native12_GLOBAL__N_125multi_tensor_apply_kernelINS1_18TensorListMetadataILi1EEENS1_14UnaryOpFunctorIN3c104HalfELi1ELi1ELi0EEEJNS0_4ErfcIfEEEEEvT_T0_DpT1_,comdat
.Lfunc_end6:
	.size	_ZN2at6native12_GLOBAL__N_125multi_tensor_apply_kernelINS1_18TensorListMetadataILi1EEENS1_14UnaryOpFunctorIN3c104HalfELi1ELi1ELi0EEEJNS0_4ErfcIfEEEEEvT_T0_DpT1_, .Lfunc_end6-_ZN2at6native12_GLOBAL__N_125multi_tensor_apply_kernelINS1_18TensorListMetadataILi1EEENS1_14UnaryOpFunctorIN3c104HalfELi1ELi1ELi0EEEJNS0_4ErfcIfEEEEEvT_T0_DpT1_
                                        ; -- End function
	.section	.AMDGPU.csdata,"",@progbits
; Kernel info:
; codeLenInByte = 3448
; NumSgprs: 38
; NumVgprs: 55
; NumAgprs: 0
; TotalNumVgprs: 55
; ScratchSize: 0
; MemoryBound: 0
; FloatMode: 240
; IeeeMode: 1
; LDSByteSize: 0 bytes/workgroup (compile time only)
; SGPRBlocks: 4
; VGPRBlocks: 6
; NumSGPRsForWavesPerEU: 38
; NumVGPRsForWavesPerEU: 55
; AccumOffset: 56
; Occupancy: 8
; WaveLimiterHint : 0
; COMPUTE_PGM_RSRC2:SCRATCH_EN: 0
; COMPUTE_PGM_RSRC2:USER_SGPR: 6
; COMPUTE_PGM_RSRC2:TRAP_HANDLER: 0
; COMPUTE_PGM_RSRC2:TGID_X_EN: 1
; COMPUTE_PGM_RSRC2:TGID_Y_EN: 0
; COMPUTE_PGM_RSRC2:TGID_Z_EN: 0
; COMPUTE_PGM_RSRC2:TIDIG_COMP_CNT: 0
; COMPUTE_PGM_RSRC3_GFX90A:ACCUM_OFFSET: 13
; COMPUTE_PGM_RSRC3_GFX90A:TG_SPLIT: 0
	.section	.text._ZN2at6native12_GLOBAL__N_125multi_tensor_apply_kernelINS1_18TensorListMetadataILi1EEENS1_14UnaryOpFunctorIN3c108BFloat16ELi1ELi1ELi0EEEJNS0_4ErfcIfEEEEEvT_T0_DpT1_,"axG",@progbits,_ZN2at6native12_GLOBAL__N_125multi_tensor_apply_kernelINS1_18TensorListMetadataILi1EEENS1_14UnaryOpFunctorIN3c108BFloat16ELi1ELi1ELi0EEEJNS0_4ErfcIfEEEEEvT_T0_DpT1_,comdat
	.globl	_ZN2at6native12_GLOBAL__N_125multi_tensor_apply_kernelINS1_18TensorListMetadataILi1EEENS1_14UnaryOpFunctorIN3c108BFloat16ELi1ELi1ELi0EEEJNS0_4ErfcIfEEEEEvT_T0_DpT1_ ; -- Begin function _ZN2at6native12_GLOBAL__N_125multi_tensor_apply_kernelINS1_18TensorListMetadataILi1EEENS1_14UnaryOpFunctorIN3c108BFloat16ELi1ELi1ELi0EEEJNS0_4ErfcIfEEEEEvT_T0_DpT1_
	.p2align	8
	.type	_ZN2at6native12_GLOBAL__N_125multi_tensor_apply_kernelINS1_18TensorListMetadataILi1EEENS1_14UnaryOpFunctorIN3c108BFloat16ELi1ELi1ELi0EEEJNS0_4ErfcIfEEEEEvT_T0_DpT1_,@function
_ZN2at6native12_GLOBAL__N_125multi_tensor_apply_kernelINS1_18TensorListMetadataILi1EEENS1_14UnaryOpFunctorIN3c108BFloat16ELi1ELi1ELi0EEEJNS0_4ErfcIfEEEEEvT_T0_DpT1_: ; @_ZN2at6native12_GLOBAL__N_125multi_tensor_apply_kernelINS1_18TensorListMetadataILi1EEENS1_14UnaryOpFunctorIN3c108BFloat16ELi1ELi1ELi0EEEJNS0_4ErfcIfEEEEEvT_T0_DpT1_
; %bb.0:
	v_mov_b32_e32 v1, s6
	global_load_ubyte v1, v1, s[4:5] offset:1760
	s_add_u32 s0, s4, s6
	s_mul_hi_u32 s1, s6, 3
	s_mul_i32 s6, s6, 3
	s_addc_u32 s2, s5, 0
	s_add_u32 s0, s0, s6
	s_addc_u32 s1, s2, s1
	s_load_dword s0, s[0:1], 0x820
	s_mov_b32 s7, 0
	s_waitcnt vmcnt(0)
	v_readfirstlane_b32 s2, v1
	s_lshl_b32 s1, s2, 3
	s_load_dwordx2 s[2:3], s[4:5], s1 offset:0x370
	s_load_dwordx2 s[12:13], s[4:5], s1 offset:0x0
	s_waitcnt lgkmcnt(0)
	s_ashr_i32 s1, s0, 31
	s_lshl_b64 s[14:15], s[0:1], 17
	s_lshl_b64 s[0:1], s[0:1], 16
	s_and_b32 s6, s12, 7
	s_sub_u32 s10, s2, s0
	s_subb_u32 s11, s3, s1
	s_and_b32 s0, s2, 3
	s_mov_b32 s1, s7
	s_or_b64 s[0:1], s[6:7], s[0:1]
	s_cmp_eq_u64 s[0:1], 0
	s_cbranch_scc1 .LBB7_21
; %bb.1:
	v_cmp_lt_i64_e64 s[0:1], s[10:11], 1
	s_and_b64 vcc, exec, s[0:1]
	s_cbranch_vccnz .LBB7_20
; %bb.2:
	s_load_dword s0, s[4:5], 0xd3c
	v_mov_b32_e32 v2, 0x10000
	v_mov_b32_e32 v3, 0
	v_cmp_lt_u64_e32 vcc, s[10:11], v[2:3]
	v_lshlrev_b32_e32 v1, 1, v0
	s_waitcnt lgkmcnt(0)
	s_and_b32 s2, s0, 0xffff
	s_and_b64 s[0:1], vcc, exec
	s_cselect_b32 s17, s11, 0
	s_cselect_b32 s16, s10, 0x10000
	s_lshl_b32 s3, s2, 1
	s_lshl_b32 s23, s2, 2
	s_add_u32 s6, s12, s14
	s_addc_u32 s7, s13, s15
	v_mov_b32_e32 v3, s7
	v_add_co_u32_e32 v2, vcc, s6, v1
	s_mul_i32 s0, s2, 3
	v_addc_co_u32_e32 v3, vcc, 0, v3, vcc
	v_add_co_u32_e32 v1, vcc, s0, v0
	v_addc_co_u32_e64 v6, s[0:1], 0, 0, vcc
	v_add_co_u32_e32 v7, vcc, s3, v0
	v_addc_co_u32_e64 v8, s[0:1], 0, 0, vcc
	v_add_co_u32_e32 v9, vcc, s2, v0
	v_lshlrev_b32_e32 v4, 1, v9
	s_mov_b32 s22, 0
	v_addc_co_u32_e64 v10, s[0:1], 0, 0, vcc
	v_mov_b32_e32 v5, s7
	v_add_co_u32_e32 v4, vcc, s6, v4
	s_lshl_b32 s24, s2, 3
	s_mov_b32 s25, s22
	s_mul_i32 s26, s2, 6
	s_mov_b32 s27, s22
	v_addc_co_u32_e32 v5, vcc, 0, v5, vcc
	s_mov_b64 s[18:19], 0
	s_mov_b32 s28, 0x3fb8aa3b
	s_mov_b32 s29, 0xc2ce8ed0
	;; [unrolled: 1-line block ×3, first 2 shown]
	v_mov_b32_e32 v11, 0x3aad2fb4
	v_mov_b32_e32 v12, 0x3c0da267
	;; [unrolled: 1-line block ×8, first 2 shown]
	s_mov_b32 s31, 0x4120ddfc
	s_movk_i32 s33, 0x7fff
	v_mov_b32_e32 v19, 0x7f800000
	v_mov_b32_e32 v20, 0x7fc0
	s_branch .LBB7_4
.LBB7_3:                                ;   in Loop: Header=BB7_4 Depth=1
	s_or_b64 exec, exec, s[0:1]
	s_add_u32 s18, s18, s23
	s_addc_u32 s19, s19, 0
	s_waitcnt vmcnt(0)
	v_pk_mov_b32 v[22:23], s[10:11], s[10:11] op_sel:[0,1]
	v_cmp_lt_i64_e32 vcc, s[18:19], v[22:23]
	v_mov_b32_e32 v22, 0x10000
	v_mov_b32_e32 v23, 0
	v_cmp_lt_u64_e64 s[0:1], s[18:19], v[22:23]
	s_and_b64 s[0:1], vcc, s[0:1]
	v_mov_b32_e32 v21, s25
	v_add_co_u32_e32 v2, vcc, s24, v2
	v_addc_co_u32_e32 v3, vcc, v3, v21, vcc
	v_add_co_u32_e32 v4, vcc, s24, v4
	v_addc_co_u32_e32 v5, vcc, v5, v21, vcc
	s_and_b64 vcc, exec, s[0:1]
	s_cbranch_vccz .LBB7_20
.LBB7_4:                                ; =>This Inner Loop Header: Depth=1
	v_mov_b32_e32 v21, s19
	v_add_co_u32_e32 v22, vcc, s18, v0
	v_addc_co_u32_e32 v23, vcc, 0, v21, vcc
	v_cmp_gt_u64_e64 s[6:7], s[16:17], v[22:23]
	v_mov_b32_e32 v24, 0
	s_and_saveexec_b64 s[0:1], s[6:7]
	s_cbranch_execz .LBB7_6
; %bb.5:                                ;   in Loop: Header=BB7_4 Depth=1
	global_load_ushort v24, v[2:3], off
.LBB7_6:                                ;   in Loop: Header=BB7_4 Depth=1
	s_or_b64 exec, exec, s[0:1]
	v_mov_b32_e32 v21, s19
	v_add_co_u32_e32 v22, vcc, s18, v9
	v_addc_co_u32_e32 v23, vcc, v10, v21, vcc
	v_cmp_gt_u64_e64 s[2:3], s[16:17], v[22:23]
	v_mov_b32_e32 v23, 0
	s_and_saveexec_b64 s[0:1], s[2:3]
	s_cbranch_execz .LBB7_8
; %bb.7:                                ;   in Loop: Header=BB7_4 Depth=1
	global_load_ushort v23, v[4:5], off
.LBB7_8:                                ;   in Loop: Header=BB7_4 Depth=1
	s_or_b64 exec, exec, s[0:1]
	v_mov_b32_e32 v21, s19
	v_add_co_u32_e32 v26, vcc, s18, v7
	v_addc_co_u32_e32 v27, vcc, v8, v21, vcc
	v_cmp_gt_u64_e64 s[0:1], s[16:17], v[26:27]
	v_mov_b32_e32 v21, 0
	v_mov_b32_e32 v22, 0
	s_and_saveexec_b64 s[8:9], s[0:1]
	s_cbranch_execz .LBB7_10
; %bb.9:                                ;   in Loop: Header=BB7_4 Depth=1
	v_mov_b32_e32 v22, s22
	v_add_co_u32_e32 v26, vcc, s23, v2
	v_addc_co_u32_e32 v27, vcc, v3, v22, vcc
	global_load_ushort v22, v[26:27], off
.LBB7_10:                               ;   in Loop: Header=BB7_4 Depth=1
	s_or_b64 exec, exec, s[8:9]
	v_mov_b32_e32 v25, s19
	v_add_co_u32_e32 v26, vcc, s18, v1
	v_addc_co_u32_e32 v27, vcc, v6, v25, vcc
	v_cmp_gt_u64_e32 vcc, s[16:17], v[26:27]
	s_and_saveexec_b64 s[20:21], vcc
	s_cbranch_execnz .LBB7_15
; %bb.11:                               ;   in Loop: Header=BB7_4 Depth=1
	s_or_b64 exec, exec, s[20:21]
	s_and_saveexec_b64 s[8:9], s[6:7]
	s_cbranch_execnz .LBB7_16
.LBB7_12:                               ;   in Loop: Header=BB7_4 Depth=1
	s_or_b64 exec, exec, s[8:9]
	s_and_saveexec_b64 s[6:7], s[2:3]
	s_cbranch_execnz .LBB7_17
.LBB7_13:                               ;   in Loop: Header=BB7_4 Depth=1
	s_or_b64 exec, exec, s[6:7]
	s_and_saveexec_b64 s[2:3], s[0:1]
	s_cbranch_execnz .LBB7_18
.LBB7_14:                               ;   in Loop: Header=BB7_4 Depth=1
	s_or_b64 exec, exec, s[2:3]
	s_and_saveexec_b64 s[0:1], vcc
	s_cbranch_execz .LBB7_3
	s_branch .LBB7_19
.LBB7_15:                               ;   in Loop: Header=BB7_4 Depth=1
	v_mov_b32_e32 v21, s27
	v_add_co_u32_e64 v26, s[8:9], s26, v2
	v_addc_co_u32_e64 v27, s[8:9], v3, v21, s[8:9]
	global_load_ushort v21, v[26:27], off
	s_or_b64 exec, exec, s[20:21]
	s_and_saveexec_b64 s[8:9], s[6:7]
	s_cbranch_execz .LBB7_12
.LBB7_16:                               ;   in Loop: Header=BB7_4 Depth=1
	s_waitcnt vmcnt(0)
	v_lshlrev_b32_e32 v30, 16, v24
	v_mul_f32_e64 v25, -v30, v30
	v_mul_f32_e32 v24, 0x3fb8aa3b, v25
	v_rndne_f32_e32 v26, v24
	v_sub_f32_e32 v27, v24, v26
	v_fma_f32 v24, v25, s28, -v24
	v_fmac_f32_e32 v24, 0x32a5705f, v25
	v_add_f32_e32 v24, v27, v24
	v_cvt_i32_f32_e32 v26, v26
	v_exp_f32_e32 v24, v24
	v_cmp_ngt_f32_e64 s[6:7], s29, v25
	v_add_f32_e64 v29, |v30|, -2.0
	v_add_f32_e64 v27, |v30|, |v30|
	v_ldexp_f32 v24, v24, v26
	v_cndmask_b32_e64 v24, 0, v24, s[6:7]
	v_cmp_nlt_f32_e64 s[6:7], s30, v25
	v_fma_f32 v26, -v30, v30, -v25
	v_add_f32_e64 v25, |v30|, 2.0
	v_rcp_f32_e32 v28, v25
	v_add_f32_e32 v25, 1.0, v27
	v_rcp_f32_e32 v25, v25
	v_cndmask_b32_e64 v24, v19, v24, s[6:7]
	v_mul_f32_e32 v29, v29, v28
	v_add_f32_e32 v31, 1.0, v29
	v_fma_f32 v31, v31, -2.0, |v30|
	v_fma_f32 v31, -v29, |v30|, v31
	v_fmac_f32_e32 v29, v28, v31
	v_mov_b32_e32 v28, 0xbaa2d753
	v_fmac_f32_e32 v28, 0xb9d6f8c4, v29
	v_fma_f32 v28, v29, v28, v11
	v_fma_f32 v28, v29, v28, v12
	;; [unrolled: 1-line block ×9, first 2 shown]
	v_fma_f32 v27, -v29, v27, 1.0
	v_sub_f32_e32 v28, v28, v29
	v_add_f32_e32 v27, v27, v28
	v_mov_b32_e32 v28, v24
	v_pk_fma_f32 v[24:25], v[24:25], v[26:27], v[28:29]
	v_mul_f32_e32 v24, v24, v25
	v_cmp_ngt_f32_e64 s[6:7], |v30|, s31
	v_cndmask_b32_e64 v24, 0, v24, s[6:7]
	v_sub_f32_e32 v25, 2.0, v24
	v_cmp_gt_f32_e64 s[6:7], 0, v30
	v_cndmask_b32_e64 v24, v24, v25, s[6:7]
	v_bfe_u32 v25, v24, 16, 1
	v_add3_u32 v25, v24, v25, s33
	v_lshrrev_b32_e32 v25, 16, v25
	v_cmp_o_f32_e64 s[6:7], v24, v24
	v_cndmask_b32_e64 v24, v20, v25, s[6:7]
	global_store_short v[2:3], v24, off
	s_or_b64 exec, exec, s[8:9]
	s_and_saveexec_b64 s[6:7], s[2:3]
	s_cbranch_execz .LBB7_13
.LBB7_17:                               ;   in Loop: Header=BB7_4 Depth=1
	s_waitcnt vmcnt(0)
	v_lshlrev_b32_e32 v23, 16, v23
	v_mul_f32_e64 v25, -v23, v23
	v_mul_f32_e32 v24, 0x3fb8aa3b, v25
	v_rndne_f32_e32 v26, v24
	v_sub_f32_e32 v27, v24, v26
	v_fma_f32 v24, v25, s28, -v24
	v_fmac_f32_e32 v24, 0x32a5705f, v25
	v_add_f32_e32 v24, v27, v24
	v_exp_f32_e32 v27, v24
	v_cvt_i32_f32_e32 v26, v26
	v_cmp_ngt_f32_e64 s[2:3], s29, v25
	v_fma_f32 v24, -v23, v23, -v25
	v_add_f32_e64 v30, |v23|, |v23|
	v_ldexp_f32 v26, v27, v26
	v_add_f32_e64 v27, |v23|, 2.0
	v_rcp_f32_e32 v27, v27
	v_cndmask_b32_e64 v26, 0, v26, s[2:3]
	v_cmp_nlt_f32_e64 s[2:3], s30, v25
	v_add_f32_e64 v25, |v23|, -2.0
	v_mul_f32_e32 v25, v25, v27
	v_add_f32_e32 v28, 1.0, v25
	v_fma_f32 v28, v28, -2.0, |v23|
	v_fma_f32 v28, -v25, |v23|, v28
	v_fmac_f32_e32 v25, v27, v28
	v_mov_b32_e32 v27, 0xbaa2d753
	v_fmac_f32_e32 v27, 0xb9d6f8c4, v25
	v_fma_f32 v27, v25, v27, v11
	v_fma_f32 v27, v25, v27, v12
	;; [unrolled: 1-line block ×5, first 2 shown]
	v_add_f32_e32 v27, 1.0, v30
	v_rcp_f32_e32 v27, v27
	v_fma_f32 v28, v25, v28, v16
	v_fma_f32 v28, v25, v28, v17
	;; [unrolled: 1-line block ×4, first 2 shown]
	v_cndmask_b32_e64 v26, v19, v26, s[2:3]
	v_fma_f32 v28, -v29, v30, 1.0
	v_sub_f32_e32 v25, v25, v29
	v_add_f32_e32 v25, v28, v25
	v_mov_b32_e32 v28, v26
	v_pk_fma_f32 v[24:25], v[26:27], v[24:25], v[28:29]
	v_mul_f32_e32 v24, v24, v25
	v_cmp_ngt_f32_e64 s[2:3], |v23|, s31
	v_cndmask_b32_e64 v24, 0, v24, s[2:3]
	v_sub_f32_e32 v25, 2.0, v24
	v_cmp_gt_f32_e64 s[2:3], 0, v23
	v_cndmask_b32_e64 v23, v24, v25, s[2:3]
	v_bfe_u32 v24, v23, 16, 1
	v_add3_u32 v24, v23, v24, s33
	v_lshrrev_b32_e32 v24, 16, v24
	v_cmp_o_f32_e64 s[2:3], v23, v23
	v_cndmask_b32_e64 v23, v20, v24, s[2:3]
	global_store_short v[4:5], v23, off
	s_or_b64 exec, exec, s[6:7]
	s_and_saveexec_b64 s[2:3], s[0:1]
	s_cbranch_execz .LBB7_14
.LBB7_18:                               ;   in Loop: Header=BB7_4 Depth=1
	s_waitcnt vmcnt(0)
	v_lshlrev_b32_e32 v28, 16, v22
	v_mul_f32_e64 v23, -v28, v28
	v_mul_f32_e32 v22, 0x3fb8aa3b, v23
	v_rndne_f32_e32 v24, v22
	v_sub_f32_e32 v25, v22, v24
	v_fma_f32 v22, v23, s28, -v22
	v_fmac_f32_e32 v22, 0x32a5705f, v23
	v_add_f32_e32 v22, v25, v22
	v_exp_f32_e32 v25, v22
	v_cvt_i32_f32_e32 v24, v24
	v_cmp_ngt_f32_e64 s[0:1], s29, v23
	v_fma_f32 v22, -v28, v28, -v23
	v_add_f32_e64 v29, |v28|, |v28|
	v_ldexp_f32 v24, v25, v24
	v_add_f32_e64 v25, |v28|, 2.0
	v_rcp_f32_e32 v25, v25
	v_cndmask_b32_e64 v24, 0, v24, s[0:1]
	v_cmp_nlt_f32_e64 s[0:1], s30, v23
	v_add_f32_e64 v23, |v28|, -2.0
	v_mul_f32_e32 v23, v23, v25
	v_add_f32_e32 v26, 1.0, v23
	v_fma_f32 v26, v26, -2.0, |v28|
	v_fma_f32 v26, -v23, |v28|, v26
	v_fmac_f32_e32 v23, v25, v26
	v_mov_b32_e32 v25, 0xbaa2d753
	v_fmac_f32_e32 v25, 0xb9d6f8c4, v23
	v_fma_f32 v25, v23, v25, v11
	v_fma_f32 v25, v23, v25, v12
	;; [unrolled: 1-line block ×5, first 2 shown]
	v_add_f32_e32 v25, 1.0, v29
	v_rcp_f32_e32 v25, v25
	v_fma_f32 v26, v23, v26, v16
	v_fma_f32 v26, v23, v26, v17
	;; [unrolled: 1-line block ×4, first 2 shown]
	v_cndmask_b32_e64 v24, v19, v24, s[0:1]
	v_fma_f32 v26, -v27, v29, 1.0
	v_sub_f32_e32 v23, v23, v27
	v_add_f32_e32 v23, v26, v23
	v_mov_b32_e32 v26, v24
	v_pk_fma_f32 v[22:23], v[24:25], v[22:23], v[26:27]
	v_mul_f32_e32 v22, v22, v23
	v_cmp_ngt_f32_e64 s[0:1], |v28|, s31
	v_cndmask_b32_e64 v22, 0, v22, s[0:1]
	v_sub_f32_e32 v23, 2.0, v22
	v_cmp_gt_f32_e64 s[0:1], 0, v28
	v_cndmask_b32_e64 v22, v22, v23, s[0:1]
	v_bfe_u32 v23, v22, 16, 1
	v_add3_u32 v23, v22, v23, s33
	v_lshrrev_b32_e32 v23, 16, v23
	v_cmp_o_f32_e64 s[0:1], v22, v22
	v_cndmask_b32_e64 v24, v20, v23, s[0:1]
	v_mov_b32_e32 v23, s22
	v_add_co_u32_e64 v22, s[0:1], s23, v2
	v_addc_co_u32_e64 v23, s[0:1], v3, v23, s[0:1]
	global_store_short v[22:23], v24, off
	s_or_b64 exec, exec, s[2:3]
	s_and_saveexec_b64 s[0:1], vcc
	s_cbranch_execz .LBB7_3
.LBB7_19:                               ;   in Loop: Header=BB7_4 Depth=1
	s_waitcnt vmcnt(0)
	v_lshlrev_b32_e32 v21, 16, v21
	v_mul_f32_e64 v23, -v21, v21
	v_mul_f32_e32 v22, 0x3fb8aa3b, v23
	v_rndne_f32_e32 v24, v22
	v_sub_f32_e32 v25, v22, v24
	v_fma_f32 v22, v23, s28, -v22
	v_fmac_f32_e32 v22, 0x32a5705f, v23
	v_add_f32_e32 v22, v25, v22
	v_exp_f32_e32 v25, v22
	v_cvt_i32_f32_e32 v24, v24
	v_cmp_ngt_f32_e32 vcc, s29, v23
	v_fma_f32 v22, -v21, v21, -v23
	v_add_f32_e64 v28, |v21|, |v21|
	v_ldexp_f32 v24, v25, v24
	v_add_f32_e64 v25, |v21|, 2.0
	v_rcp_f32_e32 v25, v25
	v_cndmask_b32_e32 v24, 0, v24, vcc
	v_cmp_nlt_f32_e32 vcc, s30, v23
	v_add_f32_e64 v23, |v21|, -2.0
	v_mul_f32_e32 v23, v23, v25
	v_add_f32_e32 v26, 1.0, v23
	v_fma_f32 v26, v26, -2.0, |v21|
	v_fma_f32 v26, -v23, |v21|, v26
	v_fmac_f32_e32 v23, v25, v26
	v_mov_b32_e32 v25, 0xbaa2d753
	v_fmac_f32_e32 v25, 0xb9d6f8c4, v23
	v_fma_f32 v25, v23, v25, v11
	v_fma_f32 v25, v23, v25, v12
	;; [unrolled: 1-line block ×5, first 2 shown]
	v_add_f32_e32 v25, 1.0, v28
	v_rcp_f32_e32 v25, v25
	v_fma_f32 v26, v23, v26, v16
	v_fma_f32 v26, v23, v26, v17
	;; [unrolled: 1-line block ×4, first 2 shown]
	v_cndmask_b32_e32 v24, v19, v24, vcc
	v_fma_f32 v26, -v27, v28, 1.0
	v_sub_f32_e32 v23, v23, v27
	v_add_f32_e32 v23, v26, v23
	v_mov_b32_e32 v26, v24
	v_pk_fma_f32 v[22:23], v[24:25], v[22:23], v[26:27]
	v_mul_f32_e32 v22, v22, v23
	v_cmp_ngt_f32_e64 vcc, |v21|, s31
	v_cndmask_b32_e32 v22, 0, v22, vcc
	v_sub_f32_e32 v23, 2.0, v22
	v_cmp_gt_f32_e32 vcc, 0, v21
	v_cndmask_b32_e32 v21, v22, v23, vcc
	v_bfe_u32 v22, v21, 16, 1
	v_add3_u32 v22, v21, v22, s33
	v_lshrrev_b32_e32 v22, 16, v22
	v_cmp_o_f32_e32 vcc, v21, v21
	v_cndmask_b32_e32 v21, v20, v22, vcc
	v_mov_b32_e32 v23, s27
	v_add_co_u32_e32 v22, vcc, s26, v2
	v_addc_co_u32_e32 v23, vcc, v3, v23, vcc
	global_store_short v[22:23], v21, off
	s_branch .LBB7_3
.LBB7_20:
	s_cbranch_execz .LBB7_22
	s_branch .LBB7_25
.LBB7_21:
.LBB7_22:
	v_mov_b32_e32 v3, 0
	v_lshlrev_b32_e32 v2, 2, v0
	s_mov_b32 s0, 0
	v_cmp_gt_i64_e32 vcc, s[10:11], v[2:3]
	s_and_saveexec_b64 s[2:3], vcc
	s_cbranch_execz .LBB7_25
; %bb.23:
	s_load_dword s1, s[4:5], 0xd3c
	v_lshlrev_b32_e32 v1, 3, v0
	s_mov_b32 s6, 0xbaa2d753
	s_mov_b32 s9, 0x3fb8aa3b
	v_mov_b32_e32 v10, 0x7f800000
	s_waitcnt lgkmcnt(0)
	s_and_b32 s1, s1, 0xffff
	s_add_u32 s2, s12, s14
	s_addc_u32 s3, s13, s15
	v_mov_b32_e32 v2, s3
	v_add_co_u32_e32 v4, vcc, s2, v1
	s_lshl_b32 s7, s1, 2
	v_addc_co_u32_e32 v5, vcc, 0, v2, vcc
	s_lshl_b32 s5, s1, 3
	v_add_lshl_u32 v2, v0, s1, 2
	s_mov_b64 s[2:3], 0
	s_mov_b32 s13, 0xc2ce8ed0
	s_mov_b32 s15, 0x42b17218
	s_mov_b32 s4, 0xb9d6f8c4
	v_pk_mov_b32 v[0:1], s[6:7], s[6:7] op_sel:[0,1]
	s_mov_b32 s6, 0x3aad2fb4
	s_mov_b32 s8, 0x3c0da267
	;; [unrolled: 1-line block ×9, first 2 shown]
	s_movk_i32 s19, 0x7fff
	v_mov_b32_e32 v11, 0x7fc0
	v_mov_b32_e32 v12, 0x7fc00000
	s_mov_b64 s[24:25], 0xffff
	v_mov_b32_e32 v13, s0
	v_mov_b32_e32 v14, s0
.LBB7_24:                               ; =>This Inner Loop Header: Depth=1
	global_load_dwordx2 v[8:9], v[4:5], off
	v_cmp_lt_u64_e64 s[0:1], s[24:25], v[2:3]
	s_waitcnt vmcnt(0)
	v_alignbit_b32 v15, v9, v8, 16
	v_lshlrev_b32_e32 v6, 16, v8
	v_and_b32_e32 v7, 0xffff0000, v8
	v_and_b32_e32 v9, 0xffff0000, v9
	;; [unrolled: 1-line block ×3, first 2 shown]
	v_add_f32_e64 v15, |v6|, 2.0
	v_xor_b32_e32 v21, 0x80000000, v7
	v_xor_b32_e32 v20, 0x80000000, v6
	v_add_f32_e64 v32, |v9|, 2.0
	v_rcp_f32_e32 v24, v15
	v_add_f32_e64 v15, |v8|, 2.0
	v_pk_mul_f32 v[30:31], v[20:21], v[6:7]
	v_add_f32_e64 v22, |v7|, 2.0
	v_rcp_f32_e32 v33, v32
	v_rcp_f32_e32 v32, v15
	v_mul_f32_e32 v15, 0x3fb8aa3b, v31
	v_rcp_f32_e32 v25, v22
	v_mul_f32_e32 v43, 0x3fb8aa3b, v30
	v_fma_f32 v44, v31, s9, -v15
	v_rndne_f32_e32 v45, v15
	v_xor_b32_e32 v23, 0x80000000, v9
	v_xor_b32_e32 v22, 0x80000000, v8
	v_fma_f32 v46, v30, s9, -v43
	v_rndne_f32_e32 v47, v43
	v_fmac_f32_e32 v44, 0x32a5705f, v31
	v_sub_f32_e32 v15, v15, v45
	v_and_b32_e32 v16, 0x7fffffff, v6
	v_and_b32_e32 v17, 0x7fffffff, v7
	v_pk_mul_f32 v[36:37], v[22:23], v[8:9]
	v_fmac_f32_e32 v46, 0x32a5705f, v30
	v_sub_f32_e32 v43, v43, v47
	v_add_f32_e32 v15, v15, v44
	v_pk_add_f32 v[28:29], -2.0, v[16:17] op_sel_hi:[0,1]
	v_mul_f32_e32 v48, 0x3fb8aa3b, v37
	v_cvt_i32_f32_e32 v50, v45
	v_add_f32_e32 v43, v43, v46
	v_exp_f32_e32 v15, v15
	v_cvt_i32_f32_e32 v47, v47
	v_rndne_f32_e32 v45, v48
	v_pk_mul_f32 v[28:29], v[28:29], v[24:25]
	v_exp_f32_e32 v43, v43
	v_mul_f32_e32 v49, 0x3fb8aa3b, v36
	v_fma_f32 v51, v37, s9, -v48
	v_sub_f32_e32 v46, v48, v45
	v_cvt_i32_f32_e32 v48, v45
	v_pk_add_f32 v[44:45], v[28:29], 1.0 op_sel_hi:[1,0]
	v_fma_f32 v52, v36, s9, -v49
	v_rndne_f32_e32 v53, v49
	v_fmac_f32_e32 v51, 0x32a5705f, v37
	v_pk_fma_f32 v[44:45], -2.0, v[44:45], v[16:17] op_sel_hi:[0,1,1]
	v_pk_add_f32 v[26:27], v[16:17], v[16:17]
	v_fmac_f32_e32 v52, 0x32a5705f, v36
	v_sub_f32_e32 v49, v49, v53
	v_add_f32_e32 v46, v46, v51
	v_pk_fma_f32 v[16:17], v[28:29], v[16:17], v[44:45] neg_lo:[1,0,0] neg_hi:[1,0,0]
	v_ldexp_f32 v15, v15, v50
	v_cmp_ngt_f32_e32 vcc, s13, v31
	v_add_f32_e32 v49, v49, v52
	v_exp_f32_e32 v46, v46
	v_pk_fma_f32 v[16:17], v[24:25], v[16:17], v[28:29]
	v_ldexp_f32 v24, v43, v47
	v_cndmask_b32_e32 v15, 0, v15, vcc
	v_cmp_ngt_f32_e32 vcc, s13, v30
	v_and_b32_e32 v19, 0x7fffffff, v9
	v_and_b32_e32 v18, 0x7fffffff, v8
	v_cvt_i32_f32_e32 v53, v53
	v_exp_f32_e32 v49, v49
	v_cndmask_b32_e32 v24, 0, v24, vcc
	v_cmp_nlt_f32_e32 vcc, s15, v31
	v_pk_add_f32 v[38:39], -2.0, v[18:19] op_sel_hi:[0,1]
	v_cndmask_b32_e32 v25, v10, v15, vcc
	v_cmp_nlt_f32_e32 vcc, s15, v30
	v_pk_fma_f32 v[20:21], v[20:21], v[6:7], v[30:31] neg_lo:[0,0,1] neg_hi:[0,0,1]
	v_pk_mul_f32 v[38:39], v[38:39], v[32:33]
	v_cndmask_b32_e32 v24, v10, v24, vcc
	v_ldexp_f32 v28, v46, v48
	v_cmp_ngt_f32_e32 vcc, s13, v37
	v_pk_fma_f32 v[20:21], v[24:25], v[20:21], v[24:25]
	v_pk_add_f32 v[24:25], v[38:39], 1.0 op_sel_hi:[1,0]
	v_ldexp_f32 v29, v49, v53
	v_cndmask_b32_e32 v15, 0, v28, vcc
	v_cmp_ngt_f32_e32 vcc, s13, v36
	v_pk_fma_f32 v[24:25], -2.0, v[24:25], v[18:19] op_sel_hi:[0,1,1]
	v_pk_add_f32 v[34:35], v[18:19], v[18:19]
	v_cndmask_b32_e32 v28, 0, v29, vcc
	v_cmp_nlt_f32_e32 vcc, s15, v37
	v_pk_fma_f32 v[18:19], v[38:39], v[18:19], v[24:25] neg_lo:[1,0,0] neg_hi:[1,0,0]
	v_cndmask_b32_e32 v29, v10, v15, vcc
	v_cmp_nlt_f32_e32 vcc, s15, v36
	v_pk_fma_f32 v[18:19], v[32:33], v[18:19], v[38:39]
	v_pk_fma_f32 v[22:23], v[22:23], v[8:9], v[36:37] neg_lo:[0,0,1] neg_hi:[0,0,1]
	v_cndmask_b32_e32 v28, v10, v28, vcc
	v_pk_fma_f32 v[24:25], v[18:19], s[4:5], v[0:1] op_sel_hi:[1,0,0]
	v_pk_fma_f32 v[22:23], v[28:29], v[22:23], v[28:29]
	v_pk_fma_f32 v[28:29], v[16:17], s[4:5], v[0:1] op_sel_hi:[1,0,0]
	v_pk_fma_f32 v[24:25], v[18:19], v[24:25], s[6:7] op_sel_hi:[1,1,0]
	;; [unrolled: 1-line block ×6, first 2 shown]
	v_add_f32_e32 v42, 1.0, v34
	v_pk_fma_f32 v[28:29], v[16:17], v[28:29], s[12:13] op_sel_hi:[1,1,0]
	v_pk_fma_f32 v[24:25], v[18:19], v[24:25], s[14:15] op_sel_hi:[1,1,0]
	v_add_f32_e32 v15, 1.0, v35
	v_rcp_f32_e32 v42, v42
	v_pk_fma_f32 v[28:29], v[16:17], v[28:29], s[14:15] op_sel_hi:[1,1,0]
	v_pk_fma_f32 v[24:25], v[18:19], v[24:25], s[16:17] op_sel_hi:[1,1,0]
	v_rcp_f32_e32 v43, v15
	v_add_f32_e32 v40, 1.0, v26
	v_add_f32_e32 v41, 1.0, v27
	v_pk_fma_f32 v[28:29], v[16:17], v[28:29], s[16:17] op_sel_hi:[1,1,0]
	v_pk_fma_f32 v[24:25], v[18:19], v[24:25], s[18:19] op_sel_hi:[1,1,0]
	v_rcp_f32_e32 v40, v40
	v_rcp_f32_e32 v41, v41
	v_pk_fma_f32 v[28:29], v[16:17], v[28:29], s[18:19] op_sel_hi:[1,1,0]
	v_pk_fma_f32 v[24:25], v[18:19], v[24:25], s[20:21] op_sel_hi:[1,1,0]
	;; [unrolled: 1-line block ×5, first 2 shown]
	v_pk_fma_f32 v[28:29], v[18:19], v[42:43], v[42:43]
	v_pk_fma_f32 v[30:31], v[28:29], v[34:35], 1.0 op_sel_hi:[1,1,0] neg_lo:[1,0,0] neg_hi:[1,0,0]
	v_sub_f32_e32 v19, v19, v29
	v_sub_f32_e32 v18, v18, v28
	v_pk_fma_f32 v[24:25], v[16:17], v[40:41], v[40:41]
	v_pk_add_f32 v[18:19], v[30:31], v[18:19]
	v_pk_fma_f32 v[26:27], v[24:25], v[26:27], 1.0 op_sel_hi:[1,1,0] neg_lo:[1,0,0] neg_hi:[1,0,0]
	v_sub_f32_e32 v17, v17, v25
	v_sub_f32_e32 v16, v16, v24
	v_pk_fma_f32 v[18:19], v[42:43], v[18:19], v[28:29]
	v_pk_add_f32 v[16:17], v[26:27], v[16:17]
	v_pk_mul_f32 v[18:19], v[22:23], v[18:19]
	v_cmp_ngt_f32_e64 vcc, |v9|, s17
	v_pk_fma_f32 v[16:17], v[40:41], v[16:17], v[24:25]
	v_cndmask_b32_e32 v15, 0, v19, vcc
	v_cmp_ngt_f32_e64 vcc, |v8|, s17
	v_pk_mul_f32 v[16:17], v[20:21], v[16:17]
	v_cndmask_b32_e32 v18, 0, v18, vcc
	v_cmp_ngt_f32_e64 vcc, |v7|, s17
	v_cndmask_b32_e32 v17, 0, v17, vcc
	v_cmp_ngt_f32_e64 vcc, |v6|, s17
	v_cndmask_b32_e32 v16, 0, v16, vcc
	v_sub_f32_e32 v22, 2.0, v15
	v_cmp_gt_f32_e32 vcc, 0, v9
	v_sub_f32_e32 v21, 2.0, v18
	v_cndmask_b32_e32 v9, v15, v22, vcc
	v_cmp_gt_f32_e32 vcc, 0, v8
	v_sub_f32_e32 v20, 2.0, v17
	v_cndmask_b32_e32 v8, v18, v21, vcc
	;; [unrolled: 3-line block ×3, first 2 shown]
	v_cmp_gt_f32_e32 vcc, 0, v6
	v_cndmask_b32_e32 v6, v16, v19, vcc
	v_bfe_u32 v17, v8, 16, 1
	v_bfe_u32 v15, v6, 16, 1
	v_add3_u32 v17, v8, v17, s19
	v_add3_u32 v15, v6, v15, s19
	v_bfe_u32 v18, v9, 16, 1
	v_lshrrev_b32_e32 v17, 16, v17
	v_cmp_o_f32_e32 vcc, v8, v8
	v_lshrrev_b32_e32 v15, 16, v15
	v_bfe_u32 v16, v7, 16, 1
	v_add3_u32 v18, v9, v18, s19
	v_cndmask_b32_e32 v8, v11, v17, vcc
	v_cmp_o_f32_e32 vcc, v6, v6
	v_add3_u32 v16, v7, v16, s19
	v_and_b32_e32 v18, 0xffff0000, v18
	v_cndmask_b32_e32 v6, v11, v15, vcc
	v_cmp_o_f32_e32 vcc, v9, v9
	v_and_b32_e32 v16, 0xffff0000, v16
	v_cndmask_b32_e32 v9, v12, v18, vcc
	v_cmp_o_f32_e32 vcc, v7, v7
	v_cndmask_b32_e32 v15, v12, v16, vcc
	v_or3_b32 v7, 0, v8, v9
	v_or3_b32 v6, v6, 0, v15
	v_cmp_le_i64_e32 vcc, s[10:11], v[2:3]
	global_store_dwordx2 v[4:5], v[6:7], off
	s_or_b64 s[0:1], vcc, s[0:1]
	v_add_co_u32_e32 v4, vcc, s5, v4
	v_addc_co_u32_e32 v5, vcc, v5, v13, vcc
	s_and_b64 s[0:1], exec, s[0:1]
	v_add_co_u32_e32 v2, vcc, s7, v2
	s_or_b64 s[2:3], s[0:1], s[2:3]
	v_addc_co_u32_e32 v3, vcc, v3, v14, vcc
	s_andn2_b64 exec, exec, s[2:3]
	s_cbranch_execnz .LBB7_24
.LBB7_25:
	s_endpgm
	.section	.rodata,"a",@progbits
	.p2align	6, 0x0
	.amdhsa_kernel _ZN2at6native12_GLOBAL__N_125multi_tensor_apply_kernelINS1_18TensorListMetadataILi1EEENS1_14UnaryOpFunctorIN3c108BFloat16ELi1ELi1ELi0EEEJNS0_4ErfcIfEEEEEvT_T0_DpT1_
		.amdhsa_group_segment_fixed_size 0
		.amdhsa_private_segment_fixed_size 0
		.amdhsa_kernarg_size 3632
		.amdhsa_user_sgpr_count 6
		.amdhsa_user_sgpr_private_segment_buffer 1
		.amdhsa_user_sgpr_dispatch_ptr 0
		.amdhsa_user_sgpr_queue_ptr 0
		.amdhsa_user_sgpr_kernarg_segment_ptr 1
		.amdhsa_user_sgpr_dispatch_id 0
		.amdhsa_user_sgpr_flat_scratch_init 0
		.amdhsa_user_sgpr_kernarg_preload_length 0
		.amdhsa_user_sgpr_kernarg_preload_offset 0
		.amdhsa_user_sgpr_private_segment_size 0
		.amdhsa_uses_dynamic_stack 0
		.amdhsa_system_sgpr_private_segment_wavefront_offset 0
		.amdhsa_system_sgpr_workgroup_id_x 1
		.amdhsa_system_sgpr_workgroup_id_y 0
		.amdhsa_system_sgpr_workgroup_id_z 0
		.amdhsa_system_sgpr_workgroup_info 0
		.amdhsa_system_vgpr_workitem_id 0
		.amdhsa_next_free_vgpr 54
		.amdhsa_next_free_sgpr 34
		.amdhsa_accum_offset 56
		.amdhsa_reserve_vcc 1
		.amdhsa_reserve_flat_scratch 0
		.amdhsa_float_round_mode_32 0
		.amdhsa_float_round_mode_16_64 0
		.amdhsa_float_denorm_mode_32 3
		.amdhsa_float_denorm_mode_16_64 3
		.amdhsa_dx10_clamp 1
		.amdhsa_ieee_mode 1
		.amdhsa_fp16_overflow 0
		.amdhsa_tg_split 0
		.amdhsa_exception_fp_ieee_invalid_op 0
		.amdhsa_exception_fp_denorm_src 0
		.amdhsa_exception_fp_ieee_div_zero 0
		.amdhsa_exception_fp_ieee_overflow 0
		.amdhsa_exception_fp_ieee_underflow 0
		.amdhsa_exception_fp_ieee_inexact 0
		.amdhsa_exception_int_div_zero 0
	.end_amdhsa_kernel
	.section	.text._ZN2at6native12_GLOBAL__N_125multi_tensor_apply_kernelINS1_18TensorListMetadataILi1EEENS1_14UnaryOpFunctorIN3c108BFloat16ELi1ELi1ELi0EEEJNS0_4ErfcIfEEEEEvT_T0_DpT1_,"axG",@progbits,_ZN2at6native12_GLOBAL__N_125multi_tensor_apply_kernelINS1_18TensorListMetadataILi1EEENS1_14UnaryOpFunctorIN3c108BFloat16ELi1ELi1ELi0EEEJNS0_4ErfcIfEEEEEvT_T0_DpT1_,comdat
.Lfunc_end7:
	.size	_ZN2at6native12_GLOBAL__N_125multi_tensor_apply_kernelINS1_18TensorListMetadataILi1EEENS1_14UnaryOpFunctorIN3c108BFloat16ELi1ELi1ELi0EEEJNS0_4ErfcIfEEEEEvT_T0_DpT1_, .Lfunc_end7-_ZN2at6native12_GLOBAL__N_125multi_tensor_apply_kernelINS1_18TensorListMetadataILi1EEENS1_14UnaryOpFunctorIN3c108BFloat16ELi1ELi1ELi0EEEJNS0_4ErfcIfEEEEEvT_T0_DpT1_
                                        ; -- End function
	.section	.AMDGPU.csdata,"",@progbits
; Kernel info:
; codeLenInByte = 3708
; NumSgprs: 38
; NumVgprs: 54
; NumAgprs: 0
; TotalNumVgprs: 54
; ScratchSize: 0
; MemoryBound: 0
; FloatMode: 240
; IeeeMode: 1
; LDSByteSize: 0 bytes/workgroup (compile time only)
; SGPRBlocks: 4
; VGPRBlocks: 6
; NumSGPRsForWavesPerEU: 38
; NumVGPRsForWavesPerEU: 54
; AccumOffset: 56
; Occupancy: 8
; WaveLimiterHint : 0
; COMPUTE_PGM_RSRC2:SCRATCH_EN: 0
; COMPUTE_PGM_RSRC2:USER_SGPR: 6
; COMPUTE_PGM_RSRC2:TRAP_HANDLER: 0
; COMPUTE_PGM_RSRC2:TGID_X_EN: 1
; COMPUTE_PGM_RSRC2:TGID_Y_EN: 0
; COMPUTE_PGM_RSRC2:TGID_Z_EN: 0
; COMPUTE_PGM_RSRC2:TIDIG_COMP_CNT: 0
; COMPUTE_PGM_RSRC3_GFX90A:ACCUM_OFFSET: 13
; COMPUTE_PGM_RSRC3_GFX90A:TG_SPLIT: 0
	.section	.text._ZN2at6native12_GLOBAL__N_125multi_tensor_apply_kernelINS1_18TensorListMetadataILi2EEENS1_14UnaryOpFunctorIdLi2ELi1ELi1EEEJNS0_6LgammaIdEEEEEvT_T0_DpT1_,"axG",@progbits,_ZN2at6native12_GLOBAL__N_125multi_tensor_apply_kernelINS1_18TensorListMetadataILi2EEENS1_14UnaryOpFunctorIdLi2ELi1ELi1EEEJNS0_6LgammaIdEEEEEvT_T0_DpT1_,comdat
	.globl	_ZN2at6native12_GLOBAL__N_125multi_tensor_apply_kernelINS1_18TensorListMetadataILi2EEENS1_14UnaryOpFunctorIdLi2ELi1ELi1EEEJNS0_6LgammaIdEEEEEvT_T0_DpT1_ ; -- Begin function _ZN2at6native12_GLOBAL__N_125multi_tensor_apply_kernelINS1_18TensorListMetadataILi2EEENS1_14UnaryOpFunctorIdLi2ELi1ELi1EEEJNS0_6LgammaIdEEEEEvT_T0_DpT1_
	.p2align	8
	.type	_ZN2at6native12_GLOBAL__N_125multi_tensor_apply_kernelINS1_18TensorListMetadataILi2EEENS1_14UnaryOpFunctorIdLi2ELi1ELi1EEEJNS0_6LgammaIdEEEEEvT_T0_DpT1_,@function
_ZN2at6native12_GLOBAL__N_125multi_tensor_apply_kernelINS1_18TensorListMetadataILi2EEENS1_14UnaryOpFunctorIdLi2ELi1ELi1EEEJNS0_6LgammaIdEEEEEvT_T0_DpT1_: ; @_ZN2at6native12_GLOBAL__N_125multi_tensor_apply_kernelINS1_18TensorListMetadataILi2EEENS1_14UnaryOpFunctorIdLi2ELi1ELi1EEEJNS0_6LgammaIdEEEEEvT_T0_DpT1_
; %bb.0:
	v_mov_b32_e32 v1, s6
	global_load_ubyte v1, v1, s[4:5] offset:1536
	s_add_u32 s0, s4, s6
	s_mul_hi_u32 s3, s6, 3
	s_mul_i32 s6, s6, 3
	s_addc_u32 s7, s5, 0
	s_add_u32 s2, s0, s6
	s_addc_u32 s3, s7, s3
	s_load_dword s16, s[2:3], 0x740
	s_mov_b32 s1, 0
	s_mov_b32 s15, s1
	;; [unrolled: 1-line block ×3, first 2 shown]
	s_waitcnt lgkmcnt(0)
	s_ashr_i32 s17, s16, 31
	s_lshl_b64 s[10:11], s[16:17], 19
	s_waitcnt vmcnt(0)
	v_readfirstlane_b32 s0, v1
	s_lshl_b32 s0, s0, 3
	s_load_dwordx2 s[8:9], s[4:5], s0 offset:0x0
	s_load_dwordx2 s[18:19], s[4:5], s0 offset:0x400
	;; [unrolled: 1-line block ×3, first 2 shown]
	s_waitcnt lgkmcnt(0)
	s_add_u32 s33, s8, s10
	s_addc_u32 s2, s9, s11
	s_and_b32 s0, s33, 31
	s_add_u32 s86, s6, s10
	s_addc_u32 s87, s7, s11
	s_and_b32 s14, s18, 3
	s_and_b32 s12, s86, 31
	s_or_b64 s[0:1], s[0:1], s[14:15]
	s_or_b64 s[0:1], s[12:13], s[0:1]
	s_lshl_b64 s[12:13], s[16:17], 16
	s_sub_u32 s12, s18, s12
	s_subb_u32 s13, s19, s13
	s_cmp_eq_u64 s[0:1], 0
	s_mov_b64 s[0:1], -1
	s_cbranch_scc0 .LBB8_141
; %bb.1:
	v_mov_b32_e32 v10, 0
	v_lshlrev_b32_e32 v2, 2, v0
	v_mov_b32_e32 v3, v10
	v_cmp_gt_i64_e32 vcc, s[12:13], v[2:3]
	s_and_saveexec_b64 s[14:15], vcc
	s_cbranch_execz .LBB8_140
; %bb.2:
	v_mov_b32_e32 v1, v10
	s_add_u32 s16, s4, 0xc50
	s_mov_b32 s20, 0x55555555
	s_mov_b32 s22, 0xbf559e2b
	;; [unrolled: 1-line block ×26, first 2 shown]
	s_addc_u32 s17, s5, 0
	s_mov_b64 s[18:19], 0
	v_mov_b32_e32 v168, s2
	s_mov_b32 s88, 0x3f6fffff
	s_brev_b32 s89, -4
	s_mov_b32 s90, 0x401fffff
	s_mov_b32 s91, 0x438fffff
	;; [unrolled: 1-line block ×6, first 2 shown]
	s_movk_i32 s92, 0x204
	s_mov_b32 s31, 0x3f00bfec
	s_mov_b32 s35, 0x3edebaf7
	;; [unrolled: 1-line block ×28, first 2 shown]
	s_movk_i32 s51, 0x1f8
	v_mov_b32_e32 v169, 0x264
	s_mov_b32 s52, 0x432fffff
	s_mov_b64 s[80:81], 0xffff
	v_mov_b32_e32 v170, 0x3ff00000
	v_mov_b32_e32 v12, 0x6b47b09a
	;; [unrolled: 1-line block ×133, first 2 shown]
	v_pk_mov_b32 v[142:143], v[0:1], v[0:1] op_sel:[0,1]
	s_branch .LBB8_5
.LBB8_3:                                ;   in Loop: Header=BB8_5 Depth=1
	s_or_b64 exec, exec, s[2:3]
.LBB8_4:                                ;   in Loop: Header=BB8_5 Depth=1
	s_or_b64 exec, exec, s[0:1]
	v_cmp_gt_f64_e64 s[0:1], 0, v[2:3]
	v_cmp_lt_u32_e64 s[2:3], s52, v155
	v_cmp_class_f64_e32 vcc, v[2:3], v169
	s_and_b64 s[0:1], s[0:1], s[2:3]
	s_or_b64 vcc, vcc, s[0:1]
	v_cndmask_b32_e64 v1, v156, 0, vcc
	v_cndmask_b32_e32 v11, v157, v173, vcc
	v_cmp_u_f64_e32 vcc, v[2:3], v[2:3]
	v_cmp_gt_f64_e64 s[0:1], 0, v[8:9]
	v_cmp_lt_u32_e64 s[2:3], s52, v151
	v_cndmask_b32_e32 v3, v11, v3, vcc
	v_cndmask_b32_e32 v2, v1, v2, vcc
	v_cmp_class_f64_e32 vcc, v[8:9], v169
	s_and_b64 s[0:1], s[0:1], s[2:3]
	s_or_b64 vcc, vcc, s[0:1]
	v_cndmask_b32_e64 v1, v152, 0, vcc
	v_cndmask_b32_e32 v11, v153, v173, vcc
	v_cmp_u_f64_e32 vcc, v[8:9], v[8:9]
	v_cmp_gt_f64_e64 s[0:1], 0, v[6:7]
	v_cmp_lt_u32_e64 s[2:3], s52, v147
	v_cndmask_b32_e32 v9, v11, v9, vcc
	v_cndmask_b32_e32 v8, v1, v8, vcc
	;; [unrolled: 10-line block ×3, first 2 shown]
	v_cmp_class_f64_e32 vcc, v[4:5], v169
	s_and_b64 s[0:1], s[0:1], s[2:3]
	s_or_b64 vcc, vcc, s[0:1]
	v_cndmask_b32_e64 v1, v160, 0, vcc
	v_cndmask_b32_e32 v11, v161, v173, vcc
	v_cmp_u_f64_e32 vcc, v[4:5], v[4:5]
	v_cndmask_b32_e32 v5, v11, v5, vcc
	v_cndmask_b32_e32 v4, v1, v4, vcc
	v_mov_b32_e32 v1, s87
	v_add_co_u32_e32 v144, vcc, s86, v144
	v_addc_co_u32_e32 v145, vcc, v1, v145, vcc
	global_store_dwordx4 v[144:145], v[6:9], off
	global_store_dwordx4 v[144:145], v[2:5], off offset:16
	s_load_dword s0, s[16:17], 0xc
	s_waitcnt lgkmcnt(0)
	s_and_b32 s0, s0, 0xffff
	v_add_co_u32_e32 v142, vcc, s0, v142
	v_addc_co_u32_e32 v143, vcc, 0, v143, vcc
	v_lshlrev_b64 v[2:3], 2, v[142:143]
	v_cmp_le_i64_e32 vcc, s[12:13], v[2:3]
	v_cmp_lt_u64_e64 s[0:1], s[80:81], v[2:3]
	s_or_b64 s[0:1], vcc, s[0:1]
	s_and_b64 s[0:1], exec, s[0:1]
	s_or_b64 s[18:19], s[0:1], s[18:19]
	s_andn2_b64 exec, exec, s[18:19]
	s_cbranch_execz .LBB8_140
.LBB8_5:                                ; =>This Inner Loop Header: Depth=1
	v_lshlrev_b64 v[144:145], 5, v[142:143]
	v_add_co_u32_e32 v2, vcc, s33, v144
	v_addc_co_u32_e32 v3, vcc, v168, v145, vcc
	global_load_dwordx4 v[6:9], v[2:3], off
	s_nop 0
	global_load_dwordx4 v[2:5], v[2:3], off offset:16
                                        ; implicit-def: $vgpr148_vgpr149
	s_waitcnt vmcnt(1)
	v_and_b32_e32 v147, 0x7fffffff, v7
	v_mov_b32_e32 v146, v6
	v_cmp_lt_u32_e32 vcc, s88, v147
	s_and_saveexec_b64 s[0:1], vcc
	s_xor_b64 s[0:1], exec, s[0:1]
	s_cbranch_execz .LBB8_31
; %bb.6:                                ;   in Loop: Header=BB8_5 Depth=1
	v_cmp_lt_u32_e32 vcc, s89, v147
                                        ; implicit-def: $vgpr148_vgpr149
	s_and_saveexec_b64 s[2:3], vcc
	s_xor_b64 s[2:3], exec, s[2:3]
	s_cbranch_execz .LBB8_16
; %bb.7:                                ;   in Loop: Header=BB8_5 Depth=1
	v_cmp_lt_u32_e32 vcc, s90, v147
                                        ; implicit-def: $vgpr148_vgpr149
	;; [unrolled: 6-line block ×3, first 2 shown]
	s_and_saveexec_b64 s[84:85], vcc
	s_xor_b64 s[84:85], exec, s[84:85]
	s_cbranch_execz .LBB8_10
; %bb.9:                                ;   in Loop: Header=BB8_5 Depth=1
	v_frexp_mant_f64_e64 v[148:149], |v[6:7]|
	v_cmp_gt_f64_e32 vcc, s[20:21], v[148:149]
	v_cndmask_b32_e64 v11, v170, 2.0, vcc
	v_mul_f64 v[148:149], v[148:149], v[10:11]
	v_add_f64 v[150:151], v[148:149], 1.0
	v_rcp_f64_e32 v[152:153], v[150:151]
	v_add_f64 v[156:157], v[150:151], -1.0
	v_add_f64 v[154:155], v[148:149], -1.0
	v_add_f64 v[148:149], v[148:149], -v[156:157]
	v_fma_f64 v[156:157], -v[150:151], v[152:153], 1.0
	v_fmac_f64_e32 v[152:153], v[156:157], v[152:153]
	v_fma_f64 v[156:157], -v[150:151], v[152:153], 1.0
	v_fmac_f64_e32 v[152:153], v[156:157], v[152:153]
	v_mul_f64 v[156:157], v[154:155], v[152:153]
	v_mul_f64 v[158:159], v[150:151], v[156:157]
	v_fma_f64 v[150:151], v[156:157], v[150:151], -v[158:159]
	v_fmac_f64_e32 v[150:151], v[156:157], v[148:149]
	v_add_f64 v[148:149], v[158:159], v[150:151]
	v_add_f64 v[160:161], v[154:155], -v[148:149]
	v_add_f64 v[158:159], v[148:149], -v[158:159]
	;; [unrolled: 1-line block ×5, first 2 shown]
	v_add_f64 v[148:149], v[150:151], v[148:149]
	v_add_f64 v[148:149], v[160:161], v[148:149]
	v_mul_f64 v[148:149], v[152:153], v[148:149]
	v_add_f64 v[150:151], v[156:157], v[148:149]
	v_add_f64 v[152:153], v[150:151], -v[156:157]
	v_add_f64 v[148:149], v[148:149], -v[152:153]
	v_mul_f64 v[152:153], v[150:151], v[150:151]
	v_pk_mov_b32 v[154:155], v[12:13], v[12:13] op_sel:[0,1]
	v_fmac_f64_e32 v[154:155], s[22:23], v[152:153]
	v_pk_mov_b32 v[156:157], v[14:15], v[14:15] op_sel:[0,1]
	v_fmac_f64_e32 v[156:157], v[152:153], v[154:155]
	;; [unrolled: 2-line block ×6, first 2 shown]
	v_ldexp_f64 v[154:155], v[150:151], 1
	v_mul_f64 v[150:151], v[150:151], v[152:153]
	v_mul_f64 v[150:151], v[150:151], v[156:157]
	v_add_f64 v[152:153], v[154:155], v[150:151]
	v_add_f64 v[154:155], v[152:153], -v[154:155]
	v_ldexp_f64 v[148:149], v[148:149], 1
	v_add_f64 v[150:151], v[150:151], -v[154:155]
	v_add_f64 v[148:149], v[148:149], v[150:151]
	v_frexp_exp_i32_f64_e32 v48, v[6:7]
	v_add_f64 v[150:151], v[152:153], v[148:149]
	v_subbrev_co_u32_e32 v11, vcc, 0, v48, vcc
	v_add_f64 v[152:153], v[150:151], -v[152:153]
	v_add_f64 v[148:149], v[148:149], -v[152:153]
	v_cvt_f64_i32_e32 v[152:153], v11
	v_mul_f64 v[154:155], v[152:153], s[24:25]
	v_fma_f64 v[156:157], v[152:153], s[24:25], -v[154:155]
	v_fmac_f64_e32 v[156:157], s[26:27], v[152:153]
	v_add_f64 v[152:153], v[154:155], v[156:157]
	v_add_f64 v[154:155], v[152:153], -v[154:155]
	v_add_f64 v[154:155], v[156:157], -v[154:155]
	v_add_f64 v[156:157], v[152:153], v[150:151]
	v_add_f64 v[158:159], v[156:157], -v[152:153]
	v_add_f64 v[160:161], v[156:157], -v[158:159]
	;; [unrolled: 1-line block ×4, first 2 shown]
	v_add_f64 v[150:151], v[150:151], v[152:153]
	v_add_f64 v[152:153], v[154:155], v[148:149]
	v_add_f64 v[158:159], v[152:153], -v[154:155]
	v_add_f64 v[160:161], v[152:153], -v[158:159]
	v_add_f64 v[150:151], v[152:153], v[150:151]
	v_add_f64 v[154:155], v[154:155], -v[160:161]
	v_add_f64 v[148:149], v[148:149], -v[158:159]
	v_add_f64 v[152:153], v[156:157], v[150:151]
	v_add_f64 v[148:149], v[148:149], v[154:155]
	v_add_f64 v[154:155], v[152:153], -v[156:157]
	v_add_f64 v[150:151], v[150:151], -v[154:155]
	v_add_f64 v[148:149], v[148:149], v[150:151]
	v_and_b32_e32 v1, 0x7fffffff, v7
	v_add_f64 v[148:149], v[152:153], v[148:149]
	v_cmp_class_f64_e64 vcc, v[6:7], s92
	v_cndmask_b32_e32 v11, v148, v6, vcc
	v_cndmask_b32_e32 v1, v149, v1, vcc
	v_cmp_neq_f64_e32 vcc, 0, v[6:7]
	v_cndmask_b32_e32 v149, v171, v1, vcc
	v_cndmask_b32_e32 v148, 0, v11, vcc
	v_fma_f64 v[148:149], |v[6:7]|, v[148:149], -|v[6:7]|
.LBB8_10:                               ;   in Loop: Header=BB8_5 Depth=1
	s_andn2_saveexec_b64 s[84:85], s[84:85]
	s_cbranch_execz .LBB8_12
; %bb.11:                               ;   in Loop: Header=BB8_5 Depth=1
	v_and_b32_e32 v151, 0x7fffffff, v7
	v_mov_b32_e32 v150, v6
	v_div_scale_f64 v[148:149], vcc, v[150:151], v[150:151], 1.0
	v_rcp_f64_e32 v[152:153], v[148:149]
	v_frexp_exp_i32_f64_e32 v1, v[6:7]
	v_fma_f64 v[154:155], -v[148:149], v[152:153], 1.0
	v_fmac_f64_e32 v[152:153], v[152:153], v[154:155]
	v_fma_f64 v[154:155], -v[148:149], v[152:153], 1.0
	v_fmac_f64_e32 v[152:153], v[152:153], v[154:155]
	v_div_scale_f64 v[154:155], vcc, 1.0, v[150:151], 1.0
	v_mul_f64 v[156:157], v[154:155], v[152:153]
	v_fma_f64 v[148:149], -v[148:149], v[156:157], v[154:155]
	v_pk_mov_b32 v[154:155], v[24:25], v[24:25] op_sel:[0,1]
	s_nop 0
	v_div_fmas_f64 v[148:149], v[148:149], v[152:153], v[156:157]
	v_div_fixup_f64 v[152:153], v[148:149], |v[6:7]|, 1.0
	s_mov_b32 vcc_lo, 0xb9e43e4
	v_mul_f64 v[148:149], v[152:153], v[152:153]
	s_mov_b32 vcc_hi, 0xbf5ab89d
	v_fmac_f64_e32 v[154:155], vcc, v[148:149]
	v_pk_mov_b32 v[156:157], v[26:27], v[26:27] op_sel:[0,1]
	v_fmac_f64_e32 v[156:157], v[148:149], v[154:155]
	v_pk_mov_b32 v[154:155], v[28:29], v[28:29] op_sel:[0,1]
	v_fmac_f64_e32 v[154:155], v[148:149], v[156:157]
	;; [unrolled: 2-line block ×5, first 2 shown]
	v_frexp_mant_f64_e64 v[154:155], |v[6:7]|
	v_cmp_gt_f64_e32 vcc, s[20:21], v[154:155]
	v_cndmask_b32_e64 v11, v170, 2.0, vcc
	v_mul_f64 v[154:155], v[154:155], v[10:11]
	v_add_f64 v[156:157], v[154:155], 1.0
	v_rcp_f64_e32 v[158:159], v[156:157]
	v_add_f64 v[162:163], v[156:157], -1.0
	v_add_f64 v[160:161], v[154:155], -1.0
	v_add_f64 v[154:155], v[154:155], -v[162:163]
	v_fma_f64 v[162:163], -v[156:157], v[158:159], 1.0
	v_fmac_f64_e32 v[158:159], v[162:163], v[158:159]
	v_fma_f64 v[162:163], -v[156:157], v[158:159], 1.0
	v_fmac_f64_e32 v[158:159], v[162:163], v[158:159]
	v_mul_f64 v[162:163], v[160:161], v[158:159]
	v_mul_f64 v[164:165], v[156:157], v[162:163]
	v_fma_f64 v[156:157], v[162:163], v[156:157], -v[164:165]
	v_fmac_f64_e32 v[156:157], v[162:163], v[154:155]
	v_add_f64 v[154:155], v[164:165], v[156:157]
	v_add_f64 v[166:167], v[160:161], -v[154:155]
	v_add_f64 v[164:165], v[154:155], -v[164:165]
	;; [unrolled: 1-line block ×5, first 2 shown]
	v_add_f64 v[154:155], v[156:157], v[154:155]
	v_add_f64 v[154:155], v[166:167], v[154:155]
	v_mul_f64 v[154:155], v[158:159], v[154:155]
	v_add_f64 v[156:157], v[162:163], v[154:155]
	v_add_f64 v[158:159], v[156:157], -v[162:163]
	v_add_f64 v[154:155], v[154:155], -v[158:159]
	v_mul_f64 v[158:159], v[156:157], v[156:157]
	v_pk_mov_b32 v[160:161], v[12:13], v[12:13] op_sel:[0,1]
	v_fmac_f64_e32 v[160:161], s[22:23], v[158:159]
	v_pk_mov_b32 v[162:163], v[14:15], v[14:15] op_sel:[0,1]
	v_fmac_f64_e32 v[162:163], v[158:159], v[160:161]
	v_pk_mov_b32 v[160:161], v[16:17], v[16:17] op_sel:[0,1]
	v_fmac_f64_e32 v[160:161], v[158:159], v[162:163]
	v_pk_mov_b32 v[162:163], v[18:19], v[18:19] op_sel:[0,1]
	v_fmac_f64_e32 v[162:163], v[158:159], v[160:161]
	v_pk_mov_b32 v[160:161], v[20:21], v[20:21] op_sel:[0,1]
	v_fmac_f64_e32 v[160:161], v[158:159], v[162:163]
	v_pk_mov_b32 v[162:163], v[22:23], v[22:23] op_sel:[0,1]
	v_fmac_f64_e32 v[162:163], v[158:159], v[160:161]
	v_ldexp_f64 v[160:161], v[156:157], 1
	v_mul_f64 v[156:157], v[156:157], v[158:159]
	v_mul_f64 v[156:157], v[156:157], v[162:163]
	v_add_f64 v[158:159], v[160:161], v[156:157]
	v_add_f64 v[160:161], v[158:159], -v[160:161]
	v_ldexp_f64 v[154:155], v[154:155], 1
	v_add_f64 v[156:157], v[156:157], -v[160:161]
	v_add_f64 v[154:155], v[154:155], v[156:157]
	v_add_f64 v[156:157], v[158:159], v[154:155]
	v_subbrev_co_u32_e32 v1, vcc, 0, v1, vcc
	v_add_f64 v[158:159], v[156:157], -v[158:159]
	v_add_f64 v[154:155], v[154:155], -v[158:159]
	v_cvt_f64_i32_e32 v[158:159], v1
	v_mul_f64 v[160:161], v[158:159], s[24:25]
	v_fma_f64 v[162:163], v[158:159], s[24:25], -v[160:161]
	v_fmac_f64_e32 v[162:163], s[26:27], v[158:159]
	v_add_f64 v[158:159], v[160:161], v[162:163]
	v_add_f64 v[160:161], v[158:159], -v[160:161]
	v_add_f64 v[160:161], v[162:163], -v[160:161]
	v_add_f64 v[162:163], v[158:159], v[156:157]
	v_add_f64 v[164:165], v[162:163], -v[158:159]
	v_add_f64 v[166:167], v[162:163], -v[164:165]
	v_add_f64 v[158:159], v[158:159], -v[166:167]
	v_add_f64 v[156:157], v[156:157], -v[164:165]
	v_add_f64 v[156:157], v[156:157], v[158:159]
	v_add_f64 v[158:159], v[160:161], v[154:155]
	v_add_f64 v[164:165], v[158:159], -v[160:161]
	v_add_f64 v[166:167], v[158:159], -v[164:165]
	v_add_f64 v[156:157], v[158:159], v[156:157]
	v_add_f64 v[160:161], v[160:161], -v[166:167]
	v_add_f64 v[154:155], v[154:155], -v[164:165]
	v_add_f64 v[158:159], v[162:163], v[156:157]
	v_add_f64 v[154:155], v[154:155], v[160:161]
	v_add_f64 v[160:161], v[158:159], -v[162:163]
	v_add_f64 v[156:157], v[156:157], -v[160:161]
	v_add_f64 v[154:155], v[154:155], v[156:157]
	v_add_f64 v[154:155], v[158:159], v[154:155]
	v_cmp_class_f64_e64 vcc, v[6:7], s92
	v_cndmask_b32_e32 v151, v155, v151, vcc
	v_cndmask_b32_e32 v150, v154, v150, vcc
	v_add_f64 v[150:151], v[150:151], -1.0
	v_cmp_neq_f64_e32 vcc, 0, v[6:7]
	v_add_f64 v[152:153], |v[6:7]|, -0.5
	v_cndmask_b32_e32 v151, v171, v151, vcc
	v_cndmask_b32_e32 v150, 0, v150, vcc
	v_fmac_f64_e32 v[148:149], v[152:153], v[150:151]
.LBB8_12:                               ;   in Loop: Header=BB8_5 Depth=1
	s_or_b64 exec, exec, s[84:85]
.LBB8_13:                               ;   in Loop: Header=BB8_5 Depth=1
	s_andn2_saveexec_b64 s[82:83], s[82:83]
	s_cbranch_execz .LBB8_15
; %bb.14:                               ;   in Loop: Header=BB8_5 Depth=1
	v_cvt_i32_f64_e32 v1, v[146:147]
	v_cvt_f64_i32_e32 v[148:149], v1
	v_add_f64 v[148:149], |v[6:7]|, -v[148:149]
	v_pk_mov_b32 v[150:151], v[36:37], v[36:37] op_sel:[0,1]
	v_fmac_f64_e32 v[150:151], s[30:31], v[148:149]
	v_pk_mov_b32 v[152:153], v[38:39], v[38:39] op_sel:[0,1]
	v_fmac_f64_e32 v[152:153], v[148:149], v[150:151]
	;; [unrolled: 2-line block ×4, first 2 shown]
	v_pk_mov_b32 v[150:151], v[44:45], v[44:45] op_sel:[0,1]
	v_mov_b32_e32 v48, v46
	v_fmac_f64_e32 v[150:151], v[148:149], v[152:153]
	v_pk_mov_b32 v[152:153], v[48:49], v[48:49] op_sel:[0,1]
	v_fmac_f64_e32 v[152:153], v[148:149], v[150:151]
	v_mul_f64 v[150:151], v[148:149], v[152:153]
	v_pk_mov_b32 v[152:153], v[50:51], v[50:51] op_sel:[0,1]
	v_fmac_f64_e32 v[152:153], s[34:35], v[148:149]
	v_pk_mov_b32 v[154:155], v[52:53], v[52:53] op_sel:[0,1]
	v_fmac_f64_e32 v[154:155], v[148:149], v[152:153]
	;; [unrolled: 2-line block ×5, first 2 shown]
	v_fma_f64 v[152:153], v[148:149], v[152:153], 1.0
	v_div_scale_f64 v[154:155], s[84:85], v[152:153], v[152:153], v[150:151]
	v_rcp_f64_e32 v[156:157], v[154:155]
	v_fma_f64 v[158:159], -v[154:155], v[156:157], 1.0
	v_fmac_f64_e32 v[156:157], v[156:157], v[158:159]
	v_fma_f64 v[158:159], -v[154:155], v[156:157], 1.0
	v_fmac_f64_e32 v[156:157], v[156:157], v[158:159]
	v_div_scale_f64 v[158:159], vcc, v[150:151], v[152:153], v[150:151]
	v_mul_f64 v[160:161], v[158:159], v[156:157]
	v_fma_f64 v[154:155], -v[154:155], v[160:161], v[158:159]
	v_add_f64 v[158:159], v[148:149], s[38:39]
	s_nop 0
	v_div_fmas_f64 v[154:155], v[154:155], v[156:157], v[160:161]
	v_div_fixup_f64 v[150:151], v[154:155], v[152:153], v[150:151]
	v_add_f64 v[152:153], v[148:149], 2.0
	v_cmp_lt_i32_e32 vcc, 2, v1
	v_add_f64 v[154:155], v[148:149], s[36:37]
	v_cndmask_b32_e32 v153, v170, v153, vcc
	v_cndmask_b32_e32 v152, 0, v152, vcc
	v_cmp_lt_i32_e32 vcc, 3, v1
	v_add_f64 v[156:157], v[148:149], 4.0
	v_cndmask_b32_e32 v155, v170, v155, vcc
	v_cndmask_b32_e32 v154, 0, v154, vcc
	v_cmp_lt_i32_e32 vcc, 4, v1
	v_mul_f64 v[152:153], v[152:153], v[154:155]
	v_cndmask_b32_e32 v155, v170, v157, vcc
	v_cndmask_b32_e32 v154, 0, v156, vcc
	v_cmp_lt_i32_e32 vcc, 5, v1
	v_fmac_f64_e32 v[150:151], 0.5, v[148:149]
	v_add_f64 v[148:149], v[148:149], s[40:41]
	v_mul_f64 v[152:153], v[154:155], v[152:153]
	v_cndmask_b32_e32 v155, v170, v159, vcc
	v_cndmask_b32_e32 v154, 0, v158, vcc
	v_cmp_lt_i32_e32 vcc, 6, v1
	v_mul_f64 v[152:153], v[154:155], v[152:153]
	v_cndmask_b32_e32 v149, v170, v149, vcc
	v_cndmask_b32_e32 v148, 0, v148, vcc
	v_mul_f64 v[148:149], v[148:149], v[152:153]
	v_frexp_mant_f64_e32 v[152:153], v[148:149]
	v_cmp_gt_f64_e32 vcc, s[20:21], v[152:153]
	v_cndmask_b32_e64 v11, v170, 2.0, vcc
	v_mul_f64 v[152:153], v[152:153], v[10:11]
	v_add_f64 v[154:155], v[152:153], 1.0
	v_rcp_f64_e32 v[156:157], v[154:155]
	v_add_f64 v[160:161], v[154:155], -1.0
	v_add_f64 v[158:159], v[152:153], -1.0
	v_add_f64 v[152:153], v[152:153], -v[160:161]
	v_fma_f64 v[160:161], -v[154:155], v[156:157], 1.0
	v_fmac_f64_e32 v[156:157], v[160:161], v[156:157]
	v_fma_f64 v[160:161], -v[154:155], v[156:157], 1.0
	v_fmac_f64_e32 v[156:157], v[160:161], v[156:157]
	v_mul_f64 v[160:161], v[158:159], v[156:157]
	v_mul_f64 v[162:163], v[154:155], v[160:161]
	v_fma_f64 v[154:155], v[160:161], v[154:155], -v[162:163]
	v_fmac_f64_e32 v[154:155], v[160:161], v[152:153]
	v_add_f64 v[152:153], v[162:163], v[154:155]
	v_add_f64 v[164:165], v[158:159], -v[152:153]
	v_add_f64 v[162:163], v[152:153], -v[162:163]
	;; [unrolled: 1-line block ×5, first 2 shown]
	v_add_f64 v[152:153], v[154:155], v[152:153]
	v_add_f64 v[152:153], v[164:165], v[152:153]
	v_mul_f64 v[152:153], v[156:157], v[152:153]
	v_add_f64 v[154:155], v[160:161], v[152:153]
	v_add_f64 v[156:157], v[154:155], -v[160:161]
	v_add_f64 v[152:153], v[152:153], -v[156:157]
	v_mul_f64 v[156:157], v[154:155], v[154:155]
	v_pk_mov_b32 v[158:159], v[12:13], v[12:13] op_sel:[0,1]
	v_fmac_f64_e32 v[158:159], s[22:23], v[156:157]
	v_pk_mov_b32 v[160:161], v[14:15], v[14:15] op_sel:[0,1]
	v_fmac_f64_e32 v[160:161], v[156:157], v[158:159]
	;; [unrolled: 2-line block ×6, first 2 shown]
	v_ldexp_f64 v[158:159], v[154:155], 1
	v_mul_f64 v[154:155], v[154:155], v[156:157]
	v_mul_f64 v[154:155], v[154:155], v[160:161]
	v_add_f64 v[156:157], v[158:159], v[154:155]
	v_add_f64 v[158:159], v[156:157], -v[158:159]
	v_ldexp_f64 v[152:153], v[152:153], 1
	v_add_f64 v[154:155], v[154:155], -v[158:159]
	v_add_f64 v[152:153], v[152:153], v[154:155]
	v_frexp_exp_i32_f64_e32 v1, v[148:149]
	v_add_f64 v[154:155], v[156:157], v[152:153]
	v_subbrev_co_u32_e32 v1, vcc, 0, v1, vcc
	v_add_f64 v[156:157], v[154:155], -v[156:157]
	v_add_f64 v[152:153], v[152:153], -v[156:157]
	v_cvt_f64_i32_e32 v[156:157], v1
	v_mul_f64 v[158:159], v[156:157], s[24:25]
	v_fma_f64 v[160:161], v[156:157], s[24:25], -v[158:159]
	v_fmac_f64_e32 v[160:161], s[26:27], v[156:157]
	v_add_f64 v[156:157], v[158:159], v[160:161]
	v_add_f64 v[158:159], v[156:157], -v[158:159]
	v_add_f64 v[158:159], v[160:161], -v[158:159]
	v_add_f64 v[160:161], v[156:157], v[154:155]
	v_add_f64 v[162:163], v[160:161], -v[156:157]
	v_add_f64 v[164:165], v[160:161], -v[162:163]
	;; [unrolled: 1-line block ×4, first 2 shown]
	v_add_f64 v[154:155], v[154:155], v[156:157]
	v_add_f64 v[156:157], v[158:159], v[152:153]
	v_add_f64 v[162:163], v[156:157], -v[158:159]
	v_add_f64 v[164:165], v[156:157], -v[162:163]
	v_add_f64 v[154:155], v[156:157], v[154:155]
	v_add_f64 v[158:159], v[158:159], -v[164:165]
	v_add_f64 v[152:153], v[152:153], -v[162:163]
	v_add_f64 v[156:157], v[160:161], v[154:155]
	v_add_f64 v[152:153], v[152:153], v[158:159]
	v_add_f64 v[158:159], v[156:157], -v[160:161]
	v_add_f64 v[154:155], v[154:155], -v[158:159]
	v_add_f64 v[152:153], v[152:153], v[154:155]
	v_add_f64 v[152:153], v[156:157], v[152:153]
	v_cmp_class_f64_e64 vcc, v[148:149], s92
	v_cndmask_b32_e32 v1, v152, v148, vcc
	v_cndmask_b32_e32 v11, v153, v149, vcc
	v_cmp_ngt_f64_e32 vcc, 0, v[148:149]
	v_cndmask_b32_e32 v11, v172, v11, vcc
	v_cmp_nge_f64_e32 vcc, 0, v[148:149]
	v_cndmask_b32_e32 v152, 0, v1, vcc
	v_cmp_neq_f64_e32 vcc, 0, v[148:149]
	v_cndmask_b32_e32 v153, v171, v11, vcc
	v_add_f64 v[148:149], v[150:151], v[152:153]
.LBB8_15:                               ;   in Loop: Header=BB8_5 Depth=1
	s_or_b64 exec, exec, s[82:83]
.LBB8_16:                               ;   in Loop: Header=BB8_5 Depth=1
	s_andn2_saveexec_b64 s[2:3], s[2:3]
	s_cbranch_execz .LBB8_30
; %bb.17:                               ;   in Loop: Header=BB8_5 Depth=1
	v_cmp_lt_u32_e32 vcc, s93, v147
                                        ; implicit-def: $sgpr84_sgpr85
                                        ; implicit-def: $vgpr1
                                        ; implicit-def: $vgpr150_vgpr151
	s_and_saveexec_b64 s[82:83], vcc
	s_xor_b64 s[82:83], exec, s[82:83]
	s_cbranch_execz .LBB8_19
; %bb.18:                               ;   in Loop: Header=BB8_5 Depth=1
	v_add_f64 v[148:149], -|v[6:7]|, 2.0
	v_add_f64 v[150:151], |v[6:7]|, s[42:43]
	v_cmp_gt_u32_e32 vcc, s94, v147
	v_cndmask_b32_e32 v1, v148, v150, vcc
	v_cndmask_b32_e32 v11, v149, v151, vcc
	v_cndmask_b32_e64 v48, 0, 1, vcc
	v_add_f64 v[148:149], |v[6:7]|, -1.0
	v_cmp_gt_u32_e32 vcc, s95, v147
	v_cndmask_b32_e32 v151, v11, v149, vcc
	v_cndmask_b32_e32 v150, v1, v148, vcc
	v_cndmask_b32_e64 v1, v48, 2, vcc
	s_mov_b64 s[84:85], 0
.LBB8_19:                               ;   in Loop: Header=BB8_5 Depth=1
	s_or_saveexec_b64 s[82:83], s[82:83]
	v_pk_mov_b32 v[148:149], s[84:85], s[84:85] op_sel:[0,1]
	s_xor_b64 exec, exec, s[82:83]
	s_cbranch_execz .LBB8_21
; %bb.20:                               ;   in Loop: Header=BB8_5 Depth=1
	v_frexp_mant_f64_e64 v[148:149], |v[6:7]|
	v_cmp_gt_f64_e32 vcc, s[20:21], v[148:149]
	v_cndmask_b32_e64 v11, v170, 2.0, vcc
	v_mul_f64 v[148:149], v[148:149], v[10:11]
	v_add_f64 v[150:151], v[148:149], 1.0
	v_rcp_f64_e32 v[152:153], v[150:151]
	v_add_f64 v[156:157], v[150:151], -1.0
	v_add_f64 v[154:155], v[148:149], -1.0
	v_add_f64 v[148:149], v[148:149], -v[156:157]
	v_fma_f64 v[156:157], -v[150:151], v[152:153], 1.0
	v_fmac_f64_e32 v[152:153], v[156:157], v[152:153]
	v_fma_f64 v[156:157], -v[150:151], v[152:153], 1.0
	v_fmac_f64_e32 v[152:153], v[156:157], v[152:153]
	v_mul_f64 v[156:157], v[154:155], v[152:153]
	v_mul_f64 v[158:159], v[150:151], v[156:157]
	v_fma_f64 v[150:151], v[156:157], v[150:151], -v[158:159]
	v_fmac_f64_e32 v[150:151], v[156:157], v[148:149]
	v_add_f64 v[148:149], v[158:159], v[150:151]
	v_add_f64 v[160:161], v[154:155], -v[148:149]
	v_add_f64 v[158:159], v[148:149], -v[158:159]
	;; [unrolled: 1-line block ×5, first 2 shown]
	v_add_f64 v[148:149], v[150:151], v[148:149]
	v_add_f64 v[148:149], v[160:161], v[148:149]
	v_mul_f64 v[148:149], v[152:153], v[148:149]
	v_add_f64 v[150:151], v[156:157], v[148:149]
	v_add_f64 v[152:153], v[150:151], -v[156:157]
	v_add_f64 v[148:149], v[148:149], -v[152:153]
	v_mul_f64 v[152:153], v[150:151], v[150:151]
	v_pk_mov_b32 v[154:155], v[12:13], v[12:13] op_sel:[0,1]
	v_fmac_f64_e32 v[154:155], s[22:23], v[152:153]
	v_pk_mov_b32 v[156:157], v[14:15], v[14:15] op_sel:[0,1]
	v_fmac_f64_e32 v[156:157], v[152:153], v[154:155]
	;; [unrolled: 2-line block ×6, first 2 shown]
	v_ldexp_f64 v[154:155], v[150:151], 1
	v_mul_f64 v[150:151], v[150:151], v[152:153]
	v_mul_f64 v[150:151], v[150:151], v[156:157]
	v_add_f64 v[152:153], v[154:155], v[150:151]
	v_add_f64 v[154:155], v[152:153], -v[154:155]
	v_ldexp_f64 v[148:149], v[148:149], 1
	v_add_f64 v[150:151], v[150:151], -v[154:155]
	v_add_f64 v[148:149], v[148:149], v[150:151]
	v_frexp_exp_i32_f64_e32 v48, v[6:7]
	v_add_f64 v[150:151], v[152:153], v[148:149]
	v_subbrev_co_u32_e32 v11, vcc, 0, v48, vcc
	v_add_f64 v[152:153], v[150:151], -v[152:153]
	v_add_f64 v[148:149], v[148:149], -v[152:153]
	v_cvt_f64_i32_e32 v[152:153], v11
	v_mul_f64 v[154:155], v[152:153], s[24:25]
	v_fma_f64 v[156:157], v[152:153], s[24:25], -v[154:155]
	v_fmac_f64_e32 v[156:157], s[26:27], v[152:153]
	v_add_f64 v[152:153], v[154:155], v[156:157]
	v_add_f64 v[154:155], v[152:153], -v[154:155]
	v_add_f64 v[154:155], v[156:157], -v[154:155]
	v_add_f64 v[156:157], v[152:153], v[150:151]
	v_add_f64 v[158:159], v[156:157], -v[152:153]
	v_add_f64 v[160:161], v[156:157], -v[158:159]
	v_add_f64 v[152:153], v[152:153], -v[160:161]
	v_add_f64 v[150:151], v[150:151], -v[158:159]
	v_add_f64 v[150:151], v[150:151], v[152:153]
	v_add_f64 v[152:153], v[154:155], v[148:149]
	v_add_f64 v[158:159], v[152:153], -v[154:155]
	v_add_f64 v[160:161], v[152:153], -v[158:159]
	v_add_f64 v[150:151], v[152:153], v[150:151]
	v_add_f64 v[154:155], v[154:155], -v[160:161]
	v_add_f64 v[148:149], v[148:149], -v[158:159]
	v_add_f64 v[152:153], v[156:157], v[150:151]
	v_add_f64 v[148:149], v[148:149], v[154:155]
	v_add_f64 v[154:155], v[152:153], -v[156:157]
	v_add_f64 v[150:151], v[150:151], -v[154:155]
	v_add_f64 v[148:149], v[148:149], v[150:151]
	v_and_b32_e32 v1, 0x7fffffff, v7
	v_add_f64 v[148:149], v[152:153], v[148:149]
	v_cmp_class_f64_e64 vcc, v[6:7], s92
	v_cndmask_b32_e32 v11, v148, v6, vcc
	v_cndmask_b32_e64 v48, -v149, -v1, vcc
	v_cmp_neq_f64_e32 vcc, 0, v[6:7]
	v_cndmask_b32_e32 v149, v173, v48, vcc
	v_cndmask_b32_e32 v148, 0, v11, vcc
	v_add_f64 v[150:151], -|v[6:7]|, 1.0
	v_add_f64 v[152:153], |v[6:7]|, s[44:45]
	v_cmp_gt_u32_e32 vcc, s28, v147
	v_cndmask_b32_e32 v11, v150, v152, vcc
	v_cndmask_b32_e32 v48, v151, v153, vcc
	v_cndmask_b32_e64 v146, 0, 1, vcc
	v_cmp_gt_u32_e32 vcc, s29, v147
	v_cndmask_b32_e32 v151, v48, v1, vcc
	v_cndmask_b32_e32 v150, v11, v6, vcc
	v_cndmask_b32_e64 v1, v146, 2, vcc
.LBB8_21:                               ;   in Loop: Header=BB8_5 Depth=1
	s_or_b64 exec, exec, s[82:83]
	v_cmp_lt_i32_e32 vcc, 1, v1
                                        ; implicit-def: $vgpr154_vgpr155
	s_and_saveexec_b64 s[82:83], vcc
	s_xor_b64 s[82:83], exec, s[82:83]
	s_cbranch_execz .LBB8_23
; %bb.22:                               ;   in Loop: Header=BB8_5 Depth=1
	v_pk_mov_b32 v[152:153], v[60:61], v[60:61] op_sel:[0,1]
	v_fmac_f64_e32 v[152:153], s[46:47], v[150:151]
	v_pk_mov_b32 v[154:155], v[62:63], v[62:63] op_sel:[0,1]
	v_fmac_f64_e32 v[154:155], v[150:151], v[152:153]
	;; [unrolled: 2-line block ×3, first 2 shown]
	v_pk_mov_b32 v[154:155], v[66:67], v[66:67] op_sel:[0,1]
	v_mov_b32_e32 v48, v46
	v_fmac_f64_e32 v[154:155], v[150:151], v[152:153]
	v_pk_mov_b32 v[152:153], v[48:49], v[48:49] op_sel:[0,1]
	v_fmac_f64_e32 v[152:153], v[150:151], v[154:155]
	v_pk_mov_b32 v[154:155], v[68:69], v[68:69] op_sel:[0,1]
	;; [unrolled: 2-line block ×5, first 2 shown]
	v_fmac_f64_e32 v[156:157], v[150:151], v[154:155]
	v_mul_f64 v[152:153], v[150:151], v[152:153]
	v_fma_f64 v[154:155], v[150:151], v[156:157], 1.0
	v_div_scale_f64 v[156:157], s[84:85], v[154:155], v[154:155], v[152:153]
	v_rcp_f64_e32 v[158:159], v[156:157]
                                        ; implicit-def: $vgpr1
	v_fma_f64 v[160:161], -v[156:157], v[158:159], 1.0
	v_fmac_f64_e32 v[158:159], v[158:159], v[160:161]
	v_fma_f64 v[160:161], -v[156:157], v[158:159], 1.0
	v_fmac_f64_e32 v[158:159], v[158:159], v[160:161]
	v_div_scale_f64 v[160:161], vcc, v[152:153], v[154:155], v[152:153]
	v_mul_f64 v[162:163], v[160:161], v[158:159]
	v_fma_f64 v[156:157], -v[156:157], v[162:163], v[160:161]
	s_nop 1
	v_div_fmas_f64 v[156:157], v[156:157], v[158:159], v[162:163]
	v_div_fixup_f64 v[154:155], v[156:157], v[154:155], v[152:153]
	v_fmac_f64_e32 v[154:155], -0.5, v[150:151]
                                        ; implicit-def: $vgpr150_vgpr151
.LBB8_23:                               ;   in Loop: Header=BB8_5 Depth=1
	s_andn2_saveexec_b64 s[82:83], s[82:83]
	s_cbranch_execz .LBB8_29
; %bb.24:                               ;   in Loop: Header=BB8_5 Depth=1
	v_cmp_ne_u32_e32 vcc, 1, v1
	v_mul_f64 v[152:153], v[150:151], v[150:151]
                                        ; implicit-def: $vgpr154_vgpr155
	s_and_saveexec_b64 s[84:85], vcc
	s_xor_b64 s[84:85], exec, s[84:85]
	s_cbranch_execz .LBB8_26
; %bb.25:                               ;   in Loop: Header=BB8_5 Depth=1
	s_mov_b32 vcc_lo, 0x428cfa52
	v_pk_mov_b32 v[154:155], v[76:77], v[76:77] op_sel:[0,1]
	s_mov_b32 vcc_hi, 0x3efa7074
	v_fmac_f64_e32 v[154:155], vcc, v[152:153]
	v_pk_mov_b32 v[156:157], v[78:79], v[78:79] op_sel:[0,1]
	v_fmac_f64_e32 v[156:157], v[152:153], v[154:155]
	v_pk_mov_b32 v[154:155], v[80:81], v[80:81] op_sel:[0,1]
	v_fmac_f64_e32 v[154:155], v[152:153], v[156:157]
	v_pk_mov_b32 v[156:157], v[82:83], v[82:83] op_sel:[0,1]
	s_mov_b32 vcc_lo, 0x90a45837
	v_fmac_f64_e32 v[156:157], v[152:153], v[154:155]
	v_pk_mov_b32 v[158:159], v[46:47], v[46:47] op_sel:[0,1]
	v_pk_mov_b32 v[154:155], v[84:85], v[84:85] op_sel:[0,1]
	s_mov_b32 vcc_hi, 0x3f07858e
	v_fmac_f64_e32 v[158:159], v[152:153], v[156:157]
	v_fmac_f64_e32 v[154:155], vcc, v[152:153]
	v_pk_mov_b32 v[156:157], v[86:87], v[86:87] op_sel:[0,1]
	v_fmac_f64_e32 v[156:157], v[152:153], v[154:155]
	v_pk_mov_b32 v[154:155], v[88:89], v[88:89] op_sel:[0,1]
	v_fmac_f64_e32 v[154:155], v[152:153], v[156:157]
	v_pk_mov_b32 v[156:157], v[90:91], v[90:91] op_sel:[0,1]
	v_fmac_f64_e32 v[156:157], v[152:153], v[154:155]
	v_pk_mov_b32 v[154:155], v[92:93], v[92:93] op_sel:[0,1]
	v_fmac_f64_e32 v[154:155], v[152:153], v[156:157]
	v_mul_f64 v[154:155], v[152:153], v[154:155]
	v_fmac_f64_e32 v[154:155], v[150:151], v[158:159]
	v_fmac_f64_e32 v[154:155], -0.5, v[150:151]
                                        ; implicit-def: $vgpr150_vgpr151
                                        ; implicit-def: $vgpr152_vgpr153
.LBB8_26:                               ;   in Loop: Header=BB8_5 Depth=1
	s_andn2_saveexec_b64 s[84:85], s[84:85]
	s_cbranch_execz .LBB8_28
; %bb.27:                               ;   in Loop: Header=BB8_5 Depth=1
	v_mul_f64 v[154:155], v[150:151], v[152:153]
	v_pk_mov_b32 v[156:157], v[94:95], v[94:95] op_sel:[0,1]
	v_fmac_f64_e32 v[156:157], s[54:55], v[154:155]
	v_pk_mov_b32 v[158:159], v[96:97], v[96:97] op_sel:[0,1]
	v_fmac_f64_e32 v[158:159], v[154:155], v[156:157]
	;; [unrolled: 2-line block ×12, first 2 shown]
	v_fmac_f64_e32 v[160:161], v[150:151], v[162:163]
	v_fma_f64 v[150:151], v[154:155], -v[160:161], s[60:61]
	v_fma_f64 v[150:151], v[152:153], v[158:159], -v[150:151]
	v_add_f64 v[154:155], v[150:151], s[62:63]
.LBB8_28:                               ;   in Loop: Header=BB8_5 Depth=1
	s_or_b64 exec, exec, s[84:85]
.LBB8_29:                               ;   in Loop: Header=BB8_5 Depth=1
	s_or_b64 exec, exec, s[82:83]
	v_add_f64 v[148:149], v[148:149], v[154:155]
.LBB8_30:                               ;   in Loop: Header=BB8_5 Depth=1
	s_or_b64 exec, exec, s[2:3]
.LBB8_31:                               ;   in Loop: Header=BB8_5 Depth=1
	s_andn2_saveexec_b64 s[0:1], s[0:1]
	s_cbranch_execz .LBB8_33
; %bb.32:                               ;   in Loop: Header=BB8_5 Depth=1
	v_frexp_mant_f64_e64 v[150:151], |v[6:7]|
	v_cmp_gt_f64_e32 vcc, s[20:21], v[150:151]
	v_cndmask_b32_e64 v11, v170, 2.0, vcc
	v_mul_f64 v[150:151], v[150:151], v[10:11]
	v_add_f64 v[152:153], v[150:151], 1.0
	v_rcp_f64_e32 v[154:155], v[152:153]
	v_add_f64 v[158:159], v[152:153], -1.0
	v_add_f64 v[156:157], v[150:151], -1.0
	v_add_f64 v[150:151], v[150:151], -v[158:159]
	v_fma_f64 v[158:159], -v[152:153], v[154:155], 1.0
	v_fmac_f64_e32 v[154:155], v[158:159], v[154:155]
	v_fma_f64 v[158:159], -v[152:153], v[154:155], 1.0
	v_fmac_f64_e32 v[154:155], v[158:159], v[154:155]
	v_mul_f64 v[158:159], v[156:157], v[154:155]
	v_mul_f64 v[160:161], v[152:153], v[158:159]
	v_fma_f64 v[152:153], v[158:159], v[152:153], -v[160:161]
	v_fmac_f64_e32 v[152:153], v[158:159], v[150:151]
	v_add_f64 v[150:151], v[160:161], v[152:153]
	v_add_f64 v[162:163], v[156:157], -v[150:151]
	v_add_f64 v[160:161], v[150:151], -v[160:161]
	;; [unrolled: 1-line block ×5, first 2 shown]
	v_add_f64 v[150:151], v[152:153], v[150:151]
	v_add_f64 v[150:151], v[162:163], v[150:151]
	v_mul_f64 v[150:151], v[154:155], v[150:151]
	v_add_f64 v[152:153], v[158:159], v[150:151]
	v_add_f64 v[154:155], v[152:153], -v[158:159]
	v_add_f64 v[150:151], v[150:151], -v[154:155]
	v_mul_f64 v[154:155], v[152:153], v[152:153]
	v_pk_mov_b32 v[156:157], v[12:13], v[12:13] op_sel:[0,1]
	v_fmac_f64_e32 v[156:157], s[22:23], v[154:155]
	v_pk_mov_b32 v[158:159], v[14:15], v[14:15] op_sel:[0,1]
	v_fmac_f64_e32 v[158:159], v[154:155], v[156:157]
	;; [unrolled: 2-line block ×6, first 2 shown]
	v_ldexp_f64 v[156:157], v[152:153], 1
	v_mul_f64 v[152:153], v[152:153], v[154:155]
	v_mul_f64 v[152:153], v[152:153], v[158:159]
	v_add_f64 v[154:155], v[156:157], v[152:153]
	v_add_f64 v[156:157], v[154:155], -v[156:157]
	v_ldexp_f64 v[150:151], v[150:151], 1
	v_add_f64 v[152:153], v[152:153], -v[156:157]
	v_add_f64 v[150:151], v[150:151], v[152:153]
	v_frexp_exp_i32_f64_e32 v48, v[6:7]
	v_add_f64 v[152:153], v[154:155], v[150:151]
	v_subbrev_co_u32_e32 v11, vcc, 0, v48, vcc
	v_add_f64 v[154:155], v[152:153], -v[154:155]
	v_add_f64 v[150:151], v[150:151], -v[154:155]
	v_cvt_f64_i32_e32 v[154:155], v11
	v_mul_f64 v[156:157], v[154:155], s[24:25]
	v_fma_f64 v[158:159], v[154:155], s[24:25], -v[156:157]
	v_fmac_f64_e32 v[158:159], s[26:27], v[154:155]
	v_add_f64 v[154:155], v[156:157], v[158:159]
	v_add_f64 v[156:157], v[154:155], -v[156:157]
	v_add_f64 v[156:157], v[158:159], -v[156:157]
	v_add_f64 v[158:159], v[154:155], v[152:153]
	v_add_f64 v[160:161], v[158:159], -v[154:155]
	v_add_f64 v[162:163], v[158:159], -v[160:161]
	;; [unrolled: 1-line block ×4, first 2 shown]
	v_add_f64 v[152:153], v[152:153], v[154:155]
	v_add_f64 v[154:155], v[156:157], v[150:151]
	v_add_f64 v[160:161], v[154:155], -v[156:157]
	v_add_f64 v[162:163], v[154:155], -v[160:161]
	v_add_f64 v[152:153], v[154:155], v[152:153]
	v_add_f64 v[156:157], v[156:157], -v[162:163]
	v_add_f64 v[150:151], v[150:151], -v[160:161]
	v_add_f64 v[154:155], v[158:159], v[152:153]
	v_add_f64 v[150:151], v[150:151], v[156:157]
	v_add_f64 v[156:157], v[154:155], -v[158:159]
	v_add_f64 v[152:153], v[152:153], -v[156:157]
	v_fma_f64 v[148:149], |v[6:7]|, s[64:65], v[118:119]
	v_add_f64 v[150:151], v[150:151], v[152:153]
	v_and_b32_e32 v1, 0x7fffffff, v7
	v_fma_f64 v[148:149], |v[6:7]|, v[148:149], s[66:67]
	v_add_f64 v[150:151], v[154:155], v[150:151]
	v_cmp_class_f64_e64 vcc, v[6:7], s92
	v_fma_f64 v[148:149], |v[6:7]|, v[148:149], s[68:69]
	v_cndmask_b32_e32 v11, v150, v6, vcc
	v_cndmask_b32_e64 v1, -v151, -v1, vcc
	v_cmp_neq_f64_e32 vcc, 0, v[6:7]
	v_fma_f64 v[148:149], |v[6:7]|, v[148:149], s[70:71]
	v_cndmask_b32_e32 v151, v173, v1, vcc
	v_cndmask_b32_e32 v150, 0, v11, vcc
	v_fma_f64 v[148:149], |v[6:7]|, v[148:149], v[150:151]
.LBB8_33:                               ;   in Loop: Header=BB8_5 Depth=1
	s_or_b64 exec, exec, s[0:1]
	v_cmp_le_f64_e32 vcc, 0, v[6:7]
	s_and_saveexec_b64 s[0:1], vcc
	s_xor_b64 s[2:3], exec, s[0:1]
; %bb.34:                               ;   in Loop: Header=BB8_5 Depth=1
	v_cmp_eq_f64_e32 vcc, 1.0, v[6:7]
	v_cmp_eq_f64_e64 s[0:1], 2.0, v[6:7]
	s_or_b64 s[0:1], vcc, s[0:1]
	v_cndmask_b32_e64 v149, v149, 0, s[0:1]
	v_cndmask_b32_e64 v148, v148, 0, s[0:1]
; %bb.35:                               ;   in Loop: Header=BB8_5 Depth=1
	s_andn2_saveexec_b64 s[0:1], s[2:3]
	s_cbranch_execz .LBB8_39
; %bb.36:                               ;   in Loop: Header=BB8_5 Depth=1
	v_add_u32_e32 v1, 0xc32fffff, v147
	v_cmp_gt_u32_e32 vcc, s50, v1
	s_and_saveexec_b64 s[2:3], vcc
	s_cbranch_execz .LBB8_38
; %bb.37:                               ;   in Loop: Header=BB8_5 Depth=1
	v_mul_f64 v[150:151], |v[6:7]|, 0.5
	v_fract_f64_e32 v[152:153], v[150:151]
	v_add_f64 v[152:153], v[152:153], v[152:153]
	v_cmp_neq_f64_e64 vcc, |v[150:151]|, s[72:73]
	v_and_b32_e32 v1, 0x7fffffff, v7
	v_cndmask_b32_e32 v11, 0, v152, vcc
	v_cndmask_b32_e32 v48, 0, v153, vcc
	v_cmp_gt_f64_e64 vcc, |v[6:7]|, 1.0
	v_cndmask_b32_e32 v151, v1, v48, vcc
	v_cndmask_b32_e32 v150, v6, v11, vcc
	v_add_f64 v[152:153], v[150:151], v[150:151]
	v_rndne_f64_e32 v[152:153], v[152:153]
	v_fmac_f64_e32 v[150:151], -0.5, v[152:153]
	v_cvt_i32_f64_e32 v1, v[152:153]
	v_mul_f64 v[152:153], v[150:151], v[150:151]
	v_pk_mov_b32 v[154:155], v[120:121], v[120:121] op_sel:[0,1]
	v_fmac_f64_e32 v[154:155], s[74:75], v[152:153]
	v_pk_mov_b32 v[156:157], v[122:123], v[122:123] op_sel:[0,1]
	v_fmac_f64_e32 v[156:157], v[152:153], v[154:155]
	;; [unrolled: 2-line block ×5, first 2 shown]
	v_mul_f64 v[156:157], v[150:151], v[152:153]
	v_mul_f64 v[154:155], v[156:157], v[154:155]
	v_fmac_f64_e32 v[154:155], s[76:77], v[150:151]
	v_pk_mov_b32 v[150:151], v[130:131], v[130:131] op_sel:[0,1]
	v_fmac_f64_e32 v[150:151], s[78:79], v[152:153]
	v_pk_mov_b32 v[156:157], v[132:133], v[132:133] op_sel:[0,1]
	;; [unrolled: 2-line block ×6, first 2 shown]
	v_fmac_f64_e32 v[156:157], v[152:153], v[150:151]
	v_and_b32_e32 v11, 1, v1
	v_lshlrev_b32_e32 v1, 30, v1
	v_fma_f64 v[150:151], v[152:153], v[156:157], 1.0
	v_cmp_eq_u32_e32 vcc, 0, v11
	v_xor_b32_e32 v1, v1, v7
	v_cndmask_b32_e32 v48, v151, v155, vcc
	v_and_b32_e32 v1, 0x80000000, v1
	v_cndmask_b32_e32 v11, v150, v154, vcc
	v_xor_b32_e32 v1, v48, v1
	v_cmp_class_f64_e64 vcc, v[6:7], s51
	v_cndmask_b32_e32 v150, 0, v11, vcc
	v_cndmask_b32_e32 v151, v172, v1, vcc
	v_mul_f64 v[150:151], v[6:7], v[150:151]
	v_and_b32_e32 v153, 0x7fffffff, v151
	v_mov_b32_e32 v152, v150
	v_div_scale_f64 v[154:155], s[82:83], v[152:153], v[152:153], s[76:77]
	v_rcp_f64_e32 v[156:157], v[154:155]
	v_div_scale_f64 v[152:153], vcc, s[76:77], v[152:153], s[76:77]
	v_cmp_class_f64_e64 s[82:83], v[6:7], s92
	v_fma_f64 v[158:159], -v[154:155], v[156:157], 1.0
	v_fmac_f64_e32 v[156:157], v[156:157], v[158:159]
	v_fma_f64 v[158:159], -v[154:155], v[156:157], 1.0
	v_fmac_f64_e32 v[156:157], v[156:157], v[158:159]
	v_mul_f64 v[158:159], v[152:153], v[156:157]
	v_fma_f64 v[152:153], -v[154:155], v[158:159], v[152:153]
	v_div_fmas_f64 v[152:153], v[152:153], v[156:157], v[158:159]
	v_div_fixup_f64 v[150:151], v[152:153], |v[150:151]|, s[76:77]
	v_frexp_mant_f64_e32 v[152:153], v[150:151]
	v_cmp_gt_f64_e32 vcc, s[20:21], v[152:153]
	v_cndmask_b32_e64 v11, v170, 2.0, vcc
	v_mul_f64 v[152:153], v[152:153], v[10:11]
	v_add_f64 v[154:155], v[152:153], 1.0
	v_rcp_f64_e32 v[156:157], v[154:155]
	v_add_f64 v[160:161], v[154:155], -1.0
	v_add_f64 v[158:159], v[152:153], -1.0
	v_add_f64 v[152:153], v[152:153], -v[160:161]
	v_fma_f64 v[160:161], -v[154:155], v[156:157], 1.0
	v_fmac_f64_e32 v[156:157], v[160:161], v[156:157]
	v_fma_f64 v[160:161], -v[154:155], v[156:157], 1.0
	v_fmac_f64_e32 v[156:157], v[160:161], v[156:157]
	v_mul_f64 v[160:161], v[158:159], v[156:157]
	v_mul_f64 v[162:163], v[154:155], v[160:161]
	v_fma_f64 v[154:155], v[160:161], v[154:155], -v[162:163]
	v_fmac_f64_e32 v[154:155], v[160:161], v[152:153]
	v_add_f64 v[152:153], v[162:163], v[154:155]
	v_add_f64 v[164:165], v[158:159], -v[152:153]
	v_add_f64 v[162:163], v[152:153], -v[162:163]
	;; [unrolled: 1-line block ×5, first 2 shown]
	v_add_f64 v[152:153], v[154:155], v[152:153]
	v_add_f64 v[152:153], v[164:165], v[152:153]
	v_mul_f64 v[152:153], v[156:157], v[152:153]
	v_add_f64 v[154:155], v[160:161], v[152:153]
	v_add_f64 v[156:157], v[154:155], -v[160:161]
	v_add_f64 v[152:153], v[152:153], -v[156:157]
	v_mul_f64 v[156:157], v[154:155], v[154:155]
	v_pk_mov_b32 v[158:159], v[12:13], v[12:13] op_sel:[0,1]
	v_fmac_f64_e32 v[158:159], s[22:23], v[156:157]
	v_pk_mov_b32 v[160:161], v[14:15], v[14:15] op_sel:[0,1]
	v_fmac_f64_e32 v[160:161], v[156:157], v[158:159]
	;; [unrolled: 2-line block ×6, first 2 shown]
	v_ldexp_f64 v[158:159], v[154:155], 1
	v_mul_f64 v[154:155], v[154:155], v[156:157]
	v_mul_f64 v[154:155], v[154:155], v[160:161]
	v_add_f64 v[156:157], v[158:159], v[154:155]
	v_add_f64 v[158:159], v[156:157], -v[158:159]
	v_ldexp_f64 v[152:153], v[152:153], 1
	v_add_f64 v[154:155], v[154:155], -v[158:159]
	v_add_f64 v[152:153], v[152:153], v[154:155]
	v_frexp_exp_i32_f64_e32 v1, v[150:151]
	v_add_f64 v[154:155], v[156:157], v[152:153]
	v_subbrev_co_u32_e32 v1, vcc, 0, v1, vcc
	v_add_f64 v[156:157], v[154:155], -v[156:157]
	v_add_f64 v[152:153], v[152:153], -v[156:157]
	v_cvt_f64_i32_e32 v[156:157], v1
	v_mul_f64 v[158:159], v[156:157], s[24:25]
	v_fma_f64 v[160:161], v[156:157], s[24:25], -v[158:159]
	v_fmac_f64_e32 v[160:161], s[26:27], v[156:157]
	v_add_f64 v[156:157], v[158:159], v[160:161]
	v_add_f64 v[158:159], v[156:157], -v[158:159]
	v_add_f64 v[158:159], v[160:161], -v[158:159]
	v_add_f64 v[160:161], v[156:157], v[154:155]
	v_add_f64 v[162:163], v[160:161], -v[156:157]
	v_add_f64 v[164:165], v[160:161], -v[162:163]
	;; [unrolled: 1-line block ×4, first 2 shown]
	v_add_f64 v[154:155], v[154:155], v[156:157]
	v_add_f64 v[156:157], v[158:159], v[152:153]
	v_add_f64 v[162:163], v[156:157], -v[158:159]
	v_add_f64 v[164:165], v[156:157], -v[162:163]
	v_add_f64 v[154:155], v[156:157], v[154:155]
	v_add_f64 v[158:159], v[158:159], -v[164:165]
	v_add_f64 v[152:153], v[152:153], -v[162:163]
	v_add_f64 v[156:157], v[160:161], v[154:155]
	v_add_f64 v[152:153], v[152:153], v[158:159]
	v_add_f64 v[158:159], v[156:157], -v[160:161]
	v_add_f64 v[154:155], v[154:155], -v[158:159]
	v_add_f64 v[152:153], v[152:153], v[154:155]
	v_add_f64 v[152:153], v[156:157], v[152:153]
	v_cmp_class_f64_e64 vcc, v[150:151], s92
	v_cndmask_b32_e32 v1, v152, v150, vcc
	v_cndmask_b32_e32 v11, v153, v151, vcc
	v_cmp_neq_f64_e32 vcc, 0, v[150:151]
	v_cndmask_b32_e32 v151, v171, v11, vcc
	v_cndmask_b32_e32 v150, 0, v1, vcc
	v_add_f64 v[148:149], v[150:151], -v[148:149]
	v_fract_f64_e32 v[150:151], v[6:7]
	v_cmp_eq_f64_e32 vcc, 0, v[150:151]
	s_or_b64 vcc, s[82:83], vcc
	v_cndmask_b32_e32 v149, v149, v173, vcc
	v_cndmask_b32_e64 v148, v148, 0, vcc
.LBB8_38:                               ;   in Loop: Header=BB8_5 Depth=1
	s_or_b64 exec, exec, s[2:3]
.LBB8_39:                               ;   in Loop: Header=BB8_5 Depth=1
	s_or_b64 exec, exec, s[0:1]
	v_and_b32_e32 v151, 0x7fffffff, v9
	v_mov_b32_e32 v150, v8
	v_cmp_lt_u32_e32 vcc, s88, v151
                                        ; implicit-def: $vgpr152_vgpr153
	s_and_saveexec_b64 s[0:1], vcc
	s_xor_b64 s[0:1], exec, s[0:1]
	s_cbranch_execz .LBB8_65
; %bb.40:                               ;   in Loop: Header=BB8_5 Depth=1
	v_cmp_lt_u32_e32 vcc, s89, v151
                                        ; implicit-def: $vgpr152_vgpr153
	s_and_saveexec_b64 s[2:3], vcc
	s_xor_b64 s[2:3], exec, s[2:3]
	s_cbranch_execz .LBB8_50
; %bb.41:                               ;   in Loop: Header=BB8_5 Depth=1
	;; [unrolled: 6-line block ×4, first 2 shown]
	v_frexp_mant_f64_e64 v[152:153], |v[8:9]|
	v_cmp_gt_f64_e32 vcc, s[20:21], v[152:153]
	v_cndmask_b32_e64 v11, v170, 2.0, vcc
	v_mul_f64 v[152:153], v[152:153], v[10:11]
	v_add_f64 v[154:155], v[152:153], 1.0
	v_rcp_f64_e32 v[156:157], v[154:155]
	v_add_f64 v[160:161], v[154:155], -1.0
	v_add_f64 v[158:159], v[152:153], -1.0
	v_add_f64 v[152:153], v[152:153], -v[160:161]
	v_fma_f64 v[160:161], -v[154:155], v[156:157], 1.0
	v_fmac_f64_e32 v[156:157], v[160:161], v[156:157]
	v_fma_f64 v[160:161], -v[154:155], v[156:157], 1.0
	v_fmac_f64_e32 v[156:157], v[160:161], v[156:157]
	v_mul_f64 v[160:161], v[158:159], v[156:157]
	v_mul_f64 v[162:163], v[154:155], v[160:161]
	v_fma_f64 v[154:155], v[160:161], v[154:155], -v[162:163]
	v_fmac_f64_e32 v[154:155], v[160:161], v[152:153]
	v_add_f64 v[152:153], v[162:163], v[154:155]
	v_add_f64 v[164:165], v[158:159], -v[152:153]
	v_add_f64 v[162:163], v[152:153], -v[162:163]
	;; [unrolled: 1-line block ×5, first 2 shown]
	v_add_f64 v[152:153], v[154:155], v[152:153]
	v_add_f64 v[152:153], v[164:165], v[152:153]
	v_mul_f64 v[152:153], v[156:157], v[152:153]
	v_add_f64 v[154:155], v[160:161], v[152:153]
	v_add_f64 v[156:157], v[154:155], -v[160:161]
	v_add_f64 v[152:153], v[152:153], -v[156:157]
	v_mul_f64 v[156:157], v[154:155], v[154:155]
	v_pk_mov_b32 v[158:159], v[12:13], v[12:13] op_sel:[0,1]
	v_fmac_f64_e32 v[158:159], s[22:23], v[156:157]
	v_pk_mov_b32 v[160:161], v[14:15], v[14:15] op_sel:[0,1]
	v_fmac_f64_e32 v[160:161], v[156:157], v[158:159]
	;; [unrolled: 2-line block ×6, first 2 shown]
	v_ldexp_f64 v[158:159], v[154:155], 1
	v_mul_f64 v[154:155], v[154:155], v[156:157]
	v_mul_f64 v[154:155], v[154:155], v[160:161]
	v_add_f64 v[156:157], v[158:159], v[154:155]
	v_add_f64 v[158:159], v[156:157], -v[158:159]
	v_ldexp_f64 v[152:153], v[152:153], 1
	v_add_f64 v[154:155], v[154:155], -v[158:159]
	v_add_f64 v[152:153], v[152:153], v[154:155]
	v_frexp_exp_i32_f64_e32 v48, v[8:9]
	v_add_f64 v[154:155], v[156:157], v[152:153]
	v_subbrev_co_u32_e32 v11, vcc, 0, v48, vcc
	v_add_f64 v[156:157], v[154:155], -v[156:157]
	v_add_f64 v[152:153], v[152:153], -v[156:157]
	v_cvt_f64_i32_e32 v[156:157], v11
	v_mul_f64 v[158:159], v[156:157], s[24:25]
	v_fma_f64 v[160:161], v[156:157], s[24:25], -v[158:159]
	v_fmac_f64_e32 v[160:161], s[26:27], v[156:157]
	v_add_f64 v[156:157], v[158:159], v[160:161]
	v_add_f64 v[158:159], v[156:157], -v[158:159]
	v_add_f64 v[158:159], v[160:161], -v[158:159]
	v_add_f64 v[160:161], v[156:157], v[154:155]
	v_add_f64 v[162:163], v[160:161], -v[156:157]
	v_add_f64 v[164:165], v[160:161], -v[162:163]
	;; [unrolled: 1-line block ×4, first 2 shown]
	v_add_f64 v[154:155], v[154:155], v[156:157]
	v_add_f64 v[156:157], v[158:159], v[152:153]
	v_add_f64 v[162:163], v[156:157], -v[158:159]
	v_add_f64 v[164:165], v[156:157], -v[162:163]
	v_add_f64 v[154:155], v[156:157], v[154:155]
	v_add_f64 v[158:159], v[158:159], -v[164:165]
	v_add_f64 v[152:153], v[152:153], -v[162:163]
	v_add_f64 v[156:157], v[160:161], v[154:155]
	v_add_f64 v[152:153], v[152:153], v[158:159]
	v_add_f64 v[158:159], v[156:157], -v[160:161]
	v_add_f64 v[154:155], v[154:155], -v[158:159]
	v_add_f64 v[152:153], v[152:153], v[154:155]
	v_and_b32_e32 v1, 0x7fffffff, v9
	v_add_f64 v[152:153], v[156:157], v[152:153]
	v_cmp_class_f64_e64 vcc, v[8:9], s92
	v_cndmask_b32_e32 v11, v152, v8, vcc
	v_cndmask_b32_e32 v1, v153, v1, vcc
	v_cmp_neq_f64_e32 vcc, 0, v[8:9]
	v_cndmask_b32_e32 v153, v171, v1, vcc
	v_cndmask_b32_e32 v152, 0, v11, vcc
	v_fma_f64 v[152:153], |v[8:9]|, v[152:153], -|v[8:9]|
.LBB8_44:                               ;   in Loop: Header=BB8_5 Depth=1
	s_andn2_saveexec_b64 s[84:85], s[84:85]
	s_cbranch_execz .LBB8_46
; %bb.45:                               ;   in Loop: Header=BB8_5 Depth=1
	v_and_b32_e32 v155, 0x7fffffff, v9
	v_mov_b32_e32 v154, v8
	v_div_scale_f64 v[152:153], vcc, v[154:155], v[154:155], 1.0
	v_rcp_f64_e32 v[156:157], v[152:153]
	v_frexp_exp_i32_f64_e32 v1, v[8:9]
	v_fma_f64 v[158:159], -v[152:153], v[156:157], 1.0
	v_fmac_f64_e32 v[156:157], v[156:157], v[158:159]
	v_fma_f64 v[158:159], -v[152:153], v[156:157], 1.0
	v_fmac_f64_e32 v[156:157], v[156:157], v[158:159]
	v_div_scale_f64 v[158:159], vcc, 1.0, v[154:155], 1.0
	v_mul_f64 v[160:161], v[158:159], v[156:157]
	v_fma_f64 v[152:153], -v[152:153], v[160:161], v[158:159]
	v_pk_mov_b32 v[158:159], v[24:25], v[24:25] op_sel:[0,1]
	s_nop 0
	v_div_fmas_f64 v[152:153], v[152:153], v[156:157], v[160:161]
	v_div_fixup_f64 v[156:157], v[152:153], |v[8:9]|, 1.0
	s_mov_b32 vcc_lo, 0xb9e43e4
	v_mul_f64 v[152:153], v[156:157], v[156:157]
	s_mov_b32 vcc_hi, 0xbf5ab89d
	v_fmac_f64_e32 v[158:159], vcc, v[152:153]
	v_pk_mov_b32 v[160:161], v[26:27], v[26:27] op_sel:[0,1]
	v_fmac_f64_e32 v[160:161], v[152:153], v[158:159]
	v_pk_mov_b32 v[158:159], v[28:29], v[28:29] op_sel:[0,1]
	v_fmac_f64_e32 v[158:159], v[152:153], v[160:161]
	;; [unrolled: 2-line block ×5, first 2 shown]
	v_frexp_mant_f64_e64 v[158:159], |v[8:9]|
	v_cmp_gt_f64_e32 vcc, s[20:21], v[158:159]
	v_cndmask_b32_e64 v11, v170, 2.0, vcc
	v_mul_f64 v[158:159], v[158:159], v[10:11]
	v_add_f64 v[160:161], v[158:159], 1.0
	v_rcp_f64_e32 v[162:163], v[160:161]
	v_add_f64 v[166:167], v[160:161], -1.0
	v_add_f64 v[164:165], v[158:159], -1.0
	v_add_f64 v[158:159], v[158:159], -v[166:167]
	v_fma_f64 v[166:167], -v[160:161], v[162:163], 1.0
	v_fmac_f64_e32 v[162:163], v[166:167], v[162:163]
	v_fma_f64 v[166:167], -v[160:161], v[162:163], 1.0
	v_fmac_f64_e32 v[162:163], v[166:167], v[162:163]
	v_mul_f64 v[166:167], v[164:165], v[162:163]
	v_mul_f64 v[174:175], v[160:161], v[166:167]
	v_fma_f64 v[160:161], v[166:167], v[160:161], -v[174:175]
	v_fmac_f64_e32 v[160:161], v[166:167], v[158:159]
	v_add_f64 v[158:159], v[174:175], v[160:161]
	v_add_f64 v[176:177], v[164:165], -v[158:159]
	v_add_f64 v[174:175], v[158:159], -v[174:175]
	;; [unrolled: 1-line block ×5, first 2 shown]
	v_add_f64 v[158:159], v[160:161], v[158:159]
	v_add_f64 v[158:159], v[176:177], v[158:159]
	v_mul_f64 v[158:159], v[162:163], v[158:159]
	v_add_f64 v[160:161], v[166:167], v[158:159]
	v_add_f64 v[162:163], v[160:161], -v[166:167]
	v_add_f64 v[158:159], v[158:159], -v[162:163]
	v_mul_f64 v[162:163], v[160:161], v[160:161]
	v_pk_mov_b32 v[164:165], v[12:13], v[12:13] op_sel:[0,1]
	v_fmac_f64_e32 v[164:165], s[22:23], v[162:163]
	v_pk_mov_b32 v[166:167], v[14:15], v[14:15] op_sel:[0,1]
	v_fmac_f64_e32 v[166:167], v[162:163], v[164:165]
	;; [unrolled: 2-line block ×6, first 2 shown]
	v_ldexp_f64 v[164:165], v[160:161], 1
	v_mul_f64 v[160:161], v[160:161], v[162:163]
	v_mul_f64 v[160:161], v[160:161], v[166:167]
	v_add_f64 v[162:163], v[164:165], v[160:161]
	v_add_f64 v[164:165], v[162:163], -v[164:165]
	v_ldexp_f64 v[158:159], v[158:159], 1
	v_add_f64 v[160:161], v[160:161], -v[164:165]
	v_add_f64 v[158:159], v[158:159], v[160:161]
	v_add_f64 v[160:161], v[162:163], v[158:159]
	v_subbrev_co_u32_e32 v1, vcc, 0, v1, vcc
	v_add_f64 v[162:163], v[160:161], -v[162:163]
	v_add_f64 v[158:159], v[158:159], -v[162:163]
	v_cvt_f64_i32_e32 v[162:163], v1
	v_mul_f64 v[164:165], v[162:163], s[24:25]
	v_fma_f64 v[166:167], v[162:163], s[24:25], -v[164:165]
	v_fmac_f64_e32 v[166:167], s[26:27], v[162:163]
	v_add_f64 v[162:163], v[164:165], v[166:167]
	v_add_f64 v[164:165], v[162:163], -v[164:165]
	v_add_f64 v[164:165], v[166:167], -v[164:165]
	v_add_f64 v[166:167], v[162:163], v[160:161]
	v_add_f64 v[174:175], v[166:167], -v[162:163]
	v_add_f64 v[176:177], v[166:167], -v[174:175]
	;; [unrolled: 1-line block ×4, first 2 shown]
	v_add_f64 v[160:161], v[160:161], v[162:163]
	v_add_f64 v[162:163], v[164:165], v[158:159]
	v_add_f64 v[174:175], v[162:163], -v[164:165]
	v_add_f64 v[176:177], v[162:163], -v[174:175]
	v_add_f64 v[160:161], v[162:163], v[160:161]
	v_add_f64 v[164:165], v[164:165], -v[176:177]
	v_add_f64 v[158:159], v[158:159], -v[174:175]
	v_add_f64 v[162:163], v[166:167], v[160:161]
	v_add_f64 v[158:159], v[158:159], v[164:165]
	v_add_f64 v[164:165], v[162:163], -v[166:167]
	v_add_f64 v[160:161], v[160:161], -v[164:165]
	v_add_f64 v[158:159], v[158:159], v[160:161]
	v_add_f64 v[158:159], v[162:163], v[158:159]
	v_cmp_class_f64_e64 vcc, v[8:9], s92
	v_cndmask_b32_e32 v155, v159, v155, vcc
	v_cndmask_b32_e32 v154, v158, v154, vcc
	v_add_f64 v[154:155], v[154:155], -1.0
	v_cmp_neq_f64_e32 vcc, 0, v[8:9]
	v_add_f64 v[156:157], |v[8:9]|, -0.5
	v_cndmask_b32_e32 v155, v171, v155, vcc
	v_cndmask_b32_e32 v154, 0, v154, vcc
	v_fmac_f64_e32 v[152:153], v[156:157], v[154:155]
.LBB8_46:                               ;   in Loop: Header=BB8_5 Depth=1
	s_or_b64 exec, exec, s[84:85]
.LBB8_47:                               ;   in Loop: Header=BB8_5 Depth=1
	s_andn2_saveexec_b64 s[82:83], s[82:83]
	s_cbranch_execz .LBB8_49
; %bb.48:                               ;   in Loop: Header=BB8_5 Depth=1
	v_cvt_i32_f64_e32 v1, v[150:151]
	v_cvt_f64_i32_e32 v[152:153], v1
	v_add_f64 v[152:153], |v[8:9]|, -v[152:153]
	v_pk_mov_b32 v[154:155], v[36:37], v[36:37] op_sel:[0,1]
	v_fmac_f64_e32 v[154:155], s[30:31], v[152:153]
	v_pk_mov_b32 v[156:157], v[38:39], v[38:39] op_sel:[0,1]
	v_fmac_f64_e32 v[156:157], v[152:153], v[154:155]
	;; [unrolled: 2-line block ×4, first 2 shown]
	v_pk_mov_b32 v[154:155], v[44:45], v[44:45] op_sel:[0,1]
	v_mov_b32_e32 v48, v46
	v_fmac_f64_e32 v[154:155], v[152:153], v[156:157]
	v_pk_mov_b32 v[156:157], v[48:49], v[48:49] op_sel:[0,1]
	v_fmac_f64_e32 v[156:157], v[152:153], v[154:155]
	v_mul_f64 v[154:155], v[152:153], v[156:157]
	v_pk_mov_b32 v[156:157], v[50:51], v[50:51] op_sel:[0,1]
	v_fmac_f64_e32 v[156:157], s[34:35], v[152:153]
	v_pk_mov_b32 v[158:159], v[52:53], v[52:53] op_sel:[0,1]
	v_fmac_f64_e32 v[158:159], v[152:153], v[156:157]
	;; [unrolled: 2-line block ×5, first 2 shown]
	v_fma_f64 v[156:157], v[152:153], v[156:157], 1.0
	v_div_scale_f64 v[158:159], s[84:85], v[156:157], v[156:157], v[154:155]
	v_rcp_f64_e32 v[160:161], v[158:159]
	v_fma_f64 v[162:163], -v[158:159], v[160:161], 1.0
	v_fmac_f64_e32 v[160:161], v[160:161], v[162:163]
	v_fma_f64 v[162:163], -v[158:159], v[160:161], 1.0
	v_fmac_f64_e32 v[160:161], v[160:161], v[162:163]
	v_div_scale_f64 v[162:163], vcc, v[154:155], v[156:157], v[154:155]
	v_mul_f64 v[164:165], v[162:163], v[160:161]
	v_fma_f64 v[158:159], -v[158:159], v[164:165], v[162:163]
	v_add_f64 v[162:163], v[152:153], s[38:39]
	s_nop 0
	v_div_fmas_f64 v[158:159], v[158:159], v[160:161], v[164:165]
	v_div_fixup_f64 v[154:155], v[158:159], v[156:157], v[154:155]
	v_add_f64 v[156:157], v[152:153], 2.0
	v_cmp_lt_i32_e32 vcc, 2, v1
	v_add_f64 v[158:159], v[152:153], s[36:37]
	v_cndmask_b32_e32 v157, v170, v157, vcc
	v_cndmask_b32_e32 v156, 0, v156, vcc
	v_cmp_lt_i32_e32 vcc, 3, v1
	v_add_f64 v[160:161], v[152:153], 4.0
	v_cndmask_b32_e32 v159, v170, v159, vcc
	v_cndmask_b32_e32 v158, 0, v158, vcc
	v_cmp_lt_i32_e32 vcc, 4, v1
	v_mul_f64 v[156:157], v[156:157], v[158:159]
	v_cndmask_b32_e32 v159, v170, v161, vcc
	v_cndmask_b32_e32 v158, 0, v160, vcc
	v_cmp_lt_i32_e32 vcc, 5, v1
	v_fmac_f64_e32 v[154:155], 0.5, v[152:153]
	v_add_f64 v[152:153], v[152:153], s[40:41]
	v_mul_f64 v[156:157], v[158:159], v[156:157]
	v_cndmask_b32_e32 v159, v170, v163, vcc
	v_cndmask_b32_e32 v158, 0, v162, vcc
	v_cmp_lt_i32_e32 vcc, 6, v1
	v_mul_f64 v[156:157], v[158:159], v[156:157]
	v_cndmask_b32_e32 v153, v170, v153, vcc
	v_cndmask_b32_e32 v152, 0, v152, vcc
	v_mul_f64 v[152:153], v[152:153], v[156:157]
	v_frexp_mant_f64_e32 v[156:157], v[152:153]
	v_cmp_gt_f64_e32 vcc, s[20:21], v[156:157]
	v_cndmask_b32_e64 v11, v170, 2.0, vcc
	v_mul_f64 v[156:157], v[156:157], v[10:11]
	v_add_f64 v[158:159], v[156:157], 1.0
	v_rcp_f64_e32 v[160:161], v[158:159]
	v_add_f64 v[164:165], v[158:159], -1.0
	v_add_f64 v[162:163], v[156:157], -1.0
	v_add_f64 v[156:157], v[156:157], -v[164:165]
	v_fma_f64 v[164:165], -v[158:159], v[160:161], 1.0
	v_fmac_f64_e32 v[160:161], v[164:165], v[160:161]
	v_fma_f64 v[164:165], -v[158:159], v[160:161], 1.0
	v_fmac_f64_e32 v[160:161], v[164:165], v[160:161]
	v_mul_f64 v[164:165], v[162:163], v[160:161]
	v_mul_f64 v[166:167], v[158:159], v[164:165]
	v_fma_f64 v[158:159], v[164:165], v[158:159], -v[166:167]
	v_fmac_f64_e32 v[158:159], v[164:165], v[156:157]
	v_add_f64 v[156:157], v[166:167], v[158:159]
	v_add_f64 v[174:175], v[162:163], -v[156:157]
	v_add_f64 v[166:167], v[156:157], -v[166:167]
	v_add_f64 v[162:163], v[162:163], -v[174:175]
	v_add_f64 v[156:157], v[162:163], -v[156:157]
	v_add_f64 v[158:159], v[166:167], -v[158:159]
	v_add_f64 v[156:157], v[158:159], v[156:157]
	v_add_f64 v[156:157], v[174:175], v[156:157]
	v_mul_f64 v[156:157], v[160:161], v[156:157]
	v_add_f64 v[158:159], v[164:165], v[156:157]
	v_add_f64 v[160:161], v[158:159], -v[164:165]
	v_add_f64 v[156:157], v[156:157], -v[160:161]
	v_mul_f64 v[160:161], v[158:159], v[158:159]
	v_pk_mov_b32 v[162:163], v[12:13], v[12:13] op_sel:[0,1]
	v_fmac_f64_e32 v[162:163], s[22:23], v[160:161]
	v_pk_mov_b32 v[164:165], v[14:15], v[14:15] op_sel:[0,1]
	v_fmac_f64_e32 v[164:165], v[160:161], v[162:163]
	;; [unrolled: 2-line block ×6, first 2 shown]
	v_ldexp_f64 v[162:163], v[158:159], 1
	v_mul_f64 v[158:159], v[158:159], v[160:161]
	v_mul_f64 v[158:159], v[158:159], v[164:165]
	v_add_f64 v[160:161], v[162:163], v[158:159]
	v_add_f64 v[162:163], v[160:161], -v[162:163]
	v_ldexp_f64 v[156:157], v[156:157], 1
	v_add_f64 v[158:159], v[158:159], -v[162:163]
	v_add_f64 v[156:157], v[156:157], v[158:159]
	v_frexp_exp_i32_f64_e32 v1, v[152:153]
	v_add_f64 v[158:159], v[160:161], v[156:157]
	v_subbrev_co_u32_e32 v1, vcc, 0, v1, vcc
	v_add_f64 v[160:161], v[158:159], -v[160:161]
	v_add_f64 v[156:157], v[156:157], -v[160:161]
	v_cvt_f64_i32_e32 v[160:161], v1
	v_mul_f64 v[162:163], v[160:161], s[24:25]
	v_fma_f64 v[164:165], v[160:161], s[24:25], -v[162:163]
	v_fmac_f64_e32 v[164:165], s[26:27], v[160:161]
	v_add_f64 v[160:161], v[162:163], v[164:165]
	v_add_f64 v[162:163], v[160:161], -v[162:163]
	v_add_f64 v[162:163], v[164:165], -v[162:163]
	v_add_f64 v[164:165], v[160:161], v[158:159]
	v_add_f64 v[166:167], v[164:165], -v[160:161]
	v_add_f64 v[174:175], v[164:165], -v[166:167]
	;; [unrolled: 1-line block ×4, first 2 shown]
	v_add_f64 v[158:159], v[158:159], v[160:161]
	v_add_f64 v[160:161], v[162:163], v[156:157]
	v_add_f64 v[166:167], v[160:161], -v[162:163]
	v_add_f64 v[174:175], v[160:161], -v[166:167]
	v_add_f64 v[158:159], v[160:161], v[158:159]
	v_add_f64 v[162:163], v[162:163], -v[174:175]
	v_add_f64 v[156:157], v[156:157], -v[166:167]
	v_add_f64 v[160:161], v[164:165], v[158:159]
	v_add_f64 v[156:157], v[156:157], v[162:163]
	v_add_f64 v[162:163], v[160:161], -v[164:165]
	v_add_f64 v[158:159], v[158:159], -v[162:163]
	v_add_f64 v[156:157], v[156:157], v[158:159]
	v_add_f64 v[156:157], v[160:161], v[156:157]
	v_cmp_class_f64_e64 vcc, v[152:153], s92
	v_cndmask_b32_e32 v1, v156, v152, vcc
	v_cndmask_b32_e32 v11, v157, v153, vcc
	v_cmp_ngt_f64_e32 vcc, 0, v[152:153]
	v_cndmask_b32_e32 v11, v172, v11, vcc
	v_cmp_nge_f64_e32 vcc, 0, v[152:153]
	v_cndmask_b32_e32 v156, 0, v1, vcc
	v_cmp_neq_f64_e32 vcc, 0, v[152:153]
	v_cndmask_b32_e32 v157, v171, v11, vcc
	v_add_f64 v[152:153], v[154:155], v[156:157]
.LBB8_49:                               ;   in Loop: Header=BB8_5 Depth=1
	s_or_b64 exec, exec, s[82:83]
.LBB8_50:                               ;   in Loop: Header=BB8_5 Depth=1
	s_andn2_saveexec_b64 s[2:3], s[2:3]
	s_cbranch_execz .LBB8_64
; %bb.51:                               ;   in Loop: Header=BB8_5 Depth=1
	v_cmp_lt_u32_e32 vcc, s93, v151
                                        ; implicit-def: $sgpr84_sgpr85
                                        ; implicit-def: $vgpr1
                                        ; implicit-def: $vgpr154_vgpr155
	s_and_saveexec_b64 s[82:83], vcc
	s_xor_b64 s[82:83], exec, s[82:83]
	s_cbranch_execz .LBB8_53
; %bb.52:                               ;   in Loop: Header=BB8_5 Depth=1
	v_add_f64 v[152:153], -|v[8:9]|, 2.0
	v_add_f64 v[154:155], |v[8:9]|, s[42:43]
	v_cmp_gt_u32_e32 vcc, s94, v151
	v_cndmask_b32_e32 v1, v152, v154, vcc
	v_cndmask_b32_e32 v11, v153, v155, vcc
	v_cndmask_b32_e64 v48, 0, 1, vcc
	v_add_f64 v[152:153], |v[8:9]|, -1.0
	v_cmp_gt_u32_e32 vcc, s95, v151
	v_cndmask_b32_e32 v155, v11, v153, vcc
	v_cndmask_b32_e32 v154, v1, v152, vcc
	v_cndmask_b32_e64 v1, v48, 2, vcc
	s_mov_b64 s[84:85], 0
.LBB8_53:                               ;   in Loop: Header=BB8_5 Depth=1
	s_or_saveexec_b64 s[82:83], s[82:83]
	v_pk_mov_b32 v[152:153], s[84:85], s[84:85] op_sel:[0,1]
	s_xor_b64 exec, exec, s[82:83]
	s_cbranch_execz .LBB8_55
; %bb.54:                               ;   in Loop: Header=BB8_5 Depth=1
	v_frexp_mant_f64_e64 v[152:153], |v[8:9]|
	v_cmp_gt_f64_e32 vcc, s[20:21], v[152:153]
	v_cndmask_b32_e64 v11, v170, 2.0, vcc
	v_mul_f64 v[152:153], v[152:153], v[10:11]
	v_add_f64 v[154:155], v[152:153], 1.0
	v_rcp_f64_e32 v[156:157], v[154:155]
	v_add_f64 v[160:161], v[154:155], -1.0
	v_add_f64 v[158:159], v[152:153], -1.0
	v_add_f64 v[152:153], v[152:153], -v[160:161]
	v_fma_f64 v[160:161], -v[154:155], v[156:157], 1.0
	v_fmac_f64_e32 v[156:157], v[160:161], v[156:157]
	v_fma_f64 v[160:161], -v[154:155], v[156:157], 1.0
	v_fmac_f64_e32 v[156:157], v[160:161], v[156:157]
	v_mul_f64 v[160:161], v[158:159], v[156:157]
	v_mul_f64 v[162:163], v[154:155], v[160:161]
	v_fma_f64 v[154:155], v[160:161], v[154:155], -v[162:163]
	v_fmac_f64_e32 v[154:155], v[160:161], v[152:153]
	v_add_f64 v[152:153], v[162:163], v[154:155]
	v_add_f64 v[164:165], v[158:159], -v[152:153]
	v_add_f64 v[162:163], v[152:153], -v[162:163]
	;; [unrolled: 1-line block ×5, first 2 shown]
	v_add_f64 v[152:153], v[154:155], v[152:153]
	v_add_f64 v[152:153], v[164:165], v[152:153]
	v_mul_f64 v[152:153], v[156:157], v[152:153]
	v_add_f64 v[154:155], v[160:161], v[152:153]
	v_add_f64 v[156:157], v[154:155], -v[160:161]
	v_add_f64 v[152:153], v[152:153], -v[156:157]
	v_mul_f64 v[156:157], v[154:155], v[154:155]
	v_pk_mov_b32 v[158:159], v[12:13], v[12:13] op_sel:[0,1]
	v_fmac_f64_e32 v[158:159], s[22:23], v[156:157]
	v_pk_mov_b32 v[160:161], v[14:15], v[14:15] op_sel:[0,1]
	v_fmac_f64_e32 v[160:161], v[156:157], v[158:159]
	;; [unrolled: 2-line block ×6, first 2 shown]
	v_ldexp_f64 v[158:159], v[154:155], 1
	v_mul_f64 v[154:155], v[154:155], v[156:157]
	v_mul_f64 v[154:155], v[154:155], v[160:161]
	v_add_f64 v[156:157], v[158:159], v[154:155]
	v_add_f64 v[158:159], v[156:157], -v[158:159]
	v_ldexp_f64 v[152:153], v[152:153], 1
	v_add_f64 v[154:155], v[154:155], -v[158:159]
	v_add_f64 v[152:153], v[152:153], v[154:155]
	v_frexp_exp_i32_f64_e32 v48, v[8:9]
	v_add_f64 v[154:155], v[156:157], v[152:153]
	v_subbrev_co_u32_e32 v11, vcc, 0, v48, vcc
	v_add_f64 v[156:157], v[154:155], -v[156:157]
	v_add_f64 v[152:153], v[152:153], -v[156:157]
	v_cvt_f64_i32_e32 v[156:157], v11
	v_mul_f64 v[158:159], v[156:157], s[24:25]
	v_fma_f64 v[160:161], v[156:157], s[24:25], -v[158:159]
	v_fmac_f64_e32 v[160:161], s[26:27], v[156:157]
	v_add_f64 v[156:157], v[158:159], v[160:161]
	v_add_f64 v[158:159], v[156:157], -v[158:159]
	v_add_f64 v[158:159], v[160:161], -v[158:159]
	v_add_f64 v[160:161], v[156:157], v[154:155]
	v_add_f64 v[162:163], v[160:161], -v[156:157]
	v_add_f64 v[164:165], v[160:161], -v[162:163]
	;; [unrolled: 1-line block ×4, first 2 shown]
	v_add_f64 v[154:155], v[154:155], v[156:157]
	v_add_f64 v[156:157], v[158:159], v[152:153]
	v_add_f64 v[162:163], v[156:157], -v[158:159]
	v_add_f64 v[164:165], v[156:157], -v[162:163]
	v_add_f64 v[154:155], v[156:157], v[154:155]
	v_add_f64 v[158:159], v[158:159], -v[164:165]
	v_add_f64 v[152:153], v[152:153], -v[162:163]
	v_add_f64 v[156:157], v[160:161], v[154:155]
	v_add_f64 v[152:153], v[152:153], v[158:159]
	v_add_f64 v[158:159], v[156:157], -v[160:161]
	v_add_f64 v[154:155], v[154:155], -v[158:159]
	v_add_f64 v[152:153], v[152:153], v[154:155]
	v_and_b32_e32 v1, 0x7fffffff, v9
	v_add_f64 v[152:153], v[156:157], v[152:153]
	v_cmp_class_f64_e64 vcc, v[8:9], s92
	v_cndmask_b32_e32 v11, v152, v8, vcc
	v_cndmask_b32_e64 v48, -v153, -v1, vcc
	v_cmp_neq_f64_e32 vcc, 0, v[8:9]
	v_cndmask_b32_e32 v153, v173, v48, vcc
	v_cndmask_b32_e32 v152, 0, v11, vcc
	v_add_f64 v[154:155], -|v[8:9]|, 1.0
	v_add_f64 v[156:157], |v[8:9]|, s[44:45]
	v_cmp_gt_u32_e32 vcc, s28, v151
	v_cndmask_b32_e32 v11, v154, v156, vcc
	v_cndmask_b32_e32 v48, v155, v157, vcc
	v_cndmask_b32_e64 v146, 0, 1, vcc
	v_cmp_gt_u32_e32 vcc, s29, v151
	v_cndmask_b32_e32 v155, v48, v1, vcc
	v_cndmask_b32_e32 v154, v11, v8, vcc
	v_cndmask_b32_e64 v1, v146, 2, vcc
.LBB8_55:                               ;   in Loop: Header=BB8_5 Depth=1
	s_or_b64 exec, exec, s[82:83]
	v_cmp_lt_i32_e32 vcc, 1, v1
                                        ; implicit-def: $vgpr158_vgpr159
	s_and_saveexec_b64 s[82:83], vcc
	s_xor_b64 s[82:83], exec, s[82:83]
	s_cbranch_execz .LBB8_57
; %bb.56:                               ;   in Loop: Header=BB8_5 Depth=1
	v_pk_mov_b32 v[156:157], v[60:61], v[60:61] op_sel:[0,1]
	v_fmac_f64_e32 v[156:157], s[46:47], v[154:155]
	v_pk_mov_b32 v[158:159], v[62:63], v[62:63] op_sel:[0,1]
	v_fmac_f64_e32 v[158:159], v[154:155], v[156:157]
	;; [unrolled: 2-line block ×3, first 2 shown]
	v_pk_mov_b32 v[158:159], v[66:67], v[66:67] op_sel:[0,1]
	v_mov_b32_e32 v48, v46
	v_fmac_f64_e32 v[158:159], v[154:155], v[156:157]
	v_pk_mov_b32 v[156:157], v[48:49], v[48:49] op_sel:[0,1]
	v_fmac_f64_e32 v[156:157], v[154:155], v[158:159]
	v_pk_mov_b32 v[158:159], v[68:69], v[68:69] op_sel:[0,1]
	;; [unrolled: 2-line block ×5, first 2 shown]
	v_fmac_f64_e32 v[160:161], v[154:155], v[158:159]
	v_mul_f64 v[156:157], v[154:155], v[156:157]
	v_fma_f64 v[158:159], v[154:155], v[160:161], 1.0
	v_div_scale_f64 v[160:161], s[84:85], v[158:159], v[158:159], v[156:157]
	v_rcp_f64_e32 v[162:163], v[160:161]
                                        ; implicit-def: $vgpr1
	v_fma_f64 v[164:165], -v[160:161], v[162:163], 1.0
	v_fmac_f64_e32 v[162:163], v[162:163], v[164:165]
	v_fma_f64 v[164:165], -v[160:161], v[162:163], 1.0
	v_fmac_f64_e32 v[162:163], v[162:163], v[164:165]
	v_div_scale_f64 v[164:165], vcc, v[156:157], v[158:159], v[156:157]
	v_mul_f64 v[166:167], v[164:165], v[162:163]
	v_fma_f64 v[160:161], -v[160:161], v[166:167], v[164:165]
	s_nop 1
	v_div_fmas_f64 v[160:161], v[160:161], v[162:163], v[166:167]
	v_div_fixup_f64 v[158:159], v[160:161], v[158:159], v[156:157]
	v_fmac_f64_e32 v[158:159], -0.5, v[154:155]
                                        ; implicit-def: $vgpr154_vgpr155
.LBB8_57:                               ;   in Loop: Header=BB8_5 Depth=1
	s_andn2_saveexec_b64 s[82:83], s[82:83]
	s_cbranch_execz .LBB8_63
; %bb.58:                               ;   in Loop: Header=BB8_5 Depth=1
	v_cmp_ne_u32_e32 vcc, 1, v1
	v_mul_f64 v[156:157], v[154:155], v[154:155]
                                        ; implicit-def: $vgpr158_vgpr159
	s_and_saveexec_b64 s[84:85], vcc
	s_xor_b64 s[84:85], exec, s[84:85]
	s_cbranch_execz .LBB8_60
; %bb.59:                               ;   in Loop: Header=BB8_5 Depth=1
	s_mov_b32 vcc_lo, 0x428cfa52
	v_pk_mov_b32 v[158:159], v[76:77], v[76:77] op_sel:[0,1]
	s_mov_b32 vcc_hi, 0x3efa7074
	v_fmac_f64_e32 v[158:159], vcc, v[156:157]
	v_pk_mov_b32 v[160:161], v[78:79], v[78:79] op_sel:[0,1]
	v_fmac_f64_e32 v[160:161], v[156:157], v[158:159]
	v_pk_mov_b32 v[158:159], v[80:81], v[80:81] op_sel:[0,1]
	v_fmac_f64_e32 v[158:159], v[156:157], v[160:161]
	v_pk_mov_b32 v[160:161], v[82:83], v[82:83] op_sel:[0,1]
	s_mov_b32 vcc_lo, 0x90a45837
	v_fmac_f64_e32 v[160:161], v[156:157], v[158:159]
	v_pk_mov_b32 v[162:163], v[46:47], v[46:47] op_sel:[0,1]
	v_pk_mov_b32 v[158:159], v[84:85], v[84:85] op_sel:[0,1]
	s_mov_b32 vcc_hi, 0x3f07858e
	v_fmac_f64_e32 v[162:163], v[156:157], v[160:161]
	v_fmac_f64_e32 v[158:159], vcc, v[156:157]
	v_pk_mov_b32 v[160:161], v[86:87], v[86:87] op_sel:[0,1]
	v_fmac_f64_e32 v[160:161], v[156:157], v[158:159]
	v_pk_mov_b32 v[158:159], v[88:89], v[88:89] op_sel:[0,1]
	v_fmac_f64_e32 v[158:159], v[156:157], v[160:161]
	;; [unrolled: 2-line block ×4, first 2 shown]
	v_mul_f64 v[158:159], v[156:157], v[158:159]
	v_fmac_f64_e32 v[158:159], v[154:155], v[162:163]
	v_fmac_f64_e32 v[158:159], -0.5, v[154:155]
                                        ; implicit-def: $vgpr154_vgpr155
                                        ; implicit-def: $vgpr156_vgpr157
.LBB8_60:                               ;   in Loop: Header=BB8_5 Depth=1
	s_andn2_saveexec_b64 s[84:85], s[84:85]
	s_cbranch_execz .LBB8_62
; %bb.61:                               ;   in Loop: Header=BB8_5 Depth=1
	v_mul_f64 v[158:159], v[154:155], v[156:157]
	v_pk_mov_b32 v[160:161], v[94:95], v[94:95] op_sel:[0,1]
	v_fmac_f64_e32 v[160:161], s[54:55], v[158:159]
	v_pk_mov_b32 v[162:163], v[96:97], v[96:97] op_sel:[0,1]
	v_fmac_f64_e32 v[162:163], v[158:159], v[160:161]
	;; [unrolled: 2-line block ×12, first 2 shown]
	v_fmac_f64_e32 v[164:165], v[154:155], v[166:167]
	v_fma_f64 v[154:155], v[158:159], -v[164:165], s[60:61]
	v_fma_f64 v[154:155], v[156:157], v[162:163], -v[154:155]
	v_add_f64 v[158:159], v[154:155], s[62:63]
.LBB8_62:                               ;   in Loop: Header=BB8_5 Depth=1
	s_or_b64 exec, exec, s[84:85]
.LBB8_63:                               ;   in Loop: Header=BB8_5 Depth=1
	s_or_b64 exec, exec, s[82:83]
	v_add_f64 v[152:153], v[152:153], v[158:159]
.LBB8_64:                               ;   in Loop: Header=BB8_5 Depth=1
	s_or_b64 exec, exec, s[2:3]
.LBB8_65:                               ;   in Loop: Header=BB8_5 Depth=1
	s_andn2_saveexec_b64 s[0:1], s[0:1]
	s_cbranch_execz .LBB8_67
; %bb.66:                               ;   in Loop: Header=BB8_5 Depth=1
	v_frexp_mant_f64_e64 v[154:155], |v[8:9]|
	v_cmp_gt_f64_e32 vcc, s[20:21], v[154:155]
	v_cndmask_b32_e64 v11, v170, 2.0, vcc
	v_mul_f64 v[154:155], v[154:155], v[10:11]
	v_add_f64 v[156:157], v[154:155], 1.0
	v_rcp_f64_e32 v[158:159], v[156:157]
	v_add_f64 v[162:163], v[156:157], -1.0
	v_add_f64 v[160:161], v[154:155], -1.0
	v_add_f64 v[154:155], v[154:155], -v[162:163]
	v_fma_f64 v[162:163], -v[156:157], v[158:159], 1.0
	v_fmac_f64_e32 v[158:159], v[162:163], v[158:159]
	v_fma_f64 v[162:163], -v[156:157], v[158:159], 1.0
	v_fmac_f64_e32 v[158:159], v[162:163], v[158:159]
	v_mul_f64 v[162:163], v[160:161], v[158:159]
	v_mul_f64 v[164:165], v[156:157], v[162:163]
	v_fma_f64 v[156:157], v[162:163], v[156:157], -v[164:165]
	v_fmac_f64_e32 v[156:157], v[162:163], v[154:155]
	v_add_f64 v[154:155], v[164:165], v[156:157]
	v_add_f64 v[166:167], v[160:161], -v[154:155]
	v_add_f64 v[164:165], v[154:155], -v[164:165]
	;; [unrolled: 1-line block ×5, first 2 shown]
	v_add_f64 v[154:155], v[156:157], v[154:155]
	v_add_f64 v[154:155], v[166:167], v[154:155]
	v_mul_f64 v[154:155], v[158:159], v[154:155]
	v_add_f64 v[156:157], v[162:163], v[154:155]
	v_add_f64 v[158:159], v[156:157], -v[162:163]
	v_add_f64 v[154:155], v[154:155], -v[158:159]
	v_mul_f64 v[158:159], v[156:157], v[156:157]
	v_pk_mov_b32 v[160:161], v[12:13], v[12:13] op_sel:[0,1]
	v_fmac_f64_e32 v[160:161], s[22:23], v[158:159]
	v_pk_mov_b32 v[162:163], v[14:15], v[14:15] op_sel:[0,1]
	v_fmac_f64_e32 v[162:163], v[158:159], v[160:161]
	v_pk_mov_b32 v[160:161], v[16:17], v[16:17] op_sel:[0,1]
	v_fmac_f64_e32 v[160:161], v[158:159], v[162:163]
	v_pk_mov_b32 v[162:163], v[18:19], v[18:19] op_sel:[0,1]
	v_fmac_f64_e32 v[162:163], v[158:159], v[160:161]
	v_pk_mov_b32 v[160:161], v[20:21], v[20:21] op_sel:[0,1]
	v_fmac_f64_e32 v[160:161], v[158:159], v[162:163]
	v_pk_mov_b32 v[162:163], v[22:23], v[22:23] op_sel:[0,1]
	v_fmac_f64_e32 v[162:163], v[158:159], v[160:161]
	v_ldexp_f64 v[160:161], v[156:157], 1
	v_mul_f64 v[156:157], v[156:157], v[158:159]
	v_mul_f64 v[156:157], v[156:157], v[162:163]
	v_add_f64 v[158:159], v[160:161], v[156:157]
	v_add_f64 v[160:161], v[158:159], -v[160:161]
	v_ldexp_f64 v[154:155], v[154:155], 1
	v_add_f64 v[156:157], v[156:157], -v[160:161]
	v_add_f64 v[154:155], v[154:155], v[156:157]
	v_frexp_exp_i32_f64_e32 v48, v[8:9]
	v_add_f64 v[156:157], v[158:159], v[154:155]
	v_subbrev_co_u32_e32 v11, vcc, 0, v48, vcc
	v_add_f64 v[158:159], v[156:157], -v[158:159]
	v_add_f64 v[154:155], v[154:155], -v[158:159]
	v_cvt_f64_i32_e32 v[158:159], v11
	v_mul_f64 v[160:161], v[158:159], s[24:25]
	v_fma_f64 v[162:163], v[158:159], s[24:25], -v[160:161]
	v_fmac_f64_e32 v[162:163], s[26:27], v[158:159]
	v_add_f64 v[158:159], v[160:161], v[162:163]
	v_add_f64 v[160:161], v[158:159], -v[160:161]
	v_add_f64 v[160:161], v[162:163], -v[160:161]
	v_add_f64 v[162:163], v[158:159], v[156:157]
	v_add_f64 v[164:165], v[162:163], -v[158:159]
	v_add_f64 v[166:167], v[162:163], -v[164:165]
	;; [unrolled: 1-line block ×4, first 2 shown]
	v_add_f64 v[156:157], v[156:157], v[158:159]
	v_add_f64 v[158:159], v[160:161], v[154:155]
	v_add_f64 v[164:165], v[158:159], -v[160:161]
	v_add_f64 v[166:167], v[158:159], -v[164:165]
	v_add_f64 v[156:157], v[158:159], v[156:157]
	v_add_f64 v[160:161], v[160:161], -v[166:167]
	v_add_f64 v[154:155], v[154:155], -v[164:165]
	v_add_f64 v[158:159], v[162:163], v[156:157]
	v_add_f64 v[154:155], v[154:155], v[160:161]
	v_add_f64 v[160:161], v[158:159], -v[162:163]
	v_add_f64 v[156:157], v[156:157], -v[160:161]
	v_fma_f64 v[152:153], |v[8:9]|, s[64:65], v[118:119]
	v_add_f64 v[154:155], v[154:155], v[156:157]
	v_and_b32_e32 v1, 0x7fffffff, v9
	v_fma_f64 v[152:153], |v[8:9]|, v[152:153], s[66:67]
	v_add_f64 v[154:155], v[158:159], v[154:155]
	v_cmp_class_f64_e64 vcc, v[8:9], s92
	v_fma_f64 v[152:153], |v[8:9]|, v[152:153], s[68:69]
	v_cndmask_b32_e32 v11, v154, v8, vcc
	v_cndmask_b32_e64 v1, -v155, -v1, vcc
	v_cmp_neq_f64_e32 vcc, 0, v[8:9]
	v_fma_f64 v[152:153], |v[8:9]|, v[152:153], s[70:71]
	v_cndmask_b32_e32 v155, v173, v1, vcc
	v_cndmask_b32_e32 v154, 0, v11, vcc
	v_fma_f64 v[152:153], |v[8:9]|, v[152:153], v[154:155]
.LBB8_67:                               ;   in Loop: Header=BB8_5 Depth=1
	s_or_b64 exec, exec, s[0:1]
	v_cmp_le_f64_e32 vcc, 0, v[8:9]
	s_and_saveexec_b64 s[0:1], vcc
	s_xor_b64 s[2:3], exec, s[0:1]
; %bb.68:                               ;   in Loop: Header=BB8_5 Depth=1
	v_cmp_eq_f64_e32 vcc, 1.0, v[8:9]
	v_cmp_eq_f64_e64 s[0:1], 2.0, v[8:9]
	s_or_b64 s[0:1], vcc, s[0:1]
	v_cndmask_b32_e64 v153, v153, 0, s[0:1]
	v_cndmask_b32_e64 v152, v152, 0, s[0:1]
; %bb.69:                               ;   in Loop: Header=BB8_5 Depth=1
	s_andn2_saveexec_b64 s[0:1], s[2:3]
	s_cbranch_execz .LBB8_73
; %bb.70:                               ;   in Loop: Header=BB8_5 Depth=1
	v_add_u32_e32 v1, 0xc32fffff, v151
	v_cmp_gt_u32_e32 vcc, s50, v1
	s_and_saveexec_b64 s[2:3], vcc
	s_cbranch_execz .LBB8_72
; %bb.71:                               ;   in Loop: Header=BB8_5 Depth=1
	v_mul_f64 v[154:155], |v[8:9]|, 0.5
	v_fract_f64_e32 v[156:157], v[154:155]
	v_add_f64 v[156:157], v[156:157], v[156:157]
	v_cmp_neq_f64_e64 vcc, |v[154:155]|, s[72:73]
	v_and_b32_e32 v1, 0x7fffffff, v9
	v_cndmask_b32_e32 v11, 0, v156, vcc
	v_cndmask_b32_e32 v48, 0, v157, vcc
	v_cmp_gt_f64_e64 vcc, |v[8:9]|, 1.0
	v_cndmask_b32_e32 v155, v1, v48, vcc
	v_cndmask_b32_e32 v154, v8, v11, vcc
	v_add_f64 v[156:157], v[154:155], v[154:155]
	v_rndne_f64_e32 v[156:157], v[156:157]
	v_fmac_f64_e32 v[154:155], -0.5, v[156:157]
	v_cvt_i32_f64_e32 v1, v[156:157]
	v_mul_f64 v[156:157], v[154:155], v[154:155]
	v_pk_mov_b32 v[158:159], v[120:121], v[120:121] op_sel:[0,1]
	v_fmac_f64_e32 v[158:159], s[74:75], v[156:157]
	v_pk_mov_b32 v[160:161], v[122:123], v[122:123] op_sel:[0,1]
	v_fmac_f64_e32 v[160:161], v[156:157], v[158:159]
	;; [unrolled: 2-line block ×5, first 2 shown]
	v_mul_f64 v[160:161], v[154:155], v[156:157]
	v_mul_f64 v[158:159], v[160:161], v[158:159]
	v_fmac_f64_e32 v[158:159], s[76:77], v[154:155]
	v_pk_mov_b32 v[154:155], v[130:131], v[130:131] op_sel:[0,1]
	v_fmac_f64_e32 v[154:155], s[78:79], v[156:157]
	v_pk_mov_b32 v[160:161], v[132:133], v[132:133] op_sel:[0,1]
	;; [unrolled: 2-line block ×6, first 2 shown]
	v_fmac_f64_e32 v[160:161], v[156:157], v[154:155]
	v_and_b32_e32 v11, 1, v1
	v_lshlrev_b32_e32 v1, 30, v1
	v_fma_f64 v[154:155], v[156:157], v[160:161], 1.0
	v_cmp_eq_u32_e32 vcc, 0, v11
	v_xor_b32_e32 v1, v1, v9
	v_cndmask_b32_e32 v48, v155, v159, vcc
	v_and_b32_e32 v1, 0x80000000, v1
	v_cndmask_b32_e32 v11, v154, v158, vcc
	v_xor_b32_e32 v1, v48, v1
	v_cmp_class_f64_e64 vcc, v[8:9], s51
	v_cndmask_b32_e32 v154, 0, v11, vcc
	v_cndmask_b32_e32 v155, v172, v1, vcc
	v_mul_f64 v[154:155], v[8:9], v[154:155]
	v_and_b32_e32 v157, 0x7fffffff, v155
	v_mov_b32_e32 v156, v154
	v_div_scale_f64 v[158:159], s[82:83], v[156:157], v[156:157], s[76:77]
	v_rcp_f64_e32 v[160:161], v[158:159]
	v_div_scale_f64 v[156:157], vcc, s[76:77], v[156:157], s[76:77]
	v_cmp_class_f64_e64 s[82:83], v[8:9], s92
	v_fma_f64 v[162:163], -v[158:159], v[160:161], 1.0
	v_fmac_f64_e32 v[160:161], v[160:161], v[162:163]
	v_fma_f64 v[162:163], -v[158:159], v[160:161], 1.0
	v_fmac_f64_e32 v[160:161], v[160:161], v[162:163]
	v_mul_f64 v[162:163], v[156:157], v[160:161]
	v_fma_f64 v[156:157], -v[158:159], v[162:163], v[156:157]
	v_div_fmas_f64 v[156:157], v[156:157], v[160:161], v[162:163]
	v_div_fixup_f64 v[154:155], v[156:157], |v[154:155]|, s[76:77]
	v_frexp_mant_f64_e32 v[156:157], v[154:155]
	v_cmp_gt_f64_e32 vcc, s[20:21], v[156:157]
	v_cndmask_b32_e64 v11, v170, 2.0, vcc
	v_mul_f64 v[156:157], v[156:157], v[10:11]
	v_add_f64 v[158:159], v[156:157], 1.0
	v_rcp_f64_e32 v[160:161], v[158:159]
	v_add_f64 v[164:165], v[158:159], -1.0
	v_add_f64 v[162:163], v[156:157], -1.0
	v_add_f64 v[156:157], v[156:157], -v[164:165]
	v_fma_f64 v[164:165], -v[158:159], v[160:161], 1.0
	v_fmac_f64_e32 v[160:161], v[164:165], v[160:161]
	v_fma_f64 v[164:165], -v[158:159], v[160:161], 1.0
	v_fmac_f64_e32 v[160:161], v[164:165], v[160:161]
	v_mul_f64 v[164:165], v[162:163], v[160:161]
	v_mul_f64 v[166:167], v[158:159], v[164:165]
	v_fma_f64 v[158:159], v[164:165], v[158:159], -v[166:167]
	v_fmac_f64_e32 v[158:159], v[164:165], v[156:157]
	v_add_f64 v[156:157], v[166:167], v[158:159]
	v_add_f64 v[174:175], v[162:163], -v[156:157]
	v_add_f64 v[166:167], v[156:157], -v[166:167]
	;; [unrolled: 1-line block ×5, first 2 shown]
	v_add_f64 v[156:157], v[158:159], v[156:157]
	v_add_f64 v[156:157], v[174:175], v[156:157]
	v_mul_f64 v[156:157], v[160:161], v[156:157]
	v_add_f64 v[158:159], v[164:165], v[156:157]
	v_add_f64 v[160:161], v[158:159], -v[164:165]
	v_add_f64 v[156:157], v[156:157], -v[160:161]
	v_mul_f64 v[160:161], v[158:159], v[158:159]
	v_pk_mov_b32 v[162:163], v[12:13], v[12:13] op_sel:[0,1]
	v_fmac_f64_e32 v[162:163], s[22:23], v[160:161]
	v_pk_mov_b32 v[164:165], v[14:15], v[14:15] op_sel:[0,1]
	v_fmac_f64_e32 v[164:165], v[160:161], v[162:163]
	;; [unrolled: 2-line block ×6, first 2 shown]
	v_ldexp_f64 v[162:163], v[158:159], 1
	v_mul_f64 v[158:159], v[158:159], v[160:161]
	v_mul_f64 v[158:159], v[158:159], v[164:165]
	v_add_f64 v[160:161], v[162:163], v[158:159]
	v_add_f64 v[162:163], v[160:161], -v[162:163]
	v_ldexp_f64 v[156:157], v[156:157], 1
	v_add_f64 v[158:159], v[158:159], -v[162:163]
	v_add_f64 v[156:157], v[156:157], v[158:159]
	v_frexp_exp_i32_f64_e32 v1, v[154:155]
	v_add_f64 v[158:159], v[160:161], v[156:157]
	v_subbrev_co_u32_e32 v1, vcc, 0, v1, vcc
	v_add_f64 v[160:161], v[158:159], -v[160:161]
	v_add_f64 v[156:157], v[156:157], -v[160:161]
	v_cvt_f64_i32_e32 v[160:161], v1
	v_mul_f64 v[162:163], v[160:161], s[24:25]
	v_fma_f64 v[164:165], v[160:161], s[24:25], -v[162:163]
	v_fmac_f64_e32 v[164:165], s[26:27], v[160:161]
	v_add_f64 v[160:161], v[162:163], v[164:165]
	v_add_f64 v[162:163], v[160:161], -v[162:163]
	v_add_f64 v[162:163], v[164:165], -v[162:163]
	v_add_f64 v[164:165], v[160:161], v[158:159]
	v_add_f64 v[166:167], v[164:165], -v[160:161]
	v_add_f64 v[174:175], v[164:165], -v[166:167]
	;; [unrolled: 1-line block ×4, first 2 shown]
	v_add_f64 v[158:159], v[158:159], v[160:161]
	v_add_f64 v[160:161], v[162:163], v[156:157]
	v_add_f64 v[166:167], v[160:161], -v[162:163]
	v_add_f64 v[174:175], v[160:161], -v[166:167]
	v_add_f64 v[158:159], v[160:161], v[158:159]
	v_add_f64 v[162:163], v[162:163], -v[174:175]
	v_add_f64 v[156:157], v[156:157], -v[166:167]
	v_add_f64 v[160:161], v[164:165], v[158:159]
	v_add_f64 v[156:157], v[156:157], v[162:163]
	v_add_f64 v[162:163], v[160:161], -v[164:165]
	v_add_f64 v[158:159], v[158:159], -v[162:163]
	v_add_f64 v[156:157], v[156:157], v[158:159]
	v_add_f64 v[156:157], v[160:161], v[156:157]
	v_cmp_class_f64_e64 vcc, v[154:155], s92
	v_cndmask_b32_e32 v1, v156, v154, vcc
	v_cndmask_b32_e32 v11, v157, v155, vcc
	v_cmp_neq_f64_e32 vcc, 0, v[154:155]
	v_cndmask_b32_e32 v155, v171, v11, vcc
	v_cndmask_b32_e32 v154, 0, v1, vcc
	v_add_f64 v[152:153], v[154:155], -v[152:153]
	v_fract_f64_e32 v[154:155], v[8:9]
	v_cmp_eq_f64_e32 vcc, 0, v[154:155]
	s_or_b64 vcc, s[82:83], vcc
	v_cndmask_b32_e32 v153, v153, v173, vcc
	v_cndmask_b32_e64 v152, v152, 0, vcc
.LBB8_72:                               ;   in Loop: Header=BB8_5 Depth=1
	s_or_b64 exec, exec, s[2:3]
.LBB8_73:                               ;   in Loop: Header=BB8_5 Depth=1
	s_or_b64 exec, exec, s[0:1]
	s_waitcnt vmcnt(0)
	v_and_b32_e32 v155, 0x7fffffff, v3
	v_mov_b32_e32 v154, v2
	v_cmp_lt_u32_e32 vcc, s88, v155
                                        ; implicit-def: $vgpr156_vgpr157
	s_and_saveexec_b64 s[0:1], vcc
	s_xor_b64 s[0:1], exec, s[0:1]
	s_cbranch_execz .LBB8_99
; %bb.74:                               ;   in Loop: Header=BB8_5 Depth=1
	v_cmp_lt_u32_e32 vcc, s89, v155
                                        ; implicit-def: $vgpr156_vgpr157
	s_and_saveexec_b64 s[2:3], vcc
	s_xor_b64 s[2:3], exec, s[2:3]
	s_cbranch_execz .LBB8_84
; %bb.75:                               ;   in Loop: Header=BB8_5 Depth=1
	;; [unrolled: 6-line block ×4, first 2 shown]
	v_frexp_mant_f64_e64 v[156:157], |v[2:3]|
	v_cmp_gt_f64_e32 vcc, s[20:21], v[156:157]
	v_cndmask_b32_e64 v11, v170, 2.0, vcc
	v_mul_f64 v[156:157], v[156:157], v[10:11]
	v_add_f64 v[158:159], v[156:157], 1.0
	v_rcp_f64_e32 v[160:161], v[158:159]
	v_add_f64 v[164:165], v[158:159], -1.0
	v_add_f64 v[162:163], v[156:157], -1.0
	v_add_f64 v[156:157], v[156:157], -v[164:165]
	v_fma_f64 v[164:165], -v[158:159], v[160:161], 1.0
	v_fmac_f64_e32 v[160:161], v[164:165], v[160:161]
	v_fma_f64 v[164:165], -v[158:159], v[160:161], 1.0
	v_fmac_f64_e32 v[160:161], v[164:165], v[160:161]
	v_mul_f64 v[164:165], v[162:163], v[160:161]
	v_mul_f64 v[166:167], v[158:159], v[164:165]
	v_fma_f64 v[158:159], v[164:165], v[158:159], -v[166:167]
	v_fmac_f64_e32 v[158:159], v[164:165], v[156:157]
	v_add_f64 v[156:157], v[166:167], v[158:159]
	v_add_f64 v[174:175], v[162:163], -v[156:157]
	v_add_f64 v[166:167], v[156:157], -v[166:167]
	;; [unrolled: 1-line block ×5, first 2 shown]
	v_add_f64 v[156:157], v[158:159], v[156:157]
	v_add_f64 v[156:157], v[174:175], v[156:157]
	v_mul_f64 v[156:157], v[160:161], v[156:157]
	v_add_f64 v[158:159], v[164:165], v[156:157]
	v_add_f64 v[160:161], v[158:159], -v[164:165]
	v_add_f64 v[156:157], v[156:157], -v[160:161]
	v_mul_f64 v[160:161], v[158:159], v[158:159]
	v_pk_mov_b32 v[162:163], v[12:13], v[12:13] op_sel:[0,1]
	v_fmac_f64_e32 v[162:163], s[22:23], v[160:161]
	v_pk_mov_b32 v[164:165], v[14:15], v[14:15] op_sel:[0,1]
	v_fmac_f64_e32 v[164:165], v[160:161], v[162:163]
	;; [unrolled: 2-line block ×6, first 2 shown]
	v_ldexp_f64 v[162:163], v[158:159], 1
	v_mul_f64 v[158:159], v[158:159], v[160:161]
	v_mul_f64 v[158:159], v[158:159], v[164:165]
	v_add_f64 v[160:161], v[162:163], v[158:159]
	v_add_f64 v[162:163], v[160:161], -v[162:163]
	v_ldexp_f64 v[156:157], v[156:157], 1
	v_add_f64 v[158:159], v[158:159], -v[162:163]
	v_add_f64 v[156:157], v[156:157], v[158:159]
	v_frexp_exp_i32_f64_e32 v48, v[2:3]
	v_add_f64 v[158:159], v[160:161], v[156:157]
	v_subbrev_co_u32_e32 v11, vcc, 0, v48, vcc
	v_add_f64 v[160:161], v[158:159], -v[160:161]
	v_add_f64 v[156:157], v[156:157], -v[160:161]
	v_cvt_f64_i32_e32 v[160:161], v11
	v_mul_f64 v[162:163], v[160:161], s[24:25]
	v_fma_f64 v[164:165], v[160:161], s[24:25], -v[162:163]
	v_fmac_f64_e32 v[164:165], s[26:27], v[160:161]
	v_add_f64 v[160:161], v[162:163], v[164:165]
	v_add_f64 v[162:163], v[160:161], -v[162:163]
	v_add_f64 v[162:163], v[164:165], -v[162:163]
	v_add_f64 v[164:165], v[160:161], v[158:159]
	v_add_f64 v[166:167], v[164:165], -v[160:161]
	v_add_f64 v[174:175], v[164:165], -v[166:167]
	v_add_f64 v[160:161], v[160:161], -v[174:175]
	v_add_f64 v[158:159], v[158:159], -v[166:167]
	v_add_f64 v[158:159], v[158:159], v[160:161]
	v_add_f64 v[160:161], v[162:163], v[156:157]
	v_add_f64 v[166:167], v[160:161], -v[162:163]
	v_add_f64 v[174:175], v[160:161], -v[166:167]
	v_add_f64 v[158:159], v[160:161], v[158:159]
	v_add_f64 v[162:163], v[162:163], -v[174:175]
	v_add_f64 v[156:157], v[156:157], -v[166:167]
	v_add_f64 v[160:161], v[164:165], v[158:159]
	v_add_f64 v[156:157], v[156:157], v[162:163]
	v_add_f64 v[162:163], v[160:161], -v[164:165]
	v_add_f64 v[158:159], v[158:159], -v[162:163]
	v_add_f64 v[156:157], v[156:157], v[158:159]
	v_and_b32_e32 v1, 0x7fffffff, v3
	v_add_f64 v[156:157], v[160:161], v[156:157]
	v_cmp_class_f64_e64 vcc, v[2:3], s92
	v_cndmask_b32_e32 v11, v156, v2, vcc
	v_cndmask_b32_e32 v1, v157, v1, vcc
	v_cmp_neq_f64_e32 vcc, 0, v[2:3]
	v_cndmask_b32_e32 v157, v171, v1, vcc
	v_cndmask_b32_e32 v156, 0, v11, vcc
	v_fma_f64 v[156:157], |v[2:3]|, v[156:157], -|v[2:3]|
.LBB8_78:                               ;   in Loop: Header=BB8_5 Depth=1
	s_andn2_saveexec_b64 s[84:85], s[84:85]
	s_cbranch_execz .LBB8_80
; %bb.79:                               ;   in Loop: Header=BB8_5 Depth=1
	v_and_b32_e32 v159, 0x7fffffff, v3
	v_mov_b32_e32 v158, v2
	v_div_scale_f64 v[156:157], vcc, v[158:159], v[158:159], 1.0
	v_rcp_f64_e32 v[160:161], v[156:157]
	v_frexp_exp_i32_f64_e32 v1, v[2:3]
	v_fma_f64 v[162:163], -v[156:157], v[160:161], 1.0
	v_fmac_f64_e32 v[160:161], v[160:161], v[162:163]
	v_fma_f64 v[162:163], -v[156:157], v[160:161], 1.0
	v_fmac_f64_e32 v[160:161], v[160:161], v[162:163]
	v_div_scale_f64 v[162:163], vcc, 1.0, v[158:159], 1.0
	v_mul_f64 v[164:165], v[162:163], v[160:161]
	v_fma_f64 v[156:157], -v[156:157], v[164:165], v[162:163]
	v_pk_mov_b32 v[162:163], v[24:25], v[24:25] op_sel:[0,1]
	s_nop 0
	v_div_fmas_f64 v[156:157], v[156:157], v[160:161], v[164:165]
	v_div_fixup_f64 v[160:161], v[156:157], |v[2:3]|, 1.0
	s_mov_b32 vcc_lo, 0xb9e43e4
	v_mul_f64 v[156:157], v[160:161], v[160:161]
	s_mov_b32 vcc_hi, 0xbf5ab89d
	v_fmac_f64_e32 v[162:163], vcc, v[156:157]
	v_pk_mov_b32 v[164:165], v[26:27], v[26:27] op_sel:[0,1]
	v_fmac_f64_e32 v[164:165], v[156:157], v[162:163]
	v_pk_mov_b32 v[162:163], v[28:29], v[28:29] op_sel:[0,1]
	v_fmac_f64_e32 v[162:163], v[156:157], v[164:165]
	;; [unrolled: 2-line block ×5, first 2 shown]
	v_frexp_mant_f64_e64 v[162:163], |v[2:3]|
	v_cmp_gt_f64_e32 vcc, s[20:21], v[162:163]
	v_cndmask_b32_e64 v11, v170, 2.0, vcc
	v_mul_f64 v[162:163], v[162:163], v[10:11]
	v_add_f64 v[164:165], v[162:163], 1.0
	v_rcp_f64_e32 v[166:167], v[164:165]
	v_add_f64 v[176:177], v[164:165], -1.0
	v_add_f64 v[174:175], v[162:163], -1.0
	v_add_f64 v[162:163], v[162:163], -v[176:177]
	v_fma_f64 v[176:177], -v[164:165], v[166:167], 1.0
	v_fmac_f64_e32 v[166:167], v[176:177], v[166:167]
	v_fma_f64 v[176:177], -v[164:165], v[166:167], 1.0
	v_fmac_f64_e32 v[166:167], v[176:177], v[166:167]
	v_mul_f64 v[176:177], v[174:175], v[166:167]
	v_mul_f64 v[178:179], v[164:165], v[176:177]
	v_fma_f64 v[164:165], v[176:177], v[164:165], -v[178:179]
	v_fmac_f64_e32 v[164:165], v[176:177], v[162:163]
	v_add_f64 v[162:163], v[178:179], v[164:165]
	v_add_f64 v[180:181], v[174:175], -v[162:163]
	v_add_f64 v[178:179], v[162:163], -v[178:179]
	;; [unrolled: 1-line block ×5, first 2 shown]
	v_add_f64 v[162:163], v[164:165], v[162:163]
	v_add_f64 v[162:163], v[180:181], v[162:163]
	v_mul_f64 v[162:163], v[166:167], v[162:163]
	v_add_f64 v[164:165], v[176:177], v[162:163]
	v_add_f64 v[166:167], v[164:165], -v[176:177]
	v_add_f64 v[162:163], v[162:163], -v[166:167]
	v_mul_f64 v[166:167], v[164:165], v[164:165]
	v_pk_mov_b32 v[174:175], v[12:13], v[12:13] op_sel:[0,1]
	v_fmac_f64_e32 v[174:175], s[22:23], v[166:167]
	v_pk_mov_b32 v[176:177], v[14:15], v[14:15] op_sel:[0,1]
	v_fmac_f64_e32 v[176:177], v[166:167], v[174:175]
	;; [unrolled: 2-line block ×6, first 2 shown]
	v_ldexp_f64 v[174:175], v[164:165], 1
	v_mul_f64 v[164:165], v[164:165], v[166:167]
	v_mul_f64 v[164:165], v[164:165], v[176:177]
	v_add_f64 v[166:167], v[174:175], v[164:165]
	v_add_f64 v[174:175], v[166:167], -v[174:175]
	v_ldexp_f64 v[162:163], v[162:163], 1
	v_add_f64 v[164:165], v[164:165], -v[174:175]
	v_add_f64 v[162:163], v[162:163], v[164:165]
	v_add_f64 v[164:165], v[166:167], v[162:163]
	v_subbrev_co_u32_e32 v1, vcc, 0, v1, vcc
	v_add_f64 v[166:167], v[164:165], -v[166:167]
	v_add_f64 v[162:163], v[162:163], -v[166:167]
	v_cvt_f64_i32_e32 v[166:167], v1
	v_mul_f64 v[174:175], v[166:167], s[24:25]
	v_fma_f64 v[176:177], v[166:167], s[24:25], -v[174:175]
	v_fmac_f64_e32 v[176:177], s[26:27], v[166:167]
	v_add_f64 v[166:167], v[174:175], v[176:177]
	v_add_f64 v[174:175], v[166:167], -v[174:175]
	v_add_f64 v[174:175], v[176:177], -v[174:175]
	v_add_f64 v[176:177], v[166:167], v[164:165]
	v_add_f64 v[178:179], v[176:177], -v[166:167]
	v_add_f64 v[180:181], v[176:177], -v[178:179]
	v_add_f64 v[166:167], v[166:167], -v[180:181]
	v_add_f64 v[164:165], v[164:165], -v[178:179]
	v_add_f64 v[164:165], v[164:165], v[166:167]
	v_add_f64 v[166:167], v[174:175], v[162:163]
	v_add_f64 v[178:179], v[166:167], -v[174:175]
	v_add_f64 v[180:181], v[166:167], -v[178:179]
	v_add_f64 v[164:165], v[166:167], v[164:165]
	v_add_f64 v[174:175], v[174:175], -v[180:181]
	v_add_f64 v[162:163], v[162:163], -v[178:179]
	v_add_f64 v[166:167], v[176:177], v[164:165]
	v_add_f64 v[162:163], v[162:163], v[174:175]
	v_add_f64 v[174:175], v[166:167], -v[176:177]
	v_add_f64 v[164:165], v[164:165], -v[174:175]
	v_add_f64 v[162:163], v[162:163], v[164:165]
	v_add_f64 v[162:163], v[166:167], v[162:163]
	v_cmp_class_f64_e64 vcc, v[2:3], s92
	v_cndmask_b32_e32 v159, v163, v159, vcc
	v_cndmask_b32_e32 v158, v162, v158, vcc
	v_add_f64 v[158:159], v[158:159], -1.0
	v_cmp_neq_f64_e32 vcc, 0, v[2:3]
	v_add_f64 v[160:161], |v[2:3]|, -0.5
	v_cndmask_b32_e32 v159, v171, v159, vcc
	v_cndmask_b32_e32 v158, 0, v158, vcc
	v_fmac_f64_e32 v[156:157], v[160:161], v[158:159]
.LBB8_80:                               ;   in Loop: Header=BB8_5 Depth=1
	s_or_b64 exec, exec, s[84:85]
.LBB8_81:                               ;   in Loop: Header=BB8_5 Depth=1
	s_andn2_saveexec_b64 s[82:83], s[82:83]
	s_cbranch_execz .LBB8_83
; %bb.82:                               ;   in Loop: Header=BB8_5 Depth=1
	v_cvt_i32_f64_e32 v1, v[154:155]
	v_cvt_f64_i32_e32 v[156:157], v1
	v_add_f64 v[156:157], |v[2:3]|, -v[156:157]
	v_pk_mov_b32 v[158:159], v[36:37], v[36:37] op_sel:[0,1]
	v_fmac_f64_e32 v[158:159], s[30:31], v[156:157]
	v_pk_mov_b32 v[160:161], v[38:39], v[38:39] op_sel:[0,1]
	v_fmac_f64_e32 v[160:161], v[156:157], v[158:159]
	;; [unrolled: 2-line block ×4, first 2 shown]
	v_pk_mov_b32 v[158:159], v[44:45], v[44:45] op_sel:[0,1]
	v_mov_b32_e32 v48, v46
	v_fmac_f64_e32 v[158:159], v[156:157], v[160:161]
	v_pk_mov_b32 v[160:161], v[48:49], v[48:49] op_sel:[0,1]
	v_fmac_f64_e32 v[160:161], v[156:157], v[158:159]
	v_mul_f64 v[158:159], v[156:157], v[160:161]
	v_pk_mov_b32 v[160:161], v[50:51], v[50:51] op_sel:[0,1]
	v_fmac_f64_e32 v[160:161], s[34:35], v[156:157]
	v_pk_mov_b32 v[162:163], v[52:53], v[52:53] op_sel:[0,1]
	v_fmac_f64_e32 v[162:163], v[156:157], v[160:161]
	;; [unrolled: 2-line block ×5, first 2 shown]
	v_fma_f64 v[160:161], v[156:157], v[160:161], 1.0
	v_div_scale_f64 v[162:163], s[84:85], v[160:161], v[160:161], v[158:159]
	v_rcp_f64_e32 v[164:165], v[162:163]
	v_fma_f64 v[166:167], -v[162:163], v[164:165], 1.0
	v_fmac_f64_e32 v[164:165], v[164:165], v[166:167]
	v_fma_f64 v[166:167], -v[162:163], v[164:165], 1.0
	v_fmac_f64_e32 v[164:165], v[164:165], v[166:167]
	v_div_scale_f64 v[166:167], vcc, v[158:159], v[160:161], v[158:159]
	v_mul_f64 v[174:175], v[166:167], v[164:165]
	v_fma_f64 v[162:163], -v[162:163], v[174:175], v[166:167]
	v_add_f64 v[166:167], v[156:157], s[38:39]
	s_nop 0
	v_div_fmas_f64 v[162:163], v[162:163], v[164:165], v[174:175]
	v_div_fixup_f64 v[158:159], v[162:163], v[160:161], v[158:159]
	v_add_f64 v[160:161], v[156:157], 2.0
	v_cmp_lt_i32_e32 vcc, 2, v1
	v_add_f64 v[162:163], v[156:157], s[36:37]
	v_cndmask_b32_e32 v161, v170, v161, vcc
	v_cndmask_b32_e32 v160, 0, v160, vcc
	v_cmp_lt_i32_e32 vcc, 3, v1
	v_add_f64 v[164:165], v[156:157], 4.0
	v_cndmask_b32_e32 v163, v170, v163, vcc
	v_cndmask_b32_e32 v162, 0, v162, vcc
	v_cmp_lt_i32_e32 vcc, 4, v1
	v_mul_f64 v[160:161], v[160:161], v[162:163]
	v_cndmask_b32_e32 v163, v170, v165, vcc
	v_cndmask_b32_e32 v162, 0, v164, vcc
	v_cmp_lt_i32_e32 vcc, 5, v1
	v_fmac_f64_e32 v[158:159], 0.5, v[156:157]
	v_add_f64 v[156:157], v[156:157], s[40:41]
	v_mul_f64 v[160:161], v[162:163], v[160:161]
	v_cndmask_b32_e32 v163, v170, v167, vcc
	v_cndmask_b32_e32 v162, 0, v166, vcc
	v_cmp_lt_i32_e32 vcc, 6, v1
	v_mul_f64 v[160:161], v[162:163], v[160:161]
	v_cndmask_b32_e32 v157, v170, v157, vcc
	v_cndmask_b32_e32 v156, 0, v156, vcc
	v_mul_f64 v[156:157], v[156:157], v[160:161]
	v_frexp_mant_f64_e32 v[160:161], v[156:157]
	v_cmp_gt_f64_e32 vcc, s[20:21], v[160:161]
	v_cndmask_b32_e64 v11, v170, 2.0, vcc
	v_mul_f64 v[160:161], v[160:161], v[10:11]
	v_add_f64 v[162:163], v[160:161], 1.0
	v_rcp_f64_e32 v[164:165], v[162:163]
	v_add_f64 v[174:175], v[162:163], -1.0
	v_add_f64 v[166:167], v[160:161], -1.0
	v_add_f64 v[160:161], v[160:161], -v[174:175]
	v_fma_f64 v[174:175], -v[162:163], v[164:165], 1.0
	v_fmac_f64_e32 v[164:165], v[174:175], v[164:165]
	v_fma_f64 v[174:175], -v[162:163], v[164:165], 1.0
	v_fmac_f64_e32 v[164:165], v[174:175], v[164:165]
	v_mul_f64 v[174:175], v[166:167], v[164:165]
	v_mul_f64 v[176:177], v[162:163], v[174:175]
	v_fma_f64 v[162:163], v[174:175], v[162:163], -v[176:177]
	v_fmac_f64_e32 v[162:163], v[174:175], v[160:161]
	v_add_f64 v[160:161], v[176:177], v[162:163]
	v_add_f64 v[178:179], v[166:167], -v[160:161]
	v_add_f64 v[176:177], v[160:161], -v[176:177]
	;; [unrolled: 1-line block ×5, first 2 shown]
	v_add_f64 v[160:161], v[162:163], v[160:161]
	v_add_f64 v[160:161], v[178:179], v[160:161]
	v_mul_f64 v[160:161], v[164:165], v[160:161]
	v_add_f64 v[162:163], v[174:175], v[160:161]
	v_add_f64 v[164:165], v[162:163], -v[174:175]
	v_add_f64 v[160:161], v[160:161], -v[164:165]
	v_mul_f64 v[164:165], v[162:163], v[162:163]
	v_pk_mov_b32 v[166:167], v[12:13], v[12:13] op_sel:[0,1]
	v_fmac_f64_e32 v[166:167], s[22:23], v[164:165]
	v_pk_mov_b32 v[174:175], v[14:15], v[14:15] op_sel:[0,1]
	v_fmac_f64_e32 v[174:175], v[164:165], v[166:167]
	v_pk_mov_b32 v[166:167], v[16:17], v[16:17] op_sel:[0,1]
	v_fmac_f64_e32 v[166:167], v[164:165], v[174:175]
	v_pk_mov_b32 v[174:175], v[18:19], v[18:19] op_sel:[0,1]
	v_fmac_f64_e32 v[174:175], v[164:165], v[166:167]
	v_pk_mov_b32 v[166:167], v[20:21], v[20:21] op_sel:[0,1]
	v_fmac_f64_e32 v[166:167], v[164:165], v[174:175]
	v_pk_mov_b32 v[174:175], v[22:23], v[22:23] op_sel:[0,1]
	v_fmac_f64_e32 v[174:175], v[164:165], v[166:167]
	v_ldexp_f64 v[166:167], v[162:163], 1
	v_mul_f64 v[162:163], v[162:163], v[164:165]
	v_mul_f64 v[162:163], v[162:163], v[174:175]
	v_add_f64 v[164:165], v[166:167], v[162:163]
	v_add_f64 v[166:167], v[164:165], -v[166:167]
	v_ldexp_f64 v[160:161], v[160:161], 1
	v_add_f64 v[162:163], v[162:163], -v[166:167]
	v_add_f64 v[160:161], v[160:161], v[162:163]
	v_frexp_exp_i32_f64_e32 v1, v[156:157]
	v_add_f64 v[162:163], v[164:165], v[160:161]
	v_subbrev_co_u32_e32 v1, vcc, 0, v1, vcc
	v_add_f64 v[164:165], v[162:163], -v[164:165]
	v_add_f64 v[160:161], v[160:161], -v[164:165]
	v_cvt_f64_i32_e32 v[164:165], v1
	v_mul_f64 v[166:167], v[164:165], s[24:25]
	v_fma_f64 v[174:175], v[164:165], s[24:25], -v[166:167]
	v_fmac_f64_e32 v[174:175], s[26:27], v[164:165]
	v_add_f64 v[164:165], v[166:167], v[174:175]
	v_add_f64 v[166:167], v[164:165], -v[166:167]
	v_add_f64 v[166:167], v[174:175], -v[166:167]
	v_add_f64 v[174:175], v[164:165], v[162:163]
	v_add_f64 v[176:177], v[174:175], -v[164:165]
	v_add_f64 v[178:179], v[174:175], -v[176:177]
	;; [unrolled: 1-line block ×4, first 2 shown]
	v_add_f64 v[162:163], v[162:163], v[164:165]
	v_add_f64 v[164:165], v[166:167], v[160:161]
	v_add_f64 v[176:177], v[164:165], -v[166:167]
	v_add_f64 v[178:179], v[164:165], -v[176:177]
	v_add_f64 v[162:163], v[164:165], v[162:163]
	v_add_f64 v[166:167], v[166:167], -v[178:179]
	v_add_f64 v[160:161], v[160:161], -v[176:177]
	v_add_f64 v[164:165], v[174:175], v[162:163]
	v_add_f64 v[160:161], v[160:161], v[166:167]
	v_add_f64 v[166:167], v[164:165], -v[174:175]
	v_add_f64 v[162:163], v[162:163], -v[166:167]
	v_add_f64 v[160:161], v[160:161], v[162:163]
	v_add_f64 v[160:161], v[164:165], v[160:161]
	v_cmp_class_f64_e64 vcc, v[156:157], s92
	v_cndmask_b32_e32 v1, v160, v156, vcc
	v_cndmask_b32_e32 v11, v161, v157, vcc
	v_cmp_ngt_f64_e32 vcc, 0, v[156:157]
	v_cndmask_b32_e32 v11, v172, v11, vcc
	v_cmp_nge_f64_e32 vcc, 0, v[156:157]
	v_cndmask_b32_e32 v160, 0, v1, vcc
	v_cmp_neq_f64_e32 vcc, 0, v[156:157]
	v_cndmask_b32_e32 v161, v171, v11, vcc
	v_add_f64 v[156:157], v[158:159], v[160:161]
.LBB8_83:                               ;   in Loop: Header=BB8_5 Depth=1
	s_or_b64 exec, exec, s[82:83]
.LBB8_84:                               ;   in Loop: Header=BB8_5 Depth=1
	s_andn2_saveexec_b64 s[2:3], s[2:3]
	s_cbranch_execz .LBB8_98
; %bb.85:                               ;   in Loop: Header=BB8_5 Depth=1
	v_cmp_lt_u32_e32 vcc, s93, v155
                                        ; implicit-def: $sgpr84_sgpr85
                                        ; implicit-def: $vgpr1
                                        ; implicit-def: $vgpr158_vgpr159
	s_and_saveexec_b64 s[82:83], vcc
	s_xor_b64 s[82:83], exec, s[82:83]
	s_cbranch_execz .LBB8_87
; %bb.86:                               ;   in Loop: Header=BB8_5 Depth=1
	v_add_f64 v[156:157], -|v[2:3]|, 2.0
	v_add_f64 v[158:159], |v[2:3]|, s[42:43]
	v_cmp_gt_u32_e32 vcc, s94, v155
	v_cndmask_b32_e32 v1, v156, v158, vcc
	v_cndmask_b32_e32 v11, v157, v159, vcc
	v_cndmask_b32_e64 v48, 0, 1, vcc
	v_add_f64 v[156:157], |v[2:3]|, -1.0
	v_cmp_gt_u32_e32 vcc, s95, v155
	v_cndmask_b32_e32 v159, v11, v157, vcc
	v_cndmask_b32_e32 v158, v1, v156, vcc
	v_cndmask_b32_e64 v1, v48, 2, vcc
	s_mov_b64 s[84:85], 0
.LBB8_87:                               ;   in Loop: Header=BB8_5 Depth=1
	s_or_saveexec_b64 s[82:83], s[82:83]
	v_pk_mov_b32 v[156:157], s[84:85], s[84:85] op_sel:[0,1]
	s_xor_b64 exec, exec, s[82:83]
	s_cbranch_execz .LBB8_89
; %bb.88:                               ;   in Loop: Header=BB8_5 Depth=1
	v_frexp_mant_f64_e64 v[156:157], |v[2:3]|
	v_cmp_gt_f64_e32 vcc, s[20:21], v[156:157]
	v_cndmask_b32_e64 v11, v170, 2.0, vcc
	v_mul_f64 v[156:157], v[156:157], v[10:11]
	v_add_f64 v[158:159], v[156:157], 1.0
	v_rcp_f64_e32 v[160:161], v[158:159]
	v_add_f64 v[164:165], v[158:159], -1.0
	v_add_f64 v[162:163], v[156:157], -1.0
	v_add_f64 v[156:157], v[156:157], -v[164:165]
	v_fma_f64 v[164:165], -v[158:159], v[160:161], 1.0
	v_fmac_f64_e32 v[160:161], v[164:165], v[160:161]
	v_fma_f64 v[164:165], -v[158:159], v[160:161], 1.0
	v_fmac_f64_e32 v[160:161], v[164:165], v[160:161]
	v_mul_f64 v[164:165], v[162:163], v[160:161]
	v_mul_f64 v[166:167], v[158:159], v[164:165]
	v_fma_f64 v[158:159], v[164:165], v[158:159], -v[166:167]
	v_fmac_f64_e32 v[158:159], v[164:165], v[156:157]
	v_add_f64 v[156:157], v[166:167], v[158:159]
	v_add_f64 v[174:175], v[162:163], -v[156:157]
	v_add_f64 v[166:167], v[156:157], -v[166:167]
	;; [unrolled: 1-line block ×5, first 2 shown]
	v_add_f64 v[156:157], v[158:159], v[156:157]
	v_add_f64 v[156:157], v[174:175], v[156:157]
	v_mul_f64 v[156:157], v[160:161], v[156:157]
	v_add_f64 v[158:159], v[164:165], v[156:157]
	v_add_f64 v[160:161], v[158:159], -v[164:165]
	v_add_f64 v[156:157], v[156:157], -v[160:161]
	v_mul_f64 v[160:161], v[158:159], v[158:159]
	v_pk_mov_b32 v[162:163], v[12:13], v[12:13] op_sel:[0,1]
	v_fmac_f64_e32 v[162:163], s[22:23], v[160:161]
	v_pk_mov_b32 v[164:165], v[14:15], v[14:15] op_sel:[0,1]
	v_fmac_f64_e32 v[164:165], v[160:161], v[162:163]
	;; [unrolled: 2-line block ×6, first 2 shown]
	v_ldexp_f64 v[162:163], v[158:159], 1
	v_mul_f64 v[158:159], v[158:159], v[160:161]
	v_mul_f64 v[158:159], v[158:159], v[164:165]
	v_add_f64 v[160:161], v[162:163], v[158:159]
	v_add_f64 v[162:163], v[160:161], -v[162:163]
	v_ldexp_f64 v[156:157], v[156:157], 1
	v_add_f64 v[158:159], v[158:159], -v[162:163]
	v_add_f64 v[156:157], v[156:157], v[158:159]
	v_frexp_exp_i32_f64_e32 v48, v[2:3]
	v_add_f64 v[158:159], v[160:161], v[156:157]
	v_subbrev_co_u32_e32 v11, vcc, 0, v48, vcc
	v_add_f64 v[160:161], v[158:159], -v[160:161]
	v_add_f64 v[156:157], v[156:157], -v[160:161]
	v_cvt_f64_i32_e32 v[160:161], v11
	v_mul_f64 v[162:163], v[160:161], s[24:25]
	v_fma_f64 v[164:165], v[160:161], s[24:25], -v[162:163]
	v_fmac_f64_e32 v[164:165], s[26:27], v[160:161]
	v_add_f64 v[160:161], v[162:163], v[164:165]
	v_add_f64 v[162:163], v[160:161], -v[162:163]
	v_add_f64 v[162:163], v[164:165], -v[162:163]
	v_add_f64 v[164:165], v[160:161], v[158:159]
	v_add_f64 v[166:167], v[164:165], -v[160:161]
	v_add_f64 v[174:175], v[164:165], -v[166:167]
	;; [unrolled: 1-line block ×4, first 2 shown]
	v_add_f64 v[158:159], v[158:159], v[160:161]
	v_add_f64 v[160:161], v[162:163], v[156:157]
	v_add_f64 v[166:167], v[160:161], -v[162:163]
	v_add_f64 v[174:175], v[160:161], -v[166:167]
	v_add_f64 v[158:159], v[160:161], v[158:159]
	v_add_f64 v[162:163], v[162:163], -v[174:175]
	v_add_f64 v[156:157], v[156:157], -v[166:167]
	v_add_f64 v[160:161], v[164:165], v[158:159]
	v_add_f64 v[156:157], v[156:157], v[162:163]
	v_add_f64 v[162:163], v[160:161], -v[164:165]
	v_add_f64 v[158:159], v[158:159], -v[162:163]
	v_add_f64 v[156:157], v[156:157], v[158:159]
	v_and_b32_e32 v1, 0x7fffffff, v3
	v_add_f64 v[156:157], v[160:161], v[156:157]
	v_cmp_class_f64_e64 vcc, v[2:3], s92
	v_cndmask_b32_e32 v11, v156, v2, vcc
	v_cndmask_b32_e64 v48, -v157, -v1, vcc
	v_cmp_neq_f64_e32 vcc, 0, v[2:3]
	v_cndmask_b32_e32 v157, v173, v48, vcc
	v_cndmask_b32_e32 v156, 0, v11, vcc
	v_add_f64 v[158:159], -|v[2:3]|, 1.0
	v_add_f64 v[160:161], |v[2:3]|, s[44:45]
	v_cmp_gt_u32_e32 vcc, s28, v155
	v_cndmask_b32_e32 v11, v158, v160, vcc
	v_cndmask_b32_e32 v48, v159, v161, vcc
	v_cndmask_b32_e64 v146, 0, 1, vcc
	v_cmp_gt_u32_e32 vcc, s29, v155
	v_cndmask_b32_e32 v159, v48, v1, vcc
	v_cndmask_b32_e32 v158, v11, v2, vcc
	v_cndmask_b32_e64 v1, v146, 2, vcc
.LBB8_89:                               ;   in Loop: Header=BB8_5 Depth=1
	s_or_b64 exec, exec, s[82:83]
	v_cmp_lt_i32_e32 vcc, 1, v1
                                        ; implicit-def: $vgpr162_vgpr163
	s_and_saveexec_b64 s[82:83], vcc
	s_xor_b64 s[82:83], exec, s[82:83]
	s_cbranch_execz .LBB8_91
; %bb.90:                               ;   in Loop: Header=BB8_5 Depth=1
	v_pk_mov_b32 v[160:161], v[60:61], v[60:61] op_sel:[0,1]
	v_fmac_f64_e32 v[160:161], s[46:47], v[158:159]
	v_pk_mov_b32 v[162:163], v[62:63], v[62:63] op_sel:[0,1]
	v_fmac_f64_e32 v[162:163], v[158:159], v[160:161]
	v_pk_mov_b32 v[160:161], v[64:65], v[64:65] op_sel:[0,1]
	v_fmac_f64_e32 v[160:161], v[158:159], v[162:163]
	v_pk_mov_b32 v[162:163], v[66:67], v[66:67] op_sel:[0,1]
	v_mov_b32_e32 v48, v46
	v_fmac_f64_e32 v[162:163], v[158:159], v[160:161]
	v_pk_mov_b32 v[160:161], v[48:49], v[48:49] op_sel:[0,1]
	v_fmac_f64_e32 v[160:161], v[158:159], v[162:163]
	v_pk_mov_b32 v[162:163], v[68:69], v[68:69] op_sel:[0,1]
	v_fmac_f64_e32 v[162:163], s[48:49], v[158:159]
	v_pk_mov_b32 v[164:165], v[70:71], v[70:71] op_sel:[0,1]
	v_fmac_f64_e32 v[164:165], v[158:159], v[162:163]
	v_pk_mov_b32 v[162:163], v[72:73], v[72:73] op_sel:[0,1]
	v_fmac_f64_e32 v[162:163], v[158:159], v[164:165]
	v_pk_mov_b32 v[164:165], v[74:75], v[74:75] op_sel:[0,1]
	v_fmac_f64_e32 v[164:165], v[158:159], v[162:163]
	v_mul_f64 v[160:161], v[158:159], v[160:161]
	v_fma_f64 v[162:163], v[158:159], v[164:165], 1.0
	v_div_scale_f64 v[164:165], s[84:85], v[162:163], v[162:163], v[160:161]
	v_rcp_f64_e32 v[166:167], v[164:165]
                                        ; implicit-def: $vgpr1
	v_fma_f64 v[174:175], -v[164:165], v[166:167], 1.0
	v_fmac_f64_e32 v[166:167], v[166:167], v[174:175]
	v_fma_f64 v[174:175], -v[164:165], v[166:167], 1.0
	v_fmac_f64_e32 v[166:167], v[166:167], v[174:175]
	v_div_scale_f64 v[174:175], vcc, v[160:161], v[162:163], v[160:161]
	v_mul_f64 v[176:177], v[174:175], v[166:167]
	v_fma_f64 v[164:165], -v[164:165], v[176:177], v[174:175]
	s_nop 1
	v_div_fmas_f64 v[164:165], v[164:165], v[166:167], v[176:177]
	v_div_fixup_f64 v[162:163], v[164:165], v[162:163], v[160:161]
	v_fmac_f64_e32 v[162:163], -0.5, v[158:159]
                                        ; implicit-def: $vgpr158_vgpr159
.LBB8_91:                               ;   in Loop: Header=BB8_5 Depth=1
	s_andn2_saveexec_b64 s[82:83], s[82:83]
	s_cbranch_execz .LBB8_97
; %bb.92:                               ;   in Loop: Header=BB8_5 Depth=1
	v_cmp_ne_u32_e32 vcc, 1, v1
	v_mul_f64 v[160:161], v[158:159], v[158:159]
                                        ; implicit-def: $vgpr162_vgpr163
	s_and_saveexec_b64 s[84:85], vcc
	s_xor_b64 s[84:85], exec, s[84:85]
	s_cbranch_execz .LBB8_94
; %bb.93:                               ;   in Loop: Header=BB8_5 Depth=1
	s_mov_b32 vcc_lo, 0x428cfa52
	v_pk_mov_b32 v[162:163], v[76:77], v[76:77] op_sel:[0,1]
	s_mov_b32 vcc_hi, 0x3efa7074
	v_fmac_f64_e32 v[162:163], vcc, v[160:161]
	v_pk_mov_b32 v[164:165], v[78:79], v[78:79] op_sel:[0,1]
	v_fmac_f64_e32 v[164:165], v[160:161], v[162:163]
	v_pk_mov_b32 v[162:163], v[80:81], v[80:81] op_sel:[0,1]
	v_fmac_f64_e32 v[162:163], v[160:161], v[164:165]
	v_pk_mov_b32 v[164:165], v[82:83], v[82:83] op_sel:[0,1]
	s_mov_b32 vcc_lo, 0x90a45837
	v_fmac_f64_e32 v[164:165], v[160:161], v[162:163]
	v_pk_mov_b32 v[166:167], v[46:47], v[46:47] op_sel:[0,1]
	v_pk_mov_b32 v[162:163], v[84:85], v[84:85] op_sel:[0,1]
	s_mov_b32 vcc_hi, 0x3f07858e
	v_fmac_f64_e32 v[166:167], v[160:161], v[164:165]
	v_fmac_f64_e32 v[162:163], vcc, v[160:161]
	v_pk_mov_b32 v[164:165], v[86:87], v[86:87] op_sel:[0,1]
	v_fmac_f64_e32 v[164:165], v[160:161], v[162:163]
	v_pk_mov_b32 v[162:163], v[88:89], v[88:89] op_sel:[0,1]
	v_fmac_f64_e32 v[162:163], v[160:161], v[164:165]
	;; [unrolled: 2-line block ×4, first 2 shown]
	v_mul_f64 v[162:163], v[160:161], v[162:163]
	v_fmac_f64_e32 v[162:163], v[158:159], v[166:167]
	v_fmac_f64_e32 v[162:163], -0.5, v[158:159]
                                        ; implicit-def: $vgpr158_vgpr159
                                        ; implicit-def: $vgpr160_vgpr161
.LBB8_94:                               ;   in Loop: Header=BB8_5 Depth=1
	s_andn2_saveexec_b64 s[84:85], s[84:85]
	s_cbranch_execz .LBB8_96
; %bb.95:                               ;   in Loop: Header=BB8_5 Depth=1
	v_mul_f64 v[162:163], v[158:159], v[160:161]
	v_pk_mov_b32 v[164:165], v[94:95], v[94:95] op_sel:[0,1]
	v_fmac_f64_e32 v[164:165], s[54:55], v[162:163]
	v_pk_mov_b32 v[166:167], v[96:97], v[96:97] op_sel:[0,1]
	v_fmac_f64_e32 v[166:167], v[162:163], v[164:165]
	;; [unrolled: 2-line block ×12, first 2 shown]
	v_fmac_f64_e32 v[174:175], v[158:159], v[176:177]
	v_fma_f64 v[158:159], v[162:163], -v[174:175], s[60:61]
	v_fma_f64 v[158:159], v[160:161], v[166:167], -v[158:159]
	v_add_f64 v[162:163], v[158:159], s[62:63]
.LBB8_96:                               ;   in Loop: Header=BB8_5 Depth=1
	s_or_b64 exec, exec, s[84:85]
.LBB8_97:                               ;   in Loop: Header=BB8_5 Depth=1
	s_or_b64 exec, exec, s[82:83]
	v_add_f64 v[156:157], v[156:157], v[162:163]
.LBB8_98:                               ;   in Loop: Header=BB8_5 Depth=1
	s_or_b64 exec, exec, s[2:3]
.LBB8_99:                               ;   in Loop: Header=BB8_5 Depth=1
	s_andn2_saveexec_b64 s[0:1], s[0:1]
	s_cbranch_execz .LBB8_101
; %bb.100:                              ;   in Loop: Header=BB8_5 Depth=1
	v_frexp_mant_f64_e64 v[158:159], |v[2:3]|
	v_cmp_gt_f64_e32 vcc, s[20:21], v[158:159]
	v_cndmask_b32_e64 v11, v170, 2.0, vcc
	v_mul_f64 v[158:159], v[158:159], v[10:11]
	v_add_f64 v[160:161], v[158:159], 1.0
	v_rcp_f64_e32 v[162:163], v[160:161]
	v_add_f64 v[166:167], v[160:161], -1.0
	v_add_f64 v[164:165], v[158:159], -1.0
	v_add_f64 v[158:159], v[158:159], -v[166:167]
	v_fma_f64 v[166:167], -v[160:161], v[162:163], 1.0
	v_fmac_f64_e32 v[162:163], v[166:167], v[162:163]
	v_fma_f64 v[166:167], -v[160:161], v[162:163], 1.0
	v_fmac_f64_e32 v[162:163], v[166:167], v[162:163]
	v_mul_f64 v[166:167], v[164:165], v[162:163]
	v_mul_f64 v[174:175], v[160:161], v[166:167]
	v_fma_f64 v[160:161], v[166:167], v[160:161], -v[174:175]
	v_fmac_f64_e32 v[160:161], v[166:167], v[158:159]
	v_add_f64 v[158:159], v[174:175], v[160:161]
	v_add_f64 v[176:177], v[164:165], -v[158:159]
	v_add_f64 v[174:175], v[158:159], -v[174:175]
	;; [unrolled: 1-line block ×5, first 2 shown]
	v_add_f64 v[158:159], v[160:161], v[158:159]
	v_add_f64 v[158:159], v[176:177], v[158:159]
	v_mul_f64 v[158:159], v[162:163], v[158:159]
	v_add_f64 v[160:161], v[166:167], v[158:159]
	v_add_f64 v[162:163], v[160:161], -v[166:167]
	v_add_f64 v[158:159], v[158:159], -v[162:163]
	v_mul_f64 v[162:163], v[160:161], v[160:161]
	v_pk_mov_b32 v[164:165], v[12:13], v[12:13] op_sel:[0,1]
	v_fmac_f64_e32 v[164:165], s[22:23], v[162:163]
	v_pk_mov_b32 v[166:167], v[14:15], v[14:15] op_sel:[0,1]
	v_fmac_f64_e32 v[166:167], v[162:163], v[164:165]
	;; [unrolled: 2-line block ×6, first 2 shown]
	v_ldexp_f64 v[164:165], v[160:161], 1
	v_mul_f64 v[160:161], v[160:161], v[162:163]
	v_mul_f64 v[160:161], v[160:161], v[166:167]
	v_add_f64 v[162:163], v[164:165], v[160:161]
	v_add_f64 v[164:165], v[162:163], -v[164:165]
	v_ldexp_f64 v[158:159], v[158:159], 1
	v_add_f64 v[160:161], v[160:161], -v[164:165]
	v_add_f64 v[158:159], v[158:159], v[160:161]
	v_frexp_exp_i32_f64_e32 v48, v[2:3]
	v_add_f64 v[160:161], v[162:163], v[158:159]
	v_subbrev_co_u32_e32 v11, vcc, 0, v48, vcc
	v_add_f64 v[162:163], v[160:161], -v[162:163]
	v_add_f64 v[158:159], v[158:159], -v[162:163]
	v_cvt_f64_i32_e32 v[162:163], v11
	v_mul_f64 v[164:165], v[162:163], s[24:25]
	v_fma_f64 v[166:167], v[162:163], s[24:25], -v[164:165]
	v_fmac_f64_e32 v[166:167], s[26:27], v[162:163]
	v_add_f64 v[162:163], v[164:165], v[166:167]
	v_add_f64 v[164:165], v[162:163], -v[164:165]
	v_add_f64 v[164:165], v[166:167], -v[164:165]
	v_add_f64 v[166:167], v[162:163], v[160:161]
	v_add_f64 v[174:175], v[166:167], -v[162:163]
	v_add_f64 v[176:177], v[166:167], -v[174:175]
	;; [unrolled: 1-line block ×4, first 2 shown]
	v_add_f64 v[160:161], v[160:161], v[162:163]
	v_add_f64 v[162:163], v[164:165], v[158:159]
	v_add_f64 v[174:175], v[162:163], -v[164:165]
	v_add_f64 v[176:177], v[162:163], -v[174:175]
	v_add_f64 v[160:161], v[162:163], v[160:161]
	v_add_f64 v[164:165], v[164:165], -v[176:177]
	v_add_f64 v[158:159], v[158:159], -v[174:175]
	v_add_f64 v[162:163], v[166:167], v[160:161]
	v_add_f64 v[158:159], v[158:159], v[164:165]
	v_add_f64 v[164:165], v[162:163], -v[166:167]
	v_add_f64 v[160:161], v[160:161], -v[164:165]
	v_fma_f64 v[156:157], |v[2:3]|, s[64:65], v[118:119]
	v_add_f64 v[158:159], v[158:159], v[160:161]
	v_and_b32_e32 v1, 0x7fffffff, v3
	v_fma_f64 v[156:157], |v[2:3]|, v[156:157], s[66:67]
	v_add_f64 v[158:159], v[162:163], v[158:159]
	v_cmp_class_f64_e64 vcc, v[2:3], s92
	v_fma_f64 v[156:157], |v[2:3]|, v[156:157], s[68:69]
	v_cndmask_b32_e32 v11, v158, v2, vcc
	v_cndmask_b32_e64 v1, -v159, -v1, vcc
	v_cmp_neq_f64_e32 vcc, 0, v[2:3]
	v_fma_f64 v[156:157], |v[2:3]|, v[156:157], s[70:71]
	v_cndmask_b32_e32 v159, v173, v1, vcc
	v_cndmask_b32_e32 v158, 0, v11, vcc
	v_fma_f64 v[156:157], |v[2:3]|, v[156:157], v[158:159]
.LBB8_101:                              ;   in Loop: Header=BB8_5 Depth=1
	s_or_b64 exec, exec, s[0:1]
	v_cmp_le_f64_e32 vcc, 0, v[2:3]
	s_and_saveexec_b64 s[0:1], vcc
	s_xor_b64 s[2:3], exec, s[0:1]
; %bb.102:                              ;   in Loop: Header=BB8_5 Depth=1
	v_cmp_eq_f64_e32 vcc, 1.0, v[2:3]
	v_cmp_eq_f64_e64 s[0:1], 2.0, v[2:3]
	s_or_b64 s[0:1], vcc, s[0:1]
	v_cndmask_b32_e64 v157, v157, 0, s[0:1]
	v_cndmask_b32_e64 v156, v156, 0, s[0:1]
; %bb.103:                              ;   in Loop: Header=BB8_5 Depth=1
	s_andn2_saveexec_b64 s[0:1], s[2:3]
	s_cbranch_execz .LBB8_107
; %bb.104:                              ;   in Loop: Header=BB8_5 Depth=1
	v_add_u32_e32 v1, 0xc32fffff, v155
	v_cmp_gt_u32_e32 vcc, s50, v1
	s_and_saveexec_b64 s[2:3], vcc
	s_cbranch_execz .LBB8_106
; %bb.105:                              ;   in Loop: Header=BB8_5 Depth=1
	v_mul_f64 v[158:159], |v[2:3]|, 0.5
	v_fract_f64_e32 v[160:161], v[158:159]
	v_add_f64 v[160:161], v[160:161], v[160:161]
	v_cmp_neq_f64_e64 vcc, |v[158:159]|, s[72:73]
	v_and_b32_e32 v1, 0x7fffffff, v3
	v_cndmask_b32_e32 v11, 0, v160, vcc
	v_cndmask_b32_e32 v48, 0, v161, vcc
	v_cmp_gt_f64_e64 vcc, |v[2:3]|, 1.0
	v_cndmask_b32_e32 v159, v1, v48, vcc
	v_cndmask_b32_e32 v158, v2, v11, vcc
	v_add_f64 v[160:161], v[158:159], v[158:159]
	v_rndne_f64_e32 v[160:161], v[160:161]
	v_fmac_f64_e32 v[158:159], -0.5, v[160:161]
	v_cvt_i32_f64_e32 v1, v[160:161]
	v_mul_f64 v[160:161], v[158:159], v[158:159]
	v_pk_mov_b32 v[162:163], v[120:121], v[120:121] op_sel:[0,1]
	v_fmac_f64_e32 v[162:163], s[74:75], v[160:161]
	v_pk_mov_b32 v[164:165], v[122:123], v[122:123] op_sel:[0,1]
	v_fmac_f64_e32 v[164:165], v[160:161], v[162:163]
	;; [unrolled: 2-line block ×5, first 2 shown]
	v_mul_f64 v[164:165], v[158:159], v[160:161]
	v_mul_f64 v[162:163], v[164:165], v[162:163]
	v_fmac_f64_e32 v[162:163], s[76:77], v[158:159]
	v_pk_mov_b32 v[158:159], v[130:131], v[130:131] op_sel:[0,1]
	v_fmac_f64_e32 v[158:159], s[78:79], v[160:161]
	v_pk_mov_b32 v[164:165], v[132:133], v[132:133] op_sel:[0,1]
	;; [unrolled: 2-line block ×6, first 2 shown]
	v_fmac_f64_e32 v[164:165], v[160:161], v[158:159]
	v_and_b32_e32 v11, 1, v1
	v_lshlrev_b32_e32 v1, 30, v1
	v_fma_f64 v[158:159], v[160:161], v[164:165], 1.0
	v_cmp_eq_u32_e32 vcc, 0, v11
	v_xor_b32_e32 v1, v1, v3
	v_cndmask_b32_e32 v48, v159, v163, vcc
	v_and_b32_e32 v1, 0x80000000, v1
	v_cndmask_b32_e32 v11, v158, v162, vcc
	v_xor_b32_e32 v1, v48, v1
	v_cmp_class_f64_e64 vcc, v[2:3], s51
	v_cndmask_b32_e32 v158, 0, v11, vcc
	v_cndmask_b32_e32 v159, v172, v1, vcc
	v_mul_f64 v[158:159], v[2:3], v[158:159]
	v_and_b32_e32 v161, 0x7fffffff, v159
	v_mov_b32_e32 v160, v158
	v_div_scale_f64 v[162:163], s[82:83], v[160:161], v[160:161], s[76:77]
	v_rcp_f64_e32 v[164:165], v[162:163]
	v_div_scale_f64 v[160:161], vcc, s[76:77], v[160:161], s[76:77]
	v_cmp_class_f64_e64 s[82:83], v[2:3], s92
	v_fma_f64 v[166:167], -v[162:163], v[164:165], 1.0
	v_fmac_f64_e32 v[164:165], v[164:165], v[166:167]
	v_fma_f64 v[166:167], -v[162:163], v[164:165], 1.0
	v_fmac_f64_e32 v[164:165], v[164:165], v[166:167]
	v_mul_f64 v[166:167], v[160:161], v[164:165]
	v_fma_f64 v[160:161], -v[162:163], v[166:167], v[160:161]
	v_div_fmas_f64 v[160:161], v[160:161], v[164:165], v[166:167]
	v_div_fixup_f64 v[158:159], v[160:161], |v[158:159]|, s[76:77]
	v_frexp_mant_f64_e32 v[160:161], v[158:159]
	v_cmp_gt_f64_e32 vcc, s[20:21], v[160:161]
	v_cndmask_b32_e64 v11, v170, 2.0, vcc
	v_mul_f64 v[160:161], v[160:161], v[10:11]
	v_add_f64 v[162:163], v[160:161], 1.0
	v_rcp_f64_e32 v[164:165], v[162:163]
	v_add_f64 v[174:175], v[162:163], -1.0
	v_add_f64 v[166:167], v[160:161], -1.0
	v_add_f64 v[160:161], v[160:161], -v[174:175]
	v_fma_f64 v[174:175], -v[162:163], v[164:165], 1.0
	v_fmac_f64_e32 v[164:165], v[174:175], v[164:165]
	v_fma_f64 v[174:175], -v[162:163], v[164:165], 1.0
	v_fmac_f64_e32 v[164:165], v[174:175], v[164:165]
	v_mul_f64 v[174:175], v[166:167], v[164:165]
	v_mul_f64 v[176:177], v[162:163], v[174:175]
	v_fma_f64 v[162:163], v[174:175], v[162:163], -v[176:177]
	v_fmac_f64_e32 v[162:163], v[174:175], v[160:161]
	v_add_f64 v[160:161], v[176:177], v[162:163]
	v_add_f64 v[178:179], v[166:167], -v[160:161]
	v_add_f64 v[176:177], v[160:161], -v[176:177]
	;; [unrolled: 1-line block ×5, first 2 shown]
	v_add_f64 v[160:161], v[162:163], v[160:161]
	v_add_f64 v[160:161], v[178:179], v[160:161]
	v_mul_f64 v[160:161], v[164:165], v[160:161]
	v_add_f64 v[162:163], v[174:175], v[160:161]
	v_add_f64 v[164:165], v[162:163], -v[174:175]
	v_add_f64 v[160:161], v[160:161], -v[164:165]
	v_mul_f64 v[164:165], v[162:163], v[162:163]
	v_pk_mov_b32 v[166:167], v[12:13], v[12:13] op_sel:[0,1]
	v_fmac_f64_e32 v[166:167], s[22:23], v[164:165]
	v_pk_mov_b32 v[174:175], v[14:15], v[14:15] op_sel:[0,1]
	v_fmac_f64_e32 v[174:175], v[164:165], v[166:167]
	;; [unrolled: 2-line block ×6, first 2 shown]
	v_ldexp_f64 v[166:167], v[162:163], 1
	v_mul_f64 v[162:163], v[162:163], v[164:165]
	v_mul_f64 v[162:163], v[162:163], v[174:175]
	v_add_f64 v[164:165], v[166:167], v[162:163]
	v_add_f64 v[166:167], v[164:165], -v[166:167]
	v_ldexp_f64 v[160:161], v[160:161], 1
	v_add_f64 v[162:163], v[162:163], -v[166:167]
	v_add_f64 v[160:161], v[160:161], v[162:163]
	v_frexp_exp_i32_f64_e32 v1, v[158:159]
	v_add_f64 v[162:163], v[164:165], v[160:161]
	v_subbrev_co_u32_e32 v1, vcc, 0, v1, vcc
	v_add_f64 v[164:165], v[162:163], -v[164:165]
	v_add_f64 v[160:161], v[160:161], -v[164:165]
	v_cvt_f64_i32_e32 v[164:165], v1
	v_mul_f64 v[166:167], v[164:165], s[24:25]
	v_fma_f64 v[174:175], v[164:165], s[24:25], -v[166:167]
	v_fmac_f64_e32 v[174:175], s[26:27], v[164:165]
	v_add_f64 v[164:165], v[166:167], v[174:175]
	v_add_f64 v[166:167], v[164:165], -v[166:167]
	v_add_f64 v[166:167], v[174:175], -v[166:167]
	v_add_f64 v[174:175], v[164:165], v[162:163]
	v_add_f64 v[176:177], v[174:175], -v[164:165]
	v_add_f64 v[178:179], v[174:175], -v[176:177]
	v_add_f64 v[164:165], v[164:165], -v[178:179]
	v_add_f64 v[162:163], v[162:163], -v[176:177]
	v_add_f64 v[162:163], v[162:163], v[164:165]
	v_add_f64 v[164:165], v[166:167], v[160:161]
	v_add_f64 v[176:177], v[164:165], -v[166:167]
	v_add_f64 v[178:179], v[164:165], -v[176:177]
	v_add_f64 v[162:163], v[164:165], v[162:163]
	v_add_f64 v[166:167], v[166:167], -v[178:179]
	v_add_f64 v[160:161], v[160:161], -v[176:177]
	v_add_f64 v[164:165], v[174:175], v[162:163]
	v_add_f64 v[160:161], v[160:161], v[166:167]
	v_add_f64 v[166:167], v[164:165], -v[174:175]
	v_add_f64 v[162:163], v[162:163], -v[166:167]
	v_add_f64 v[160:161], v[160:161], v[162:163]
	v_add_f64 v[160:161], v[164:165], v[160:161]
	v_cmp_class_f64_e64 vcc, v[158:159], s92
	v_cndmask_b32_e32 v1, v160, v158, vcc
	v_cndmask_b32_e32 v11, v161, v159, vcc
	v_cmp_neq_f64_e32 vcc, 0, v[158:159]
	v_cndmask_b32_e32 v159, v171, v11, vcc
	v_cndmask_b32_e32 v158, 0, v1, vcc
	v_add_f64 v[156:157], v[158:159], -v[156:157]
	v_fract_f64_e32 v[158:159], v[2:3]
	v_cmp_eq_f64_e32 vcc, 0, v[158:159]
	s_or_b64 vcc, s[82:83], vcc
	v_cndmask_b32_e32 v157, v157, v173, vcc
	v_cndmask_b32_e64 v156, v156, 0, vcc
.LBB8_106:                              ;   in Loop: Header=BB8_5 Depth=1
	s_or_b64 exec, exec, s[2:3]
.LBB8_107:                              ;   in Loop: Header=BB8_5 Depth=1
	s_or_b64 exec, exec, s[0:1]
	v_and_b32_e32 v159, 0x7fffffff, v5
	v_mov_b32_e32 v158, v4
	v_cmp_lt_u32_e32 vcc, s88, v159
                                        ; implicit-def: $vgpr160_vgpr161
	s_and_saveexec_b64 s[0:1], vcc
	s_xor_b64 s[0:1], exec, s[0:1]
	s_cbranch_execz .LBB8_133
; %bb.108:                              ;   in Loop: Header=BB8_5 Depth=1
	v_cmp_lt_u32_e32 vcc, s89, v159
                                        ; implicit-def: $vgpr160_vgpr161
	s_and_saveexec_b64 s[2:3], vcc
	s_xor_b64 s[2:3], exec, s[2:3]
	s_cbranch_execz .LBB8_118
; %bb.109:                              ;   in Loop: Header=BB8_5 Depth=1
	;; [unrolled: 6-line block ×4, first 2 shown]
	v_frexp_mant_f64_e64 v[160:161], |v[4:5]|
	v_cmp_gt_f64_e32 vcc, s[20:21], v[160:161]
	v_cndmask_b32_e64 v11, v170, 2.0, vcc
	v_mul_f64 v[160:161], v[160:161], v[10:11]
	v_add_f64 v[162:163], v[160:161], 1.0
	v_rcp_f64_e32 v[164:165], v[162:163]
	v_add_f64 v[174:175], v[162:163], -1.0
	v_add_f64 v[166:167], v[160:161], -1.0
	v_add_f64 v[160:161], v[160:161], -v[174:175]
	v_fma_f64 v[174:175], -v[162:163], v[164:165], 1.0
	v_fmac_f64_e32 v[164:165], v[174:175], v[164:165]
	v_fma_f64 v[174:175], -v[162:163], v[164:165], 1.0
	v_fmac_f64_e32 v[164:165], v[174:175], v[164:165]
	v_mul_f64 v[174:175], v[166:167], v[164:165]
	v_mul_f64 v[176:177], v[162:163], v[174:175]
	v_fma_f64 v[162:163], v[174:175], v[162:163], -v[176:177]
	v_fmac_f64_e32 v[162:163], v[174:175], v[160:161]
	v_add_f64 v[160:161], v[176:177], v[162:163]
	v_add_f64 v[178:179], v[166:167], -v[160:161]
	v_add_f64 v[176:177], v[160:161], -v[176:177]
	;; [unrolled: 1-line block ×5, first 2 shown]
	v_add_f64 v[160:161], v[162:163], v[160:161]
	v_add_f64 v[160:161], v[178:179], v[160:161]
	v_mul_f64 v[160:161], v[164:165], v[160:161]
	v_add_f64 v[162:163], v[174:175], v[160:161]
	v_add_f64 v[164:165], v[162:163], -v[174:175]
	v_add_f64 v[160:161], v[160:161], -v[164:165]
	v_mul_f64 v[164:165], v[162:163], v[162:163]
	v_pk_mov_b32 v[166:167], v[12:13], v[12:13] op_sel:[0,1]
	v_fmac_f64_e32 v[166:167], s[22:23], v[164:165]
	v_pk_mov_b32 v[174:175], v[14:15], v[14:15] op_sel:[0,1]
	v_fmac_f64_e32 v[174:175], v[164:165], v[166:167]
	;; [unrolled: 2-line block ×6, first 2 shown]
	v_ldexp_f64 v[166:167], v[162:163], 1
	v_mul_f64 v[162:163], v[162:163], v[164:165]
	v_mul_f64 v[162:163], v[162:163], v[174:175]
	v_add_f64 v[164:165], v[166:167], v[162:163]
	v_add_f64 v[166:167], v[164:165], -v[166:167]
	v_ldexp_f64 v[160:161], v[160:161], 1
	v_add_f64 v[162:163], v[162:163], -v[166:167]
	v_add_f64 v[160:161], v[160:161], v[162:163]
	v_frexp_exp_i32_f64_e32 v48, v[4:5]
	v_add_f64 v[162:163], v[164:165], v[160:161]
	v_subbrev_co_u32_e32 v11, vcc, 0, v48, vcc
	v_add_f64 v[164:165], v[162:163], -v[164:165]
	v_add_f64 v[160:161], v[160:161], -v[164:165]
	v_cvt_f64_i32_e32 v[164:165], v11
	v_mul_f64 v[166:167], v[164:165], s[24:25]
	v_fma_f64 v[174:175], v[164:165], s[24:25], -v[166:167]
	v_fmac_f64_e32 v[174:175], s[26:27], v[164:165]
	v_add_f64 v[164:165], v[166:167], v[174:175]
	v_add_f64 v[166:167], v[164:165], -v[166:167]
	v_add_f64 v[166:167], v[174:175], -v[166:167]
	v_add_f64 v[174:175], v[164:165], v[162:163]
	v_add_f64 v[176:177], v[174:175], -v[164:165]
	v_add_f64 v[178:179], v[174:175], -v[176:177]
	;; [unrolled: 1-line block ×4, first 2 shown]
	v_add_f64 v[162:163], v[162:163], v[164:165]
	v_add_f64 v[164:165], v[166:167], v[160:161]
	v_add_f64 v[176:177], v[164:165], -v[166:167]
	v_add_f64 v[178:179], v[164:165], -v[176:177]
	v_add_f64 v[162:163], v[164:165], v[162:163]
	v_add_f64 v[166:167], v[166:167], -v[178:179]
	v_add_f64 v[160:161], v[160:161], -v[176:177]
	v_add_f64 v[164:165], v[174:175], v[162:163]
	v_add_f64 v[160:161], v[160:161], v[166:167]
	v_add_f64 v[166:167], v[164:165], -v[174:175]
	v_add_f64 v[162:163], v[162:163], -v[166:167]
	v_add_f64 v[160:161], v[160:161], v[162:163]
	v_and_b32_e32 v1, 0x7fffffff, v5
	v_add_f64 v[160:161], v[164:165], v[160:161]
	v_cmp_class_f64_e64 vcc, v[4:5], s92
	v_cndmask_b32_e32 v11, v160, v4, vcc
	v_cndmask_b32_e32 v1, v161, v1, vcc
	v_cmp_neq_f64_e32 vcc, 0, v[4:5]
	v_cndmask_b32_e32 v161, v171, v1, vcc
	v_cndmask_b32_e32 v160, 0, v11, vcc
	v_fma_f64 v[160:161], |v[4:5]|, v[160:161], -|v[4:5]|
.LBB8_112:                              ;   in Loop: Header=BB8_5 Depth=1
	s_andn2_saveexec_b64 s[84:85], s[84:85]
	s_cbranch_execz .LBB8_114
; %bb.113:                              ;   in Loop: Header=BB8_5 Depth=1
	v_and_b32_e32 v163, 0x7fffffff, v5
	v_mov_b32_e32 v162, v4
	v_div_scale_f64 v[160:161], vcc, v[162:163], v[162:163], 1.0
	v_rcp_f64_e32 v[164:165], v[160:161]
	v_frexp_exp_i32_f64_e32 v1, v[4:5]
	v_fma_f64 v[166:167], -v[160:161], v[164:165], 1.0
	v_fmac_f64_e32 v[164:165], v[164:165], v[166:167]
	v_fma_f64 v[166:167], -v[160:161], v[164:165], 1.0
	v_fmac_f64_e32 v[164:165], v[164:165], v[166:167]
	v_div_scale_f64 v[166:167], vcc, 1.0, v[162:163], 1.0
	v_mul_f64 v[174:175], v[166:167], v[164:165]
	v_fma_f64 v[160:161], -v[160:161], v[174:175], v[166:167]
	v_pk_mov_b32 v[166:167], v[24:25], v[24:25] op_sel:[0,1]
	s_nop 0
	v_div_fmas_f64 v[160:161], v[160:161], v[164:165], v[174:175]
	v_div_fixup_f64 v[164:165], v[160:161], |v[4:5]|, 1.0
	s_mov_b32 vcc_lo, 0xb9e43e4
	v_mul_f64 v[160:161], v[164:165], v[164:165]
	s_mov_b32 vcc_hi, 0xbf5ab89d
	v_fmac_f64_e32 v[166:167], vcc, v[160:161]
	v_pk_mov_b32 v[174:175], v[26:27], v[26:27] op_sel:[0,1]
	v_fmac_f64_e32 v[174:175], v[160:161], v[166:167]
	v_pk_mov_b32 v[166:167], v[28:29], v[28:29] op_sel:[0,1]
	v_fmac_f64_e32 v[166:167], v[160:161], v[174:175]
	;; [unrolled: 2-line block ×5, first 2 shown]
	v_frexp_mant_f64_e64 v[166:167], |v[4:5]|
	v_cmp_gt_f64_e32 vcc, s[20:21], v[166:167]
	v_cndmask_b32_e64 v11, v170, 2.0, vcc
	v_mul_f64 v[166:167], v[166:167], v[10:11]
	v_add_f64 v[174:175], v[166:167], 1.0
	v_rcp_f64_e32 v[176:177], v[174:175]
	v_add_f64 v[180:181], v[174:175], -1.0
	v_add_f64 v[178:179], v[166:167], -1.0
	v_add_f64 v[166:167], v[166:167], -v[180:181]
	v_fma_f64 v[180:181], -v[174:175], v[176:177], 1.0
	v_fmac_f64_e32 v[176:177], v[180:181], v[176:177]
	v_fma_f64 v[180:181], -v[174:175], v[176:177], 1.0
	v_fmac_f64_e32 v[176:177], v[180:181], v[176:177]
	v_mul_f64 v[180:181], v[178:179], v[176:177]
	v_mul_f64 v[182:183], v[174:175], v[180:181]
	v_fma_f64 v[174:175], v[180:181], v[174:175], -v[182:183]
	v_fmac_f64_e32 v[174:175], v[180:181], v[166:167]
	v_add_f64 v[166:167], v[182:183], v[174:175]
	v_add_f64 v[184:185], v[178:179], -v[166:167]
	v_add_f64 v[182:183], v[166:167], -v[182:183]
	;; [unrolled: 1-line block ×5, first 2 shown]
	v_add_f64 v[166:167], v[174:175], v[166:167]
	v_add_f64 v[166:167], v[184:185], v[166:167]
	v_mul_f64 v[166:167], v[176:177], v[166:167]
	v_add_f64 v[174:175], v[180:181], v[166:167]
	v_add_f64 v[176:177], v[174:175], -v[180:181]
	v_add_f64 v[166:167], v[166:167], -v[176:177]
	v_mul_f64 v[176:177], v[174:175], v[174:175]
	v_pk_mov_b32 v[178:179], v[12:13], v[12:13] op_sel:[0,1]
	v_fmac_f64_e32 v[178:179], s[22:23], v[176:177]
	v_pk_mov_b32 v[180:181], v[14:15], v[14:15] op_sel:[0,1]
	v_fmac_f64_e32 v[180:181], v[176:177], v[178:179]
	;; [unrolled: 2-line block ×6, first 2 shown]
	v_ldexp_f64 v[178:179], v[174:175], 1
	v_mul_f64 v[174:175], v[174:175], v[176:177]
	v_mul_f64 v[174:175], v[174:175], v[180:181]
	v_add_f64 v[176:177], v[178:179], v[174:175]
	v_add_f64 v[178:179], v[176:177], -v[178:179]
	v_ldexp_f64 v[166:167], v[166:167], 1
	v_add_f64 v[174:175], v[174:175], -v[178:179]
	v_add_f64 v[166:167], v[166:167], v[174:175]
	v_add_f64 v[174:175], v[176:177], v[166:167]
	v_subbrev_co_u32_e32 v1, vcc, 0, v1, vcc
	v_add_f64 v[176:177], v[174:175], -v[176:177]
	v_add_f64 v[166:167], v[166:167], -v[176:177]
	v_cvt_f64_i32_e32 v[176:177], v1
	v_mul_f64 v[178:179], v[176:177], s[24:25]
	v_fma_f64 v[180:181], v[176:177], s[24:25], -v[178:179]
	v_fmac_f64_e32 v[180:181], s[26:27], v[176:177]
	v_add_f64 v[176:177], v[178:179], v[180:181]
	v_add_f64 v[178:179], v[176:177], -v[178:179]
	v_add_f64 v[178:179], v[180:181], -v[178:179]
	v_add_f64 v[180:181], v[176:177], v[174:175]
	v_add_f64 v[182:183], v[180:181], -v[176:177]
	v_add_f64 v[184:185], v[180:181], -v[182:183]
	;; [unrolled: 1-line block ×4, first 2 shown]
	v_add_f64 v[174:175], v[174:175], v[176:177]
	v_add_f64 v[176:177], v[178:179], v[166:167]
	v_add_f64 v[182:183], v[176:177], -v[178:179]
	v_add_f64 v[184:185], v[176:177], -v[182:183]
	v_add_f64 v[174:175], v[176:177], v[174:175]
	v_add_f64 v[178:179], v[178:179], -v[184:185]
	v_add_f64 v[166:167], v[166:167], -v[182:183]
	v_add_f64 v[176:177], v[180:181], v[174:175]
	v_add_f64 v[166:167], v[166:167], v[178:179]
	v_add_f64 v[178:179], v[176:177], -v[180:181]
	v_add_f64 v[174:175], v[174:175], -v[178:179]
	v_add_f64 v[166:167], v[166:167], v[174:175]
	v_add_f64 v[166:167], v[176:177], v[166:167]
	v_cmp_class_f64_e64 vcc, v[4:5], s92
	v_cndmask_b32_e32 v163, v167, v163, vcc
	v_cndmask_b32_e32 v162, v166, v162, vcc
	v_add_f64 v[162:163], v[162:163], -1.0
	v_cmp_neq_f64_e32 vcc, 0, v[4:5]
	v_add_f64 v[164:165], |v[4:5]|, -0.5
	v_cndmask_b32_e32 v163, v171, v163, vcc
	v_cndmask_b32_e32 v162, 0, v162, vcc
	v_fmac_f64_e32 v[160:161], v[164:165], v[162:163]
.LBB8_114:                              ;   in Loop: Header=BB8_5 Depth=1
	s_or_b64 exec, exec, s[84:85]
.LBB8_115:                              ;   in Loop: Header=BB8_5 Depth=1
	s_andn2_saveexec_b64 s[82:83], s[82:83]
	s_cbranch_execz .LBB8_117
; %bb.116:                              ;   in Loop: Header=BB8_5 Depth=1
	v_cvt_i32_f64_e32 v1, v[158:159]
	v_cvt_f64_i32_e32 v[160:161], v1
	v_add_f64 v[160:161], |v[4:5]|, -v[160:161]
	v_pk_mov_b32 v[162:163], v[36:37], v[36:37] op_sel:[0,1]
	v_fmac_f64_e32 v[162:163], s[30:31], v[160:161]
	v_pk_mov_b32 v[164:165], v[38:39], v[38:39] op_sel:[0,1]
	v_fmac_f64_e32 v[164:165], v[160:161], v[162:163]
	v_pk_mov_b32 v[162:163], v[40:41], v[40:41] op_sel:[0,1]
	v_fmac_f64_e32 v[162:163], v[160:161], v[164:165]
	v_pk_mov_b32 v[164:165], v[42:43], v[42:43] op_sel:[0,1]
	v_fmac_f64_e32 v[164:165], v[160:161], v[162:163]
	v_pk_mov_b32 v[162:163], v[44:45], v[44:45] op_sel:[0,1]
	v_mov_b32_e32 v48, v46
	v_fmac_f64_e32 v[162:163], v[160:161], v[164:165]
	v_pk_mov_b32 v[164:165], v[48:49], v[48:49] op_sel:[0,1]
	v_fmac_f64_e32 v[164:165], v[160:161], v[162:163]
	v_mul_f64 v[162:163], v[160:161], v[164:165]
	v_pk_mov_b32 v[164:165], v[50:51], v[50:51] op_sel:[0,1]
	v_fmac_f64_e32 v[164:165], s[34:35], v[160:161]
	v_pk_mov_b32 v[166:167], v[52:53], v[52:53] op_sel:[0,1]
	v_fmac_f64_e32 v[166:167], v[160:161], v[164:165]
	;; [unrolled: 2-line block ×5, first 2 shown]
	v_fma_f64 v[164:165], v[160:161], v[164:165], 1.0
	v_div_scale_f64 v[166:167], s[84:85], v[164:165], v[164:165], v[162:163]
	v_rcp_f64_e32 v[174:175], v[166:167]
	v_fma_f64 v[176:177], -v[166:167], v[174:175], 1.0
	v_fmac_f64_e32 v[174:175], v[174:175], v[176:177]
	v_fma_f64 v[176:177], -v[166:167], v[174:175], 1.0
	v_fmac_f64_e32 v[174:175], v[174:175], v[176:177]
	v_div_scale_f64 v[176:177], vcc, v[162:163], v[164:165], v[162:163]
	v_mul_f64 v[178:179], v[176:177], v[174:175]
	v_fma_f64 v[166:167], -v[166:167], v[178:179], v[176:177]
	v_add_f64 v[176:177], v[160:161], s[38:39]
	s_nop 0
	v_div_fmas_f64 v[166:167], v[166:167], v[174:175], v[178:179]
	v_div_fixup_f64 v[162:163], v[166:167], v[164:165], v[162:163]
	v_add_f64 v[164:165], v[160:161], 2.0
	v_cmp_lt_i32_e32 vcc, 2, v1
	v_add_f64 v[166:167], v[160:161], s[36:37]
	v_cndmask_b32_e32 v165, v170, v165, vcc
	v_cndmask_b32_e32 v164, 0, v164, vcc
	v_cmp_lt_i32_e32 vcc, 3, v1
	v_add_f64 v[174:175], v[160:161], 4.0
	v_cndmask_b32_e32 v167, v170, v167, vcc
	v_cndmask_b32_e32 v166, 0, v166, vcc
	v_cmp_lt_i32_e32 vcc, 4, v1
	v_mul_f64 v[164:165], v[164:165], v[166:167]
	v_cndmask_b32_e32 v167, v170, v175, vcc
	v_cndmask_b32_e32 v166, 0, v174, vcc
	v_cmp_lt_i32_e32 vcc, 5, v1
	v_fmac_f64_e32 v[162:163], 0.5, v[160:161]
	v_add_f64 v[160:161], v[160:161], s[40:41]
	v_mul_f64 v[164:165], v[166:167], v[164:165]
	v_cndmask_b32_e32 v167, v170, v177, vcc
	v_cndmask_b32_e32 v166, 0, v176, vcc
	v_cmp_lt_i32_e32 vcc, 6, v1
	v_mul_f64 v[164:165], v[166:167], v[164:165]
	v_cndmask_b32_e32 v161, v170, v161, vcc
	v_cndmask_b32_e32 v160, 0, v160, vcc
	v_mul_f64 v[160:161], v[160:161], v[164:165]
	v_frexp_mant_f64_e32 v[164:165], v[160:161]
	v_cmp_gt_f64_e32 vcc, s[20:21], v[164:165]
	v_cndmask_b32_e64 v11, v170, 2.0, vcc
	v_mul_f64 v[164:165], v[164:165], v[10:11]
	v_add_f64 v[166:167], v[164:165], 1.0
	v_rcp_f64_e32 v[174:175], v[166:167]
	v_add_f64 v[178:179], v[166:167], -1.0
	v_add_f64 v[176:177], v[164:165], -1.0
	v_add_f64 v[164:165], v[164:165], -v[178:179]
	v_fma_f64 v[178:179], -v[166:167], v[174:175], 1.0
	v_fmac_f64_e32 v[174:175], v[178:179], v[174:175]
	v_fma_f64 v[178:179], -v[166:167], v[174:175], 1.0
	v_fmac_f64_e32 v[174:175], v[178:179], v[174:175]
	v_mul_f64 v[178:179], v[176:177], v[174:175]
	v_mul_f64 v[180:181], v[166:167], v[178:179]
	v_fma_f64 v[166:167], v[178:179], v[166:167], -v[180:181]
	v_fmac_f64_e32 v[166:167], v[178:179], v[164:165]
	v_add_f64 v[164:165], v[180:181], v[166:167]
	v_add_f64 v[182:183], v[176:177], -v[164:165]
	v_add_f64 v[180:181], v[164:165], -v[180:181]
	;; [unrolled: 1-line block ×5, first 2 shown]
	v_add_f64 v[164:165], v[166:167], v[164:165]
	v_add_f64 v[164:165], v[182:183], v[164:165]
	v_mul_f64 v[164:165], v[174:175], v[164:165]
	v_add_f64 v[166:167], v[178:179], v[164:165]
	v_add_f64 v[174:175], v[166:167], -v[178:179]
	v_add_f64 v[164:165], v[164:165], -v[174:175]
	v_mul_f64 v[174:175], v[166:167], v[166:167]
	v_pk_mov_b32 v[176:177], v[12:13], v[12:13] op_sel:[0,1]
	v_fmac_f64_e32 v[176:177], s[22:23], v[174:175]
	v_pk_mov_b32 v[178:179], v[14:15], v[14:15] op_sel:[0,1]
	v_fmac_f64_e32 v[178:179], v[174:175], v[176:177]
	;; [unrolled: 2-line block ×6, first 2 shown]
	v_ldexp_f64 v[176:177], v[166:167], 1
	v_mul_f64 v[166:167], v[166:167], v[174:175]
	v_mul_f64 v[166:167], v[166:167], v[178:179]
	v_add_f64 v[174:175], v[176:177], v[166:167]
	v_add_f64 v[176:177], v[174:175], -v[176:177]
	v_ldexp_f64 v[164:165], v[164:165], 1
	v_add_f64 v[166:167], v[166:167], -v[176:177]
	v_add_f64 v[164:165], v[164:165], v[166:167]
	v_frexp_exp_i32_f64_e32 v1, v[160:161]
	v_add_f64 v[166:167], v[174:175], v[164:165]
	v_subbrev_co_u32_e32 v1, vcc, 0, v1, vcc
	v_add_f64 v[174:175], v[166:167], -v[174:175]
	v_add_f64 v[164:165], v[164:165], -v[174:175]
	v_cvt_f64_i32_e32 v[174:175], v1
	v_mul_f64 v[176:177], v[174:175], s[24:25]
	v_fma_f64 v[178:179], v[174:175], s[24:25], -v[176:177]
	v_fmac_f64_e32 v[178:179], s[26:27], v[174:175]
	v_add_f64 v[174:175], v[176:177], v[178:179]
	v_add_f64 v[176:177], v[174:175], -v[176:177]
	v_add_f64 v[176:177], v[178:179], -v[176:177]
	v_add_f64 v[178:179], v[174:175], v[166:167]
	v_add_f64 v[180:181], v[178:179], -v[174:175]
	v_add_f64 v[182:183], v[178:179], -v[180:181]
	;; [unrolled: 1-line block ×4, first 2 shown]
	v_add_f64 v[166:167], v[166:167], v[174:175]
	v_add_f64 v[174:175], v[176:177], v[164:165]
	v_add_f64 v[180:181], v[174:175], -v[176:177]
	v_add_f64 v[182:183], v[174:175], -v[180:181]
	v_add_f64 v[166:167], v[174:175], v[166:167]
	v_add_f64 v[176:177], v[176:177], -v[182:183]
	v_add_f64 v[164:165], v[164:165], -v[180:181]
	v_add_f64 v[174:175], v[178:179], v[166:167]
	v_add_f64 v[164:165], v[164:165], v[176:177]
	v_add_f64 v[176:177], v[174:175], -v[178:179]
	v_add_f64 v[166:167], v[166:167], -v[176:177]
	v_add_f64 v[164:165], v[164:165], v[166:167]
	v_add_f64 v[164:165], v[174:175], v[164:165]
	v_cmp_class_f64_e64 vcc, v[160:161], s92
	v_cndmask_b32_e32 v1, v164, v160, vcc
	v_cndmask_b32_e32 v11, v165, v161, vcc
	v_cmp_ngt_f64_e32 vcc, 0, v[160:161]
	v_cndmask_b32_e32 v11, v172, v11, vcc
	v_cmp_nge_f64_e32 vcc, 0, v[160:161]
	v_cndmask_b32_e32 v164, 0, v1, vcc
	v_cmp_neq_f64_e32 vcc, 0, v[160:161]
	v_cndmask_b32_e32 v165, v171, v11, vcc
	v_add_f64 v[160:161], v[162:163], v[164:165]
.LBB8_117:                              ;   in Loop: Header=BB8_5 Depth=1
	s_or_b64 exec, exec, s[82:83]
.LBB8_118:                              ;   in Loop: Header=BB8_5 Depth=1
	s_andn2_saveexec_b64 s[2:3], s[2:3]
	s_cbranch_execz .LBB8_132
; %bb.119:                              ;   in Loop: Header=BB8_5 Depth=1
	v_cmp_lt_u32_e32 vcc, s93, v159
                                        ; implicit-def: $sgpr84_sgpr85
                                        ; implicit-def: $vgpr1
                                        ; implicit-def: $vgpr162_vgpr163
	s_and_saveexec_b64 s[82:83], vcc
	s_xor_b64 s[82:83], exec, s[82:83]
	s_cbranch_execz .LBB8_121
; %bb.120:                              ;   in Loop: Header=BB8_5 Depth=1
	v_add_f64 v[160:161], -|v[4:5]|, 2.0
	v_add_f64 v[162:163], |v[4:5]|, s[42:43]
	v_cmp_gt_u32_e32 vcc, s94, v159
	v_cndmask_b32_e32 v1, v160, v162, vcc
	v_cndmask_b32_e32 v11, v161, v163, vcc
	v_cndmask_b32_e64 v48, 0, 1, vcc
	v_add_f64 v[160:161], |v[4:5]|, -1.0
	v_cmp_gt_u32_e32 vcc, s95, v159
	v_cndmask_b32_e32 v163, v11, v161, vcc
	v_cndmask_b32_e32 v162, v1, v160, vcc
	v_cndmask_b32_e64 v1, v48, 2, vcc
	s_mov_b64 s[84:85], 0
.LBB8_121:                              ;   in Loop: Header=BB8_5 Depth=1
	s_or_saveexec_b64 s[82:83], s[82:83]
	v_pk_mov_b32 v[160:161], s[84:85], s[84:85] op_sel:[0,1]
	s_xor_b64 exec, exec, s[82:83]
	s_cbranch_execz .LBB8_123
; %bb.122:                              ;   in Loop: Header=BB8_5 Depth=1
	v_frexp_mant_f64_e64 v[160:161], |v[4:5]|
	v_cmp_gt_f64_e32 vcc, s[20:21], v[160:161]
	v_cndmask_b32_e64 v11, v170, 2.0, vcc
	v_mul_f64 v[160:161], v[160:161], v[10:11]
	v_add_f64 v[162:163], v[160:161], 1.0
	v_rcp_f64_e32 v[164:165], v[162:163]
	v_add_f64 v[174:175], v[162:163], -1.0
	v_add_f64 v[166:167], v[160:161], -1.0
	v_add_f64 v[160:161], v[160:161], -v[174:175]
	v_fma_f64 v[174:175], -v[162:163], v[164:165], 1.0
	v_fmac_f64_e32 v[164:165], v[174:175], v[164:165]
	v_fma_f64 v[174:175], -v[162:163], v[164:165], 1.0
	v_fmac_f64_e32 v[164:165], v[174:175], v[164:165]
	v_mul_f64 v[174:175], v[166:167], v[164:165]
	v_mul_f64 v[176:177], v[162:163], v[174:175]
	v_fma_f64 v[162:163], v[174:175], v[162:163], -v[176:177]
	v_fmac_f64_e32 v[162:163], v[174:175], v[160:161]
	v_add_f64 v[160:161], v[176:177], v[162:163]
	v_add_f64 v[178:179], v[166:167], -v[160:161]
	v_add_f64 v[176:177], v[160:161], -v[176:177]
	;; [unrolled: 1-line block ×5, first 2 shown]
	v_add_f64 v[160:161], v[162:163], v[160:161]
	v_add_f64 v[160:161], v[178:179], v[160:161]
	v_mul_f64 v[160:161], v[164:165], v[160:161]
	v_add_f64 v[162:163], v[174:175], v[160:161]
	v_add_f64 v[164:165], v[162:163], -v[174:175]
	v_add_f64 v[160:161], v[160:161], -v[164:165]
	v_mul_f64 v[164:165], v[162:163], v[162:163]
	v_pk_mov_b32 v[166:167], v[12:13], v[12:13] op_sel:[0,1]
	v_fmac_f64_e32 v[166:167], s[22:23], v[164:165]
	v_pk_mov_b32 v[174:175], v[14:15], v[14:15] op_sel:[0,1]
	v_fmac_f64_e32 v[174:175], v[164:165], v[166:167]
	;; [unrolled: 2-line block ×6, first 2 shown]
	v_ldexp_f64 v[166:167], v[162:163], 1
	v_mul_f64 v[162:163], v[162:163], v[164:165]
	v_mul_f64 v[162:163], v[162:163], v[174:175]
	v_add_f64 v[164:165], v[166:167], v[162:163]
	v_add_f64 v[166:167], v[164:165], -v[166:167]
	v_ldexp_f64 v[160:161], v[160:161], 1
	v_add_f64 v[162:163], v[162:163], -v[166:167]
	v_add_f64 v[160:161], v[160:161], v[162:163]
	v_frexp_exp_i32_f64_e32 v48, v[4:5]
	v_add_f64 v[162:163], v[164:165], v[160:161]
	v_subbrev_co_u32_e32 v11, vcc, 0, v48, vcc
	v_add_f64 v[164:165], v[162:163], -v[164:165]
	v_add_f64 v[160:161], v[160:161], -v[164:165]
	v_cvt_f64_i32_e32 v[164:165], v11
	v_mul_f64 v[166:167], v[164:165], s[24:25]
	v_fma_f64 v[174:175], v[164:165], s[24:25], -v[166:167]
	v_fmac_f64_e32 v[174:175], s[26:27], v[164:165]
	v_add_f64 v[164:165], v[166:167], v[174:175]
	v_add_f64 v[166:167], v[164:165], -v[166:167]
	v_add_f64 v[166:167], v[174:175], -v[166:167]
	v_add_f64 v[174:175], v[164:165], v[162:163]
	v_add_f64 v[176:177], v[174:175], -v[164:165]
	v_add_f64 v[178:179], v[174:175], -v[176:177]
	;; [unrolled: 1-line block ×4, first 2 shown]
	v_add_f64 v[162:163], v[162:163], v[164:165]
	v_add_f64 v[164:165], v[166:167], v[160:161]
	v_add_f64 v[176:177], v[164:165], -v[166:167]
	v_add_f64 v[178:179], v[164:165], -v[176:177]
	v_add_f64 v[162:163], v[164:165], v[162:163]
	v_add_f64 v[166:167], v[166:167], -v[178:179]
	v_add_f64 v[160:161], v[160:161], -v[176:177]
	v_add_f64 v[164:165], v[174:175], v[162:163]
	v_add_f64 v[160:161], v[160:161], v[166:167]
	v_add_f64 v[166:167], v[164:165], -v[174:175]
	v_add_f64 v[162:163], v[162:163], -v[166:167]
	v_add_f64 v[160:161], v[160:161], v[162:163]
	v_and_b32_e32 v1, 0x7fffffff, v5
	v_add_f64 v[160:161], v[164:165], v[160:161]
	v_cmp_class_f64_e64 vcc, v[4:5], s92
	v_cndmask_b32_e32 v11, v160, v4, vcc
	v_cndmask_b32_e64 v48, -v161, -v1, vcc
	v_cmp_neq_f64_e32 vcc, 0, v[4:5]
	v_cndmask_b32_e32 v161, v173, v48, vcc
	v_cndmask_b32_e32 v160, 0, v11, vcc
	v_add_f64 v[162:163], -|v[4:5]|, 1.0
	v_add_f64 v[164:165], |v[4:5]|, s[44:45]
	v_cmp_gt_u32_e32 vcc, s28, v159
	v_cndmask_b32_e32 v11, v162, v164, vcc
	v_cndmask_b32_e32 v48, v163, v165, vcc
	v_cndmask_b32_e64 v146, 0, 1, vcc
	v_cmp_gt_u32_e32 vcc, s29, v159
	v_cndmask_b32_e32 v163, v48, v1, vcc
	v_cndmask_b32_e32 v162, v11, v4, vcc
	v_cndmask_b32_e64 v1, v146, 2, vcc
.LBB8_123:                              ;   in Loop: Header=BB8_5 Depth=1
	s_or_b64 exec, exec, s[82:83]
	v_cmp_lt_i32_e32 vcc, 1, v1
                                        ; implicit-def: $vgpr166_vgpr167
	s_and_saveexec_b64 s[82:83], vcc
	s_xor_b64 s[82:83], exec, s[82:83]
	s_cbranch_execz .LBB8_125
; %bb.124:                              ;   in Loop: Header=BB8_5 Depth=1
	v_pk_mov_b32 v[164:165], v[60:61], v[60:61] op_sel:[0,1]
	v_fmac_f64_e32 v[164:165], s[46:47], v[162:163]
	v_pk_mov_b32 v[166:167], v[62:63], v[62:63] op_sel:[0,1]
	v_fmac_f64_e32 v[166:167], v[162:163], v[164:165]
	;; [unrolled: 2-line block ×3, first 2 shown]
	v_pk_mov_b32 v[166:167], v[66:67], v[66:67] op_sel:[0,1]
	v_mov_b32_e32 v48, v46
	v_fmac_f64_e32 v[166:167], v[162:163], v[164:165]
	v_pk_mov_b32 v[164:165], v[48:49], v[48:49] op_sel:[0,1]
	v_fmac_f64_e32 v[164:165], v[162:163], v[166:167]
	v_pk_mov_b32 v[166:167], v[68:69], v[68:69] op_sel:[0,1]
	;; [unrolled: 2-line block ×5, first 2 shown]
	v_fmac_f64_e32 v[174:175], v[162:163], v[166:167]
	v_mul_f64 v[164:165], v[162:163], v[164:165]
	v_fma_f64 v[166:167], v[162:163], v[174:175], 1.0
	v_div_scale_f64 v[174:175], s[84:85], v[166:167], v[166:167], v[164:165]
	v_rcp_f64_e32 v[176:177], v[174:175]
                                        ; implicit-def: $vgpr1
	v_fma_f64 v[178:179], -v[174:175], v[176:177], 1.0
	v_fmac_f64_e32 v[176:177], v[176:177], v[178:179]
	v_fma_f64 v[178:179], -v[174:175], v[176:177], 1.0
	v_fmac_f64_e32 v[176:177], v[176:177], v[178:179]
	v_div_scale_f64 v[178:179], vcc, v[164:165], v[166:167], v[164:165]
	v_mul_f64 v[180:181], v[178:179], v[176:177]
	v_fma_f64 v[174:175], -v[174:175], v[180:181], v[178:179]
	s_nop 1
	v_div_fmas_f64 v[174:175], v[174:175], v[176:177], v[180:181]
	v_div_fixup_f64 v[166:167], v[174:175], v[166:167], v[164:165]
	v_fmac_f64_e32 v[166:167], -0.5, v[162:163]
                                        ; implicit-def: $vgpr162_vgpr163
.LBB8_125:                              ;   in Loop: Header=BB8_5 Depth=1
	s_andn2_saveexec_b64 s[82:83], s[82:83]
	s_cbranch_execz .LBB8_131
; %bb.126:                              ;   in Loop: Header=BB8_5 Depth=1
	v_cmp_ne_u32_e32 vcc, 1, v1
	v_mul_f64 v[164:165], v[162:163], v[162:163]
                                        ; implicit-def: $vgpr166_vgpr167
	s_and_saveexec_b64 s[84:85], vcc
	s_xor_b64 s[84:85], exec, s[84:85]
	s_cbranch_execz .LBB8_128
; %bb.127:                              ;   in Loop: Header=BB8_5 Depth=1
	s_mov_b32 vcc_lo, 0x428cfa52
	v_pk_mov_b32 v[166:167], v[76:77], v[76:77] op_sel:[0,1]
	s_mov_b32 vcc_hi, 0x3efa7074
	v_fmac_f64_e32 v[166:167], vcc, v[164:165]
	v_pk_mov_b32 v[174:175], v[78:79], v[78:79] op_sel:[0,1]
	v_fmac_f64_e32 v[174:175], v[164:165], v[166:167]
	v_pk_mov_b32 v[166:167], v[80:81], v[80:81] op_sel:[0,1]
	v_fmac_f64_e32 v[166:167], v[164:165], v[174:175]
	v_pk_mov_b32 v[174:175], v[82:83], v[82:83] op_sel:[0,1]
	s_mov_b32 vcc_lo, 0x90a45837
	v_fmac_f64_e32 v[174:175], v[164:165], v[166:167]
	v_pk_mov_b32 v[176:177], v[46:47], v[46:47] op_sel:[0,1]
	v_pk_mov_b32 v[166:167], v[84:85], v[84:85] op_sel:[0,1]
	s_mov_b32 vcc_hi, 0x3f07858e
	v_fmac_f64_e32 v[176:177], v[164:165], v[174:175]
	v_fmac_f64_e32 v[166:167], vcc, v[164:165]
	v_pk_mov_b32 v[174:175], v[86:87], v[86:87] op_sel:[0,1]
	v_fmac_f64_e32 v[174:175], v[164:165], v[166:167]
	v_pk_mov_b32 v[166:167], v[88:89], v[88:89] op_sel:[0,1]
	v_fmac_f64_e32 v[166:167], v[164:165], v[174:175]
	;; [unrolled: 2-line block ×4, first 2 shown]
	v_mul_f64 v[166:167], v[164:165], v[166:167]
	v_fmac_f64_e32 v[166:167], v[162:163], v[176:177]
	v_fmac_f64_e32 v[166:167], -0.5, v[162:163]
                                        ; implicit-def: $vgpr162_vgpr163
                                        ; implicit-def: $vgpr164_vgpr165
.LBB8_128:                              ;   in Loop: Header=BB8_5 Depth=1
	s_andn2_saveexec_b64 s[84:85], s[84:85]
	s_cbranch_execz .LBB8_130
; %bb.129:                              ;   in Loop: Header=BB8_5 Depth=1
	v_mul_f64 v[166:167], v[162:163], v[164:165]
	v_pk_mov_b32 v[174:175], v[94:95], v[94:95] op_sel:[0,1]
	v_fmac_f64_e32 v[174:175], s[54:55], v[166:167]
	v_pk_mov_b32 v[176:177], v[96:97], v[96:97] op_sel:[0,1]
	v_fmac_f64_e32 v[176:177], v[166:167], v[174:175]
	;; [unrolled: 2-line block ×12, first 2 shown]
	v_fmac_f64_e32 v[178:179], v[162:163], v[180:181]
	v_fma_f64 v[162:163], v[166:167], -v[178:179], s[60:61]
	v_fma_f64 v[162:163], v[164:165], v[176:177], -v[162:163]
	v_add_f64 v[166:167], v[162:163], s[62:63]
.LBB8_130:                              ;   in Loop: Header=BB8_5 Depth=1
	s_or_b64 exec, exec, s[84:85]
.LBB8_131:                              ;   in Loop: Header=BB8_5 Depth=1
	s_or_b64 exec, exec, s[82:83]
	v_add_f64 v[160:161], v[160:161], v[166:167]
.LBB8_132:                              ;   in Loop: Header=BB8_5 Depth=1
	s_or_b64 exec, exec, s[2:3]
.LBB8_133:                              ;   in Loop: Header=BB8_5 Depth=1
	s_andn2_saveexec_b64 s[0:1], s[0:1]
	s_cbranch_execz .LBB8_135
; %bb.134:                              ;   in Loop: Header=BB8_5 Depth=1
	v_frexp_mant_f64_e64 v[162:163], |v[4:5]|
	v_cmp_gt_f64_e32 vcc, s[20:21], v[162:163]
	v_cndmask_b32_e64 v11, v170, 2.0, vcc
	v_mul_f64 v[162:163], v[162:163], v[10:11]
	v_add_f64 v[164:165], v[162:163], 1.0
	v_rcp_f64_e32 v[166:167], v[164:165]
	v_add_f64 v[176:177], v[164:165], -1.0
	v_add_f64 v[174:175], v[162:163], -1.0
	v_add_f64 v[162:163], v[162:163], -v[176:177]
	v_fma_f64 v[176:177], -v[164:165], v[166:167], 1.0
	v_fmac_f64_e32 v[166:167], v[176:177], v[166:167]
	v_fma_f64 v[176:177], -v[164:165], v[166:167], 1.0
	v_fmac_f64_e32 v[166:167], v[176:177], v[166:167]
	v_mul_f64 v[176:177], v[174:175], v[166:167]
	v_mul_f64 v[178:179], v[164:165], v[176:177]
	v_fma_f64 v[164:165], v[176:177], v[164:165], -v[178:179]
	v_fmac_f64_e32 v[164:165], v[176:177], v[162:163]
	v_add_f64 v[162:163], v[178:179], v[164:165]
	v_add_f64 v[180:181], v[174:175], -v[162:163]
	v_add_f64 v[178:179], v[162:163], -v[178:179]
	;; [unrolled: 1-line block ×5, first 2 shown]
	v_add_f64 v[162:163], v[164:165], v[162:163]
	v_add_f64 v[162:163], v[180:181], v[162:163]
	v_mul_f64 v[162:163], v[166:167], v[162:163]
	v_add_f64 v[164:165], v[176:177], v[162:163]
	v_add_f64 v[166:167], v[164:165], -v[176:177]
	v_add_f64 v[162:163], v[162:163], -v[166:167]
	v_mul_f64 v[166:167], v[164:165], v[164:165]
	v_pk_mov_b32 v[174:175], v[12:13], v[12:13] op_sel:[0,1]
	v_fmac_f64_e32 v[174:175], s[22:23], v[166:167]
	v_pk_mov_b32 v[176:177], v[14:15], v[14:15] op_sel:[0,1]
	v_fmac_f64_e32 v[176:177], v[166:167], v[174:175]
	;; [unrolled: 2-line block ×6, first 2 shown]
	v_ldexp_f64 v[174:175], v[164:165], 1
	v_mul_f64 v[164:165], v[164:165], v[166:167]
	v_mul_f64 v[164:165], v[164:165], v[176:177]
	v_add_f64 v[166:167], v[174:175], v[164:165]
	v_add_f64 v[174:175], v[166:167], -v[174:175]
	v_ldexp_f64 v[162:163], v[162:163], 1
	v_add_f64 v[164:165], v[164:165], -v[174:175]
	v_add_f64 v[162:163], v[162:163], v[164:165]
	v_frexp_exp_i32_f64_e32 v48, v[4:5]
	v_add_f64 v[164:165], v[166:167], v[162:163]
	v_subbrev_co_u32_e32 v11, vcc, 0, v48, vcc
	v_add_f64 v[166:167], v[164:165], -v[166:167]
	v_add_f64 v[162:163], v[162:163], -v[166:167]
	v_cvt_f64_i32_e32 v[166:167], v11
	v_mul_f64 v[174:175], v[166:167], s[24:25]
	v_fma_f64 v[176:177], v[166:167], s[24:25], -v[174:175]
	v_fmac_f64_e32 v[176:177], s[26:27], v[166:167]
	v_add_f64 v[166:167], v[174:175], v[176:177]
	v_add_f64 v[174:175], v[166:167], -v[174:175]
	v_add_f64 v[174:175], v[176:177], -v[174:175]
	v_add_f64 v[176:177], v[166:167], v[164:165]
	v_add_f64 v[178:179], v[176:177], -v[166:167]
	v_add_f64 v[180:181], v[176:177], -v[178:179]
	v_add_f64 v[166:167], v[166:167], -v[180:181]
	v_add_f64 v[164:165], v[164:165], -v[178:179]
	v_add_f64 v[164:165], v[164:165], v[166:167]
	v_add_f64 v[166:167], v[174:175], v[162:163]
	v_add_f64 v[178:179], v[166:167], -v[174:175]
	v_add_f64 v[180:181], v[166:167], -v[178:179]
	v_add_f64 v[164:165], v[166:167], v[164:165]
	v_add_f64 v[174:175], v[174:175], -v[180:181]
	v_add_f64 v[162:163], v[162:163], -v[178:179]
	v_add_f64 v[166:167], v[176:177], v[164:165]
	v_add_f64 v[162:163], v[162:163], v[174:175]
	v_add_f64 v[174:175], v[166:167], -v[176:177]
	v_add_f64 v[164:165], v[164:165], -v[174:175]
	v_fma_f64 v[160:161], |v[4:5]|, s[64:65], v[118:119]
	v_add_f64 v[162:163], v[162:163], v[164:165]
	v_and_b32_e32 v1, 0x7fffffff, v5
	v_fma_f64 v[160:161], |v[4:5]|, v[160:161], s[66:67]
	v_add_f64 v[162:163], v[166:167], v[162:163]
	v_cmp_class_f64_e64 vcc, v[4:5], s92
	v_fma_f64 v[160:161], |v[4:5]|, v[160:161], s[68:69]
	v_cndmask_b32_e32 v11, v162, v4, vcc
	v_cndmask_b32_e64 v1, -v163, -v1, vcc
	v_cmp_neq_f64_e32 vcc, 0, v[4:5]
	v_fma_f64 v[160:161], |v[4:5]|, v[160:161], s[70:71]
	v_cndmask_b32_e32 v163, v173, v1, vcc
	v_cndmask_b32_e32 v162, 0, v11, vcc
	v_fma_f64 v[160:161], |v[4:5]|, v[160:161], v[162:163]
.LBB8_135:                              ;   in Loop: Header=BB8_5 Depth=1
	s_or_b64 exec, exec, s[0:1]
	v_cmp_le_f64_e32 vcc, 0, v[4:5]
	s_and_saveexec_b64 s[0:1], vcc
	s_xor_b64 s[2:3], exec, s[0:1]
; %bb.136:                              ;   in Loop: Header=BB8_5 Depth=1
	v_cmp_eq_f64_e32 vcc, 1.0, v[4:5]
	v_cmp_eq_f64_e64 s[0:1], 2.0, v[4:5]
	s_or_b64 s[0:1], vcc, s[0:1]
	v_cndmask_b32_e64 v161, v161, 0, s[0:1]
	v_cndmask_b32_e64 v160, v160, 0, s[0:1]
; %bb.137:                              ;   in Loop: Header=BB8_5 Depth=1
	s_andn2_saveexec_b64 s[0:1], s[2:3]
	s_cbranch_execz .LBB8_4
; %bb.138:                              ;   in Loop: Header=BB8_5 Depth=1
	v_add_u32_e32 v1, 0xc32fffff, v159
	v_cmp_gt_u32_e32 vcc, s50, v1
	s_and_saveexec_b64 s[2:3], vcc
	s_cbranch_execz .LBB8_3
; %bb.139:                              ;   in Loop: Header=BB8_5 Depth=1
	v_mul_f64 v[162:163], |v[4:5]|, 0.5
	v_fract_f64_e32 v[164:165], v[162:163]
	v_add_f64 v[164:165], v[164:165], v[164:165]
	v_cmp_neq_f64_e64 vcc, |v[162:163]|, s[72:73]
	v_and_b32_e32 v1, 0x7fffffff, v5
	v_cndmask_b32_e32 v11, 0, v164, vcc
	v_cndmask_b32_e32 v48, 0, v165, vcc
	v_cmp_gt_f64_e64 vcc, |v[4:5]|, 1.0
	v_cndmask_b32_e32 v163, v1, v48, vcc
	v_cndmask_b32_e32 v162, v4, v11, vcc
	v_add_f64 v[164:165], v[162:163], v[162:163]
	v_rndne_f64_e32 v[164:165], v[164:165]
	v_fmac_f64_e32 v[162:163], -0.5, v[164:165]
	v_cvt_i32_f64_e32 v1, v[164:165]
	v_mul_f64 v[164:165], v[162:163], v[162:163]
	v_pk_mov_b32 v[166:167], v[120:121], v[120:121] op_sel:[0,1]
	v_fmac_f64_e32 v[166:167], s[74:75], v[164:165]
	v_pk_mov_b32 v[174:175], v[122:123], v[122:123] op_sel:[0,1]
	v_fmac_f64_e32 v[174:175], v[164:165], v[166:167]
	;; [unrolled: 2-line block ×5, first 2 shown]
	v_mul_f64 v[174:175], v[162:163], v[164:165]
	v_mul_f64 v[166:167], v[174:175], v[166:167]
	v_fmac_f64_e32 v[166:167], s[76:77], v[162:163]
	v_pk_mov_b32 v[162:163], v[130:131], v[130:131] op_sel:[0,1]
	v_fmac_f64_e32 v[162:163], s[78:79], v[164:165]
	v_pk_mov_b32 v[174:175], v[132:133], v[132:133] op_sel:[0,1]
	;; [unrolled: 2-line block ×6, first 2 shown]
	v_fmac_f64_e32 v[174:175], v[164:165], v[162:163]
	v_and_b32_e32 v11, 1, v1
	v_lshlrev_b32_e32 v1, 30, v1
	v_fma_f64 v[162:163], v[164:165], v[174:175], 1.0
	v_cmp_eq_u32_e32 vcc, 0, v11
	v_xor_b32_e32 v1, v1, v5
	v_cndmask_b32_e32 v48, v163, v167, vcc
	v_and_b32_e32 v1, 0x80000000, v1
	v_cndmask_b32_e32 v11, v162, v166, vcc
	v_xor_b32_e32 v1, v48, v1
	v_cmp_class_f64_e64 vcc, v[4:5], s51
	v_cndmask_b32_e32 v162, 0, v11, vcc
	v_cndmask_b32_e32 v163, v172, v1, vcc
	v_mul_f64 v[162:163], v[4:5], v[162:163]
	v_and_b32_e32 v165, 0x7fffffff, v163
	v_mov_b32_e32 v164, v162
	v_div_scale_f64 v[166:167], s[82:83], v[164:165], v[164:165], s[76:77]
	v_rcp_f64_e32 v[174:175], v[166:167]
	v_div_scale_f64 v[164:165], vcc, s[76:77], v[164:165], s[76:77]
	v_cmp_class_f64_e64 s[82:83], v[4:5], s92
	v_fma_f64 v[176:177], -v[166:167], v[174:175], 1.0
	v_fmac_f64_e32 v[174:175], v[174:175], v[176:177]
	v_fma_f64 v[176:177], -v[166:167], v[174:175], 1.0
	v_fmac_f64_e32 v[174:175], v[174:175], v[176:177]
	v_mul_f64 v[176:177], v[164:165], v[174:175]
	v_fma_f64 v[164:165], -v[166:167], v[176:177], v[164:165]
	v_div_fmas_f64 v[164:165], v[164:165], v[174:175], v[176:177]
	v_div_fixup_f64 v[162:163], v[164:165], |v[162:163]|, s[76:77]
	v_frexp_mant_f64_e32 v[164:165], v[162:163]
	v_cmp_gt_f64_e32 vcc, s[20:21], v[164:165]
	v_cndmask_b32_e64 v11, v170, 2.0, vcc
	v_mul_f64 v[164:165], v[164:165], v[10:11]
	v_add_f64 v[166:167], v[164:165], 1.0
	v_rcp_f64_e32 v[174:175], v[166:167]
	v_add_f64 v[178:179], v[166:167], -1.0
	v_add_f64 v[176:177], v[164:165], -1.0
	v_add_f64 v[164:165], v[164:165], -v[178:179]
	v_fma_f64 v[178:179], -v[166:167], v[174:175], 1.0
	v_fmac_f64_e32 v[174:175], v[178:179], v[174:175]
	v_fma_f64 v[178:179], -v[166:167], v[174:175], 1.0
	v_fmac_f64_e32 v[174:175], v[178:179], v[174:175]
	v_mul_f64 v[178:179], v[176:177], v[174:175]
	v_mul_f64 v[180:181], v[166:167], v[178:179]
	v_fma_f64 v[166:167], v[178:179], v[166:167], -v[180:181]
	v_fmac_f64_e32 v[166:167], v[178:179], v[164:165]
	v_add_f64 v[164:165], v[180:181], v[166:167]
	v_add_f64 v[182:183], v[176:177], -v[164:165]
	v_add_f64 v[180:181], v[164:165], -v[180:181]
	;; [unrolled: 1-line block ×5, first 2 shown]
	v_add_f64 v[164:165], v[166:167], v[164:165]
	v_add_f64 v[164:165], v[182:183], v[164:165]
	v_mul_f64 v[164:165], v[174:175], v[164:165]
	v_add_f64 v[166:167], v[178:179], v[164:165]
	v_add_f64 v[174:175], v[166:167], -v[178:179]
	v_add_f64 v[164:165], v[164:165], -v[174:175]
	v_mul_f64 v[174:175], v[166:167], v[166:167]
	v_pk_mov_b32 v[176:177], v[12:13], v[12:13] op_sel:[0,1]
	v_fmac_f64_e32 v[176:177], s[22:23], v[174:175]
	v_pk_mov_b32 v[178:179], v[14:15], v[14:15] op_sel:[0,1]
	v_fmac_f64_e32 v[178:179], v[174:175], v[176:177]
	;; [unrolled: 2-line block ×6, first 2 shown]
	v_ldexp_f64 v[176:177], v[166:167], 1
	v_mul_f64 v[166:167], v[166:167], v[174:175]
	v_mul_f64 v[166:167], v[166:167], v[178:179]
	v_add_f64 v[174:175], v[176:177], v[166:167]
	v_add_f64 v[176:177], v[174:175], -v[176:177]
	v_ldexp_f64 v[164:165], v[164:165], 1
	v_add_f64 v[166:167], v[166:167], -v[176:177]
	v_add_f64 v[164:165], v[164:165], v[166:167]
	v_frexp_exp_i32_f64_e32 v1, v[162:163]
	v_add_f64 v[166:167], v[174:175], v[164:165]
	v_subbrev_co_u32_e32 v1, vcc, 0, v1, vcc
	v_add_f64 v[174:175], v[166:167], -v[174:175]
	v_add_f64 v[164:165], v[164:165], -v[174:175]
	v_cvt_f64_i32_e32 v[174:175], v1
	v_mul_f64 v[176:177], v[174:175], s[24:25]
	v_fma_f64 v[178:179], v[174:175], s[24:25], -v[176:177]
	v_fmac_f64_e32 v[178:179], s[26:27], v[174:175]
	v_add_f64 v[174:175], v[176:177], v[178:179]
	v_add_f64 v[176:177], v[174:175], -v[176:177]
	v_add_f64 v[176:177], v[178:179], -v[176:177]
	v_add_f64 v[178:179], v[174:175], v[166:167]
	v_add_f64 v[180:181], v[178:179], -v[174:175]
	v_add_f64 v[182:183], v[178:179], -v[180:181]
	;; [unrolled: 1-line block ×4, first 2 shown]
	v_add_f64 v[166:167], v[166:167], v[174:175]
	v_add_f64 v[174:175], v[176:177], v[164:165]
	v_add_f64 v[180:181], v[174:175], -v[176:177]
	v_add_f64 v[182:183], v[174:175], -v[180:181]
	v_add_f64 v[166:167], v[174:175], v[166:167]
	v_add_f64 v[176:177], v[176:177], -v[182:183]
	v_add_f64 v[164:165], v[164:165], -v[180:181]
	v_add_f64 v[174:175], v[178:179], v[166:167]
	v_add_f64 v[164:165], v[164:165], v[176:177]
	v_add_f64 v[176:177], v[174:175], -v[178:179]
	v_add_f64 v[166:167], v[166:167], -v[176:177]
	v_add_f64 v[164:165], v[164:165], v[166:167]
	v_add_f64 v[164:165], v[174:175], v[164:165]
	v_cmp_class_f64_e64 vcc, v[162:163], s92
	v_cndmask_b32_e32 v1, v164, v162, vcc
	v_cndmask_b32_e32 v11, v165, v163, vcc
	v_cmp_neq_f64_e32 vcc, 0, v[162:163]
	v_cndmask_b32_e32 v163, v171, v11, vcc
	v_cndmask_b32_e32 v162, 0, v1, vcc
	v_add_f64 v[160:161], v[162:163], -v[160:161]
	v_fract_f64_e32 v[162:163], v[4:5]
	v_cmp_eq_f64_e32 vcc, 0, v[162:163]
	s_or_b64 vcc, s[82:83], vcc
	v_cndmask_b32_e32 v161, v161, v173, vcc
	v_cndmask_b32_e64 v160, v160, 0, vcc
	s_branch .LBB8_3
.LBB8_140:
	s_or_b64 exec, exec, s[14:15]
	s_mov_b64 s[0:1], 0
.LBB8_141:
	s_andn2_b64 vcc, exec, s[0:1]
	s_cbranch_vccnz .LBB8_297
; %bb.142:
	v_cmp_lt_i64_e64 s[0:1], s[12:13], 1
	s_and_b64 vcc, exec, s[0:1]
	s_cbranch_vccnz .LBB8_297
; %bb.143:
	s_load_dword s0, s[4:5], 0xc5c
	v_mov_b32_e32 v2, 0
	v_mov_b32_e32 v4, 0x10000
	;; [unrolled: 1-line block ×3, first 2 shown]
	v_lshlrev_b32_e32 v144, 3, v0
	s_waitcnt lgkmcnt(0)
	s_and_b32 s0, s0, 0xffff
	v_mov_b32_e32 v145, v2
	v_cmp_lt_u64_e32 vcc, s[12:13], v[4:5]
	v_mad_u64_u32 v[6:7], s[4:5], s0, 24, v[144:145]
	s_and_b64 s[2:3], vcc, exec
	v_mov_b32_e32 v3, s9
	v_add_co_u32_e32 v4, vcc, s8, v6
	v_addc_co_u32_e32 v1, vcc, v3, v7, vcc
	v_mov_b32_e32 v148, s7
	v_add_co_u32_e32 v6, vcc, s6, v6
	s_mul_i32 s2, s0, 3
	v_addc_co_u32_e32 v5, vcc, v148, v7, vcc
	s_cselect_b32 s15, s13, 0
	s_cselect_b32 s14, s12, 0x10000
	s_lshl_b32 s3, s0, 4
	v_add_co_u32_e32 v147, vcc, s2, v0
	v_addc_co_u32_e64 v178, s[4:5], 0, 0, vcc
	v_add_co_u32_e32 v137, vcc, s3, v144
	v_addc_co_u32_e64 v139, s[2:3], 0, 0, vcc
	v_add_co_u32_e32 v136, vcc, s8, v137
	v_addc_co_u32_e32 v7, vcc, v3, v139, vcc
	v_add_co_u32_e32 v138, vcc, s6, v137
	s_lshl_b32 s1, s0, 1
	v_addc_co_u32_e32 v137, vcc, v148, v139, vcc
	v_add_co_u32_e32 v179, vcc, s1, v0
	v_addc_co_u32_e64 v180, s[2:3], 0, 0, vcc
	v_add_co_u32_e32 v181, vcc, s0, v0
	s_lshl_b32 s84, s0, 2
	s_lshl_b32 s85, s0, 5
	v_addc_co_u32_e64 v182, s[0:1], 0, 0, vcc
	v_add_co_u32_e32 v140, vcc, s8, v144
	v_lshlrev_b32_e32 v145, 3, v181
	v_addc_co_u32_e32 v139, vcc, 0, v3, vcc
	v_add_co_u32_e32 v142, vcc, s8, v145
	v_addc_co_u32_e32 v141, vcc, 0, v3, vcc
	v_add_co_u32_e32 v144, vcc, s6, v144
	v_addc_co_u32_e32 v143, vcc, 0, v148, vcc
	s_mov_b32 s18, 0x55555555
	s_mov_b32 s20, 0xbf559e2b
	s_mov_b32 s22, 0xfefa39ef
	s_mov_b32 s24, 0x3b39803f
	s_mov_b32 s28, 0xdd17e945
	s_mov_b32 s30, 0xa5b38140
	s_mov_b32 s34, 0
	s_mov_b32 s36, 0
	s_mov_b32 s38, 0
	s_mov_b32 s40, 0x6356be3f
	s_mov_b32 s42, 0x8d5af8fc
	s_mov_b32 s44, 0xbf2bab09
	s_mov_b32 s46, 0x57d0cf61
	s_mov_b32 s50, 0x90a45837
	s_mov_b32 s52, 0x6c0ebbf7
	s_mov_b32 s54, 0xecc38c38
	s_mov_b32 s56, 0xe8c2d3f4
	s_mov_b32 s58, 0xa48a971f
	s_mov_b32 s60, 0xbcc38a42
	s_mov_b32 s62, 0x17aa6149
	s_mov_b32 s64, 0x5beab2d7
	s_mov_b32 s66, 0x625307d3
	s_mov_b32 s68, 0xfc6fb619
	s_mov_b32 s70, 0
	s_mov_b32 s72, 0xf99eb0bb
	s_mov_b32 s74, 0x54442d18
	s_mov_b32 s76, 0x2e21c33
	v_add_co_u32_e32 v146, vcc, s6, v145
	s_mov_b32 s33, 0
	s_mov_b64 s[16:17], 0
	s_mov_b32 s86, 0x3f6fffff
	s_brev_b32 s87, -4
	s_mov_b32 s88, 0x401fffff
	s_mov_b32 s89, 0x438fffff
	;; [unrolled: 1-line block ×6, first 2 shown]
	s_movk_i32 s90, 0x204
	s_mov_b32 s29, 0x3f00bfec
	s_mov_b32 s31, 0x3edebaf7
	;; [unrolled: 1-line block ×21, first 2 shown]
	v_mov_b32_e32 v8, 0x6b47b09a
	v_mov_b32_e32 v10, 0xd7f4df2e
	;; [unrolled: 1-line block ×22, first 2 shown]
	s_mov_b32 s65, 0xbfd9a4d5
	v_mov_b32_e32 v52, 0xf6010924
	s_mov_b32 s67, 0x3fea51a6
	v_mov_b32_e32 v54, 0x44ea8450
	s_mov_b32 s69, 0xbfe2788c
	s_mov_b32 s26, 0x65fffff
	v_mov_b32_e32 v56, 0xd119bd6f
	s_mov_b32 s71, 0x7ff00000
	v_mov_b32_e32 v58, 0x8b005dff
	;; [unrolled: 2-line block ×4, first 2 shown]
	s_movk_i32 s27, 0x1f8
	v_mov_b32_e32 v9, 0x3fc38538
	v_mov_b32_e32 v11, 0x3fc7474d
	;; [unrolled: 1-line block ×100, first 2 shown]
	s_mov_b32 s77, 0xbf1b1673
	s_mov_b32 s48, 0x432fffff
	v_addc_co_u32_e32 v145, vcc, 0, v148, vcc
	v_mov_b32_e32 v183, 0x264
	v_mov_b32_e32 v184, 0x3ff00000
	;; [unrolled: 1-line block ×6, first 2 shown]
	s_branch .LBB8_145
.LBB8_144:                              ;   in Loop: Header=BB8_145 Depth=1
	s_or_b64 exec, exec, s[4:5]
	s_add_u32 s16, s16, s84
	s_addc_u32 s17, s17, 0
	v_pk_mov_b32 v[150:151], s[12:13], s[12:13] op_sel:[0,1]
	v_cmp_ge_i64_e32 vcc, s[16:17], v[150:151]
	v_mov_b32_e32 v150, 0xffff
	v_mov_b32_e32 v151, 0
	v_cmp_gt_u64_e64 s[0:1], s[16:17], v[150:151]
	s_or_b64 s[0:1], vcc, s[0:1]
	v_mov_b32_e32 v3, s33
	v_add_co_u32_e32 v140, vcc, s85, v140
	v_addc_co_u32_e32 v139, vcc, v139, v3, vcc
	v_add_co_u32_e32 v144, vcc, s85, v144
	v_addc_co_u32_e32 v143, vcc, v143, v3, vcc
	v_add_co_u32_e32 v4, vcc, s85, v4
	v_addc_co_u32_e32 v1, vcc, v1, v3, vcc
	v_add_co_u32_e32 v6, vcc, s85, v6
	v_addc_co_u32_e32 v5, vcc, v5, v3, vcc
	v_add_co_u32_e32 v136, vcc, s85, v136
	v_addc_co_u32_e32 v7, vcc, v7, v3, vcc
	v_add_co_u32_e32 v138, vcc, s85, v138
	v_addc_co_u32_e32 v137, vcc, v137, v3, vcc
	v_add_co_u32_e32 v142, vcc, s85, v142
	v_addc_co_u32_e32 v141, vcc, v141, v3, vcc
	v_add_co_u32_e32 v146, vcc, s85, v146
	v_addc_co_u32_e32 v145, vcc, v145, v3, vcc
	s_and_b64 vcc, exec, s[0:1]
	s_cbranch_vccnz .LBB8_297
.LBB8_145:                              ; =>This Inner Loop Header: Depth=1
	v_mov_b32_e32 v3, s17
	v_add_co_u32_e32 v150, vcc, s16, v0
	v_addc_co_u32_e32 v151, vcc, 0, v3, vcc
	v_pk_mov_b32 v[152:153], 0, 0
	v_cmp_gt_u64_e64 s[6:7], s[14:15], v[150:151]
	v_pk_mov_b32 v[156:157], v[152:153], v[152:153] op_sel:[0,1]
	s_and_saveexec_b64 s[0:1], s[6:7]
	s_cbranch_execz .LBB8_147
; %bb.146:                              ;   in Loop: Header=BB8_145 Depth=1
	v_mov_b32_e32 v3, s11
	v_add_co_u32_e32 v150, vcc, s10, v140
	v_addc_co_u32_e32 v151, vcc, v139, v3, vcc
	global_load_dwordx2 v[156:157], v[150:151], off
.LBB8_147:                              ;   in Loop: Header=BB8_145 Depth=1
	s_or_b64 exec, exec, s[0:1]
	v_mov_b32_e32 v3, s17
	v_add_co_u32_e32 v150, vcc, s16, v181
	v_addc_co_u32_e32 v151, vcc, v182, v3, vcc
	v_cmp_gt_u64_e64 s[4:5], s[14:15], v[150:151]
	s_and_saveexec_b64 s[0:1], s[4:5]
	s_cbranch_execz .LBB8_149
; %bb.148:                              ;   in Loop: Header=BB8_145 Depth=1
	v_mov_b32_e32 v3, s11
	v_add_co_u32_e32 v150, vcc, s10, v142
	v_addc_co_u32_e32 v151, vcc, v141, v3, vcc
	global_load_dwordx2 v[152:153], v[150:151], off
.LBB8_149:                              ;   in Loop: Header=BB8_145 Depth=1
	s_or_b64 exec, exec, s[0:1]
	v_mov_b32_e32 v3, s17
	v_add_co_u32_e32 v150, vcc, s16, v179
	v_addc_co_u32_e32 v151, vcc, v180, v3, vcc
	v_cmp_gt_u64_e64 s[2:3], s[14:15], v[150:151]
	v_pk_mov_b32 v[150:151], 0, 0
	v_pk_mov_b32 v[154:155], v[150:151], v[150:151] op_sel:[0,1]
	s_and_saveexec_b64 s[0:1], s[2:3]
	s_cbranch_execz .LBB8_151
; %bb.150:                              ;   in Loop: Header=BB8_145 Depth=1
	v_mov_b32_e32 v3, s11
	v_add_co_u32_e32 v154, vcc, s10, v136
	v_addc_co_u32_e32 v155, vcc, v7, v3, vcc
	global_load_dwordx2 v[154:155], v[154:155], off
.LBB8_151:                              ;   in Loop: Header=BB8_145 Depth=1
	s_or_b64 exec, exec, s[0:1]
	v_mov_b32_e32 v3, s17
	v_add_co_u32_e32 v158, vcc, s16, v147
	v_addc_co_u32_e32 v159, vcc, v178, v3, vcc
	v_cmp_gt_u64_e64 s[0:1], s[14:15], v[158:159]
	s_and_saveexec_b64 s[8:9], s[0:1]
	s_cbranch_execz .LBB8_153
; %bb.152:                              ;   in Loop: Header=BB8_145 Depth=1
	v_mov_b32_e32 v3, s11
	v_add_co_u32_e32 v150, vcc, s10, v4
	v_addc_co_u32_e32 v151, vcc, v1, v3, vcc
	global_load_dwordx2 v[150:151], v[150:151], off
.LBB8_153:                              ;   in Loop: Header=BB8_145 Depth=1
	s_or_b64 exec, exec, s[8:9]
	s_waitcnt vmcnt(0)
	v_and_b32_e32 v159, 0x7fffffff, v157
	v_mov_b32_e32 v158, v156
	v_cmp_lt_u32_e32 vcc, s86, v159
                                        ; implicit-def: $vgpr160_vgpr161
	s_and_saveexec_b64 s[8:9], vcc
	s_xor_b64 s[8:9], exec, s[8:9]
	s_cbranch_execz .LBB8_179
; %bb.154:                              ;   in Loop: Header=BB8_145 Depth=1
	v_cmp_lt_u32_e32 vcc, s87, v159
                                        ; implicit-def: $vgpr160_vgpr161
	s_and_saveexec_b64 s[78:79], vcc
	s_xor_b64 s[78:79], exec, s[78:79]
	s_cbranch_execz .LBB8_164
; %bb.155:                              ;   in Loop: Header=BB8_145 Depth=1
	;; [unrolled: 6-line block ×4, first 2 shown]
	v_frexp_mant_f64_e64 v[160:161], |v[156:157]|
	v_cmp_gt_f64_e32 vcc, s[18:19], v[160:161]
	v_cndmask_b32_e64 v3, v184, 2.0, vcc
	v_mul_f64 v[160:161], v[160:161], v[2:3]
	v_add_f64 v[162:163], v[160:161], 1.0
	v_rcp_f64_e32 v[164:165], v[162:163]
	v_add_f64 v[168:169], v[162:163], -1.0
	v_add_f64 v[166:167], v[160:161], -1.0
	v_add_f64 v[160:161], v[160:161], -v[168:169]
	v_fma_f64 v[168:169], -v[162:163], v[164:165], 1.0
	v_fmac_f64_e32 v[164:165], v[168:169], v[164:165]
	v_fma_f64 v[168:169], -v[162:163], v[164:165], 1.0
	v_fmac_f64_e32 v[164:165], v[168:169], v[164:165]
	v_mul_f64 v[168:169], v[166:167], v[164:165]
	v_mul_f64 v[170:171], v[162:163], v[168:169]
	v_fma_f64 v[162:163], v[168:169], v[162:163], -v[170:171]
	v_fmac_f64_e32 v[162:163], v[168:169], v[160:161]
	v_add_f64 v[160:161], v[170:171], v[162:163]
	v_add_f64 v[172:173], v[166:167], -v[160:161]
	v_add_f64 v[170:171], v[160:161], -v[170:171]
	;; [unrolled: 1-line block ×5, first 2 shown]
	v_add_f64 v[160:161], v[162:163], v[160:161]
	v_add_f64 v[160:161], v[172:173], v[160:161]
	v_mul_f64 v[160:161], v[164:165], v[160:161]
	v_add_f64 v[162:163], v[168:169], v[160:161]
	v_add_f64 v[164:165], v[162:163], -v[168:169]
	v_add_f64 v[160:161], v[160:161], -v[164:165]
	v_mul_f64 v[164:165], v[162:163], v[162:163]
	v_pk_mov_b32 v[166:167], v[8:9], v[8:9] op_sel:[0,1]
	v_fmac_f64_e32 v[166:167], s[20:21], v[164:165]
	v_pk_mov_b32 v[168:169], v[10:11], v[10:11] op_sel:[0,1]
	v_fmac_f64_e32 v[168:169], v[164:165], v[166:167]
	;; [unrolled: 2-line block ×6, first 2 shown]
	v_ldexp_f64 v[166:167], v[162:163], 1
	v_mul_f64 v[162:163], v[162:163], v[164:165]
	v_mul_f64 v[162:163], v[162:163], v[168:169]
	v_add_f64 v[164:165], v[166:167], v[162:163]
	v_add_f64 v[166:167], v[164:165], -v[166:167]
	v_ldexp_f64 v[160:161], v[160:161], 1
	v_add_f64 v[162:163], v[162:163], -v[166:167]
	v_add_f64 v[160:161], v[160:161], v[162:163]
	v_frexp_exp_i32_f64_e32 v148, v[156:157]
	v_add_f64 v[162:163], v[164:165], v[160:161]
	v_subbrev_co_u32_e32 v3, vcc, 0, v148, vcc
	v_add_f64 v[164:165], v[162:163], -v[164:165]
	v_add_f64 v[160:161], v[160:161], -v[164:165]
	v_cvt_f64_i32_e32 v[164:165], v3
	v_mul_f64 v[166:167], v[164:165], s[22:23]
	v_fma_f64 v[168:169], v[164:165], s[22:23], -v[166:167]
	v_fmac_f64_e32 v[168:169], s[24:25], v[164:165]
	v_add_f64 v[164:165], v[166:167], v[168:169]
	v_add_f64 v[166:167], v[164:165], -v[166:167]
	v_add_f64 v[166:167], v[168:169], -v[166:167]
	v_add_f64 v[168:169], v[164:165], v[162:163]
	v_add_f64 v[170:171], v[168:169], -v[164:165]
	v_add_f64 v[172:173], v[168:169], -v[170:171]
	;; [unrolled: 1-line block ×4, first 2 shown]
	v_add_f64 v[162:163], v[162:163], v[164:165]
	v_add_f64 v[164:165], v[166:167], v[160:161]
	v_add_f64 v[170:171], v[164:165], -v[166:167]
	v_add_f64 v[172:173], v[164:165], -v[170:171]
	v_add_f64 v[162:163], v[164:165], v[162:163]
	v_add_f64 v[166:167], v[166:167], -v[172:173]
	v_add_f64 v[160:161], v[160:161], -v[170:171]
	v_add_f64 v[164:165], v[168:169], v[162:163]
	v_add_f64 v[160:161], v[160:161], v[166:167]
	v_add_f64 v[166:167], v[164:165], -v[168:169]
	v_add_f64 v[162:163], v[162:163], -v[166:167]
	v_add_f64 v[160:161], v[160:161], v[162:163]
	v_add_f64 v[160:161], v[164:165], v[160:161]
	v_cmp_class_f64_e64 vcc, v[156:157], s90
	v_cndmask_b32_e32 v3, v160, v156, vcc
	v_cndmask_b32_e32 v148, v161, v159, vcc
	v_cmp_neq_f64_e32 vcc, 0, v[156:157]
	v_cndmask_b32_e32 v161, v185, v148, vcc
	v_cndmask_b32_e32 v160, 0, v3, vcc
	v_fma_f64 v[160:161], |v[156:157]|, v[160:161], -|v[156:157]|
.LBB8_158:                              ;   in Loop: Header=BB8_145 Depth=1
	s_andn2_saveexec_b64 s[82:83], s[82:83]
	s_cbranch_execz .LBB8_160
; %bb.159:                              ;   in Loop: Header=BB8_145 Depth=1
	v_mov_b32_e32 v158, v156
	v_div_scale_f64 v[160:161], vcc, v[158:159], v[158:159], 1.0
	v_rcp_f64_e32 v[162:163], v[160:161]
	v_div_scale_f64 v[164:165], vcc, 1.0, v[158:159], 1.0
	v_frexp_exp_i32_f64_e32 v148, v[156:157]
	v_fma_f64 v[166:167], -v[160:161], v[162:163], 1.0
	v_fmac_f64_e32 v[162:163], v[162:163], v[166:167]
	v_fma_f64 v[166:167], -v[160:161], v[162:163], 1.0
	v_fmac_f64_e32 v[162:163], v[162:163], v[166:167]
	v_mul_f64 v[166:167], v[164:165], v[162:163]
	v_fma_f64 v[160:161], -v[160:161], v[166:167], v[164:165]
	v_div_fmas_f64 v[160:161], v[160:161], v[162:163], v[166:167]
	v_div_fixup_f64 v[162:163], v[160:161], |v[156:157]|, 1.0
	s_mov_b32 vcc_lo, 0xb9e43e4
	v_mul_f64 v[160:161], v[162:163], v[162:163]
	v_pk_mov_b32 v[164:165], v[20:21], v[20:21] op_sel:[0,1]
	s_mov_b32 vcc_hi, 0xbf5ab89d
	v_fmac_f64_e32 v[164:165], vcc, v[160:161]
	v_pk_mov_b32 v[166:167], v[22:23], v[22:23] op_sel:[0,1]
	v_fmac_f64_e32 v[166:167], v[160:161], v[164:165]
	v_pk_mov_b32 v[164:165], v[24:25], v[24:25] op_sel:[0,1]
	v_fmac_f64_e32 v[164:165], v[160:161], v[166:167]
	;; [unrolled: 2-line block ×5, first 2 shown]
	v_frexp_mant_f64_e64 v[164:165], |v[156:157]|
	v_cmp_gt_f64_e32 vcc, s[18:19], v[164:165]
	v_cndmask_b32_e64 v3, v184, 2.0, vcc
	v_mul_f64 v[164:165], v[164:165], v[2:3]
	v_add_f64 v[166:167], v[164:165], 1.0
	v_rcp_f64_e32 v[168:169], v[166:167]
	v_add_f64 v[172:173], v[166:167], -1.0
	v_add_f64 v[170:171], v[164:165], -1.0
	v_add_f64 v[164:165], v[164:165], -v[172:173]
	v_fma_f64 v[172:173], -v[166:167], v[168:169], 1.0
	v_fmac_f64_e32 v[168:169], v[172:173], v[168:169]
	v_fma_f64 v[172:173], -v[166:167], v[168:169], 1.0
	v_fmac_f64_e32 v[168:169], v[172:173], v[168:169]
	v_mul_f64 v[172:173], v[170:171], v[168:169]
	v_mul_f64 v[174:175], v[166:167], v[172:173]
	v_fma_f64 v[166:167], v[172:173], v[166:167], -v[174:175]
	v_fmac_f64_e32 v[166:167], v[172:173], v[164:165]
	v_add_f64 v[164:165], v[174:175], v[166:167]
	v_add_f64 v[176:177], v[170:171], -v[164:165]
	v_add_f64 v[174:175], v[164:165], -v[174:175]
	;; [unrolled: 1-line block ×5, first 2 shown]
	v_add_f64 v[164:165], v[166:167], v[164:165]
	v_add_f64 v[164:165], v[176:177], v[164:165]
	v_mul_f64 v[164:165], v[168:169], v[164:165]
	v_add_f64 v[166:167], v[172:173], v[164:165]
	v_add_f64 v[168:169], v[166:167], -v[172:173]
	v_add_f64 v[164:165], v[164:165], -v[168:169]
	v_mul_f64 v[168:169], v[166:167], v[166:167]
	v_pk_mov_b32 v[170:171], v[8:9], v[8:9] op_sel:[0,1]
	v_fmac_f64_e32 v[170:171], s[20:21], v[168:169]
	v_pk_mov_b32 v[172:173], v[10:11], v[10:11] op_sel:[0,1]
	v_fmac_f64_e32 v[172:173], v[168:169], v[170:171]
	;; [unrolled: 2-line block ×6, first 2 shown]
	v_ldexp_f64 v[170:171], v[166:167], 1
	v_mul_f64 v[166:167], v[166:167], v[168:169]
	v_mul_f64 v[166:167], v[166:167], v[172:173]
	v_add_f64 v[168:169], v[170:171], v[166:167]
	v_add_f64 v[170:171], v[168:169], -v[170:171]
	v_ldexp_f64 v[164:165], v[164:165], 1
	v_add_f64 v[166:167], v[166:167], -v[170:171]
	v_add_f64 v[164:165], v[164:165], v[166:167]
	v_add_f64 v[166:167], v[168:169], v[164:165]
	v_subbrev_co_u32_e32 v3, vcc, 0, v148, vcc
	v_add_f64 v[168:169], v[166:167], -v[168:169]
	v_add_f64 v[164:165], v[164:165], -v[168:169]
	v_cvt_f64_i32_e32 v[168:169], v3
	v_mul_f64 v[170:171], v[168:169], s[22:23]
	v_fma_f64 v[172:173], v[168:169], s[22:23], -v[170:171]
	v_fmac_f64_e32 v[172:173], s[24:25], v[168:169]
	v_add_f64 v[168:169], v[170:171], v[172:173]
	v_add_f64 v[170:171], v[168:169], -v[170:171]
	v_add_f64 v[170:171], v[172:173], -v[170:171]
	v_add_f64 v[172:173], v[168:169], v[166:167]
	v_add_f64 v[174:175], v[172:173], -v[168:169]
	v_add_f64 v[176:177], v[172:173], -v[174:175]
	v_add_f64 v[168:169], v[168:169], -v[176:177]
	v_add_f64 v[166:167], v[166:167], -v[174:175]
	v_add_f64 v[166:167], v[166:167], v[168:169]
	v_add_f64 v[168:169], v[170:171], v[164:165]
	v_add_f64 v[174:175], v[168:169], -v[170:171]
	v_add_f64 v[176:177], v[168:169], -v[174:175]
	v_add_f64 v[166:167], v[168:169], v[166:167]
	v_add_f64 v[170:171], v[170:171], -v[176:177]
	v_add_f64 v[164:165], v[164:165], -v[174:175]
	v_add_f64 v[168:169], v[172:173], v[166:167]
	v_add_f64 v[164:165], v[164:165], v[170:171]
	v_add_f64 v[170:171], v[168:169], -v[172:173]
	v_add_f64 v[166:167], v[166:167], -v[170:171]
	v_add_f64 v[164:165], v[164:165], v[166:167]
	v_add_f64 v[164:165], v[168:169], v[164:165]
	v_cmp_class_f64_e64 vcc, v[156:157], s90
	v_cndmask_b32_e32 v165, v165, v159, vcc
	v_cndmask_b32_e32 v164, v164, v158, vcc
	v_add_f64 v[164:165], v[164:165], -1.0
	v_cmp_neq_f64_e32 vcc, 0, v[156:157]
	v_add_f64 v[162:163], |v[156:157]|, -0.5
	v_cndmask_b32_e32 v165, v185, v165, vcc
	v_cndmask_b32_e32 v164, 0, v164, vcc
	v_fmac_f64_e32 v[160:161], v[162:163], v[164:165]
.LBB8_160:                              ;   in Loop: Header=BB8_145 Depth=1
	s_or_b64 exec, exec, s[82:83]
.LBB8_161:                              ;   in Loop: Header=BB8_145 Depth=1
	s_andn2_saveexec_b64 s[80:81], s[80:81]
	s_cbranch_execz .LBB8_163
; %bb.162:                              ;   in Loop: Header=BB8_145 Depth=1
	v_cvt_i32_f64_e32 v3, v[158:159]
	v_cvt_f64_i32_e32 v[160:161], v3
	v_add_f64 v[160:161], |v[156:157]|, -v[160:161]
	v_pk_mov_b32 v[162:163], v[32:33], v[32:33] op_sel:[0,1]
	v_fmac_f64_e32 v[162:163], s[28:29], v[160:161]
	v_pk_mov_b32 v[164:165], v[34:35], v[34:35] op_sel:[0,1]
	v_fmac_f64_e32 v[164:165], v[160:161], v[162:163]
	;; [unrolled: 2-line block ×4, first 2 shown]
	v_pk_mov_b32 v[162:163], v[40:41], v[40:41] op_sel:[0,1]
	v_mov_b32_e32 v148, v76
	v_fmac_f64_e32 v[162:163], v[160:161], v[164:165]
	v_pk_mov_b32 v[164:165], v[148:149], v[148:149] op_sel:[0,1]
	v_fmac_f64_e32 v[164:165], v[160:161], v[162:163]
	v_mul_f64 v[162:163], v[160:161], v[164:165]
	v_pk_mov_b32 v[164:165], v[42:43], v[42:43] op_sel:[0,1]
	v_fmac_f64_e32 v[164:165], s[30:31], v[160:161]
	v_pk_mov_b32 v[166:167], v[44:45], v[44:45] op_sel:[0,1]
	v_fmac_f64_e32 v[166:167], v[160:161], v[164:165]
	;; [unrolled: 2-line block ×5, first 2 shown]
	v_fma_f64 v[164:165], v[160:161], v[164:165], 1.0
	v_div_scale_f64 v[166:167], s[82:83], v[164:165], v[164:165], v[162:163]
	v_rcp_f64_e32 v[168:169], v[166:167]
	v_fma_f64 v[170:171], -v[166:167], v[168:169], 1.0
	v_fmac_f64_e32 v[168:169], v[168:169], v[170:171]
	v_fma_f64 v[170:171], -v[166:167], v[168:169], 1.0
	v_fmac_f64_e32 v[168:169], v[168:169], v[170:171]
	v_div_scale_f64 v[170:171], vcc, v[162:163], v[164:165], v[162:163]
	v_mul_f64 v[172:173], v[170:171], v[168:169]
	v_fma_f64 v[166:167], -v[166:167], v[172:173], v[170:171]
	v_add_f64 v[170:171], v[160:161], s[36:37]
	s_nop 0
	v_div_fmas_f64 v[166:167], v[166:167], v[168:169], v[172:173]
	v_div_fixup_f64 v[162:163], v[166:167], v[164:165], v[162:163]
	v_add_f64 v[164:165], v[160:161], 2.0
	v_cmp_lt_i32_e32 vcc, 2, v3
	v_add_f64 v[166:167], v[160:161], s[34:35]
	v_cndmask_b32_e32 v165, v184, v165, vcc
	v_cndmask_b32_e32 v164, 0, v164, vcc
	v_cmp_lt_i32_e32 vcc, 3, v3
	v_add_f64 v[168:169], v[160:161], 4.0
	v_cndmask_b32_e32 v167, v184, v167, vcc
	v_cndmask_b32_e32 v166, 0, v166, vcc
	v_cmp_lt_i32_e32 vcc, 4, v3
	v_mul_f64 v[164:165], v[164:165], v[166:167]
	v_cndmask_b32_e32 v167, v184, v169, vcc
	v_cndmask_b32_e32 v166, 0, v168, vcc
	v_cmp_lt_i32_e32 vcc, 5, v3
	v_fmac_f64_e32 v[162:163], 0.5, v[160:161]
	v_add_f64 v[160:161], v[160:161], s[38:39]
	v_mul_f64 v[164:165], v[166:167], v[164:165]
	v_cndmask_b32_e32 v167, v184, v171, vcc
	v_cndmask_b32_e32 v166, 0, v170, vcc
	v_cmp_lt_i32_e32 vcc, 6, v3
	v_mul_f64 v[164:165], v[166:167], v[164:165]
	v_cndmask_b32_e32 v161, v184, v161, vcc
	v_cndmask_b32_e32 v160, 0, v160, vcc
	v_mul_f64 v[160:161], v[160:161], v[164:165]
	v_frexp_mant_f64_e32 v[164:165], v[160:161]
	v_cmp_gt_f64_e32 vcc, s[18:19], v[164:165]
	v_cndmask_b32_e64 v3, v184, 2.0, vcc
	v_mul_f64 v[164:165], v[164:165], v[2:3]
	v_add_f64 v[166:167], v[164:165], 1.0
	v_rcp_f64_e32 v[168:169], v[166:167]
	v_add_f64 v[172:173], v[166:167], -1.0
	v_add_f64 v[170:171], v[164:165], -1.0
	v_add_f64 v[164:165], v[164:165], -v[172:173]
	v_fma_f64 v[172:173], -v[166:167], v[168:169], 1.0
	v_fmac_f64_e32 v[168:169], v[172:173], v[168:169]
	v_fma_f64 v[172:173], -v[166:167], v[168:169], 1.0
	v_fmac_f64_e32 v[168:169], v[172:173], v[168:169]
	v_mul_f64 v[172:173], v[170:171], v[168:169]
	v_mul_f64 v[174:175], v[166:167], v[172:173]
	v_fma_f64 v[166:167], v[172:173], v[166:167], -v[174:175]
	v_fmac_f64_e32 v[166:167], v[172:173], v[164:165]
	v_add_f64 v[164:165], v[174:175], v[166:167]
	v_add_f64 v[176:177], v[170:171], -v[164:165]
	v_add_f64 v[174:175], v[164:165], -v[174:175]
	;; [unrolled: 1-line block ×5, first 2 shown]
	v_add_f64 v[164:165], v[166:167], v[164:165]
	v_add_f64 v[164:165], v[176:177], v[164:165]
	v_mul_f64 v[164:165], v[168:169], v[164:165]
	v_add_f64 v[166:167], v[172:173], v[164:165]
	v_add_f64 v[168:169], v[166:167], -v[172:173]
	v_add_f64 v[164:165], v[164:165], -v[168:169]
	v_mul_f64 v[168:169], v[166:167], v[166:167]
	v_pk_mov_b32 v[170:171], v[8:9], v[8:9] op_sel:[0,1]
	v_fmac_f64_e32 v[170:171], s[20:21], v[168:169]
	v_pk_mov_b32 v[172:173], v[10:11], v[10:11] op_sel:[0,1]
	v_fmac_f64_e32 v[172:173], v[168:169], v[170:171]
	v_pk_mov_b32 v[170:171], v[12:13], v[12:13] op_sel:[0,1]
	v_fmac_f64_e32 v[170:171], v[168:169], v[172:173]
	v_pk_mov_b32 v[172:173], v[14:15], v[14:15] op_sel:[0,1]
	v_fmac_f64_e32 v[172:173], v[168:169], v[170:171]
	v_pk_mov_b32 v[170:171], v[16:17], v[16:17] op_sel:[0,1]
	v_fmac_f64_e32 v[170:171], v[168:169], v[172:173]
	v_pk_mov_b32 v[172:173], v[18:19], v[18:19] op_sel:[0,1]
	v_fmac_f64_e32 v[172:173], v[168:169], v[170:171]
	v_ldexp_f64 v[170:171], v[166:167], 1
	v_mul_f64 v[166:167], v[166:167], v[168:169]
	v_mul_f64 v[166:167], v[166:167], v[172:173]
	v_add_f64 v[168:169], v[170:171], v[166:167]
	v_add_f64 v[170:171], v[168:169], -v[170:171]
	v_ldexp_f64 v[164:165], v[164:165], 1
	v_add_f64 v[166:167], v[166:167], -v[170:171]
	v_add_f64 v[164:165], v[164:165], v[166:167]
	v_frexp_exp_i32_f64_e32 v148, v[160:161]
	v_add_f64 v[166:167], v[168:169], v[164:165]
	v_subbrev_co_u32_e32 v3, vcc, 0, v148, vcc
	v_add_f64 v[168:169], v[166:167], -v[168:169]
	v_add_f64 v[164:165], v[164:165], -v[168:169]
	v_cvt_f64_i32_e32 v[168:169], v3
	v_mul_f64 v[170:171], v[168:169], s[22:23]
	v_fma_f64 v[172:173], v[168:169], s[22:23], -v[170:171]
	v_fmac_f64_e32 v[172:173], s[24:25], v[168:169]
	v_add_f64 v[168:169], v[170:171], v[172:173]
	v_add_f64 v[170:171], v[168:169], -v[170:171]
	v_add_f64 v[170:171], v[172:173], -v[170:171]
	v_add_f64 v[172:173], v[168:169], v[166:167]
	v_add_f64 v[174:175], v[172:173], -v[168:169]
	v_add_f64 v[176:177], v[172:173], -v[174:175]
	v_add_f64 v[168:169], v[168:169], -v[176:177]
	v_add_f64 v[166:167], v[166:167], -v[174:175]
	v_add_f64 v[166:167], v[166:167], v[168:169]
	v_add_f64 v[168:169], v[170:171], v[164:165]
	v_add_f64 v[174:175], v[168:169], -v[170:171]
	v_add_f64 v[176:177], v[168:169], -v[174:175]
	v_add_f64 v[166:167], v[168:169], v[166:167]
	v_add_f64 v[170:171], v[170:171], -v[176:177]
	v_add_f64 v[164:165], v[164:165], -v[174:175]
	v_add_f64 v[168:169], v[172:173], v[166:167]
	v_add_f64 v[164:165], v[164:165], v[170:171]
	v_add_f64 v[170:171], v[168:169], -v[172:173]
	v_add_f64 v[166:167], v[166:167], -v[170:171]
	v_add_f64 v[164:165], v[164:165], v[166:167]
	v_add_f64 v[164:165], v[168:169], v[164:165]
	v_cmp_class_f64_e64 vcc, v[160:161], s90
	v_cndmask_b32_e32 v3, v164, v160, vcc
	v_cndmask_b32_e32 v148, v165, v161, vcc
	v_cmp_ngt_f64_e32 vcc, 0, v[160:161]
	v_cndmask_b32_e32 v148, v186, v148, vcc
	v_cmp_nge_f64_e32 vcc, 0, v[160:161]
	v_cndmask_b32_e32 v164, 0, v3, vcc
	v_cmp_neq_f64_e32 vcc, 0, v[160:161]
	v_cndmask_b32_e32 v165, v185, v148, vcc
	v_add_f64 v[160:161], v[162:163], v[164:165]
.LBB8_163:                              ;   in Loop: Header=BB8_145 Depth=1
	s_or_b64 exec, exec, s[80:81]
.LBB8_164:                              ;   in Loop: Header=BB8_145 Depth=1
	s_andn2_saveexec_b64 s[78:79], s[78:79]
	s_cbranch_execz .LBB8_178
; %bb.165:                              ;   in Loop: Header=BB8_145 Depth=1
	v_cmp_lt_u32_e32 vcc, s91, v159
                                        ; implicit-def: $sgpr82_sgpr83
                                        ; implicit-def: $vgpr3
                                        ; implicit-def: $vgpr162_vgpr163
	s_and_saveexec_b64 s[80:81], vcc
	s_xor_b64 s[80:81], exec, s[80:81]
	s_cbranch_execz .LBB8_167
; %bb.166:                              ;   in Loop: Header=BB8_145 Depth=1
	v_add_f64 v[160:161], -|v[156:157]|, 2.0
	v_add_f64 v[162:163], |v[156:157]|, s[40:41]
	v_cmp_gt_u32_e32 vcc, s92, v159
	v_cndmask_b32_e32 v3, v160, v162, vcc
	v_cndmask_b32_e32 v148, v161, v163, vcc
	v_cndmask_b32_e64 v158, 0, 1, vcc
	v_add_f64 v[160:161], |v[156:157]|, -1.0
	v_cmp_gt_u32_e32 vcc, s93, v159
	v_cndmask_b32_e32 v163, v148, v161, vcc
	v_cndmask_b32_e32 v162, v3, v160, vcc
	v_cndmask_b32_e64 v3, v158, 2, vcc
	s_mov_b64 s[82:83], 0
.LBB8_167:                              ;   in Loop: Header=BB8_145 Depth=1
	s_or_saveexec_b64 s[80:81], s[80:81]
	v_pk_mov_b32 v[160:161], s[82:83], s[82:83] op_sel:[0,1]
	s_xor_b64 exec, exec, s[80:81]
	s_cbranch_execz .LBB8_169
; %bb.168:                              ;   in Loop: Header=BB8_145 Depth=1
	v_frexp_mant_f64_e64 v[160:161], |v[156:157]|
	v_cmp_gt_f64_e32 vcc, s[18:19], v[160:161]
	v_cndmask_b32_e64 v3, v184, 2.0, vcc
	v_mul_f64 v[160:161], v[160:161], v[2:3]
	v_add_f64 v[162:163], v[160:161], 1.0
	v_rcp_f64_e32 v[164:165], v[162:163]
	v_add_f64 v[168:169], v[162:163], -1.0
	v_add_f64 v[166:167], v[160:161], -1.0
	v_add_f64 v[160:161], v[160:161], -v[168:169]
	v_fma_f64 v[168:169], -v[162:163], v[164:165], 1.0
	v_fmac_f64_e32 v[164:165], v[168:169], v[164:165]
	v_fma_f64 v[168:169], -v[162:163], v[164:165], 1.0
	v_fmac_f64_e32 v[164:165], v[168:169], v[164:165]
	v_mul_f64 v[168:169], v[166:167], v[164:165]
	v_mul_f64 v[170:171], v[162:163], v[168:169]
	v_fma_f64 v[162:163], v[168:169], v[162:163], -v[170:171]
	v_fmac_f64_e32 v[162:163], v[168:169], v[160:161]
	v_add_f64 v[160:161], v[170:171], v[162:163]
	v_add_f64 v[172:173], v[166:167], -v[160:161]
	v_add_f64 v[170:171], v[160:161], -v[170:171]
	;; [unrolled: 1-line block ×5, first 2 shown]
	v_add_f64 v[160:161], v[162:163], v[160:161]
	v_add_f64 v[160:161], v[172:173], v[160:161]
	v_mul_f64 v[160:161], v[164:165], v[160:161]
	v_add_f64 v[162:163], v[168:169], v[160:161]
	v_add_f64 v[164:165], v[162:163], -v[168:169]
	v_add_f64 v[160:161], v[160:161], -v[164:165]
	v_mul_f64 v[164:165], v[162:163], v[162:163]
	v_pk_mov_b32 v[166:167], v[8:9], v[8:9] op_sel:[0,1]
	v_fmac_f64_e32 v[166:167], s[20:21], v[164:165]
	v_pk_mov_b32 v[168:169], v[10:11], v[10:11] op_sel:[0,1]
	v_fmac_f64_e32 v[168:169], v[164:165], v[166:167]
	;; [unrolled: 2-line block ×6, first 2 shown]
	v_ldexp_f64 v[166:167], v[162:163], 1
	v_mul_f64 v[162:163], v[162:163], v[164:165]
	v_mul_f64 v[162:163], v[162:163], v[168:169]
	v_add_f64 v[164:165], v[166:167], v[162:163]
	v_add_f64 v[166:167], v[164:165], -v[166:167]
	v_ldexp_f64 v[160:161], v[160:161], 1
	v_add_f64 v[162:163], v[162:163], -v[166:167]
	v_add_f64 v[160:161], v[160:161], v[162:163]
	v_frexp_exp_i32_f64_e32 v148, v[156:157]
	v_add_f64 v[162:163], v[164:165], v[160:161]
	v_subbrev_co_u32_e32 v3, vcc, 0, v148, vcc
	v_add_f64 v[164:165], v[162:163], -v[164:165]
	v_add_f64 v[160:161], v[160:161], -v[164:165]
	v_cvt_f64_i32_e32 v[164:165], v3
	v_mul_f64 v[166:167], v[164:165], s[22:23]
	v_fma_f64 v[168:169], v[164:165], s[22:23], -v[166:167]
	v_fmac_f64_e32 v[168:169], s[24:25], v[164:165]
	v_add_f64 v[164:165], v[166:167], v[168:169]
	v_add_f64 v[166:167], v[164:165], -v[166:167]
	v_add_f64 v[166:167], v[168:169], -v[166:167]
	v_add_f64 v[168:169], v[164:165], v[162:163]
	v_add_f64 v[170:171], v[168:169], -v[164:165]
	v_add_f64 v[172:173], v[168:169], -v[170:171]
	;; [unrolled: 1-line block ×4, first 2 shown]
	v_add_f64 v[162:163], v[162:163], v[164:165]
	v_add_f64 v[164:165], v[166:167], v[160:161]
	v_add_f64 v[170:171], v[164:165], -v[166:167]
	v_add_f64 v[172:173], v[164:165], -v[170:171]
	v_add_f64 v[162:163], v[164:165], v[162:163]
	v_add_f64 v[166:167], v[166:167], -v[172:173]
	v_add_f64 v[160:161], v[160:161], -v[170:171]
	v_add_f64 v[164:165], v[168:169], v[162:163]
	v_add_f64 v[160:161], v[160:161], v[166:167]
	v_add_f64 v[166:167], v[164:165], -v[168:169]
	v_add_f64 v[162:163], v[162:163], -v[166:167]
	v_add_f64 v[160:161], v[160:161], v[162:163]
	v_add_f64 v[160:161], v[164:165], v[160:161]
	v_cmp_class_f64_e64 vcc, v[156:157], s90
	v_cndmask_b32_e32 v3, v160, v156, vcc
	v_cndmask_b32_e64 v148, -v161, -v159, vcc
	v_cmp_neq_f64_e32 vcc, 0, v[156:157]
	v_cndmask_b32_e32 v161, v187, v148, vcc
	v_cndmask_b32_e32 v160, 0, v3, vcc
	v_add_f64 v[162:163], -|v[156:157]|, 1.0
	v_add_f64 v[164:165], |v[156:157]|, s[42:43]
	v_cmp_gt_u32_e32 vcc, s94, v159
	v_cndmask_b32_e32 v3, v162, v164, vcc
	v_cndmask_b32_e32 v148, v163, v165, vcc
	v_cndmask_b32_e64 v158, 0, 1, vcc
	v_cmp_gt_u32_e32 vcc, s95, v159
	v_cndmask_b32_e32 v163, v148, v159, vcc
	v_cndmask_b32_e32 v162, v3, v156, vcc
	v_cndmask_b32_e64 v3, v158, 2, vcc
.LBB8_169:                              ;   in Loop: Header=BB8_145 Depth=1
	s_or_b64 exec, exec, s[80:81]
	v_cmp_lt_i32_e32 vcc, 1, v3
                                        ; implicit-def: $vgpr164_vgpr165
	s_and_saveexec_b64 s[80:81], vcc
	s_xor_b64 s[80:81], exec, s[80:81]
	s_cbranch_execz .LBB8_171
; %bb.170:                              ;   in Loop: Header=BB8_145 Depth=1
	v_pk_mov_b32 v[164:165], v[52:53], v[52:53] op_sel:[0,1]
	v_fmac_f64_e32 v[164:165], s[44:45], v[162:163]
	v_pk_mov_b32 v[166:167], v[54:55], v[54:55] op_sel:[0,1]
	v_fmac_f64_e32 v[166:167], v[162:163], v[164:165]
	;; [unrolled: 2-line block ×3, first 2 shown]
	v_pk_mov_b32 v[166:167], v[58:59], v[58:59] op_sel:[0,1]
	v_mov_b32_e32 v148, v76
	v_fmac_f64_e32 v[166:167], v[162:163], v[164:165]
	v_pk_mov_b32 v[164:165], v[148:149], v[148:149] op_sel:[0,1]
	v_fmac_f64_e32 v[164:165], v[162:163], v[166:167]
	v_pk_mov_b32 v[166:167], v[60:61], v[60:61] op_sel:[0,1]
	;; [unrolled: 2-line block ×5, first 2 shown]
	v_fmac_f64_e32 v[168:169], v[162:163], v[166:167]
	v_mul_f64 v[164:165], v[162:163], v[164:165]
	v_fma_f64 v[166:167], v[162:163], v[168:169], 1.0
	v_div_scale_f64 v[168:169], s[82:83], v[166:167], v[166:167], v[164:165]
	v_rcp_f64_e32 v[170:171], v[168:169]
                                        ; implicit-def: $vgpr3
	v_fma_f64 v[172:173], -v[168:169], v[170:171], 1.0
	v_fmac_f64_e32 v[170:171], v[170:171], v[172:173]
	v_fma_f64 v[172:173], -v[168:169], v[170:171], 1.0
	v_fmac_f64_e32 v[170:171], v[170:171], v[172:173]
	v_div_scale_f64 v[172:173], vcc, v[164:165], v[166:167], v[164:165]
	v_mul_f64 v[174:175], v[172:173], v[170:171]
	v_fma_f64 v[168:169], -v[168:169], v[174:175], v[172:173]
	s_nop 1
	v_div_fmas_f64 v[168:169], v[168:169], v[170:171], v[174:175]
	v_div_fixup_f64 v[164:165], v[168:169], v[166:167], v[164:165]
	v_fmac_f64_e32 v[164:165], -0.5, v[162:163]
                                        ; implicit-def: $vgpr162_vgpr163
.LBB8_171:                              ;   in Loop: Header=BB8_145 Depth=1
	s_andn2_saveexec_b64 s[80:81], s[80:81]
	s_cbranch_execz .LBB8_177
; %bb.172:                              ;   in Loop: Header=BB8_145 Depth=1
	v_cmp_ne_u32_e32 vcc, 1, v3
                                        ; implicit-def: $vgpr164_vgpr165
	s_and_saveexec_b64 s[82:83], vcc
	s_xor_b64 s[82:83], exec, s[82:83]
	s_cbranch_execz .LBB8_174
; %bb.173:                              ;   in Loop: Header=BB8_145 Depth=1
	s_mov_b32 vcc_lo, 0x428cfa52
	v_mul_f64 v[164:165], v[162:163], v[162:163]
	v_pk_mov_b32 v[166:167], v[68:69], v[68:69] op_sel:[0,1]
	s_mov_b32 vcc_hi, 0x3efa7074
	v_fmac_f64_e32 v[166:167], vcc, v[164:165]
	v_pk_mov_b32 v[168:169], v[70:71], v[70:71] op_sel:[0,1]
	v_fmac_f64_e32 v[168:169], v[164:165], v[166:167]
	v_pk_mov_b32 v[166:167], v[72:73], v[72:73] op_sel:[0,1]
	v_fmac_f64_e32 v[166:167], v[164:165], v[168:169]
	;; [unrolled: 2-line block ×9, first 2 shown]
	v_mul_f64 v[164:165], v[164:165], v[168:169]
	v_fmac_f64_e32 v[164:165], v[162:163], v[166:167]
	v_fmac_f64_e32 v[164:165], -0.5, v[162:163]
                                        ; implicit-def: $vgpr162_vgpr163
.LBB8_174:                              ;   in Loop: Header=BB8_145 Depth=1
	s_andn2_saveexec_b64 s[82:83], s[82:83]
	s_cbranch_execz .LBB8_176
; %bb.175:                              ;   in Loop: Header=BB8_145 Depth=1
	v_mul_f64 v[164:165], v[162:163], v[162:163]
	v_mul_f64 v[166:167], v[162:163], v[164:165]
	v_pk_mov_b32 v[168:169], v[88:89], v[88:89] op_sel:[0,1]
	v_fmac_f64_e32 v[168:169], s[52:53], v[166:167]
	v_pk_mov_b32 v[170:171], v[90:91], v[90:91] op_sel:[0,1]
	v_fmac_f64_e32 v[170:171], v[166:167], v[168:169]
	;; [unrolled: 2-line block ×12, first 2 shown]
	v_fmac_f64_e32 v[172:173], v[162:163], v[174:175]
	v_fma_f64 v[162:163], v[166:167], -v[172:173], s[58:59]
	v_fma_f64 v[162:163], v[164:165], v[170:171], -v[162:163]
	v_add_f64 v[164:165], v[162:163], s[60:61]
.LBB8_176:                              ;   in Loop: Header=BB8_145 Depth=1
	s_or_b64 exec, exec, s[82:83]
.LBB8_177:                              ;   in Loop: Header=BB8_145 Depth=1
	s_or_b64 exec, exec, s[80:81]
	v_add_f64 v[160:161], v[160:161], v[164:165]
.LBB8_178:                              ;   in Loop: Header=BB8_145 Depth=1
	s_or_b64 exec, exec, s[78:79]
.LBB8_179:                              ;   in Loop: Header=BB8_145 Depth=1
	s_andn2_saveexec_b64 s[8:9], s[8:9]
	s_cbranch_execz .LBB8_181
; %bb.180:                              ;   in Loop: Header=BB8_145 Depth=1
	v_frexp_mant_f64_e64 v[162:163], |v[156:157]|
	v_cmp_gt_f64_e32 vcc, s[18:19], v[162:163]
	v_cndmask_b32_e64 v3, v184, 2.0, vcc
	v_mul_f64 v[162:163], v[162:163], v[2:3]
	v_add_f64 v[164:165], v[162:163], 1.0
	v_rcp_f64_e32 v[166:167], v[164:165]
	v_add_f64 v[170:171], v[164:165], -1.0
	v_add_f64 v[168:169], v[162:163], -1.0
	v_add_f64 v[162:163], v[162:163], -v[170:171]
	v_fma_f64 v[170:171], -v[164:165], v[166:167], 1.0
	v_fmac_f64_e32 v[166:167], v[170:171], v[166:167]
	v_fma_f64 v[170:171], -v[164:165], v[166:167], 1.0
	v_fmac_f64_e32 v[166:167], v[170:171], v[166:167]
	v_mul_f64 v[170:171], v[168:169], v[166:167]
	v_mul_f64 v[172:173], v[164:165], v[170:171]
	v_fma_f64 v[164:165], v[170:171], v[164:165], -v[172:173]
	v_fmac_f64_e32 v[164:165], v[170:171], v[162:163]
	v_add_f64 v[162:163], v[172:173], v[164:165]
	v_add_f64 v[174:175], v[168:169], -v[162:163]
	v_add_f64 v[172:173], v[162:163], -v[172:173]
	;; [unrolled: 1-line block ×5, first 2 shown]
	v_add_f64 v[162:163], v[164:165], v[162:163]
	v_add_f64 v[162:163], v[174:175], v[162:163]
	v_mul_f64 v[162:163], v[166:167], v[162:163]
	v_add_f64 v[164:165], v[170:171], v[162:163]
	v_add_f64 v[166:167], v[164:165], -v[170:171]
	v_add_f64 v[162:163], v[162:163], -v[166:167]
	v_mul_f64 v[166:167], v[164:165], v[164:165]
	v_pk_mov_b32 v[168:169], v[8:9], v[8:9] op_sel:[0,1]
	v_fmac_f64_e32 v[168:169], s[20:21], v[166:167]
	v_pk_mov_b32 v[170:171], v[10:11], v[10:11] op_sel:[0,1]
	v_fmac_f64_e32 v[170:171], v[166:167], v[168:169]
	;; [unrolled: 2-line block ×6, first 2 shown]
	v_ldexp_f64 v[168:169], v[164:165], 1
	v_mul_f64 v[164:165], v[164:165], v[166:167]
	v_mul_f64 v[164:165], v[164:165], v[170:171]
	v_add_f64 v[166:167], v[168:169], v[164:165]
	v_add_f64 v[168:169], v[166:167], -v[168:169]
	v_ldexp_f64 v[162:163], v[162:163], 1
	v_add_f64 v[164:165], v[164:165], -v[168:169]
	v_add_f64 v[162:163], v[162:163], v[164:165]
	v_frexp_exp_i32_f64_e32 v148, v[156:157]
	v_add_f64 v[164:165], v[166:167], v[162:163]
	v_subbrev_co_u32_e32 v3, vcc, 0, v148, vcc
	v_add_f64 v[166:167], v[164:165], -v[166:167]
	v_add_f64 v[162:163], v[162:163], -v[166:167]
	v_cvt_f64_i32_e32 v[166:167], v3
	v_mul_f64 v[168:169], v[166:167], s[22:23]
	v_fma_f64 v[170:171], v[166:167], s[22:23], -v[168:169]
	v_fmac_f64_e32 v[170:171], s[24:25], v[166:167]
	v_add_f64 v[166:167], v[168:169], v[170:171]
	v_add_f64 v[168:169], v[166:167], -v[168:169]
	v_add_f64 v[168:169], v[170:171], -v[168:169]
	v_add_f64 v[170:171], v[166:167], v[164:165]
	v_add_f64 v[172:173], v[170:171], -v[166:167]
	v_add_f64 v[174:175], v[170:171], -v[172:173]
	;; [unrolled: 1-line block ×4, first 2 shown]
	v_add_f64 v[164:165], v[164:165], v[166:167]
	v_add_f64 v[166:167], v[168:169], v[162:163]
	v_add_f64 v[172:173], v[166:167], -v[168:169]
	v_add_f64 v[174:175], v[166:167], -v[172:173]
	v_add_f64 v[164:165], v[166:167], v[164:165]
	v_add_f64 v[168:169], v[168:169], -v[174:175]
	v_add_f64 v[162:163], v[162:163], -v[172:173]
	v_add_f64 v[166:167], v[170:171], v[164:165]
	v_add_f64 v[162:163], v[162:163], v[168:169]
	v_add_f64 v[168:169], v[166:167], -v[170:171]
	v_add_f64 v[164:165], v[164:165], -v[168:169]
	v_fma_f64 v[160:161], |v[156:157]|, s[62:63], v[112:113]
	v_add_f64 v[162:163], v[162:163], v[164:165]
	v_fma_f64 v[160:161], |v[156:157]|, v[160:161], s[64:65]
	v_add_f64 v[162:163], v[166:167], v[162:163]
	v_cmp_class_f64_e64 vcc, v[156:157], s90
	v_fma_f64 v[160:161], |v[156:157]|, v[160:161], s[66:67]
	v_cndmask_b32_e32 v3, v162, v156, vcc
	v_cndmask_b32_e64 v148, -v163, -v159, vcc
	v_cmp_neq_f64_e32 vcc, 0, v[156:157]
	v_fma_f64 v[160:161], |v[156:157]|, v[160:161], s[68:69]
	v_cndmask_b32_e32 v163, v187, v148, vcc
	v_cndmask_b32_e32 v162, 0, v3, vcc
	v_fma_f64 v[160:161], |v[156:157]|, v[160:161], v[162:163]
.LBB8_181:                              ;   in Loop: Header=BB8_145 Depth=1
	s_or_b64 exec, exec, s[8:9]
	v_cmp_le_f64_e32 vcc, 0, v[156:157]
	s_and_saveexec_b64 s[8:9], vcc
	s_xor_b64 s[78:79], exec, s[8:9]
; %bb.182:                              ;   in Loop: Header=BB8_145 Depth=1
	v_cmp_eq_f64_e32 vcc, 1.0, v[156:157]
	v_cmp_eq_f64_e64 s[8:9], 2.0, v[156:157]
	s_or_b64 s[8:9], vcc, s[8:9]
	v_cndmask_b32_e64 v161, v161, 0, s[8:9]
	v_cndmask_b32_e64 v160, v160, 0, s[8:9]
; %bb.183:                              ;   in Loop: Header=BB8_145 Depth=1
	s_andn2_saveexec_b64 s[8:9], s[78:79]
	s_cbranch_execz .LBB8_187
; %bb.184:                              ;   in Loop: Header=BB8_145 Depth=1
	v_add_u32_e32 v3, 0xc32fffff, v159
	v_cmp_gt_u32_e32 vcc, s26, v3
	s_and_saveexec_b64 s[78:79], vcc
	s_cbranch_execz .LBB8_186
; %bb.185:                              ;   in Loop: Header=BB8_145 Depth=1
	v_mul_f64 v[162:163], |v[156:157]|, 0.5
	v_fract_f64_e32 v[164:165], v[162:163]
	v_add_f64 v[164:165], v[164:165], v[164:165]
	v_cmp_neq_f64_e64 vcc, |v[162:163]|, s[70:71]
	v_cndmask_b32_e32 v3, 0, v164, vcc
	v_cndmask_b32_e32 v148, 0, v165, vcc
	v_cmp_gt_f64_e64 vcc, |v[156:157]|, 1.0
	v_cndmask_b32_e32 v163, v159, v148, vcc
	v_cndmask_b32_e32 v162, v156, v3, vcc
	v_add_f64 v[164:165], v[162:163], v[162:163]
	v_rndne_f64_e32 v[164:165], v[164:165]
	v_fmac_f64_e32 v[162:163], -0.5, v[164:165]
	v_cvt_i32_f64_e32 v3, v[164:165]
	v_mul_f64 v[164:165], v[162:163], v[162:163]
	v_pk_mov_b32 v[166:167], v[114:115], v[114:115] op_sel:[0,1]
	v_fmac_f64_e32 v[166:167], s[72:73], v[164:165]
	v_pk_mov_b32 v[168:169], v[116:117], v[116:117] op_sel:[0,1]
	v_fmac_f64_e32 v[168:169], v[164:165], v[166:167]
	;; [unrolled: 2-line block ×5, first 2 shown]
	v_mul_f64 v[168:169], v[162:163], v[164:165]
	v_mul_f64 v[166:167], v[168:169], v[166:167]
	v_fmac_f64_e32 v[166:167], s[74:75], v[162:163]
	v_pk_mov_b32 v[162:163], v[124:125], v[124:125] op_sel:[0,1]
	v_fmac_f64_e32 v[162:163], s[76:77], v[164:165]
	v_pk_mov_b32 v[168:169], v[126:127], v[126:127] op_sel:[0,1]
	;; [unrolled: 2-line block ×6, first 2 shown]
	v_fmac_f64_e32 v[168:169], v[164:165], v[162:163]
	v_and_b32_e32 v148, 1, v3
	v_lshlrev_b32_e32 v3, 30, v3
	v_fma_f64 v[162:163], v[164:165], v[168:169], 1.0
	v_cmp_eq_u32_e32 vcc, 0, v148
	v_xor_b32_e32 v3, v3, v157
	v_cndmask_b32_e32 v158, v163, v167, vcc
	v_and_b32_e32 v3, 0x80000000, v3
	v_cndmask_b32_e32 v148, v162, v166, vcc
	v_xor_b32_e32 v3, v158, v3
	v_cmp_class_f64_e64 vcc, v[156:157], s27
	v_cndmask_b32_e32 v162, 0, v148, vcc
	v_cndmask_b32_e32 v163, v186, v3, vcc
	v_mul_f64 v[162:163], v[156:157], v[162:163]
	v_and_b32_e32 v165, 0x7fffffff, v163
	v_mov_b32_e32 v164, v162
	v_div_scale_f64 v[166:167], s[80:81], v[164:165], v[164:165], s[74:75]
	v_rcp_f64_e32 v[168:169], v[166:167]
	v_div_scale_f64 v[164:165], vcc, s[74:75], v[164:165], s[74:75]
	v_cmp_class_f64_e64 s[80:81], v[156:157], s90
	v_fma_f64 v[170:171], -v[166:167], v[168:169], 1.0
	v_fmac_f64_e32 v[168:169], v[168:169], v[170:171]
	v_fma_f64 v[170:171], -v[166:167], v[168:169], 1.0
	v_fmac_f64_e32 v[168:169], v[168:169], v[170:171]
	v_mul_f64 v[170:171], v[164:165], v[168:169]
	v_fma_f64 v[164:165], -v[166:167], v[170:171], v[164:165]
	v_div_fmas_f64 v[164:165], v[164:165], v[168:169], v[170:171]
	v_div_fixup_f64 v[162:163], v[164:165], |v[162:163]|, s[74:75]
	v_frexp_mant_f64_e32 v[164:165], v[162:163]
	v_cmp_gt_f64_e32 vcc, s[18:19], v[164:165]
	v_cndmask_b32_e64 v3, v184, 2.0, vcc
	v_mul_f64 v[164:165], v[164:165], v[2:3]
	v_add_f64 v[166:167], v[164:165], 1.0
	v_rcp_f64_e32 v[168:169], v[166:167]
	v_add_f64 v[172:173], v[166:167], -1.0
	v_add_f64 v[170:171], v[164:165], -1.0
	v_add_f64 v[164:165], v[164:165], -v[172:173]
	v_fma_f64 v[172:173], -v[166:167], v[168:169], 1.0
	v_fmac_f64_e32 v[168:169], v[172:173], v[168:169]
	v_fma_f64 v[172:173], -v[166:167], v[168:169], 1.0
	v_fmac_f64_e32 v[168:169], v[172:173], v[168:169]
	v_mul_f64 v[172:173], v[170:171], v[168:169]
	v_mul_f64 v[174:175], v[166:167], v[172:173]
	v_fma_f64 v[166:167], v[172:173], v[166:167], -v[174:175]
	v_fmac_f64_e32 v[166:167], v[172:173], v[164:165]
	v_add_f64 v[164:165], v[174:175], v[166:167]
	v_add_f64 v[176:177], v[170:171], -v[164:165]
	v_add_f64 v[174:175], v[164:165], -v[174:175]
	;; [unrolled: 1-line block ×5, first 2 shown]
	v_add_f64 v[164:165], v[166:167], v[164:165]
	v_add_f64 v[164:165], v[176:177], v[164:165]
	v_mul_f64 v[164:165], v[168:169], v[164:165]
	v_add_f64 v[166:167], v[172:173], v[164:165]
	v_add_f64 v[168:169], v[166:167], -v[172:173]
	v_add_f64 v[164:165], v[164:165], -v[168:169]
	v_mul_f64 v[168:169], v[166:167], v[166:167]
	v_pk_mov_b32 v[170:171], v[8:9], v[8:9] op_sel:[0,1]
	v_fmac_f64_e32 v[170:171], s[20:21], v[168:169]
	v_pk_mov_b32 v[172:173], v[10:11], v[10:11] op_sel:[0,1]
	v_fmac_f64_e32 v[172:173], v[168:169], v[170:171]
	;; [unrolled: 2-line block ×6, first 2 shown]
	v_ldexp_f64 v[170:171], v[166:167], 1
	v_mul_f64 v[166:167], v[166:167], v[168:169]
	v_mul_f64 v[166:167], v[166:167], v[172:173]
	v_add_f64 v[168:169], v[170:171], v[166:167]
	v_add_f64 v[170:171], v[168:169], -v[170:171]
	v_ldexp_f64 v[164:165], v[164:165], 1
	v_add_f64 v[166:167], v[166:167], -v[170:171]
	v_add_f64 v[164:165], v[164:165], v[166:167]
	v_frexp_exp_i32_f64_e32 v148, v[162:163]
	v_add_f64 v[166:167], v[168:169], v[164:165]
	v_subbrev_co_u32_e32 v3, vcc, 0, v148, vcc
	v_add_f64 v[168:169], v[166:167], -v[168:169]
	v_add_f64 v[164:165], v[164:165], -v[168:169]
	v_cvt_f64_i32_e32 v[168:169], v3
	v_mul_f64 v[170:171], v[168:169], s[22:23]
	v_fma_f64 v[172:173], v[168:169], s[22:23], -v[170:171]
	v_fmac_f64_e32 v[172:173], s[24:25], v[168:169]
	v_add_f64 v[168:169], v[170:171], v[172:173]
	v_add_f64 v[170:171], v[168:169], -v[170:171]
	v_add_f64 v[170:171], v[172:173], -v[170:171]
	v_add_f64 v[172:173], v[168:169], v[166:167]
	v_add_f64 v[174:175], v[172:173], -v[168:169]
	v_add_f64 v[176:177], v[172:173], -v[174:175]
	;; [unrolled: 1-line block ×4, first 2 shown]
	v_add_f64 v[166:167], v[166:167], v[168:169]
	v_add_f64 v[168:169], v[170:171], v[164:165]
	v_add_f64 v[174:175], v[168:169], -v[170:171]
	v_add_f64 v[176:177], v[168:169], -v[174:175]
	v_add_f64 v[166:167], v[168:169], v[166:167]
	v_add_f64 v[170:171], v[170:171], -v[176:177]
	v_add_f64 v[164:165], v[164:165], -v[174:175]
	v_add_f64 v[168:169], v[172:173], v[166:167]
	v_add_f64 v[164:165], v[164:165], v[170:171]
	v_add_f64 v[170:171], v[168:169], -v[172:173]
	v_add_f64 v[166:167], v[166:167], -v[170:171]
	v_add_f64 v[164:165], v[164:165], v[166:167]
	v_add_f64 v[164:165], v[168:169], v[164:165]
	v_cmp_class_f64_e64 vcc, v[162:163], s90
	v_cndmask_b32_e32 v3, v164, v162, vcc
	v_cndmask_b32_e32 v148, v165, v163, vcc
	v_cmp_neq_f64_e32 vcc, 0, v[162:163]
	v_cndmask_b32_e32 v163, v185, v148, vcc
	v_cndmask_b32_e32 v162, 0, v3, vcc
	v_add_f64 v[160:161], v[162:163], -v[160:161]
	v_fract_f64_e32 v[162:163], v[156:157]
	v_cmp_eq_f64_e32 vcc, 0, v[162:163]
	s_or_b64 vcc, s[80:81], vcc
	v_cndmask_b32_e32 v161, v161, v187, vcc
	v_cndmask_b32_e64 v160, v160, 0, vcc
.LBB8_186:                              ;   in Loop: Header=BB8_145 Depth=1
	s_or_b64 exec, exec, s[78:79]
.LBB8_187:                              ;   in Loop: Header=BB8_145 Depth=1
	s_or_b64 exec, exec, s[8:9]
	v_and_b32_e32 v163, 0x7fffffff, v153
	v_mov_b32_e32 v162, v152
	v_cmp_lt_u32_e32 vcc, s86, v163
                                        ; implicit-def: $vgpr164_vgpr165
	s_and_saveexec_b64 s[8:9], vcc
	s_xor_b64 s[8:9], exec, s[8:9]
	s_cbranch_execz .LBB8_213
; %bb.188:                              ;   in Loop: Header=BB8_145 Depth=1
	v_cmp_lt_u32_e32 vcc, s87, v163
                                        ; implicit-def: $vgpr164_vgpr165
	s_and_saveexec_b64 s[78:79], vcc
	s_xor_b64 s[78:79], exec, s[78:79]
	s_cbranch_execz .LBB8_198
; %bb.189:                              ;   in Loop: Header=BB8_145 Depth=1
	;; [unrolled: 6-line block ×4, first 2 shown]
	v_frexp_mant_f64_e64 v[164:165], |v[152:153]|
	v_cmp_gt_f64_e32 vcc, s[18:19], v[164:165]
	v_cndmask_b32_e64 v3, v184, 2.0, vcc
	v_mul_f64 v[164:165], v[164:165], v[2:3]
	v_add_f64 v[166:167], v[164:165], 1.0
	v_rcp_f64_e32 v[168:169], v[166:167]
	v_add_f64 v[172:173], v[166:167], -1.0
	v_add_f64 v[170:171], v[164:165], -1.0
	v_add_f64 v[164:165], v[164:165], -v[172:173]
	v_fma_f64 v[172:173], -v[166:167], v[168:169], 1.0
	v_fmac_f64_e32 v[168:169], v[172:173], v[168:169]
	v_fma_f64 v[172:173], -v[166:167], v[168:169], 1.0
	v_fmac_f64_e32 v[168:169], v[172:173], v[168:169]
	v_mul_f64 v[172:173], v[170:171], v[168:169]
	v_mul_f64 v[174:175], v[166:167], v[172:173]
	v_fma_f64 v[166:167], v[172:173], v[166:167], -v[174:175]
	v_fmac_f64_e32 v[166:167], v[172:173], v[164:165]
	v_add_f64 v[164:165], v[174:175], v[166:167]
	v_add_f64 v[176:177], v[170:171], -v[164:165]
	v_add_f64 v[174:175], v[164:165], -v[174:175]
	;; [unrolled: 1-line block ×5, first 2 shown]
	v_add_f64 v[164:165], v[166:167], v[164:165]
	v_add_f64 v[164:165], v[176:177], v[164:165]
	v_mul_f64 v[164:165], v[168:169], v[164:165]
	v_add_f64 v[166:167], v[172:173], v[164:165]
	v_add_f64 v[168:169], v[166:167], -v[172:173]
	v_add_f64 v[164:165], v[164:165], -v[168:169]
	v_mul_f64 v[168:169], v[166:167], v[166:167]
	v_pk_mov_b32 v[170:171], v[8:9], v[8:9] op_sel:[0,1]
	v_fmac_f64_e32 v[170:171], s[20:21], v[168:169]
	v_pk_mov_b32 v[172:173], v[10:11], v[10:11] op_sel:[0,1]
	v_fmac_f64_e32 v[172:173], v[168:169], v[170:171]
	;; [unrolled: 2-line block ×6, first 2 shown]
	v_ldexp_f64 v[170:171], v[166:167], 1
	v_mul_f64 v[166:167], v[166:167], v[168:169]
	v_mul_f64 v[166:167], v[166:167], v[172:173]
	v_add_f64 v[168:169], v[170:171], v[166:167]
	v_add_f64 v[170:171], v[168:169], -v[170:171]
	v_ldexp_f64 v[164:165], v[164:165], 1
	v_add_f64 v[166:167], v[166:167], -v[170:171]
	v_add_f64 v[164:165], v[164:165], v[166:167]
	v_frexp_exp_i32_f64_e32 v148, v[152:153]
	v_add_f64 v[166:167], v[168:169], v[164:165]
	v_subbrev_co_u32_e32 v3, vcc, 0, v148, vcc
	v_add_f64 v[168:169], v[166:167], -v[168:169]
	v_add_f64 v[164:165], v[164:165], -v[168:169]
	v_cvt_f64_i32_e32 v[168:169], v3
	v_mul_f64 v[170:171], v[168:169], s[22:23]
	v_fma_f64 v[172:173], v[168:169], s[22:23], -v[170:171]
	v_fmac_f64_e32 v[172:173], s[24:25], v[168:169]
	v_add_f64 v[168:169], v[170:171], v[172:173]
	v_add_f64 v[170:171], v[168:169], -v[170:171]
	v_add_f64 v[170:171], v[172:173], -v[170:171]
	v_add_f64 v[172:173], v[168:169], v[166:167]
	v_add_f64 v[174:175], v[172:173], -v[168:169]
	v_add_f64 v[176:177], v[172:173], -v[174:175]
	;; [unrolled: 1-line block ×4, first 2 shown]
	v_add_f64 v[166:167], v[166:167], v[168:169]
	v_add_f64 v[168:169], v[170:171], v[164:165]
	v_add_f64 v[174:175], v[168:169], -v[170:171]
	v_add_f64 v[176:177], v[168:169], -v[174:175]
	v_add_f64 v[166:167], v[168:169], v[166:167]
	v_add_f64 v[170:171], v[170:171], -v[176:177]
	v_add_f64 v[164:165], v[164:165], -v[174:175]
	v_add_f64 v[168:169], v[172:173], v[166:167]
	v_add_f64 v[164:165], v[164:165], v[170:171]
	v_add_f64 v[170:171], v[168:169], -v[172:173]
	v_add_f64 v[166:167], v[166:167], -v[170:171]
	v_add_f64 v[164:165], v[164:165], v[166:167]
	v_add_f64 v[164:165], v[168:169], v[164:165]
	v_cmp_class_f64_e64 vcc, v[152:153], s90
	v_cndmask_b32_e32 v3, v164, v152, vcc
	v_cndmask_b32_e32 v148, v165, v163, vcc
	v_cmp_neq_f64_e32 vcc, 0, v[152:153]
	v_cndmask_b32_e32 v165, v185, v148, vcc
	v_cndmask_b32_e32 v164, 0, v3, vcc
	v_fma_f64 v[164:165], |v[152:153]|, v[164:165], -|v[152:153]|
.LBB8_192:                              ;   in Loop: Header=BB8_145 Depth=1
	s_andn2_saveexec_b64 s[82:83], s[82:83]
	s_cbranch_execz .LBB8_194
; %bb.193:                              ;   in Loop: Header=BB8_145 Depth=1
	v_mov_b32_e32 v162, v152
	v_div_scale_f64 v[164:165], vcc, v[162:163], v[162:163], 1.0
	v_rcp_f64_e32 v[166:167], v[164:165]
	v_div_scale_f64 v[168:169], vcc, 1.0, v[162:163], 1.0
	v_frexp_exp_i32_f64_e32 v148, v[152:153]
	v_fma_f64 v[170:171], -v[164:165], v[166:167], 1.0
	v_fmac_f64_e32 v[166:167], v[166:167], v[170:171]
	v_fma_f64 v[170:171], -v[164:165], v[166:167], 1.0
	v_fmac_f64_e32 v[166:167], v[166:167], v[170:171]
	v_mul_f64 v[170:171], v[168:169], v[166:167]
	v_fma_f64 v[164:165], -v[164:165], v[170:171], v[168:169]
	v_div_fmas_f64 v[164:165], v[164:165], v[166:167], v[170:171]
	v_div_fixup_f64 v[166:167], v[164:165], |v[152:153]|, 1.0
	s_mov_b32 vcc_lo, 0xb9e43e4
	v_mul_f64 v[164:165], v[166:167], v[166:167]
	v_pk_mov_b32 v[168:169], v[20:21], v[20:21] op_sel:[0,1]
	s_mov_b32 vcc_hi, 0xbf5ab89d
	v_fmac_f64_e32 v[168:169], vcc, v[164:165]
	v_pk_mov_b32 v[170:171], v[22:23], v[22:23] op_sel:[0,1]
	v_fmac_f64_e32 v[170:171], v[164:165], v[168:169]
	v_pk_mov_b32 v[168:169], v[24:25], v[24:25] op_sel:[0,1]
	v_fmac_f64_e32 v[168:169], v[164:165], v[170:171]
	;; [unrolled: 2-line block ×5, first 2 shown]
	v_frexp_mant_f64_e64 v[168:169], |v[152:153]|
	v_cmp_gt_f64_e32 vcc, s[18:19], v[168:169]
	v_cndmask_b32_e64 v3, v184, 2.0, vcc
	v_mul_f64 v[168:169], v[168:169], v[2:3]
	v_add_f64 v[170:171], v[168:169], 1.0
	v_rcp_f64_e32 v[172:173], v[170:171]
	v_add_f64 v[176:177], v[170:171], -1.0
	v_add_f64 v[174:175], v[168:169], -1.0
	v_add_f64 v[168:169], v[168:169], -v[176:177]
	v_fma_f64 v[176:177], -v[170:171], v[172:173], 1.0
	v_fmac_f64_e32 v[172:173], v[176:177], v[172:173]
	v_fma_f64 v[176:177], -v[170:171], v[172:173], 1.0
	v_fmac_f64_e32 v[172:173], v[176:177], v[172:173]
	v_mul_f64 v[176:177], v[174:175], v[172:173]
	v_mul_f64 v[188:189], v[170:171], v[176:177]
	v_fma_f64 v[170:171], v[176:177], v[170:171], -v[188:189]
	v_fmac_f64_e32 v[170:171], v[176:177], v[168:169]
	v_add_f64 v[168:169], v[188:189], v[170:171]
	v_add_f64 v[190:191], v[174:175], -v[168:169]
	v_add_f64 v[188:189], v[168:169], -v[188:189]
	;; [unrolled: 1-line block ×5, first 2 shown]
	v_add_f64 v[168:169], v[170:171], v[168:169]
	v_add_f64 v[168:169], v[190:191], v[168:169]
	v_mul_f64 v[168:169], v[172:173], v[168:169]
	v_add_f64 v[170:171], v[176:177], v[168:169]
	v_add_f64 v[172:173], v[170:171], -v[176:177]
	v_add_f64 v[168:169], v[168:169], -v[172:173]
	v_mul_f64 v[172:173], v[170:171], v[170:171]
	v_pk_mov_b32 v[174:175], v[8:9], v[8:9] op_sel:[0,1]
	v_fmac_f64_e32 v[174:175], s[20:21], v[172:173]
	v_pk_mov_b32 v[176:177], v[10:11], v[10:11] op_sel:[0,1]
	v_fmac_f64_e32 v[176:177], v[172:173], v[174:175]
	;; [unrolled: 2-line block ×6, first 2 shown]
	v_ldexp_f64 v[174:175], v[170:171], 1
	v_mul_f64 v[170:171], v[170:171], v[172:173]
	v_mul_f64 v[170:171], v[170:171], v[176:177]
	v_add_f64 v[172:173], v[174:175], v[170:171]
	v_add_f64 v[174:175], v[172:173], -v[174:175]
	v_ldexp_f64 v[168:169], v[168:169], 1
	v_add_f64 v[170:171], v[170:171], -v[174:175]
	v_add_f64 v[168:169], v[168:169], v[170:171]
	v_add_f64 v[170:171], v[172:173], v[168:169]
	v_subbrev_co_u32_e32 v3, vcc, 0, v148, vcc
	v_add_f64 v[172:173], v[170:171], -v[172:173]
	v_add_f64 v[168:169], v[168:169], -v[172:173]
	v_cvt_f64_i32_e32 v[172:173], v3
	v_mul_f64 v[174:175], v[172:173], s[22:23]
	v_fma_f64 v[176:177], v[172:173], s[22:23], -v[174:175]
	v_fmac_f64_e32 v[176:177], s[24:25], v[172:173]
	v_add_f64 v[172:173], v[174:175], v[176:177]
	v_add_f64 v[174:175], v[172:173], -v[174:175]
	v_add_f64 v[174:175], v[176:177], -v[174:175]
	v_add_f64 v[176:177], v[172:173], v[170:171]
	v_add_f64 v[188:189], v[176:177], -v[172:173]
	v_add_f64 v[190:191], v[176:177], -v[188:189]
	;; [unrolled: 1-line block ×4, first 2 shown]
	v_add_f64 v[170:171], v[170:171], v[172:173]
	v_add_f64 v[172:173], v[174:175], v[168:169]
	v_add_f64 v[188:189], v[172:173], -v[174:175]
	v_add_f64 v[190:191], v[172:173], -v[188:189]
	v_add_f64 v[170:171], v[172:173], v[170:171]
	v_add_f64 v[174:175], v[174:175], -v[190:191]
	v_add_f64 v[168:169], v[168:169], -v[188:189]
	v_add_f64 v[172:173], v[176:177], v[170:171]
	v_add_f64 v[168:169], v[168:169], v[174:175]
	v_add_f64 v[174:175], v[172:173], -v[176:177]
	v_add_f64 v[170:171], v[170:171], -v[174:175]
	v_add_f64 v[168:169], v[168:169], v[170:171]
	v_add_f64 v[168:169], v[172:173], v[168:169]
	v_cmp_class_f64_e64 vcc, v[152:153], s90
	v_cndmask_b32_e32 v169, v169, v163, vcc
	v_cndmask_b32_e32 v168, v168, v162, vcc
	v_add_f64 v[168:169], v[168:169], -1.0
	v_cmp_neq_f64_e32 vcc, 0, v[152:153]
	v_add_f64 v[166:167], |v[152:153]|, -0.5
	v_cndmask_b32_e32 v169, v185, v169, vcc
	v_cndmask_b32_e32 v168, 0, v168, vcc
	v_fmac_f64_e32 v[164:165], v[166:167], v[168:169]
.LBB8_194:                              ;   in Loop: Header=BB8_145 Depth=1
	s_or_b64 exec, exec, s[82:83]
.LBB8_195:                              ;   in Loop: Header=BB8_145 Depth=1
	s_andn2_saveexec_b64 s[80:81], s[80:81]
	s_cbranch_execz .LBB8_197
; %bb.196:                              ;   in Loop: Header=BB8_145 Depth=1
	v_cvt_i32_f64_e32 v3, v[162:163]
	v_cvt_f64_i32_e32 v[164:165], v3
	v_add_f64 v[164:165], |v[152:153]|, -v[164:165]
	v_pk_mov_b32 v[166:167], v[32:33], v[32:33] op_sel:[0,1]
	v_fmac_f64_e32 v[166:167], s[28:29], v[164:165]
	v_pk_mov_b32 v[168:169], v[34:35], v[34:35] op_sel:[0,1]
	v_fmac_f64_e32 v[168:169], v[164:165], v[166:167]
	;; [unrolled: 2-line block ×4, first 2 shown]
	v_pk_mov_b32 v[166:167], v[40:41], v[40:41] op_sel:[0,1]
	v_mov_b32_e32 v148, v76
	v_fmac_f64_e32 v[166:167], v[164:165], v[168:169]
	v_pk_mov_b32 v[168:169], v[148:149], v[148:149] op_sel:[0,1]
	v_fmac_f64_e32 v[168:169], v[164:165], v[166:167]
	v_mul_f64 v[166:167], v[164:165], v[168:169]
	v_pk_mov_b32 v[168:169], v[42:43], v[42:43] op_sel:[0,1]
	v_fmac_f64_e32 v[168:169], s[30:31], v[164:165]
	v_pk_mov_b32 v[170:171], v[44:45], v[44:45] op_sel:[0,1]
	v_fmac_f64_e32 v[170:171], v[164:165], v[168:169]
	v_pk_mov_b32 v[168:169], v[46:47], v[46:47] op_sel:[0,1]
	v_fmac_f64_e32 v[168:169], v[164:165], v[170:171]
	v_pk_mov_b32 v[170:171], v[48:49], v[48:49] op_sel:[0,1]
	v_fmac_f64_e32 v[170:171], v[164:165], v[168:169]
	v_pk_mov_b32 v[168:169], v[50:51], v[50:51] op_sel:[0,1]
	v_fmac_f64_e32 v[168:169], v[164:165], v[170:171]
	v_fma_f64 v[168:169], v[164:165], v[168:169], 1.0
	v_div_scale_f64 v[170:171], s[82:83], v[168:169], v[168:169], v[166:167]
	v_rcp_f64_e32 v[172:173], v[170:171]
	v_fma_f64 v[174:175], -v[170:171], v[172:173], 1.0
	v_fmac_f64_e32 v[172:173], v[172:173], v[174:175]
	v_fma_f64 v[174:175], -v[170:171], v[172:173], 1.0
	v_fmac_f64_e32 v[172:173], v[172:173], v[174:175]
	v_div_scale_f64 v[174:175], vcc, v[166:167], v[168:169], v[166:167]
	v_mul_f64 v[176:177], v[174:175], v[172:173]
	v_fma_f64 v[170:171], -v[170:171], v[176:177], v[174:175]
	v_add_f64 v[174:175], v[164:165], s[36:37]
	s_nop 0
	v_div_fmas_f64 v[170:171], v[170:171], v[172:173], v[176:177]
	v_div_fixup_f64 v[166:167], v[170:171], v[168:169], v[166:167]
	v_add_f64 v[168:169], v[164:165], 2.0
	v_cmp_lt_i32_e32 vcc, 2, v3
	v_add_f64 v[170:171], v[164:165], s[34:35]
	v_cndmask_b32_e32 v169, v184, v169, vcc
	v_cndmask_b32_e32 v168, 0, v168, vcc
	v_cmp_lt_i32_e32 vcc, 3, v3
	v_add_f64 v[172:173], v[164:165], 4.0
	v_cndmask_b32_e32 v171, v184, v171, vcc
	v_cndmask_b32_e32 v170, 0, v170, vcc
	v_cmp_lt_i32_e32 vcc, 4, v3
	v_mul_f64 v[168:169], v[168:169], v[170:171]
	v_cndmask_b32_e32 v171, v184, v173, vcc
	v_cndmask_b32_e32 v170, 0, v172, vcc
	v_cmp_lt_i32_e32 vcc, 5, v3
	v_fmac_f64_e32 v[166:167], 0.5, v[164:165]
	v_add_f64 v[164:165], v[164:165], s[38:39]
	v_mul_f64 v[168:169], v[170:171], v[168:169]
	v_cndmask_b32_e32 v171, v184, v175, vcc
	v_cndmask_b32_e32 v170, 0, v174, vcc
	v_cmp_lt_i32_e32 vcc, 6, v3
	v_mul_f64 v[168:169], v[170:171], v[168:169]
	v_cndmask_b32_e32 v165, v184, v165, vcc
	v_cndmask_b32_e32 v164, 0, v164, vcc
	v_mul_f64 v[164:165], v[164:165], v[168:169]
	v_frexp_mant_f64_e32 v[168:169], v[164:165]
	v_cmp_gt_f64_e32 vcc, s[18:19], v[168:169]
	v_cndmask_b32_e64 v3, v184, 2.0, vcc
	v_mul_f64 v[168:169], v[168:169], v[2:3]
	v_add_f64 v[170:171], v[168:169], 1.0
	v_rcp_f64_e32 v[172:173], v[170:171]
	v_add_f64 v[176:177], v[170:171], -1.0
	v_add_f64 v[174:175], v[168:169], -1.0
	v_add_f64 v[168:169], v[168:169], -v[176:177]
	v_fma_f64 v[176:177], -v[170:171], v[172:173], 1.0
	v_fmac_f64_e32 v[172:173], v[176:177], v[172:173]
	v_fma_f64 v[176:177], -v[170:171], v[172:173], 1.0
	v_fmac_f64_e32 v[172:173], v[176:177], v[172:173]
	v_mul_f64 v[176:177], v[174:175], v[172:173]
	v_mul_f64 v[188:189], v[170:171], v[176:177]
	v_fma_f64 v[170:171], v[176:177], v[170:171], -v[188:189]
	v_fmac_f64_e32 v[170:171], v[176:177], v[168:169]
	v_add_f64 v[168:169], v[188:189], v[170:171]
	v_add_f64 v[190:191], v[174:175], -v[168:169]
	v_add_f64 v[188:189], v[168:169], -v[188:189]
	;; [unrolled: 1-line block ×5, first 2 shown]
	v_add_f64 v[168:169], v[170:171], v[168:169]
	v_add_f64 v[168:169], v[190:191], v[168:169]
	v_mul_f64 v[168:169], v[172:173], v[168:169]
	v_add_f64 v[170:171], v[176:177], v[168:169]
	v_add_f64 v[172:173], v[170:171], -v[176:177]
	v_add_f64 v[168:169], v[168:169], -v[172:173]
	v_mul_f64 v[172:173], v[170:171], v[170:171]
	v_pk_mov_b32 v[174:175], v[8:9], v[8:9] op_sel:[0,1]
	v_fmac_f64_e32 v[174:175], s[20:21], v[172:173]
	v_pk_mov_b32 v[176:177], v[10:11], v[10:11] op_sel:[0,1]
	v_fmac_f64_e32 v[176:177], v[172:173], v[174:175]
	v_pk_mov_b32 v[174:175], v[12:13], v[12:13] op_sel:[0,1]
	v_fmac_f64_e32 v[174:175], v[172:173], v[176:177]
	v_pk_mov_b32 v[176:177], v[14:15], v[14:15] op_sel:[0,1]
	v_fmac_f64_e32 v[176:177], v[172:173], v[174:175]
	v_pk_mov_b32 v[174:175], v[16:17], v[16:17] op_sel:[0,1]
	v_fmac_f64_e32 v[174:175], v[172:173], v[176:177]
	v_pk_mov_b32 v[176:177], v[18:19], v[18:19] op_sel:[0,1]
	v_fmac_f64_e32 v[176:177], v[172:173], v[174:175]
	v_ldexp_f64 v[174:175], v[170:171], 1
	v_mul_f64 v[170:171], v[170:171], v[172:173]
	v_mul_f64 v[170:171], v[170:171], v[176:177]
	v_add_f64 v[172:173], v[174:175], v[170:171]
	v_add_f64 v[174:175], v[172:173], -v[174:175]
	v_ldexp_f64 v[168:169], v[168:169], 1
	v_add_f64 v[170:171], v[170:171], -v[174:175]
	v_add_f64 v[168:169], v[168:169], v[170:171]
	v_frexp_exp_i32_f64_e32 v148, v[164:165]
	v_add_f64 v[170:171], v[172:173], v[168:169]
	v_subbrev_co_u32_e32 v3, vcc, 0, v148, vcc
	v_add_f64 v[172:173], v[170:171], -v[172:173]
	v_add_f64 v[168:169], v[168:169], -v[172:173]
	v_cvt_f64_i32_e32 v[172:173], v3
	v_mul_f64 v[174:175], v[172:173], s[22:23]
	v_fma_f64 v[176:177], v[172:173], s[22:23], -v[174:175]
	v_fmac_f64_e32 v[176:177], s[24:25], v[172:173]
	v_add_f64 v[172:173], v[174:175], v[176:177]
	v_add_f64 v[174:175], v[172:173], -v[174:175]
	v_add_f64 v[174:175], v[176:177], -v[174:175]
	v_add_f64 v[176:177], v[172:173], v[170:171]
	v_add_f64 v[188:189], v[176:177], -v[172:173]
	v_add_f64 v[190:191], v[176:177], -v[188:189]
	;; [unrolled: 1-line block ×4, first 2 shown]
	v_add_f64 v[170:171], v[170:171], v[172:173]
	v_add_f64 v[172:173], v[174:175], v[168:169]
	v_add_f64 v[188:189], v[172:173], -v[174:175]
	v_add_f64 v[190:191], v[172:173], -v[188:189]
	v_add_f64 v[170:171], v[172:173], v[170:171]
	v_add_f64 v[174:175], v[174:175], -v[190:191]
	v_add_f64 v[168:169], v[168:169], -v[188:189]
	v_add_f64 v[172:173], v[176:177], v[170:171]
	v_add_f64 v[168:169], v[168:169], v[174:175]
	v_add_f64 v[174:175], v[172:173], -v[176:177]
	v_add_f64 v[170:171], v[170:171], -v[174:175]
	v_add_f64 v[168:169], v[168:169], v[170:171]
	v_add_f64 v[168:169], v[172:173], v[168:169]
	v_cmp_class_f64_e64 vcc, v[164:165], s90
	v_cndmask_b32_e32 v3, v168, v164, vcc
	v_cndmask_b32_e32 v148, v169, v165, vcc
	v_cmp_ngt_f64_e32 vcc, 0, v[164:165]
	v_cndmask_b32_e32 v148, v186, v148, vcc
	v_cmp_nge_f64_e32 vcc, 0, v[164:165]
	v_cndmask_b32_e32 v168, 0, v3, vcc
	v_cmp_neq_f64_e32 vcc, 0, v[164:165]
	v_cndmask_b32_e32 v169, v185, v148, vcc
	v_add_f64 v[164:165], v[166:167], v[168:169]
.LBB8_197:                              ;   in Loop: Header=BB8_145 Depth=1
	s_or_b64 exec, exec, s[80:81]
.LBB8_198:                              ;   in Loop: Header=BB8_145 Depth=1
	s_andn2_saveexec_b64 s[78:79], s[78:79]
	s_cbranch_execz .LBB8_212
; %bb.199:                              ;   in Loop: Header=BB8_145 Depth=1
	v_cmp_lt_u32_e32 vcc, s91, v163
                                        ; implicit-def: $sgpr82_sgpr83
                                        ; implicit-def: $vgpr3
                                        ; implicit-def: $vgpr166_vgpr167
	s_and_saveexec_b64 s[80:81], vcc
	s_xor_b64 s[80:81], exec, s[80:81]
	s_cbranch_execz .LBB8_201
; %bb.200:                              ;   in Loop: Header=BB8_145 Depth=1
	v_add_f64 v[164:165], -|v[152:153]|, 2.0
	v_add_f64 v[166:167], |v[152:153]|, s[40:41]
	v_cmp_gt_u32_e32 vcc, s92, v163
	v_cndmask_b32_e32 v3, v164, v166, vcc
	v_cndmask_b32_e32 v148, v165, v167, vcc
	v_cndmask_b32_e64 v158, 0, 1, vcc
	v_add_f64 v[164:165], |v[152:153]|, -1.0
	v_cmp_gt_u32_e32 vcc, s93, v163
	v_cndmask_b32_e32 v167, v148, v165, vcc
	v_cndmask_b32_e32 v166, v3, v164, vcc
	v_cndmask_b32_e64 v3, v158, 2, vcc
	s_mov_b64 s[82:83], 0
.LBB8_201:                              ;   in Loop: Header=BB8_145 Depth=1
	s_or_saveexec_b64 s[80:81], s[80:81]
	v_pk_mov_b32 v[164:165], s[82:83], s[82:83] op_sel:[0,1]
	s_xor_b64 exec, exec, s[80:81]
	s_cbranch_execz .LBB8_203
; %bb.202:                              ;   in Loop: Header=BB8_145 Depth=1
	v_frexp_mant_f64_e64 v[164:165], |v[152:153]|
	v_cmp_gt_f64_e32 vcc, s[18:19], v[164:165]
	v_cndmask_b32_e64 v3, v184, 2.0, vcc
	v_mul_f64 v[164:165], v[164:165], v[2:3]
	v_add_f64 v[166:167], v[164:165], 1.0
	v_rcp_f64_e32 v[168:169], v[166:167]
	v_add_f64 v[172:173], v[166:167], -1.0
	v_add_f64 v[170:171], v[164:165], -1.0
	v_add_f64 v[164:165], v[164:165], -v[172:173]
	v_fma_f64 v[172:173], -v[166:167], v[168:169], 1.0
	v_fmac_f64_e32 v[168:169], v[172:173], v[168:169]
	v_fma_f64 v[172:173], -v[166:167], v[168:169], 1.0
	v_fmac_f64_e32 v[168:169], v[172:173], v[168:169]
	v_mul_f64 v[172:173], v[170:171], v[168:169]
	v_mul_f64 v[174:175], v[166:167], v[172:173]
	v_fma_f64 v[166:167], v[172:173], v[166:167], -v[174:175]
	v_fmac_f64_e32 v[166:167], v[172:173], v[164:165]
	v_add_f64 v[164:165], v[174:175], v[166:167]
	v_add_f64 v[176:177], v[170:171], -v[164:165]
	v_add_f64 v[174:175], v[164:165], -v[174:175]
	;; [unrolled: 1-line block ×5, first 2 shown]
	v_add_f64 v[164:165], v[166:167], v[164:165]
	v_add_f64 v[164:165], v[176:177], v[164:165]
	v_mul_f64 v[164:165], v[168:169], v[164:165]
	v_add_f64 v[166:167], v[172:173], v[164:165]
	v_add_f64 v[168:169], v[166:167], -v[172:173]
	v_add_f64 v[164:165], v[164:165], -v[168:169]
	v_mul_f64 v[168:169], v[166:167], v[166:167]
	v_pk_mov_b32 v[170:171], v[8:9], v[8:9] op_sel:[0,1]
	v_fmac_f64_e32 v[170:171], s[20:21], v[168:169]
	v_pk_mov_b32 v[172:173], v[10:11], v[10:11] op_sel:[0,1]
	v_fmac_f64_e32 v[172:173], v[168:169], v[170:171]
	;; [unrolled: 2-line block ×6, first 2 shown]
	v_ldexp_f64 v[170:171], v[166:167], 1
	v_mul_f64 v[166:167], v[166:167], v[168:169]
	v_mul_f64 v[166:167], v[166:167], v[172:173]
	v_add_f64 v[168:169], v[170:171], v[166:167]
	v_add_f64 v[170:171], v[168:169], -v[170:171]
	v_ldexp_f64 v[164:165], v[164:165], 1
	v_add_f64 v[166:167], v[166:167], -v[170:171]
	v_add_f64 v[164:165], v[164:165], v[166:167]
	v_frexp_exp_i32_f64_e32 v148, v[152:153]
	v_add_f64 v[166:167], v[168:169], v[164:165]
	v_subbrev_co_u32_e32 v3, vcc, 0, v148, vcc
	v_add_f64 v[168:169], v[166:167], -v[168:169]
	v_add_f64 v[164:165], v[164:165], -v[168:169]
	v_cvt_f64_i32_e32 v[168:169], v3
	v_mul_f64 v[170:171], v[168:169], s[22:23]
	v_fma_f64 v[172:173], v[168:169], s[22:23], -v[170:171]
	v_fmac_f64_e32 v[172:173], s[24:25], v[168:169]
	v_add_f64 v[168:169], v[170:171], v[172:173]
	v_add_f64 v[170:171], v[168:169], -v[170:171]
	v_add_f64 v[170:171], v[172:173], -v[170:171]
	v_add_f64 v[172:173], v[168:169], v[166:167]
	v_add_f64 v[174:175], v[172:173], -v[168:169]
	v_add_f64 v[176:177], v[172:173], -v[174:175]
	;; [unrolled: 1-line block ×4, first 2 shown]
	v_add_f64 v[166:167], v[166:167], v[168:169]
	v_add_f64 v[168:169], v[170:171], v[164:165]
	v_add_f64 v[174:175], v[168:169], -v[170:171]
	v_add_f64 v[176:177], v[168:169], -v[174:175]
	v_add_f64 v[166:167], v[168:169], v[166:167]
	v_add_f64 v[170:171], v[170:171], -v[176:177]
	v_add_f64 v[164:165], v[164:165], -v[174:175]
	v_add_f64 v[168:169], v[172:173], v[166:167]
	v_add_f64 v[164:165], v[164:165], v[170:171]
	v_add_f64 v[170:171], v[168:169], -v[172:173]
	v_add_f64 v[166:167], v[166:167], -v[170:171]
	v_add_f64 v[164:165], v[164:165], v[166:167]
	v_add_f64 v[164:165], v[168:169], v[164:165]
	v_cmp_class_f64_e64 vcc, v[152:153], s90
	v_cndmask_b32_e32 v3, v164, v152, vcc
	v_cndmask_b32_e64 v148, -v165, -v163, vcc
	v_cmp_neq_f64_e32 vcc, 0, v[152:153]
	v_cndmask_b32_e32 v165, v187, v148, vcc
	v_cndmask_b32_e32 v164, 0, v3, vcc
	v_add_f64 v[166:167], -|v[152:153]|, 1.0
	v_add_f64 v[168:169], |v[152:153]|, s[42:43]
	v_cmp_gt_u32_e32 vcc, s94, v163
	v_cndmask_b32_e32 v3, v166, v168, vcc
	v_cndmask_b32_e32 v148, v167, v169, vcc
	v_cndmask_b32_e64 v158, 0, 1, vcc
	v_cmp_gt_u32_e32 vcc, s95, v163
	v_cndmask_b32_e32 v167, v148, v163, vcc
	v_cndmask_b32_e32 v166, v3, v152, vcc
	v_cndmask_b32_e64 v3, v158, 2, vcc
.LBB8_203:                              ;   in Loop: Header=BB8_145 Depth=1
	s_or_b64 exec, exec, s[80:81]
	v_cmp_lt_i32_e32 vcc, 1, v3
                                        ; implicit-def: $vgpr168_vgpr169
	s_and_saveexec_b64 s[80:81], vcc
	s_xor_b64 s[80:81], exec, s[80:81]
	s_cbranch_execz .LBB8_205
; %bb.204:                              ;   in Loop: Header=BB8_145 Depth=1
	v_pk_mov_b32 v[168:169], v[52:53], v[52:53] op_sel:[0,1]
	v_fmac_f64_e32 v[168:169], s[44:45], v[166:167]
	v_pk_mov_b32 v[170:171], v[54:55], v[54:55] op_sel:[0,1]
	v_fmac_f64_e32 v[170:171], v[166:167], v[168:169]
	;; [unrolled: 2-line block ×3, first 2 shown]
	v_pk_mov_b32 v[170:171], v[58:59], v[58:59] op_sel:[0,1]
	v_mov_b32_e32 v148, v76
	v_fmac_f64_e32 v[170:171], v[166:167], v[168:169]
	v_pk_mov_b32 v[168:169], v[148:149], v[148:149] op_sel:[0,1]
	v_fmac_f64_e32 v[168:169], v[166:167], v[170:171]
	v_pk_mov_b32 v[170:171], v[60:61], v[60:61] op_sel:[0,1]
	;; [unrolled: 2-line block ×5, first 2 shown]
	v_fmac_f64_e32 v[172:173], v[166:167], v[170:171]
	v_mul_f64 v[168:169], v[166:167], v[168:169]
	v_fma_f64 v[170:171], v[166:167], v[172:173], 1.0
	v_div_scale_f64 v[172:173], s[82:83], v[170:171], v[170:171], v[168:169]
	v_rcp_f64_e32 v[174:175], v[172:173]
                                        ; implicit-def: $vgpr3
	v_fma_f64 v[176:177], -v[172:173], v[174:175], 1.0
	v_fmac_f64_e32 v[174:175], v[174:175], v[176:177]
	v_fma_f64 v[176:177], -v[172:173], v[174:175], 1.0
	v_fmac_f64_e32 v[174:175], v[174:175], v[176:177]
	v_div_scale_f64 v[176:177], vcc, v[168:169], v[170:171], v[168:169]
	v_mul_f64 v[188:189], v[176:177], v[174:175]
	v_fma_f64 v[172:173], -v[172:173], v[188:189], v[176:177]
	s_nop 1
	v_div_fmas_f64 v[172:173], v[172:173], v[174:175], v[188:189]
	v_div_fixup_f64 v[168:169], v[172:173], v[170:171], v[168:169]
	v_fmac_f64_e32 v[168:169], -0.5, v[166:167]
                                        ; implicit-def: $vgpr166_vgpr167
.LBB8_205:                              ;   in Loop: Header=BB8_145 Depth=1
	s_andn2_saveexec_b64 s[80:81], s[80:81]
	s_cbranch_execz .LBB8_211
; %bb.206:                              ;   in Loop: Header=BB8_145 Depth=1
	v_cmp_ne_u32_e32 vcc, 1, v3
                                        ; implicit-def: $vgpr168_vgpr169
	s_and_saveexec_b64 s[82:83], vcc
	s_xor_b64 s[82:83], exec, s[82:83]
	s_cbranch_execz .LBB8_208
; %bb.207:                              ;   in Loop: Header=BB8_145 Depth=1
	s_mov_b32 vcc_lo, 0x428cfa52
	v_mul_f64 v[168:169], v[166:167], v[166:167]
	v_pk_mov_b32 v[170:171], v[68:69], v[68:69] op_sel:[0,1]
	s_mov_b32 vcc_hi, 0x3efa7074
	v_fmac_f64_e32 v[170:171], vcc, v[168:169]
	v_pk_mov_b32 v[172:173], v[70:71], v[70:71] op_sel:[0,1]
	v_fmac_f64_e32 v[172:173], v[168:169], v[170:171]
	v_pk_mov_b32 v[170:171], v[72:73], v[72:73] op_sel:[0,1]
	v_fmac_f64_e32 v[170:171], v[168:169], v[172:173]
	v_pk_mov_b32 v[172:173], v[74:75], v[74:75] op_sel:[0,1]
	v_fmac_f64_e32 v[172:173], v[168:169], v[170:171]
	v_pk_mov_b32 v[170:171], v[76:77], v[76:77] op_sel:[0,1]
	v_fmac_f64_e32 v[170:171], v[168:169], v[172:173]
	v_pk_mov_b32 v[172:173], v[78:79], v[78:79] op_sel:[0,1]
	v_fmac_f64_e32 v[172:173], s[50:51], v[168:169]
	v_pk_mov_b32 v[174:175], v[80:81], v[80:81] op_sel:[0,1]
	v_fmac_f64_e32 v[174:175], v[168:169], v[172:173]
	v_pk_mov_b32 v[172:173], v[82:83], v[82:83] op_sel:[0,1]
	v_fmac_f64_e32 v[172:173], v[168:169], v[174:175]
	v_pk_mov_b32 v[174:175], v[84:85], v[84:85] op_sel:[0,1]
	v_fmac_f64_e32 v[174:175], v[168:169], v[172:173]
	v_pk_mov_b32 v[172:173], v[86:87], v[86:87] op_sel:[0,1]
	v_fmac_f64_e32 v[172:173], v[168:169], v[174:175]
	v_mul_f64 v[168:169], v[168:169], v[172:173]
	v_fmac_f64_e32 v[168:169], v[166:167], v[170:171]
	v_fmac_f64_e32 v[168:169], -0.5, v[166:167]
                                        ; implicit-def: $vgpr166_vgpr167
.LBB8_208:                              ;   in Loop: Header=BB8_145 Depth=1
	s_andn2_saveexec_b64 s[82:83], s[82:83]
	s_cbranch_execz .LBB8_210
; %bb.209:                              ;   in Loop: Header=BB8_145 Depth=1
	v_mul_f64 v[168:169], v[166:167], v[166:167]
	v_mul_f64 v[170:171], v[166:167], v[168:169]
	v_pk_mov_b32 v[172:173], v[88:89], v[88:89] op_sel:[0,1]
	v_fmac_f64_e32 v[172:173], s[52:53], v[170:171]
	v_pk_mov_b32 v[174:175], v[90:91], v[90:91] op_sel:[0,1]
	v_fmac_f64_e32 v[174:175], v[170:171], v[172:173]
	;; [unrolled: 2-line block ×12, first 2 shown]
	v_fmac_f64_e32 v[176:177], v[166:167], v[188:189]
	v_fma_f64 v[166:167], v[170:171], -v[176:177], s[58:59]
	v_fma_f64 v[166:167], v[168:169], v[174:175], -v[166:167]
	v_add_f64 v[168:169], v[166:167], s[60:61]
.LBB8_210:                              ;   in Loop: Header=BB8_145 Depth=1
	s_or_b64 exec, exec, s[82:83]
.LBB8_211:                              ;   in Loop: Header=BB8_145 Depth=1
	s_or_b64 exec, exec, s[80:81]
	v_add_f64 v[164:165], v[164:165], v[168:169]
.LBB8_212:                              ;   in Loop: Header=BB8_145 Depth=1
	s_or_b64 exec, exec, s[78:79]
.LBB8_213:                              ;   in Loop: Header=BB8_145 Depth=1
	s_andn2_saveexec_b64 s[8:9], s[8:9]
	s_cbranch_execz .LBB8_215
; %bb.214:                              ;   in Loop: Header=BB8_145 Depth=1
	v_frexp_mant_f64_e64 v[166:167], |v[152:153]|
	v_cmp_gt_f64_e32 vcc, s[18:19], v[166:167]
	v_cndmask_b32_e64 v3, v184, 2.0, vcc
	v_mul_f64 v[166:167], v[166:167], v[2:3]
	v_add_f64 v[168:169], v[166:167], 1.0
	v_rcp_f64_e32 v[170:171], v[168:169]
	v_add_f64 v[174:175], v[168:169], -1.0
	v_add_f64 v[172:173], v[166:167], -1.0
	v_add_f64 v[166:167], v[166:167], -v[174:175]
	v_fma_f64 v[174:175], -v[168:169], v[170:171], 1.0
	v_fmac_f64_e32 v[170:171], v[174:175], v[170:171]
	v_fma_f64 v[174:175], -v[168:169], v[170:171], 1.0
	v_fmac_f64_e32 v[170:171], v[174:175], v[170:171]
	v_mul_f64 v[174:175], v[172:173], v[170:171]
	v_mul_f64 v[176:177], v[168:169], v[174:175]
	v_fma_f64 v[168:169], v[174:175], v[168:169], -v[176:177]
	v_fmac_f64_e32 v[168:169], v[174:175], v[166:167]
	v_add_f64 v[166:167], v[176:177], v[168:169]
	v_add_f64 v[188:189], v[172:173], -v[166:167]
	v_add_f64 v[176:177], v[166:167], -v[176:177]
	;; [unrolled: 1-line block ×5, first 2 shown]
	v_add_f64 v[166:167], v[168:169], v[166:167]
	v_add_f64 v[166:167], v[188:189], v[166:167]
	v_mul_f64 v[166:167], v[170:171], v[166:167]
	v_add_f64 v[168:169], v[174:175], v[166:167]
	v_add_f64 v[170:171], v[168:169], -v[174:175]
	v_add_f64 v[166:167], v[166:167], -v[170:171]
	v_mul_f64 v[170:171], v[168:169], v[168:169]
	v_pk_mov_b32 v[172:173], v[8:9], v[8:9] op_sel:[0,1]
	v_fmac_f64_e32 v[172:173], s[20:21], v[170:171]
	v_pk_mov_b32 v[174:175], v[10:11], v[10:11] op_sel:[0,1]
	v_fmac_f64_e32 v[174:175], v[170:171], v[172:173]
	;; [unrolled: 2-line block ×6, first 2 shown]
	v_ldexp_f64 v[172:173], v[168:169], 1
	v_mul_f64 v[168:169], v[168:169], v[170:171]
	v_mul_f64 v[168:169], v[168:169], v[174:175]
	v_add_f64 v[170:171], v[172:173], v[168:169]
	v_add_f64 v[172:173], v[170:171], -v[172:173]
	v_ldexp_f64 v[166:167], v[166:167], 1
	v_add_f64 v[168:169], v[168:169], -v[172:173]
	v_add_f64 v[166:167], v[166:167], v[168:169]
	v_frexp_exp_i32_f64_e32 v148, v[152:153]
	v_add_f64 v[168:169], v[170:171], v[166:167]
	v_subbrev_co_u32_e32 v3, vcc, 0, v148, vcc
	v_add_f64 v[170:171], v[168:169], -v[170:171]
	v_add_f64 v[166:167], v[166:167], -v[170:171]
	v_cvt_f64_i32_e32 v[170:171], v3
	v_mul_f64 v[172:173], v[170:171], s[22:23]
	v_fma_f64 v[174:175], v[170:171], s[22:23], -v[172:173]
	v_fmac_f64_e32 v[174:175], s[24:25], v[170:171]
	v_add_f64 v[170:171], v[172:173], v[174:175]
	v_add_f64 v[172:173], v[170:171], -v[172:173]
	v_add_f64 v[172:173], v[174:175], -v[172:173]
	v_add_f64 v[174:175], v[170:171], v[168:169]
	v_add_f64 v[176:177], v[174:175], -v[170:171]
	v_add_f64 v[188:189], v[174:175], -v[176:177]
	;; [unrolled: 1-line block ×4, first 2 shown]
	v_add_f64 v[168:169], v[168:169], v[170:171]
	v_add_f64 v[170:171], v[172:173], v[166:167]
	v_add_f64 v[176:177], v[170:171], -v[172:173]
	v_add_f64 v[188:189], v[170:171], -v[176:177]
	v_add_f64 v[168:169], v[170:171], v[168:169]
	v_add_f64 v[172:173], v[172:173], -v[188:189]
	v_add_f64 v[166:167], v[166:167], -v[176:177]
	v_add_f64 v[170:171], v[174:175], v[168:169]
	v_add_f64 v[166:167], v[166:167], v[172:173]
	v_add_f64 v[172:173], v[170:171], -v[174:175]
	v_add_f64 v[168:169], v[168:169], -v[172:173]
	v_fma_f64 v[164:165], |v[152:153]|, s[62:63], v[112:113]
	v_add_f64 v[166:167], v[166:167], v[168:169]
	v_fma_f64 v[164:165], |v[152:153]|, v[164:165], s[64:65]
	v_add_f64 v[166:167], v[170:171], v[166:167]
	v_cmp_class_f64_e64 vcc, v[152:153], s90
	v_fma_f64 v[164:165], |v[152:153]|, v[164:165], s[66:67]
	v_cndmask_b32_e32 v3, v166, v152, vcc
	v_cndmask_b32_e64 v148, -v167, -v163, vcc
	v_cmp_neq_f64_e32 vcc, 0, v[152:153]
	v_fma_f64 v[164:165], |v[152:153]|, v[164:165], s[68:69]
	v_cndmask_b32_e32 v167, v187, v148, vcc
	v_cndmask_b32_e32 v166, 0, v3, vcc
	v_fma_f64 v[164:165], |v[152:153]|, v[164:165], v[166:167]
.LBB8_215:                              ;   in Loop: Header=BB8_145 Depth=1
	s_or_b64 exec, exec, s[8:9]
	v_cmp_le_f64_e32 vcc, 0, v[152:153]
	s_and_saveexec_b64 s[8:9], vcc
	s_xor_b64 s[78:79], exec, s[8:9]
; %bb.216:                              ;   in Loop: Header=BB8_145 Depth=1
	v_cmp_eq_f64_e32 vcc, 1.0, v[152:153]
	v_cmp_eq_f64_e64 s[8:9], 2.0, v[152:153]
	s_or_b64 s[8:9], vcc, s[8:9]
	v_cndmask_b32_e64 v165, v165, 0, s[8:9]
	v_cndmask_b32_e64 v164, v164, 0, s[8:9]
; %bb.217:                              ;   in Loop: Header=BB8_145 Depth=1
	s_andn2_saveexec_b64 s[8:9], s[78:79]
	s_cbranch_execz .LBB8_221
; %bb.218:                              ;   in Loop: Header=BB8_145 Depth=1
	v_add_u32_e32 v3, 0xc32fffff, v163
	v_cmp_gt_u32_e32 vcc, s26, v3
	s_and_saveexec_b64 s[78:79], vcc
	s_cbranch_execz .LBB8_220
; %bb.219:                              ;   in Loop: Header=BB8_145 Depth=1
	v_mul_f64 v[166:167], |v[152:153]|, 0.5
	v_fract_f64_e32 v[168:169], v[166:167]
	v_add_f64 v[168:169], v[168:169], v[168:169]
	v_cmp_neq_f64_e64 vcc, |v[166:167]|, s[70:71]
	v_cndmask_b32_e32 v3, 0, v168, vcc
	v_cndmask_b32_e32 v148, 0, v169, vcc
	v_cmp_gt_f64_e64 vcc, |v[152:153]|, 1.0
	v_cndmask_b32_e32 v167, v163, v148, vcc
	v_cndmask_b32_e32 v166, v152, v3, vcc
	v_add_f64 v[168:169], v[166:167], v[166:167]
	v_rndne_f64_e32 v[168:169], v[168:169]
	v_fmac_f64_e32 v[166:167], -0.5, v[168:169]
	v_cvt_i32_f64_e32 v3, v[168:169]
	v_mul_f64 v[168:169], v[166:167], v[166:167]
	v_pk_mov_b32 v[170:171], v[114:115], v[114:115] op_sel:[0,1]
	v_fmac_f64_e32 v[170:171], s[72:73], v[168:169]
	v_pk_mov_b32 v[172:173], v[116:117], v[116:117] op_sel:[0,1]
	v_fmac_f64_e32 v[172:173], v[168:169], v[170:171]
	;; [unrolled: 2-line block ×5, first 2 shown]
	v_mul_f64 v[172:173], v[166:167], v[168:169]
	v_mul_f64 v[170:171], v[172:173], v[170:171]
	v_fmac_f64_e32 v[170:171], s[74:75], v[166:167]
	v_pk_mov_b32 v[166:167], v[124:125], v[124:125] op_sel:[0,1]
	v_fmac_f64_e32 v[166:167], s[76:77], v[168:169]
	v_pk_mov_b32 v[172:173], v[126:127], v[126:127] op_sel:[0,1]
	;; [unrolled: 2-line block ×6, first 2 shown]
	v_fmac_f64_e32 v[172:173], v[168:169], v[166:167]
	v_and_b32_e32 v148, 1, v3
	v_lshlrev_b32_e32 v3, 30, v3
	v_fma_f64 v[166:167], v[168:169], v[172:173], 1.0
	v_cmp_eq_u32_e32 vcc, 0, v148
	v_xor_b32_e32 v3, v3, v153
	v_cndmask_b32_e32 v158, v167, v171, vcc
	v_and_b32_e32 v3, 0x80000000, v3
	v_cndmask_b32_e32 v148, v166, v170, vcc
	v_xor_b32_e32 v3, v158, v3
	v_cmp_class_f64_e64 vcc, v[152:153], s27
	v_cndmask_b32_e32 v166, 0, v148, vcc
	v_cndmask_b32_e32 v167, v186, v3, vcc
	v_mul_f64 v[166:167], v[152:153], v[166:167]
	v_and_b32_e32 v169, 0x7fffffff, v167
	v_mov_b32_e32 v168, v166
	v_div_scale_f64 v[170:171], s[80:81], v[168:169], v[168:169], s[74:75]
	v_rcp_f64_e32 v[172:173], v[170:171]
	v_div_scale_f64 v[168:169], vcc, s[74:75], v[168:169], s[74:75]
	v_cmp_class_f64_e64 s[80:81], v[152:153], s90
	v_fma_f64 v[174:175], -v[170:171], v[172:173], 1.0
	v_fmac_f64_e32 v[172:173], v[172:173], v[174:175]
	v_fma_f64 v[174:175], -v[170:171], v[172:173], 1.0
	v_fmac_f64_e32 v[172:173], v[172:173], v[174:175]
	v_mul_f64 v[174:175], v[168:169], v[172:173]
	v_fma_f64 v[168:169], -v[170:171], v[174:175], v[168:169]
	v_div_fmas_f64 v[168:169], v[168:169], v[172:173], v[174:175]
	v_div_fixup_f64 v[166:167], v[168:169], |v[166:167]|, s[74:75]
	v_frexp_mant_f64_e32 v[168:169], v[166:167]
	v_cmp_gt_f64_e32 vcc, s[18:19], v[168:169]
	v_cndmask_b32_e64 v3, v184, 2.0, vcc
	v_mul_f64 v[168:169], v[168:169], v[2:3]
	v_add_f64 v[170:171], v[168:169], 1.0
	v_rcp_f64_e32 v[172:173], v[170:171]
	v_add_f64 v[176:177], v[170:171], -1.0
	v_add_f64 v[174:175], v[168:169], -1.0
	v_add_f64 v[168:169], v[168:169], -v[176:177]
	v_fma_f64 v[176:177], -v[170:171], v[172:173], 1.0
	v_fmac_f64_e32 v[172:173], v[176:177], v[172:173]
	v_fma_f64 v[176:177], -v[170:171], v[172:173], 1.0
	v_fmac_f64_e32 v[172:173], v[176:177], v[172:173]
	v_mul_f64 v[176:177], v[174:175], v[172:173]
	v_mul_f64 v[188:189], v[170:171], v[176:177]
	v_fma_f64 v[170:171], v[176:177], v[170:171], -v[188:189]
	v_fmac_f64_e32 v[170:171], v[176:177], v[168:169]
	v_add_f64 v[168:169], v[188:189], v[170:171]
	v_add_f64 v[190:191], v[174:175], -v[168:169]
	v_add_f64 v[188:189], v[168:169], -v[188:189]
	;; [unrolled: 1-line block ×5, first 2 shown]
	v_add_f64 v[168:169], v[170:171], v[168:169]
	v_add_f64 v[168:169], v[190:191], v[168:169]
	v_mul_f64 v[168:169], v[172:173], v[168:169]
	v_add_f64 v[170:171], v[176:177], v[168:169]
	v_add_f64 v[172:173], v[170:171], -v[176:177]
	v_add_f64 v[168:169], v[168:169], -v[172:173]
	v_mul_f64 v[172:173], v[170:171], v[170:171]
	v_pk_mov_b32 v[174:175], v[8:9], v[8:9] op_sel:[0,1]
	v_fmac_f64_e32 v[174:175], s[20:21], v[172:173]
	v_pk_mov_b32 v[176:177], v[10:11], v[10:11] op_sel:[0,1]
	v_fmac_f64_e32 v[176:177], v[172:173], v[174:175]
	v_pk_mov_b32 v[174:175], v[12:13], v[12:13] op_sel:[0,1]
	v_fmac_f64_e32 v[174:175], v[172:173], v[176:177]
	v_pk_mov_b32 v[176:177], v[14:15], v[14:15] op_sel:[0,1]
	v_fmac_f64_e32 v[176:177], v[172:173], v[174:175]
	v_pk_mov_b32 v[174:175], v[16:17], v[16:17] op_sel:[0,1]
	v_fmac_f64_e32 v[174:175], v[172:173], v[176:177]
	v_pk_mov_b32 v[176:177], v[18:19], v[18:19] op_sel:[0,1]
	v_fmac_f64_e32 v[176:177], v[172:173], v[174:175]
	v_ldexp_f64 v[174:175], v[170:171], 1
	v_mul_f64 v[170:171], v[170:171], v[172:173]
	v_mul_f64 v[170:171], v[170:171], v[176:177]
	v_add_f64 v[172:173], v[174:175], v[170:171]
	v_add_f64 v[174:175], v[172:173], -v[174:175]
	v_ldexp_f64 v[168:169], v[168:169], 1
	v_add_f64 v[170:171], v[170:171], -v[174:175]
	v_add_f64 v[168:169], v[168:169], v[170:171]
	v_frexp_exp_i32_f64_e32 v148, v[166:167]
	v_add_f64 v[170:171], v[172:173], v[168:169]
	v_subbrev_co_u32_e32 v3, vcc, 0, v148, vcc
	v_add_f64 v[172:173], v[170:171], -v[172:173]
	v_add_f64 v[168:169], v[168:169], -v[172:173]
	v_cvt_f64_i32_e32 v[172:173], v3
	v_mul_f64 v[174:175], v[172:173], s[22:23]
	v_fma_f64 v[176:177], v[172:173], s[22:23], -v[174:175]
	v_fmac_f64_e32 v[176:177], s[24:25], v[172:173]
	v_add_f64 v[172:173], v[174:175], v[176:177]
	v_add_f64 v[174:175], v[172:173], -v[174:175]
	v_add_f64 v[174:175], v[176:177], -v[174:175]
	v_add_f64 v[176:177], v[172:173], v[170:171]
	v_add_f64 v[188:189], v[176:177], -v[172:173]
	v_add_f64 v[190:191], v[176:177], -v[188:189]
	;; [unrolled: 1-line block ×4, first 2 shown]
	v_add_f64 v[170:171], v[170:171], v[172:173]
	v_add_f64 v[172:173], v[174:175], v[168:169]
	v_add_f64 v[188:189], v[172:173], -v[174:175]
	v_add_f64 v[190:191], v[172:173], -v[188:189]
	v_add_f64 v[170:171], v[172:173], v[170:171]
	v_add_f64 v[174:175], v[174:175], -v[190:191]
	v_add_f64 v[168:169], v[168:169], -v[188:189]
	v_add_f64 v[172:173], v[176:177], v[170:171]
	v_add_f64 v[168:169], v[168:169], v[174:175]
	v_add_f64 v[174:175], v[172:173], -v[176:177]
	v_add_f64 v[170:171], v[170:171], -v[174:175]
	v_add_f64 v[168:169], v[168:169], v[170:171]
	v_add_f64 v[168:169], v[172:173], v[168:169]
	v_cmp_class_f64_e64 vcc, v[166:167], s90
	v_cndmask_b32_e32 v3, v168, v166, vcc
	v_cndmask_b32_e32 v148, v169, v167, vcc
	v_cmp_neq_f64_e32 vcc, 0, v[166:167]
	v_cndmask_b32_e32 v167, v185, v148, vcc
	v_cndmask_b32_e32 v166, 0, v3, vcc
	v_add_f64 v[164:165], v[166:167], -v[164:165]
	v_fract_f64_e32 v[166:167], v[152:153]
	v_cmp_eq_f64_e32 vcc, 0, v[166:167]
	s_or_b64 vcc, s[80:81], vcc
	v_cndmask_b32_e32 v165, v165, v187, vcc
	v_cndmask_b32_e64 v164, v164, 0, vcc
.LBB8_220:                              ;   in Loop: Header=BB8_145 Depth=1
	s_or_b64 exec, exec, s[78:79]
.LBB8_221:                              ;   in Loop: Header=BB8_145 Depth=1
	s_or_b64 exec, exec, s[8:9]
	v_and_b32_e32 v167, 0x7fffffff, v155
	v_mov_b32_e32 v166, v154
	v_cmp_lt_u32_e32 vcc, s86, v167
                                        ; implicit-def: $vgpr168_vgpr169
	s_and_saveexec_b64 s[8:9], vcc
	s_xor_b64 s[8:9], exec, s[8:9]
	s_cbranch_execz .LBB8_247
; %bb.222:                              ;   in Loop: Header=BB8_145 Depth=1
	v_cmp_lt_u32_e32 vcc, s87, v167
                                        ; implicit-def: $vgpr168_vgpr169
	s_and_saveexec_b64 s[78:79], vcc
	s_xor_b64 s[78:79], exec, s[78:79]
	s_cbranch_execz .LBB8_232
; %bb.223:                              ;   in Loop: Header=BB8_145 Depth=1
	;; [unrolled: 6-line block ×4, first 2 shown]
	v_frexp_mant_f64_e64 v[168:169], |v[154:155]|
	v_cmp_gt_f64_e32 vcc, s[18:19], v[168:169]
	v_cndmask_b32_e64 v3, v184, 2.0, vcc
	v_mul_f64 v[168:169], v[168:169], v[2:3]
	v_add_f64 v[170:171], v[168:169], 1.0
	v_rcp_f64_e32 v[172:173], v[170:171]
	v_add_f64 v[176:177], v[170:171], -1.0
	v_add_f64 v[174:175], v[168:169], -1.0
	v_add_f64 v[168:169], v[168:169], -v[176:177]
	v_fma_f64 v[176:177], -v[170:171], v[172:173], 1.0
	v_fmac_f64_e32 v[172:173], v[176:177], v[172:173]
	v_fma_f64 v[176:177], -v[170:171], v[172:173], 1.0
	v_fmac_f64_e32 v[172:173], v[176:177], v[172:173]
	v_mul_f64 v[176:177], v[174:175], v[172:173]
	v_mul_f64 v[188:189], v[170:171], v[176:177]
	v_fma_f64 v[170:171], v[176:177], v[170:171], -v[188:189]
	v_fmac_f64_e32 v[170:171], v[176:177], v[168:169]
	v_add_f64 v[168:169], v[188:189], v[170:171]
	v_add_f64 v[190:191], v[174:175], -v[168:169]
	v_add_f64 v[188:189], v[168:169], -v[188:189]
	;; [unrolled: 1-line block ×5, first 2 shown]
	v_add_f64 v[168:169], v[170:171], v[168:169]
	v_add_f64 v[168:169], v[190:191], v[168:169]
	v_mul_f64 v[168:169], v[172:173], v[168:169]
	v_add_f64 v[170:171], v[176:177], v[168:169]
	v_add_f64 v[172:173], v[170:171], -v[176:177]
	v_add_f64 v[168:169], v[168:169], -v[172:173]
	v_mul_f64 v[172:173], v[170:171], v[170:171]
	v_pk_mov_b32 v[174:175], v[8:9], v[8:9] op_sel:[0,1]
	v_fmac_f64_e32 v[174:175], s[20:21], v[172:173]
	v_pk_mov_b32 v[176:177], v[10:11], v[10:11] op_sel:[0,1]
	v_fmac_f64_e32 v[176:177], v[172:173], v[174:175]
	;; [unrolled: 2-line block ×6, first 2 shown]
	v_ldexp_f64 v[174:175], v[170:171], 1
	v_mul_f64 v[170:171], v[170:171], v[172:173]
	v_mul_f64 v[170:171], v[170:171], v[176:177]
	v_add_f64 v[172:173], v[174:175], v[170:171]
	v_add_f64 v[174:175], v[172:173], -v[174:175]
	v_ldexp_f64 v[168:169], v[168:169], 1
	v_add_f64 v[170:171], v[170:171], -v[174:175]
	v_add_f64 v[168:169], v[168:169], v[170:171]
	v_frexp_exp_i32_f64_e32 v148, v[154:155]
	v_add_f64 v[170:171], v[172:173], v[168:169]
	v_subbrev_co_u32_e32 v3, vcc, 0, v148, vcc
	v_add_f64 v[172:173], v[170:171], -v[172:173]
	v_add_f64 v[168:169], v[168:169], -v[172:173]
	v_cvt_f64_i32_e32 v[172:173], v3
	v_mul_f64 v[174:175], v[172:173], s[22:23]
	v_fma_f64 v[176:177], v[172:173], s[22:23], -v[174:175]
	v_fmac_f64_e32 v[176:177], s[24:25], v[172:173]
	v_add_f64 v[172:173], v[174:175], v[176:177]
	v_add_f64 v[174:175], v[172:173], -v[174:175]
	v_add_f64 v[174:175], v[176:177], -v[174:175]
	v_add_f64 v[176:177], v[172:173], v[170:171]
	v_add_f64 v[188:189], v[176:177], -v[172:173]
	v_add_f64 v[190:191], v[176:177], -v[188:189]
	;; [unrolled: 1-line block ×4, first 2 shown]
	v_add_f64 v[170:171], v[170:171], v[172:173]
	v_add_f64 v[172:173], v[174:175], v[168:169]
	v_add_f64 v[188:189], v[172:173], -v[174:175]
	v_add_f64 v[190:191], v[172:173], -v[188:189]
	v_add_f64 v[170:171], v[172:173], v[170:171]
	v_add_f64 v[174:175], v[174:175], -v[190:191]
	v_add_f64 v[168:169], v[168:169], -v[188:189]
	v_add_f64 v[172:173], v[176:177], v[170:171]
	v_add_f64 v[168:169], v[168:169], v[174:175]
	v_add_f64 v[174:175], v[172:173], -v[176:177]
	v_add_f64 v[170:171], v[170:171], -v[174:175]
	v_add_f64 v[168:169], v[168:169], v[170:171]
	v_add_f64 v[168:169], v[172:173], v[168:169]
	v_cmp_class_f64_e64 vcc, v[154:155], s90
	v_cndmask_b32_e32 v3, v168, v154, vcc
	v_cndmask_b32_e32 v148, v169, v167, vcc
	v_cmp_neq_f64_e32 vcc, 0, v[154:155]
	v_cndmask_b32_e32 v169, v185, v148, vcc
	v_cndmask_b32_e32 v168, 0, v3, vcc
	v_fma_f64 v[168:169], |v[154:155]|, v[168:169], -|v[154:155]|
.LBB8_226:                              ;   in Loop: Header=BB8_145 Depth=1
	s_andn2_saveexec_b64 s[82:83], s[82:83]
	s_cbranch_execz .LBB8_228
; %bb.227:                              ;   in Loop: Header=BB8_145 Depth=1
	v_mov_b32_e32 v166, v154
	v_div_scale_f64 v[168:169], vcc, v[166:167], v[166:167], 1.0
	v_rcp_f64_e32 v[170:171], v[168:169]
	v_div_scale_f64 v[172:173], vcc, 1.0, v[166:167], 1.0
	v_frexp_exp_i32_f64_e32 v148, v[154:155]
	v_fma_f64 v[174:175], -v[168:169], v[170:171], 1.0
	v_fmac_f64_e32 v[170:171], v[170:171], v[174:175]
	v_fma_f64 v[174:175], -v[168:169], v[170:171], 1.0
	v_fmac_f64_e32 v[170:171], v[170:171], v[174:175]
	v_mul_f64 v[174:175], v[172:173], v[170:171]
	v_fma_f64 v[168:169], -v[168:169], v[174:175], v[172:173]
	v_div_fmas_f64 v[168:169], v[168:169], v[170:171], v[174:175]
	v_div_fixup_f64 v[170:171], v[168:169], |v[154:155]|, 1.0
	s_mov_b32 vcc_lo, 0xb9e43e4
	v_mul_f64 v[168:169], v[170:171], v[170:171]
	v_pk_mov_b32 v[172:173], v[20:21], v[20:21] op_sel:[0,1]
	s_mov_b32 vcc_hi, 0xbf5ab89d
	v_fmac_f64_e32 v[172:173], vcc, v[168:169]
	v_pk_mov_b32 v[174:175], v[22:23], v[22:23] op_sel:[0,1]
	v_fmac_f64_e32 v[174:175], v[168:169], v[172:173]
	v_pk_mov_b32 v[172:173], v[24:25], v[24:25] op_sel:[0,1]
	v_fmac_f64_e32 v[172:173], v[168:169], v[174:175]
	;; [unrolled: 2-line block ×5, first 2 shown]
	v_frexp_mant_f64_e64 v[172:173], |v[154:155]|
	v_cmp_gt_f64_e32 vcc, s[18:19], v[172:173]
	v_cndmask_b32_e64 v3, v184, 2.0, vcc
	v_mul_f64 v[172:173], v[172:173], v[2:3]
	v_add_f64 v[174:175], v[172:173], 1.0
	v_rcp_f64_e32 v[176:177], v[174:175]
	v_add_f64 v[190:191], v[174:175], -1.0
	v_add_f64 v[188:189], v[172:173], -1.0
	v_add_f64 v[172:173], v[172:173], -v[190:191]
	v_fma_f64 v[190:191], -v[174:175], v[176:177], 1.0
	v_fmac_f64_e32 v[176:177], v[190:191], v[176:177]
	v_fma_f64 v[190:191], -v[174:175], v[176:177], 1.0
	v_fmac_f64_e32 v[176:177], v[190:191], v[176:177]
	v_mul_f64 v[190:191], v[188:189], v[176:177]
	v_mul_f64 v[192:193], v[174:175], v[190:191]
	v_fma_f64 v[174:175], v[190:191], v[174:175], -v[192:193]
	v_fmac_f64_e32 v[174:175], v[190:191], v[172:173]
	v_add_f64 v[172:173], v[192:193], v[174:175]
	v_add_f64 v[194:195], v[188:189], -v[172:173]
	v_add_f64 v[192:193], v[172:173], -v[192:193]
	;; [unrolled: 1-line block ×5, first 2 shown]
	v_add_f64 v[172:173], v[174:175], v[172:173]
	v_add_f64 v[172:173], v[194:195], v[172:173]
	v_mul_f64 v[172:173], v[176:177], v[172:173]
	v_add_f64 v[174:175], v[190:191], v[172:173]
	v_add_f64 v[176:177], v[174:175], -v[190:191]
	v_add_f64 v[172:173], v[172:173], -v[176:177]
	v_mul_f64 v[176:177], v[174:175], v[174:175]
	v_pk_mov_b32 v[188:189], v[8:9], v[8:9] op_sel:[0,1]
	v_fmac_f64_e32 v[188:189], s[20:21], v[176:177]
	v_pk_mov_b32 v[190:191], v[10:11], v[10:11] op_sel:[0,1]
	v_fmac_f64_e32 v[190:191], v[176:177], v[188:189]
	v_pk_mov_b32 v[188:189], v[12:13], v[12:13] op_sel:[0,1]
	v_fmac_f64_e32 v[188:189], v[176:177], v[190:191]
	v_pk_mov_b32 v[190:191], v[14:15], v[14:15] op_sel:[0,1]
	v_fmac_f64_e32 v[190:191], v[176:177], v[188:189]
	v_pk_mov_b32 v[188:189], v[16:17], v[16:17] op_sel:[0,1]
	v_fmac_f64_e32 v[188:189], v[176:177], v[190:191]
	v_pk_mov_b32 v[190:191], v[18:19], v[18:19] op_sel:[0,1]
	v_fmac_f64_e32 v[190:191], v[176:177], v[188:189]
	v_ldexp_f64 v[188:189], v[174:175], 1
	v_mul_f64 v[174:175], v[174:175], v[176:177]
	v_mul_f64 v[174:175], v[174:175], v[190:191]
	v_add_f64 v[176:177], v[188:189], v[174:175]
	v_add_f64 v[188:189], v[176:177], -v[188:189]
	v_ldexp_f64 v[172:173], v[172:173], 1
	v_add_f64 v[174:175], v[174:175], -v[188:189]
	v_add_f64 v[172:173], v[172:173], v[174:175]
	v_add_f64 v[174:175], v[176:177], v[172:173]
	v_subbrev_co_u32_e32 v3, vcc, 0, v148, vcc
	v_add_f64 v[176:177], v[174:175], -v[176:177]
	v_add_f64 v[172:173], v[172:173], -v[176:177]
	v_cvt_f64_i32_e32 v[176:177], v3
	v_mul_f64 v[188:189], v[176:177], s[22:23]
	v_fma_f64 v[190:191], v[176:177], s[22:23], -v[188:189]
	v_fmac_f64_e32 v[190:191], s[24:25], v[176:177]
	v_add_f64 v[176:177], v[188:189], v[190:191]
	v_add_f64 v[188:189], v[176:177], -v[188:189]
	v_add_f64 v[188:189], v[190:191], -v[188:189]
	v_add_f64 v[190:191], v[176:177], v[174:175]
	v_add_f64 v[192:193], v[190:191], -v[176:177]
	v_add_f64 v[194:195], v[190:191], -v[192:193]
	;; [unrolled: 1-line block ×4, first 2 shown]
	v_add_f64 v[174:175], v[174:175], v[176:177]
	v_add_f64 v[176:177], v[188:189], v[172:173]
	v_add_f64 v[192:193], v[176:177], -v[188:189]
	v_add_f64 v[194:195], v[176:177], -v[192:193]
	v_add_f64 v[174:175], v[176:177], v[174:175]
	v_add_f64 v[188:189], v[188:189], -v[194:195]
	v_add_f64 v[172:173], v[172:173], -v[192:193]
	v_add_f64 v[176:177], v[190:191], v[174:175]
	v_add_f64 v[172:173], v[172:173], v[188:189]
	v_add_f64 v[188:189], v[176:177], -v[190:191]
	v_add_f64 v[174:175], v[174:175], -v[188:189]
	v_add_f64 v[172:173], v[172:173], v[174:175]
	v_add_f64 v[172:173], v[176:177], v[172:173]
	v_cmp_class_f64_e64 vcc, v[154:155], s90
	v_cndmask_b32_e32 v173, v173, v167, vcc
	v_cndmask_b32_e32 v172, v172, v166, vcc
	v_add_f64 v[172:173], v[172:173], -1.0
	v_cmp_neq_f64_e32 vcc, 0, v[154:155]
	v_add_f64 v[170:171], |v[154:155]|, -0.5
	v_cndmask_b32_e32 v173, v185, v173, vcc
	v_cndmask_b32_e32 v172, 0, v172, vcc
	v_fmac_f64_e32 v[168:169], v[170:171], v[172:173]
.LBB8_228:                              ;   in Loop: Header=BB8_145 Depth=1
	s_or_b64 exec, exec, s[82:83]
.LBB8_229:                              ;   in Loop: Header=BB8_145 Depth=1
	s_andn2_saveexec_b64 s[80:81], s[80:81]
	s_cbranch_execz .LBB8_231
; %bb.230:                              ;   in Loop: Header=BB8_145 Depth=1
	v_cvt_i32_f64_e32 v3, v[166:167]
	v_cvt_f64_i32_e32 v[168:169], v3
	v_add_f64 v[168:169], |v[154:155]|, -v[168:169]
	v_pk_mov_b32 v[170:171], v[32:33], v[32:33] op_sel:[0,1]
	v_fmac_f64_e32 v[170:171], s[28:29], v[168:169]
	v_pk_mov_b32 v[172:173], v[34:35], v[34:35] op_sel:[0,1]
	v_fmac_f64_e32 v[172:173], v[168:169], v[170:171]
	v_pk_mov_b32 v[170:171], v[36:37], v[36:37] op_sel:[0,1]
	v_fmac_f64_e32 v[170:171], v[168:169], v[172:173]
	v_pk_mov_b32 v[172:173], v[38:39], v[38:39] op_sel:[0,1]
	v_fmac_f64_e32 v[172:173], v[168:169], v[170:171]
	v_pk_mov_b32 v[170:171], v[40:41], v[40:41] op_sel:[0,1]
	v_mov_b32_e32 v148, v76
	v_fmac_f64_e32 v[170:171], v[168:169], v[172:173]
	v_pk_mov_b32 v[172:173], v[148:149], v[148:149] op_sel:[0,1]
	v_fmac_f64_e32 v[172:173], v[168:169], v[170:171]
	v_mul_f64 v[170:171], v[168:169], v[172:173]
	v_pk_mov_b32 v[172:173], v[42:43], v[42:43] op_sel:[0,1]
	v_fmac_f64_e32 v[172:173], s[30:31], v[168:169]
	v_pk_mov_b32 v[174:175], v[44:45], v[44:45] op_sel:[0,1]
	v_fmac_f64_e32 v[174:175], v[168:169], v[172:173]
	;; [unrolled: 2-line block ×5, first 2 shown]
	v_fma_f64 v[172:173], v[168:169], v[172:173], 1.0
	v_div_scale_f64 v[174:175], s[82:83], v[172:173], v[172:173], v[170:171]
	v_rcp_f64_e32 v[176:177], v[174:175]
	v_fma_f64 v[188:189], -v[174:175], v[176:177], 1.0
	v_fmac_f64_e32 v[176:177], v[176:177], v[188:189]
	v_fma_f64 v[188:189], -v[174:175], v[176:177], 1.0
	v_fmac_f64_e32 v[176:177], v[176:177], v[188:189]
	v_div_scale_f64 v[188:189], vcc, v[170:171], v[172:173], v[170:171]
	v_mul_f64 v[190:191], v[188:189], v[176:177]
	v_fma_f64 v[174:175], -v[174:175], v[190:191], v[188:189]
	v_add_f64 v[188:189], v[168:169], s[36:37]
	s_nop 0
	v_div_fmas_f64 v[174:175], v[174:175], v[176:177], v[190:191]
	v_div_fixup_f64 v[170:171], v[174:175], v[172:173], v[170:171]
	v_add_f64 v[172:173], v[168:169], 2.0
	v_cmp_lt_i32_e32 vcc, 2, v3
	v_add_f64 v[174:175], v[168:169], s[34:35]
	v_cndmask_b32_e32 v173, v184, v173, vcc
	v_cndmask_b32_e32 v172, 0, v172, vcc
	v_cmp_lt_i32_e32 vcc, 3, v3
	v_add_f64 v[176:177], v[168:169], 4.0
	v_cndmask_b32_e32 v175, v184, v175, vcc
	v_cndmask_b32_e32 v174, 0, v174, vcc
	v_cmp_lt_i32_e32 vcc, 4, v3
	v_mul_f64 v[172:173], v[172:173], v[174:175]
	v_cndmask_b32_e32 v175, v184, v177, vcc
	v_cndmask_b32_e32 v174, 0, v176, vcc
	v_cmp_lt_i32_e32 vcc, 5, v3
	v_fmac_f64_e32 v[170:171], 0.5, v[168:169]
	v_add_f64 v[168:169], v[168:169], s[38:39]
	v_mul_f64 v[172:173], v[174:175], v[172:173]
	v_cndmask_b32_e32 v175, v184, v189, vcc
	v_cndmask_b32_e32 v174, 0, v188, vcc
	v_cmp_lt_i32_e32 vcc, 6, v3
	v_mul_f64 v[172:173], v[174:175], v[172:173]
	v_cndmask_b32_e32 v169, v184, v169, vcc
	v_cndmask_b32_e32 v168, 0, v168, vcc
	v_mul_f64 v[168:169], v[168:169], v[172:173]
	v_frexp_mant_f64_e32 v[172:173], v[168:169]
	v_cmp_gt_f64_e32 vcc, s[18:19], v[172:173]
	v_cndmask_b32_e64 v3, v184, 2.0, vcc
	v_mul_f64 v[172:173], v[172:173], v[2:3]
	v_add_f64 v[174:175], v[172:173], 1.0
	v_rcp_f64_e32 v[176:177], v[174:175]
	v_add_f64 v[190:191], v[174:175], -1.0
	v_add_f64 v[188:189], v[172:173], -1.0
	v_add_f64 v[172:173], v[172:173], -v[190:191]
	v_fma_f64 v[190:191], -v[174:175], v[176:177], 1.0
	v_fmac_f64_e32 v[176:177], v[190:191], v[176:177]
	v_fma_f64 v[190:191], -v[174:175], v[176:177], 1.0
	v_fmac_f64_e32 v[176:177], v[190:191], v[176:177]
	v_mul_f64 v[190:191], v[188:189], v[176:177]
	v_mul_f64 v[192:193], v[174:175], v[190:191]
	v_fma_f64 v[174:175], v[190:191], v[174:175], -v[192:193]
	v_fmac_f64_e32 v[174:175], v[190:191], v[172:173]
	v_add_f64 v[172:173], v[192:193], v[174:175]
	v_add_f64 v[194:195], v[188:189], -v[172:173]
	v_add_f64 v[192:193], v[172:173], -v[192:193]
	v_add_f64 v[188:189], v[188:189], -v[194:195]
	v_add_f64 v[172:173], v[188:189], -v[172:173]
	v_add_f64 v[174:175], v[192:193], -v[174:175]
	v_add_f64 v[172:173], v[174:175], v[172:173]
	v_add_f64 v[172:173], v[194:195], v[172:173]
	v_mul_f64 v[172:173], v[176:177], v[172:173]
	v_add_f64 v[174:175], v[190:191], v[172:173]
	v_add_f64 v[176:177], v[174:175], -v[190:191]
	v_add_f64 v[172:173], v[172:173], -v[176:177]
	v_mul_f64 v[176:177], v[174:175], v[174:175]
	v_pk_mov_b32 v[188:189], v[8:9], v[8:9] op_sel:[0,1]
	v_fmac_f64_e32 v[188:189], s[20:21], v[176:177]
	v_pk_mov_b32 v[190:191], v[10:11], v[10:11] op_sel:[0,1]
	v_fmac_f64_e32 v[190:191], v[176:177], v[188:189]
	v_pk_mov_b32 v[188:189], v[12:13], v[12:13] op_sel:[0,1]
	v_fmac_f64_e32 v[188:189], v[176:177], v[190:191]
	v_pk_mov_b32 v[190:191], v[14:15], v[14:15] op_sel:[0,1]
	v_fmac_f64_e32 v[190:191], v[176:177], v[188:189]
	v_pk_mov_b32 v[188:189], v[16:17], v[16:17] op_sel:[0,1]
	v_fmac_f64_e32 v[188:189], v[176:177], v[190:191]
	v_pk_mov_b32 v[190:191], v[18:19], v[18:19] op_sel:[0,1]
	v_fmac_f64_e32 v[190:191], v[176:177], v[188:189]
	v_ldexp_f64 v[188:189], v[174:175], 1
	v_mul_f64 v[174:175], v[174:175], v[176:177]
	v_mul_f64 v[174:175], v[174:175], v[190:191]
	v_add_f64 v[176:177], v[188:189], v[174:175]
	v_add_f64 v[188:189], v[176:177], -v[188:189]
	v_ldexp_f64 v[172:173], v[172:173], 1
	v_add_f64 v[174:175], v[174:175], -v[188:189]
	v_add_f64 v[172:173], v[172:173], v[174:175]
	v_frexp_exp_i32_f64_e32 v148, v[168:169]
	v_add_f64 v[174:175], v[176:177], v[172:173]
	v_subbrev_co_u32_e32 v3, vcc, 0, v148, vcc
	v_add_f64 v[176:177], v[174:175], -v[176:177]
	v_add_f64 v[172:173], v[172:173], -v[176:177]
	v_cvt_f64_i32_e32 v[176:177], v3
	v_mul_f64 v[188:189], v[176:177], s[22:23]
	v_fma_f64 v[190:191], v[176:177], s[22:23], -v[188:189]
	v_fmac_f64_e32 v[190:191], s[24:25], v[176:177]
	v_add_f64 v[176:177], v[188:189], v[190:191]
	v_add_f64 v[188:189], v[176:177], -v[188:189]
	v_add_f64 v[188:189], v[190:191], -v[188:189]
	v_add_f64 v[190:191], v[176:177], v[174:175]
	v_add_f64 v[192:193], v[190:191], -v[176:177]
	v_add_f64 v[194:195], v[190:191], -v[192:193]
	;; [unrolled: 1-line block ×4, first 2 shown]
	v_add_f64 v[174:175], v[174:175], v[176:177]
	v_add_f64 v[176:177], v[188:189], v[172:173]
	v_add_f64 v[192:193], v[176:177], -v[188:189]
	v_add_f64 v[194:195], v[176:177], -v[192:193]
	v_add_f64 v[174:175], v[176:177], v[174:175]
	v_add_f64 v[188:189], v[188:189], -v[194:195]
	v_add_f64 v[172:173], v[172:173], -v[192:193]
	v_add_f64 v[176:177], v[190:191], v[174:175]
	v_add_f64 v[172:173], v[172:173], v[188:189]
	v_add_f64 v[188:189], v[176:177], -v[190:191]
	v_add_f64 v[174:175], v[174:175], -v[188:189]
	v_add_f64 v[172:173], v[172:173], v[174:175]
	v_add_f64 v[172:173], v[176:177], v[172:173]
	v_cmp_class_f64_e64 vcc, v[168:169], s90
	v_cndmask_b32_e32 v3, v172, v168, vcc
	v_cndmask_b32_e32 v148, v173, v169, vcc
	v_cmp_ngt_f64_e32 vcc, 0, v[168:169]
	v_cndmask_b32_e32 v148, v186, v148, vcc
	v_cmp_nge_f64_e32 vcc, 0, v[168:169]
	v_cndmask_b32_e32 v172, 0, v3, vcc
	v_cmp_neq_f64_e32 vcc, 0, v[168:169]
	v_cndmask_b32_e32 v173, v185, v148, vcc
	v_add_f64 v[168:169], v[170:171], v[172:173]
.LBB8_231:                              ;   in Loop: Header=BB8_145 Depth=1
	s_or_b64 exec, exec, s[80:81]
.LBB8_232:                              ;   in Loop: Header=BB8_145 Depth=1
	s_andn2_saveexec_b64 s[78:79], s[78:79]
	s_cbranch_execz .LBB8_246
; %bb.233:                              ;   in Loop: Header=BB8_145 Depth=1
	v_cmp_lt_u32_e32 vcc, s91, v167
                                        ; implicit-def: $sgpr82_sgpr83
                                        ; implicit-def: $vgpr3
                                        ; implicit-def: $vgpr170_vgpr171
	s_and_saveexec_b64 s[80:81], vcc
	s_xor_b64 s[80:81], exec, s[80:81]
	s_cbranch_execz .LBB8_235
; %bb.234:                              ;   in Loop: Header=BB8_145 Depth=1
	v_add_f64 v[168:169], -|v[154:155]|, 2.0
	v_add_f64 v[170:171], |v[154:155]|, s[40:41]
	v_cmp_gt_u32_e32 vcc, s92, v167
	v_cndmask_b32_e32 v3, v168, v170, vcc
	v_cndmask_b32_e32 v148, v169, v171, vcc
	v_cndmask_b32_e64 v158, 0, 1, vcc
	v_add_f64 v[168:169], |v[154:155]|, -1.0
	v_cmp_gt_u32_e32 vcc, s93, v167
	v_cndmask_b32_e32 v171, v148, v169, vcc
	v_cndmask_b32_e32 v170, v3, v168, vcc
	v_cndmask_b32_e64 v3, v158, 2, vcc
	s_mov_b64 s[82:83], 0
.LBB8_235:                              ;   in Loop: Header=BB8_145 Depth=1
	s_or_saveexec_b64 s[80:81], s[80:81]
	v_pk_mov_b32 v[168:169], s[82:83], s[82:83] op_sel:[0,1]
	s_xor_b64 exec, exec, s[80:81]
	s_cbranch_execz .LBB8_237
; %bb.236:                              ;   in Loop: Header=BB8_145 Depth=1
	v_frexp_mant_f64_e64 v[168:169], |v[154:155]|
	v_cmp_gt_f64_e32 vcc, s[18:19], v[168:169]
	v_cndmask_b32_e64 v3, v184, 2.0, vcc
	v_mul_f64 v[168:169], v[168:169], v[2:3]
	v_add_f64 v[170:171], v[168:169], 1.0
	v_rcp_f64_e32 v[172:173], v[170:171]
	v_add_f64 v[176:177], v[170:171], -1.0
	v_add_f64 v[174:175], v[168:169], -1.0
	v_add_f64 v[168:169], v[168:169], -v[176:177]
	v_fma_f64 v[176:177], -v[170:171], v[172:173], 1.0
	v_fmac_f64_e32 v[172:173], v[176:177], v[172:173]
	v_fma_f64 v[176:177], -v[170:171], v[172:173], 1.0
	v_fmac_f64_e32 v[172:173], v[176:177], v[172:173]
	v_mul_f64 v[176:177], v[174:175], v[172:173]
	v_mul_f64 v[188:189], v[170:171], v[176:177]
	v_fma_f64 v[170:171], v[176:177], v[170:171], -v[188:189]
	v_fmac_f64_e32 v[170:171], v[176:177], v[168:169]
	v_add_f64 v[168:169], v[188:189], v[170:171]
	v_add_f64 v[190:191], v[174:175], -v[168:169]
	v_add_f64 v[188:189], v[168:169], -v[188:189]
	v_add_f64 v[174:175], v[174:175], -v[190:191]
	v_add_f64 v[168:169], v[174:175], -v[168:169]
	v_add_f64 v[170:171], v[188:189], -v[170:171]
	v_add_f64 v[168:169], v[170:171], v[168:169]
	v_add_f64 v[168:169], v[190:191], v[168:169]
	v_mul_f64 v[168:169], v[172:173], v[168:169]
	v_add_f64 v[170:171], v[176:177], v[168:169]
	v_add_f64 v[172:173], v[170:171], -v[176:177]
	v_add_f64 v[168:169], v[168:169], -v[172:173]
	v_mul_f64 v[172:173], v[170:171], v[170:171]
	v_pk_mov_b32 v[174:175], v[8:9], v[8:9] op_sel:[0,1]
	v_fmac_f64_e32 v[174:175], s[20:21], v[172:173]
	v_pk_mov_b32 v[176:177], v[10:11], v[10:11] op_sel:[0,1]
	v_fmac_f64_e32 v[176:177], v[172:173], v[174:175]
	;; [unrolled: 2-line block ×6, first 2 shown]
	v_ldexp_f64 v[174:175], v[170:171], 1
	v_mul_f64 v[170:171], v[170:171], v[172:173]
	v_mul_f64 v[170:171], v[170:171], v[176:177]
	v_add_f64 v[172:173], v[174:175], v[170:171]
	v_add_f64 v[174:175], v[172:173], -v[174:175]
	v_ldexp_f64 v[168:169], v[168:169], 1
	v_add_f64 v[170:171], v[170:171], -v[174:175]
	v_add_f64 v[168:169], v[168:169], v[170:171]
	v_frexp_exp_i32_f64_e32 v148, v[154:155]
	v_add_f64 v[170:171], v[172:173], v[168:169]
	v_subbrev_co_u32_e32 v3, vcc, 0, v148, vcc
	v_add_f64 v[172:173], v[170:171], -v[172:173]
	v_add_f64 v[168:169], v[168:169], -v[172:173]
	v_cvt_f64_i32_e32 v[172:173], v3
	v_mul_f64 v[174:175], v[172:173], s[22:23]
	v_fma_f64 v[176:177], v[172:173], s[22:23], -v[174:175]
	v_fmac_f64_e32 v[176:177], s[24:25], v[172:173]
	v_add_f64 v[172:173], v[174:175], v[176:177]
	v_add_f64 v[174:175], v[172:173], -v[174:175]
	v_add_f64 v[174:175], v[176:177], -v[174:175]
	v_add_f64 v[176:177], v[172:173], v[170:171]
	v_add_f64 v[188:189], v[176:177], -v[172:173]
	v_add_f64 v[190:191], v[176:177], -v[188:189]
	;; [unrolled: 1-line block ×4, first 2 shown]
	v_add_f64 v[170:171], v[170:171], v[172:173]
	v_add_f64 v[172:173], v[174:175], v[168:169]
	v_add_f64 v[188:189], v[172:173], -v[174:175]
	v_add_f64 v[190:191], v[172:173], -v[188:189]
	v_add_f64 v[170:171], v[172:173], v[170:171]
	v_add_f64 v[174:175], v[174:175], -v[190:191]
	v_add_f64 v[168:169], v[168:169], -v[188:189]
	v_add_f64 v[172:173], v[176:177], v[170:171]
	v_add_f64 v[168:169], v[168:169], v[174:175]
	v_add_f64 v[174:175], v[172:173], -v[176:177]
	v_add_f64 v[170:171], v[170:171], -v[174:175]
	v_add_f64 v[168:169], v[168:169], v[170:171]
	v_add_f64 v[168:169], v[172:173], v[168:169]
	v_cmp_class_f64_e64 vcc, v[154:155], s90
	v_cndmask_b32_e32 v3, v168, v154, vcc
	v_cndmask_b32_e64 v148, -v169, -v167, vcc
	v_cmp_neq_f64_e32 vcc, 0, v[154:155]
	v_cndmask_b32_e32 v169, v187, v148, vcc
	v_cndmask_b32_e32 v168, 0, v3, vcc
	v_add_f64 v[170:171], -|v[154:155]|, 1.0
	v_add_f64 v[172:173], |v[154:155]|, s[42:43]
	v_cmp_gt_u32_e32 vcc, s94, v167
	v_cndmask_b32_e32 v3, v170, v172, vcc
	v_cndmask_b32_e32 v148, v171, v173, vcc
	v_cndmask_b32_e64 v158, 0, 1, vcc
	v_cmp_gt_u32_e32 vcc, s95, v167
	v_cndmask_b32_e32 v171, v148, v167, vcc
	v_cndmask_b32_e32 v170, v3, v154, vcc
	v_cndmask_b32_e64 v3, v158, 2, vcc
.LBB8_237:                              ;   in Loop: Header=BB8_145 Depth=1
	s_or_b64 exec, exec, s[80:81]
	v_cmp_lt_i32_e32 vcc, 1, v3
                                        ; implicit-def: $vgpr172_vgpr173
	s_and_saveexec_b64 s[80:81], vcc
	s_xor_b64 s[80:81], exec, s[80:81]
	s_cbranch_execz .LBB8_239
; %bb.238:                              ;   in Loop: Header=BB8_145 Depth=1
	v_pk_mov_b32 v[172:173], v[52:53], v[52:53] op_sel:[0,1]
	v_fmac_f64_e32 v[172:173], s[44:45], v[170:171]
	v_pk_mov_b32 v[174:175], v[54:55], v[54:55] op_sel:[0,1]
	v_fmac_f64_e32 v[174:175], v[170:171], v[172:173]
	;; [unrolled: 2-line block ×3, first 2 shown]
	v_pk_mov_b32 v[174:175], v[58:59], v[58:59] op_sel:[0,1]
	v_mov_b32_e32 v148, v76
	v_fmac_f64_e32 v[174:175], v[170:171], v[172:173]
	v_pk_mov_b32 v[172:173], v[148:149], v[148:149] op_sel:[0,1]
	v_fmac_f64_e32 v[172:173], v[170:171], v[174:175]
	v_pk_mov_b32 v[174:175], v[60:61], v[60:61] op_sel:[0,1]
	v_fmac_f64_e32 v[174:175], s[46:47], v[170:171]
	v_pk_mov_b32 v[176:177], v[62:63], v[62:63] op_sel:[0,1]
	v_fmac_f64_e32 v[176:177], v[170:171], v[174:175]
	v_pk_mov_b32 v[174:175], v[64:65], v[64:65] op_sel:[0,1]
	v_fmac_f64_e32 v[174:175], v[170:171], v[176:177]
	v_pk_mov_b32 v[176:177], v[66:67], v[66:67] op_sel:[0,1]
	v_fmac_f64_e32 v[176:177], v[170:171], v[174:175]
	v_mul_f64 v[172:173], v[170:171], v[172:173]
	v_fma_f64 v[174:175], v[170:171], v[176:177], 1.0
	v_div_scale_f64 v[176:177], s[82:83], v[174:175], v[174:175], v[172:173]
	v_rcp_f64_e32 v[188:189], v[176:177]
                                        ; implicit-def: $vgpr3
	v_fma_f64 v[190:191], -v[176:177], v[188:189], 1.0
	v_fmac_f64_e32 v[188:189], v[188:189], v[190:191]
	v_fma_f64 v[190:191], -v[176:177], v[188:189], 1.0
	v_fmac_f64_e32 v[188:189], v[188:189], v[190:191]
	v_div_scale_f64 v[190:191], vcc, v[172:173], v[174:175], v[172:173]
	v_mul_f64 v[192:193], v[190:191], v[188:189]
	v_fma_f64 v[176:177], -v[176:177], v[192:193], v[190:191]
	s_nop 1
	v_div_fmas_f64 v[176:177], v[176:177], v[188:189], v[192:193]
	v_div_fixup_f64 v[172:173], v[176:177], v[174:175], v[172:173]
	v_fmac_f64_e32 v[172:173], -0.5, v[170:171]
                                        ; implicit-def: $vgpr170_vgpr171
.LBB8_239:                              ;   in Loop: Header=BB8_145 Depth=1
	s_andn2_saveexec_b64 s[80:81], s[80:81]
	s_cbranch_execz .LBB8_245
; %bb.240:                              ;   in Loop: Header=BB8_145 Depth=1
	v_cmp_ne_u32_e32 vcc, 1, v3
                                        ; implicit-def: $vgpr172_vgpr173
	s_and_saveexec_b64 s[82:83], vcc
	s_xor_b64 s[82:83], exec, s[82:83]
	s_cbranch_execz .LBB8_242
; %bb.241:                              ;   in Loop: Header=BB8_145 Depth=1
	s_mov_b32 vcc_lo, 0x428cfa52
	v_mul_f64 v[172:173], v[170:171], v[170:171]
	v_pk_mov_b32 v[174:175], v[68:69], v[68:69] op_sel:[0,1]
	s_mov_b32 vcc_hi, 0x3efa7074
	v_fmac_f64_e32 v[174:175], vcc, v[172:173]
	v_pk_mov_b32 v[176:177], v[70:71], v[70:71] op_sel:[0,1]
	v_fmac_f64_e32 v[176:177], v[172:173], v[174:175]
	v_pk_mov_b32 v[174:175], v[72:73], v[72:73] op_sel:[0,1]
	v_fmac_f64_e32 v[174:175], v[172:173], v[176:177]
	;; [unrolled: 2-line block ×9, first 2 shown]
	v_mul_f64 v[172:173], v[172:173], v[176:177]
	v_fmac_f64_e32 v[172:173], v[170:171], v[174:175]
	v_fmac_f64_e32 v[172:173], -0.5, v[170:171]
                                        ; implicit-def: $vgpr170_vgpr171
.LBB8_242:                              ;   in Loop: Header=BB8_145 Depth=1
	s_andn2_saveexec_b64 s[82:83], s[82:83]
	s_cbranch_execz .LBB8_244
; %bb.243:                              ;   in Loop: Header=BB8_145 Depth=1
	v_mul_f64 v[172:173], v[170:171], v[170:171]
	v_mul_f64 v[174:175], v[170:171], v[172:173]
	v_pk_mov_b32 v[176:177], v[88:89], v[88:89] op_sel:[0,1]
	v_fmac_f64_e32 v[176:177], s[52:53], v[174:175]
	v_pk_mov_b32 v[188:189], v[90:91], v[90:91] op_sel:[0,1]
	v_fmac_f64_e32 v[188:189], v[174:175], v[176:177]
	;; [unrolled: 2-line block ×12, first 2 shown]
	v_fmac_f64_e32 v[190:191], v[170:171], v[192:193]
	v_fma_f64 v[170:171], v[174:175], -v[190:191], s[58:59]
	v_fma_f64 v[170:171], v[172:173], v[188:189], -v[170:171]
	v_add_f64 v[172:173], v[170:171], s[60:61]
.LBB8_244:                              ;   in Loop: Header=BB8_145 Depth=1
	s_or_b64 exec, exec, s[82:83]
.LBB8_245:                              ;   in Loop: Header=BB8_145 Depth=1
	s_or_b64 exec, exec, s[80:81]
	v_add_f64 v[168:169], v[168:169], v[172:173]
.LBB8_246:                              ;   in Loop: Header=BB8_145 Depth=1
	s_or_b64 exec, exec, s[78:79]
.LBB8_247:                              ;   in Loop: Header=BB8_145 Depth=1
	s_andn2_saveexec_b64 s[8:9], s[8:9]
	s_cbranch_execz .LBB8_249
; %bb.248:                              ;   in Loop: Header=BB8_145 Depth=1
	v_frexp_mant_f64_e64 v[170:171], |v[154:155]|
	v_cmp_gt_f64_e32 vcc, s[18:19], v[170:171]
	v_cndmask_b32_e64 v3, v184, 2.0, vcc
	v_mul_f64 v[170:171], v[170:171], v[2:3]
	v_add_f64 v[172:173], v[170:171], 1.0
	v_rcp_f64_e32 v[174:175], v[172:173]
	v_add_f64 v[188:189], v[172:173], -1.0
	v_add_f64 v[176:177], v[170:171], -1.0
	v_add_f64 v[170:171], v[170:171], -v[188:189]
	v_fma_f64 v[188:189], -v[172:173], v[174:175], 1.0
	v_fmac_f64_e32 v[174:175], v[188:189], v[174:175]
	v_fma_f64 v[188:189], -v[172:173], v[174:175], 1.0
	v_fmac_f64_e32 v[174:175], v[188:189], v[174:175]
	v_mul_f64 v[188:189], v[176:177], v[174:175]
	v_mul_f64 v[190:191], v[172:173], v[188:189]
	v_fma_f64 v[172:173], v[188:189], v[172:173], -v[190:191]
	v_fmac_f64_e32 v[172:173], v[188:189], v[170:171]
	v_add_f64 v[170:171], v[190:191], v[172:173]
	v_add_f64 v[192:193], v[176:177], -v[170:171]
	v_add_f64 v[190:191], v[170:171], -v[190:191]
	;; [unrolled: 1-line block ×5, first 2 shown]
	v_add_f64 v[170:171], v[172:173], v[170:171]
	v_add_f64 v[170:171], v[192:193], v[170:171]
	v_mul_f64 v[170:171], v[174:175], v[170:171]
	v_add_f64 v[172:173], v[188:189], v[170:171]
	v_add_f64 v[174:175], v[172:173], -v[188:189]
	v_add_f64 v[170:171], v[170:171], -v[174:175]
	v_mul_f64 v[174:175], v[172:173], v[172:173]
	v_pk_mov_b32 v[176:177], v[8:9], v[8:9] op_sel:[0,1]
	v_fmac_f64_e32 v[176:177], s[20:21], v[174:175]
	v_pk_mov_b32 v[188:189], v[10:11], v[10:11] op_sel:[0,1]
	v_fmac_f64_e32 v[188:189], v[174:175], v[176:177]
	;; [unrolled: 2-line block ×6, first 2 shown]
	v_ldexp_f64 v[176:177], v[172:173], 1
	v_mul_f64 v[172:173], v[172:173], v[174:175]
	v_mul_f64 v[172:173], v[172:173], v[188:189]
	v_add_f64 v[174:175], v[176:177], v[172:173]
	v_add_f64 v[176:177], v[174:175], -v[176:177]
	v_ldexp_f64 v[170:171], v[170:171], 1
	v_add_f64 v[172:173], v[172:173], -v[176:177]
	v_add_f64 v[170:171], v[170:171], v[172:173]
	v_frexp_exp_i32_f64_e32 v148, v[154:155]
	v_add_f64 v[172:173], v[174:175], v[170:171]
	v_subbrev_co_u32_e32 v3, vcc, 0, v148, vcc
	v_add_f64 v[174:175], v[172:173], -v[174:175]
	v_add_f64 v[170:171], v[170:171], -v[174:175]
	v_cvt_f64_i32_e32 v[174:175], v3
	v_mul_f64 v[176:177], v[174:175], s[22:23]
	v_fma_f64 v[188:189], v[174:175], s[22:23], -v[176:177]
	v_fmac_f64_e32 v[188:189], s[24:25], v[174:175]
	v_add_f64 v[174:175], v[176:177], v[188:189]
	v_add_f64 v[176:177], v[174:175], -v[176:177]
	v_add_f64 v[176:177], v[188:189], -v[176:177]
	v_add_f64 v[188:189], v[174:175], v[172:173]
	v_add_f64 v[190:191], v[188:189], -v[174:175]
	v_add_f64 v[192:193], v[188:189], -v[190:191]
	;; [unrolled: 1-line block ×4, first 2 shown]
	v_add_f64 v[172:173], v[172:173], v[174:175]
	v_add_f64 v[174:175], v[176:177], v[170:171]
	v_add_f64 v[190:191], v[174:175], -v[176:177]
	v_add_f64 v[192:193], v[174:175], -v[190:191]
	v_add_f64 v[172:173], v[174:175], v[172:173]
	v_add_f64 v[176:177], v[176:177], -v[192:193]
	v_add_f64 v[170:171], v[170:171], -v[190:191]
	v_add_f64 v[174:175], v[188:189], v[172:173]
	v_add_f64 v[170:171], v[170:171], v[176:177]
	v_add_f64 v[176:177], v[174:175], -v[188:189]
	v_add_f64 v[172:173], v[172:173], -v[176:177]
	v_fma_f64 v[168:169], |v[154:155]|, s[62:63], v[112:113]
	v_add_f64 v[170:171], v[170:171], v[172:173]
	v_fma_f64 v[168:169], |v[154:155]|, v[168:169], s[64:65]
	v_add_f64 v[170:171], v[174:175], v[170:171]
	v_cmp_class_f64_e64 vcc, v[154:155], s90
	v_fma_f64 v[168:169], |v[154:155]|, v[168:169], s[66:67]
	v_cndmask_b32_e32 v3, v170, v154, vcc
	v_cndmask_b32_e64 v148, -v171, -v167, vcc
	v_cmp_neq_f64_e32 vcc, 0, v[154:155]
	v_fma_f64 v[168:169], |v[154:155]|, v[168:169], s[68:69]
	v_cndmask_b32_e32 v171, v187, v148, vcc
	v_cndmask_b32_e32 v170, 0, v3, vcc
	v_fma_f64 v[168:169], |v[154:155]|, v[168:169], v[170:171]
.LBB8_249:                              ;   in Loop: Header=BB8_145 Depth=1
	s_or_b64 exec, exec, s[8:9]
	v_cmp_le_f64_e32 vcc, 0, v[154:155]
	s_and_saveexec_b64 s[8:9], vcc
	s_xor_b64 s[78:79], exec, s[8:9]
; %bb.250:                              ;   in Loop: Header=BB8_145 Depth=1
	v_cmp_eq_f64_e32 vcc, 1.0, v[154:155]
	v_cmp_eq_f64_e64 s[8:9], 2.0, v[154:155]
	s_or_b64 s[8:9], vcc, s[8:9]
	v_cndmask_b32_e64 v169, v169, 0, s[8:9]
	v_cndmask_b32_e64 v168, v168, 0, s[8:9]
; %bb.251:                              ;   in Loop: Header=BB8_145 Depth=1
	s_andn2_saveexec_b64 s[8:9], s[78:79]
	s_cbranch_execz .LBB8_255
; %bb.252:                              ;   in Loop: Header=BB8_145 Depth=1
	v_add_u32_e32 v3, 0xc32fffff, v167
	v_cmp_gt_u32_e32 vcc, s26, v3
	s_and_saveexec_b64 s[78:79], vcc
	s_cbranch_execz .LBB8_254
; %bb.253:                              ;   in Loop: Header=BB8_145 Depth=1
	v_mul_f64 v[170:171], |v[154:155]|, 0.5
	v_fract_f64_e32 v[172:173], v[170:171]
	v_add_f64 v[172:173], v[172:173], v[172:173]
	v_cmp_neq_f64_e64 vcc, |v[170:171]|, s[70:71]
	v_cndmask_b32_e32 v3, 0, v172, vcc
	v_cndmask_b32_e32 v148, 0, v173, vcc
	v_cmp_gt_f64_e64 vcc, |v[154:155]|, 1.0
	v_cndmask_b32_e32 v171, v167, v148, vcc
	v_cndmask_b32_e32 v170, v154, v3, vcc
	v_add_f64 v[172:173], v[170:171], v[170:171]
	v_rndne_f64_e32 v[172:173], v[172:173]
	v_fmac_f64_e32 v[170:171], -0.5, v[172:173]
	v_cvt_i32_f64_e32 v3, v[172:173]
	v_mul_f64 v[172:173], v[170:171], v[170:171]
	v_pk_mov_b32 v[174:175], v[114:115], v[114:115] op_sel:[0,1]
	v_fmac_f64_e32 v[174:175], s[72:73], v[172:173]
	v_pk_mov_b32 v[176:177], v[116:117], v[116:117] op_sel:[0,1]
	v_fmac_f64_e32 v[176:177], v[172:173], v[174:175]
	;; [unrolled: 2-line block ×5, first 2 shown]
	v_mul_f64 v[176:177], v[170:171], v[172:173]
	v_mul_f64 v[174:175], v[176:177], v[174:175]
	v_fmac_f64_e32 v[174:175], s[74:75], v[170:171]
	v_pk_mov_b32 v[170:171], v[124:125], v[124:125] op_sel:[0,1]
	v_fmac_f64_e32 v[170:171], s[76:77], v[172:173]
	v_pk_mov_b32 v[176:177], v[126:127], v[126:127] op_sel:[0,1]
	;; [unrolled: 2-line block ×6, first 2 shown]
	v_fmac_f64_e32 v[176:177], v[172:173], v[170:171]
	v_and_b32_e32 v148, 1, v3
	v_lshlrev_b32_e32 v3, 30, v3
	v_fma_f64 v[170:171], v[172:173], v[176:177], 1.0
	v_cmp_eq_u32_e32 vcc, 0, v148
	v_xor_b32_e32 v3, v3, v155
	v_cndmask_b32_e32 v158, v171, v175, vcc
	v_and_b32_e32 v3, 0x80000000, v3
	v_cndmask_b32_e32 v148, v170, v174, vcc
	v_xor_b32_e32 v3, v158, v3
	v_cmp_class_f64_e64 vcc, v[154:155], s27
	v_cndmask_b32_e32 v170, 0, v148, vcc
	v_cndmask_b32_e32 v171, v186, v3, vcc
	v_mul_f64 v[170:171], v[154:155], v[170:171]
	v_and_b32_e32 v173, 0x7fffffff, v171
	v_mov_b32_e32 v172, v170
	v_div_scale_f64 v[174:175], s[80:81], v[172:173], v[172:173], s[74:75]
	v_rcp_f64_e32 v[176:177], v[174:175]
	v_div_scale_f64 v[172:173], vcc, s[74:75], v[172:173], s[74:75]
	v_cmp_class_f64_e64 s[80:81], v[154:155], s90
	v_fma_f64 v[188:189], -v[174:175], v[176:177], 1.0
	v_fmac_f64_e32 v[176:177], v[176:177], v[188:189]
	v_fma_f64 v[188:189], -v[174:175], v[176:177], 1.0
	v_fmac_f64_e32 v[176:177], v[176:177], v[188:189]
	v_mul_f64 v[188:189], v[172:173], v[176:177]
	v_fma_f64 v[172:173], -v[174:175], v[188:189], v[172:173]
	v_div_fmas_f64 v[172:173], v[172:173], v[176:177], v[188:189]
	v_div_fixup_f64 v[170:171], v[172:173], |v[170:171]|, s[74:75]
	v_frexp_mant_f64_e32 v[172:173], v[170:171]
	v_cmp_gt_f64_e32 vcc, s[18:19], v[172:173]
	v_cndmask_b32_e64 v3, v184, 2.0, vcc
	v_mul_f64 v[172:173], v[172:173], v[2:3]
	v_add_f64 v[174:175], v[172:173], 1.0
	v_rcp_f64_e32 v[176:177], v[174:175]
	v_add_f64 v[190:191], v[174:175], -1.0
	v_add_f64 v[188:189], v[172:173], -1.0
	v_add_f64 v[172:173], v[172:173], -v[190:191]
	v_fma_f64 v[190:191], -v[174:175], v[176:177], 1.0
	v_fmac_f64_e32 v[176:177], v[190:191], v[176:177]
	v_fma_f64 v[190:191], -v[174:175], v[176:177], 1.0
	v_fmac_f64_e32 v[176:177], v[190:191], v[176:177]
	v_mul_f64 v[190:191], v[188:189], v[176:177]
	v_mul_f64 v[192:193], v[174:175], v[190:191]
	v_fma_f64 v[174:175], v[190:191], v[174:175], -v[192:193]
	v_fmac_f64_e32 v[174:175], v[190:191], v[172:173]
	v_add_f64 v[172:173], v[192:193], v[174:175]
	v_add_f64 v[194:195], v[188:189], -v[172:173]
	v_add_f64 v[192:193], v[172:173], -v[192:193]
	;; [unrolled: 1-line block ×5, first 2 shown]
	v_add_f64 v[172:173], v[174:175], v[172:173]
	v_add_f64 v[172:173], v[194:195], v[172:173]
	v_mul_f64 v[172:173], v[176:177], v[172:173]
	v_add_f64 v[174:175], v[190:191], v[172:173]
	v_add_f64 v[176:177], v[174:175], -v[190:191]
	v_add_f64 v[172:173], v[172:173], -v[176:177]
	v_mul_f64 v[176:177], v[174:175], v[174:175]
	v_pk_mov_b32 v[188:189], v[8:9], v[8:9] op_sel:[0,1]
	v_fmac_f64_e32 v[188:189], s[20:21], v[176:177]
	v_pk_mov_b32 v[190:191], v[10:11], v[10:11] op_sel:[0,1]
	v_fmac_f64_e32 v[190:191], v[176:177], v[188:189]
	;; [unrolled: 2-line block ×6, first 2 shown]
	v_ldexp_f64 v[188:189], v[174:175], 1
	v_mul_f64 v[174:175], v[174:175], v[176:177]
	v_mul_f64 v[174:175], v[174:175], v[190:191]
	v_add_f64 v[176:177], v[188:189], v[174:175]
	v_add_f64 v[188:189], v[176:177], -v[188:189]
	v_ldexp_f64 v[172:173], v[172:173], 1
	v_add_f64 v[174:175], v[174:175], -v[188:189]
	v_add_f64 v[172:173], v[172:173], v[174:175]
	v_frexp_exp_i32_f64_e32 v148, v[170:171]
	v_add_f64 v[174:175], v[176:177], v[172:173]
	v_subbrev_co_u32_e32 v3, vcc, 0, v148, vcc
	v_add_f64 v[176:177], v[174:175], -v[176:177]
	v_add_f64 v[172:173], v[172:173], -v[176:177]
	v_cvt_f64_i32_e32 v[176:177], v3
	v_mul_f64 v[188:189], v[176:177], s[22:23]
	v_fma_f64 v[190:191], v[176:177], s[22:23], -v[188:189]
	v_fmac_f64_e32 v[190:191], s[24:25], v[176:177]
	v_add_f64 v[176:177], v[188:189], v[190:191]
	v_add_f64 v[188:189], v[176:177], -v[188:189]
	v_add_f64 v[188:189], v[190:191], -v[188:189]
	v_add_f64 v[190:191], v[176:177], v[174:175]
	v_add_f64 v[192:193], v[190:191], -v[176:177]
	v_add_f64 v[194:195], v[190:191], -v[192:193]
	v_add_f64 v[176:177], v[176:177], -v[194:195]
	v_add_f64 v[174:175], v[174:175], -v[192:193]
	v_add_f64 v[174:175], v[174:175], v[176:177]
	v_add_f64 v[176:177], v[188:189], v[172:173]
	v_add_f64 v[192:193], v[176:177], -v[188:189]
	v_add_f64 v[194:195], v[176:177], -v[192:193]
	v_add_f64 v[174:175], v[176:177], v[174:175]
	v_add_f64 v[188:189], v[188:189], -v[194:195]
	v_add_f64 v[172:173], v[172:173], -v[192:193]
	v_add_f64 v[176:177], v[190:191], v[174:175]
	v_add_f64 v[172:173], v[172:173], v[188:189]
	v_add_f64 v[188:189], v[176:177], -v[190:191]
	v_add_f64 v[174:175], v[174:175], -v[188:189]
	v_add_f64 v[172:173], v[172:173], v[174:175]
	v_add_f64 v[172:173], v[176:177], v[172:173]
	v_cmp_class_f64_e64 vcc, v[170:171], s90
	v_cndmask_b32_e32 v3, v172, v170, vcc
	v_cndmask_b32_e32 v148, v173, v171, vcc
	v_cmp_neq_f64_e32 vcc, 0, v[170:171]
	v_cndmask_b32_e32 v171, v185, v148, vcc
	v_cndmask_b32_e32 v170, 0, v3, vcc
	v_add_f64 v[168:169], v[170:171], -v[168:169]
	v_fract_f64_e32 v[170:171], v[154:155]
	v_cmp_eq_f64_e32 vcc, 0, v[170:171]
	s_or_b64 vcc, s[80:81], vcc
	v_cndmask_b32_e32 v169, v169, v187, vcc
	v_cndmask_b32_e64 v168, v168, 0, vcc
.LBB8_254:                              ;   in Loop: Header=BB8_145 Depth=1
	s_or_b64 exec, exec, s[78:79]
.LBB8_255:                              ;   in Loop: Header=BB8_145 Depth=1
	s_or_b64 exec, exec, s[8:9]
	v_and_b32_e32 v171, 0x7fffffff, v151
	v_mov_b32_e32 v170, v150
	v_cmp_lt_u32_e32 vcc, s86, v171
                                        ; implicit-def: $vgpr172_vgpr173
	s_and_saveexec_b64 s[8:9], vcc
	s_xor_b64 s[8:9], exec, s[8:9]
	s_cbranch_execz .LBB8_281
; %bb.256:                              ;   in Loop: Header=BB8_145 Depth=1
	v_cmp_lt_u32_e32 vcc, s87, v171
                                        ; implicit-def: $vgpr172_vgpr173
	s_and_saveexec_b64 s[78:79], vcc
	s_xor_b64 s[78:79], exec, s[78:79]
	s_cbranch_execz .LBB8_266
; %bb.257:                              ;   in Loop: Header=BB8_145 Depth=1
	;; [unrolled: 6-line block ×4, first 2 shown]
	v_frexp_mant_f64_e64 v[172:173], |v[150:151]|
	v_cmp_gt_f64_e32 vcc, s[18:19], v[172:173]
	v_cndmask_b32_e64 v3, v184, 2.0, vcc
	v_mul_f64 v[172:173], v[172:173], v[2:3]
	v_add_f64 v[174:175], v[172:173], 1.0
	v_rcp_f64_e32 v[176:177], v[174:175]
	v_add_f64 v[190:191], v[174:175], -1.0
	v_add_f64 v[188:189], v[172:173], -1.0
	v_add_f64 v[172:173], v[172:173], -v[190:191]
	v_fma_f64 v[190:191], -v[174:175], v[176:177], 1.0
	v_fmac_f64_e32 v[176:177], v[190:191], v[176:177]
	v_fma_f64 v[190:191], -v[174:175], v[176:177], 1.0
	v_fmac_f64_e32 v[176:177], v[190:191], v[176:177]
	v_mul_f64 v[190:191], v[188:189], v[176:177]
	v_mul_f64 v[192:193], v[174:175], v[190:191]
	v_fma_f64 v[174:175], v[190:191], v[174:175], -v[192:193]
	v_fmac_f64_e32 v[174:175], v[190:191], v[172:173]
	v_add_f64 v[172:173], v[192:193], v[174:175]
	v_add_f64 v[194:195], v[188:189], -v[172:173]
	v_add_f64 v[192:193], v[172:173], -v[192:193]
	;; [unrolled: 1-line block ×5, first 2 shown]
	v_add_f64 v[172:173], v[174:175], v[172:173]
	v_add_f64 v[172:173], v[194:195], v[172:173]
	v_mul_f64 v[172:173], v[176:177], v[172:173]
	v_add_f64 v[174:175], v[190:191], v[172:173]
	v_add_f64 v[176:177], v[174:175], -v[190:191]
	v_add_f64 v[172:173], v[172:173], -v[176:177]
	v_mul_f64 v[176:177], v[174:175], v[174:175]
	v_pk_mov_b32 v[188:189], v[8:9], v[8:9] op_sel:[0,1]
	v_fmac_f64_e32 v[188:189], s[20:21], v[176:177]
	v_pk_mov_b32 v[190:191], v[10:11], v[10:11] op_sel:[0,1]
	v_fmac_f64_e32 v[190:191], v[176:177], v[188:189]
	;; [unrolled: 2-line block ×6, first 2 shown]
	v_ldexp_f64 v[188:189], v[174:175], 1
	v_mul_f64 v[174:175], v[174:175], v[176:177]
	v_mul_f64 v[174:175], v[174:175], v[190:191]
	v_add_f64 v[176:177], v[188:189], v[174:175]
	v_add_f64 v[188:189], v[176:177], -v[188:189]
	v_ldexp_f64 v[172:173], v[172:173], 1
	v_add_f64 v[174:175], v[174:175], -v[188:189]
	v_add_f64 v[172:173], v[172:173], v[174:175]
	v_frexp_exp_i32_f64_e32 v148, v[150:151]
	v_add_f64 v[174:175], v[176:177], v[172:173]
	v_subbrev_co_u32_e32 v3, vcc, 0, v148, vcc
	v_add_f64 v[176:177], v[174:175], -v[176:177]
	v_add_f64 v[172:173], v[172:173], -v[176:177]
	v_cvt_f64_i32_e32 v[176:177], v3
	v_mul_f64 v[188:189], v[176:177], s[22:23]
	v_fma_f64 v[190:191], v[176:177], s[22:23], -v[188:189]
	v_fmac_f64_e32 v[190:191], s[24:25], v[176:177]
	v_add_f64 v[176:177], v[188:189], v[190:191]
	v_add_f64 v[188:189], v[176:177], -v[188:189]
	v_add_f64 v[188:189], v[190:191], -v[188:189]
	v_add_f64 v[190:191], v[176:177], v[174:175]
	v_add_f64 v[192:193], v[190:191], -v[176:177]
	v_add_f64 v[194:195], v[190:191], -v[192:193]
	v_add_f64 v[176:177], v[176:177], -v[194:195]
	v_add_f64 v[174:175], v[174:175], -v[192:193]
	v_add_f64 v[174:175], v[174:175], v[176:177]
	v_add_f64 v[176:177], v[188:189], v[172:173]
	v_add_f64 v[192:193], v[176:177], -v[188:189]
	v_add_f64 v[194:195], v[176:177], -v[192:193]
	v_add_f64 v[174:175], v[176:177], v[174:175]
	v_add_f64 v[188:189], v[188:189], -v[194:195]
	v_add_f64 v[172:173], v[172:173], -v[192:193]
	v_add_f64 v[176:177], v[190:191], v[174:175]
	v_add_f64 v[172:173], v[172:173], v[188:189]
	v_add_f64 v[188:189], v[176:177], -v[190:191]
	v_add_f64 v[174:175], v[174:175], -v[188:189]
	v_add_f64 v[172:173], v[172:173], v[174:175]
	v_add_f64 v[172:173], v[176:177], v[172:173]
	v_cmp_class_f64_e64 vcc, v[150:151], s90
	v_cndmask_b32_e32 v3, v172, v150, vcc
	v_cndmask_b32_e32 v148, v173, v171, vcc
	v_cmp_neq_f64_e32 vcc, 0, v[150:151]
	v_cndmask_b32_e32 v173, v185, v148, vcc
	v_cndmask_b32_e32 v172, 0, v3, vcc
	v_fma_f64 v[172:173], |v[150:151]|, v[172:173], -|v[150:151]|
.LBB8_260:                              ;   in Loop: Header=BB8_145 Depth=1
	s_andn2_saveexec_b64 s[82:83], s[82:83]
	s_cbranch_execz .LBB8_262
; %bb.261:                              ;   in Loop: Header=BB8_145 Depth=1
	v_mov_b32_e32 v170, v150
	v_div_scale_f64 v[172:173], vcc, v[170:171], v[170:171], 1.0
	v_rcp_f64_e32 v[174:175], v[172:173]
	v_div_scale_f64 v[176:177], vcc, 1.0, v[170:171], 1.0
	v_frexp_exp_i32_f64_e32 v148, v[150:151]
	v_fma_f64 v[188:189], -v[172:173], v[174:175], 1.0
	v_fmac_f64_e32 v[174:175], v[174:175], v[188:189]
	v_fma_f64 v[188:189], -v[172:173], v[174:175], 1.0
	v_fmac_f64_e32 v[174:175], v[174:175], v[188:189]
	v_mul_f64 v[188:189], v[176:177], v[174:175]
	v_fma_f64 v[172:173], -v[172:173], v[188:189], v[176:177]
	v_div_fmas_f64 v[172:173], v[172:173], v[174:175], v[188:189]
	v_div_fixup_f64 v[174:175], v[172:173], |v[150:151]|, 1.0
	s_mov_b32 vcc_lo, 0xb9e43e4
	v_mul_f64 v[172:173], v[174:175], v[174:175]
	v_pk_mov_b32 v[176:177], v[20:21], v[20:21] op_sel:[0,1]
	s_mov_b32 vcc_hi, 0xbf5ab89d
	v_fmac_f64_e32 v[176:177], vcc, v[172:173]
	v_pk_mov_b32 v[188:189], v[22:23], v[22:23] op_sel:[0,1]
	v_fmac_f64_e32 v[188:189], v[172:173], v[176:177]
	v_pk_mov_b32 v[176:177], v[24:25], v[24:25] op_sel:[0,1]
	v_fmac_f64_e32 v[176:177], v[172:173], v[188:189]
	;; [unrolled: 2-line block ×5, first 2 shown]
	v_frexp_mant_f64_e64 v[176:177], |v[150:151]|
	v_cmp_gt_f64_e32 vcc, s[18:19], v[176:177]
	v_cndmask_b32_e64 v3, v184, 2.0, vcc
	v_mul_f64 v[176:177], v[176:177], v[2:3]
	v_add_f64 v[188:189], v[176:177], 1.0
	v_rcp_f64_e32 v[190:191], v[188:189]
	v_add_f64 v[194:195], v[188:189], -1.0
	v_add_f64 v[192:193], v[176:177], -1.0
	v_add_f64 v[176:177], v[176:177], -v[194:195]
	v_fma_f64 v[194:195], -v[188:189], v[190:191], 1.0
	v_fmac_f64_e32 v[190:191], v[194:195], v[190:191]
	v_fma_f64 v[194:195], -v[188:189], v[190:191], 1.0
	v_fmac_f64_e32 v[190:191], v[194:195], v[190:191]
	v_mul_f64 v[194:195], v[192:193], v[190:191]
	v_mul_f64 v[196:197], v[188:189], v[194:195]
	v_fma_f64 v[188:189], v[194:195], v[188:189], -v[196:197]
	v_fmac_f64_e32 v[188:189], v[194:195], v[176:177]
	v_add_f64 v[176:177], v[196:197], v[188:189]
	v_add_f64 v[198:199], v[192:193], -v[176:177]
	v_add_f64 v[196:197], v[176:177], -v[196:197]
	;; [unrolled: 1-line block ×5, first 2 shown]
	v_add_f64 v[176:177], v[188:189], v[176:177]
	v_add_f64 v[176:177], v[198:199], v[176:177]
	v_mul_f64 v[176:177], v[190:191], v[176:177]
	v_add_f64 v[188:189], v[194:195], v[176:177]
	v_add_f64 v[190:191], v[188:189], -v[194:195]
	v_add_f64 v[176:177], v[176:177], -v[190:191]
	v_mul_f64 v[190:191], v[188:189], v[188:189]
	v_pk_mov_b32 v[192:193], v[8:9], v[8:9] op_sel:[0,1]
	v_fmac_f64_e32 v[192:193], s[20:21], v[190:191]
	v_pk_mov_b32 v[194:195], v[10:11], v[10:11] op_sel:[0,1]
	v_fmac_f64_e32 v[194:195], v[190:191], v[192:193]
	;; [unrolled: 2-line block ×6, first 2 shown]
	v_ldexp_f64 v[192:193], v[188:189], 1
	v_mul_f64 v[188:189], v[188:189], v[190:191]
	v_mul_f64 v[188:189], v[188:189], v[194:195]
	v_add_f64 v[190:191], v[192:193], v[188:189]
	v_add_f64 v[192:193], v[190:191], -v[192:193]
	v_ldexp_f64 v[176:177], v[176:177], 1
	v_add_f64 v[188:189], v[188:189], -v[192:193]
	v_add_f64 v[176:177], v[176:177], v[188:189]
	v_add_f64 v[188:189], v[190:191], v[176:177]
	v_subbrev_co_u32_e32 v3, vcc, 0, v148, vcc
	v_add_f64 v[190:191], v[188:189], -v[190:191]
	v_add_f64 v[176:177], v[176:177], -v[190:191]
	v_cvt_f64_i32_e32 v[190:191], v3
	v_mul_f64 v[192:193], v[190:191], s[22:23]
	v_fma_f64 v[194:195], v[190:191], s[22:23], -v[192:193]
	v_fmac_f64_e32 v[194:195], s[24:25], v[190:191]
	v_add_f64 v[190:191], v[192:193], v[194:195]
	v_add_f64 v[192:193], v[190:191], -v[192:193]
	v_add_f64 v[192:193], v[194:195], -v[192:193]
	v_add_f64 v[194:195], v[190:191], v[188:189]
	v_add_f64 v[196:197], v[194:195], -v[190:191]
	v_add_f64 v[198:199], v[194:195], -v[196:197]
	;; [unrolled: 1-line block ×4, first 2 shown]
	v_add_f64 v[188:189], v[188:189], v[190:191]
	v_add_f64 v[190:191], v[192:193], v[176:177]
	v_add_f64 v[196:197], v[190:191], -v[192:193]
	v_add_f64 v[198:199], v[190:191], -v[196:197]
	v_add_f64 v[188:189], v[190:191], v[188:189]
	v_add_f64 v[192:193], v[192:193], -v[198:199]
	v_add_f64 v[176:177], v[176:177], -v[196:197]
	v_add_f64 v[190:191], v[194:195], v[188:189]
	v_add_f64 v[176:177], v[176:177], v[192:193]
	v_add_f64 v[192:193], v[190:191], -v[194:195]
	v_add_f64 v[188:189], v[188:189], -v[192:193]
	v_add_f64 v[176:177], v[176:177], v[188:189]
	v_add_f64 v[176:177], v[190:191], v[176:177]
	v_cmp_class_f64_e64 vcc, v[150:151], s90
	v_cndmask_b32_e32 v177, v177, v171, vcc
	v_cndmask_b32_e32 v176, v176, v170, vcc
	v_add_f64 v[176:177], v[176:177], -1.0
	v_cmp_neq_f64_e32 vcc, 0, v[150:151]
	v_add_f64 v[174:175], |v[150:151]|, -0.5
	v_cndmask_b32_e32 v177, v185, v177, vcc
	v_cndmask_b32_e32 v176, 0, v176, vcc
	v_fmac_f64_e32 v[172:173], v[174:175], v[176:177]
.LBB8_262:                              ;   in Loop: Header=BB8_145 Depth=1
	s_or_b64 exec, exec, s[82:83]
.LBB8_263:                              ;   in Loop: Header=BB8_145 Depth=1
	s_andn2_saveexec_b64 s[80:81], s[80:81]
	s_cbranch_execz .LBB8_265
; %bb.264:                              ;   in Loop: Header=BB8_145 Depth=1
	v_cvt_i32_f64_e32 v3, v[170:171]
	v_cvt_f64_i32_e32 v[172:173], v3
	v_add_f64 v[172:173], |v[150:151]|, -v[172:173]
	v_pk_mov_b32 v[174:175], v[32:33], v[32:33] op_sel:[0,1]
	v_fmac_f64_e32 v[174:175], s[28:29], v[172:173]
	v_pk_mov_b32 v[176:177], v[34:35], v[34:35] op_sel:[0,1]
	v_fmac_f64_e32 v[176:177], v[172:173], v[174:175]
	;; [unrolled: 2-line block ×4, first 2 shown]
	v_pk_mov_b32 v[174:175], v[40:41], v[40:41] op_sel:[0,1]
	v_mov_b32_e32 v148, v76
	v_fmac_f64_e32 v[174:175], v[172:173], v[176:177]
	v_pk_mov_b32 v[176:177], v[148:149], v[148:149] op_sel:[0,1]
	v_fmac_f64_e32 v[176:177], v[172:173], v[174:175]
	v_mul_f64 v[174:175], v[172:173], v[176:177]
	v_pk_mov_b32 v[176:177], v[42:43], v[42:43] op_sel:[0,1]
	v_fmac_f64_e32 v[176:177], s[30:31], v[172:173]
	v_pk_mov_b32 v[188:189], v[44:45], v[44:45] op_sel:[0,1]
	v_fmac_f64_e32 v[188:189], v[172:173], v[176:177]
	;; [unrolled: 2-line block ×5, first 2 shown]
	v_fma_f64 v[176:177], v[172:173], v[176:177], 1.0
	v_div_scale_f64 v[188:189], s[82:83], v[176:177], v[176:177], v[174:175]
	v_rcp_f64_e32 v[190:191], v[188:189]
	v_fma_f64 v[192:193], -v[188:189], v[190:191], 1.0
	v_fmac_f64_e32 v[190:191], v[190:191], v[192:193]
	v_fma_f64 v[192:193], -v[188:189], v[190:191], 1.0
	v_fmac_f64_e32 v[190:191], v[190:191], v[192:193]
	v_div_scale_f64 v[192:193], vcc, v[174:175], v[176:177], v[174:175]
	v_mul_f64 v[194:195], v[192:193], v[190:191]
	v_fma_f64 v[188:189], -v[188:189], v[194:195], v[192:193]
	v_add_f64 v[192:193], v[172:173], s[36:37]
	s_nop 0
	v_div_fmas_f64 v[188:189], v[188:189], v[190:191], v[194:195]
	v_div_fixup_f64 v[174:175], v[188:189], v[176:177], v[174:175]
	v_add_f64 v[176:177], v[172:173], 2.0
	v_cmp_lt_i32_e32 vcc, 2, v3
	v_add_f64 v[188:189], v[172:173], s[34:35]
	v_cndmask_b32_e32 v177, v184, v177, vcc
	v_cndmask_b32_e32 v176, 0, v176, vcc
	v_cmp_lt_i32_e32 vcc, 3, v3
	v_add_f64 v[190:191], v[172:173], 4.0
	v_cndmask_b32_e32 v189, v184, v189, vcc
	v_cndmask_b32_e32 v188, 0, v188, vcc
	v_cmp_lt_i32_e32 vcc, 4, v3
	v_mul_f64 v[176:177], v[176:177], v[188:189]
	v_cndmask_b32_e32 v189, v184, v191, vcc
	v_cndmask_b32_e32 v188, 0, v190, vcc
	v_cmp_lt_i32_e32 vcc, 5, v3
	v_fmac_f64_e32 v[174:175], 0.5, v[172:173]
	v_add_f64 v[172:173], v[172:173], s[38:39]
	v_mul_f64 v[176:177], v[188:189], v[176:177]
	v_cndmask_b32_e32 v189, v184, v193, vcc
	v_cndmask_b32_e32 v188, 0, v192, vcc
	v_cmp_lt_i32_e32 vcc, 6, v3
	v_mul_f64 v[176:177], v[188:189], v[176:177]
	v_cndmask_b32_e32 v173, v184, v173, vcc
	v_cndmask_b32_e32 v172, 0, v172, vcc
	v_mul_f64 v[172:173], v[172:173], v[176:177]
	v_frexp_mant_f64_e32 v[176:177], v[172:173]
	v_cmp_gt_f64_e32 vcc, s[18:19], v[176:177]
	v_cndmask_b32_e64 v3, v184, 2.0, vcc
	v_mul_f64 v[176:177], v[176:177], v[2:3]
	v_add_f64 v[188:189], v[176:177], 1.0
	v_rcp_f64_e32 v[190:191], v[188:189]
	v_add_f64 v[194:195], v[188:189], -1.0
	v_add_f64 v[192:193], v[176:177], -1.0
	v_add_f64 v[176:177], v[176:177], -v[194:195]
	v_fma_f64 v[194:195], -v[188:189], v[190:191], 1.0
	v_fmac_f64_e32 v[190:191], v[194:195], v[190:191]
	v_fma_f64 v[194:195], -v[188:189], v[190:191], 1.0
	v_fmac_f64_e32 v[190:191], v[194:195], v[190:191]
	v_mul_f64 v[194:195], v[192:193], v[190:191]
	v_mul_f64 v[196:197], v[188:189], v[194:195]
	v_fma_f64 v[188:189], v[194:195], v[188:189], -v[196:197]
	v_fmac_f64_e32 v[188:189], v[194:195], v[176:177]
	v_add_f64 v[176:177], v[196:197], v[188:189]
	v_add_f64 v[198:199], v[192:193], -v[176:177]
	v_add_f64 v[196:197], v[176:177], -v[196:197]
	;; [unrolled: 1-line block ×5, first 2 shown]
	v_add_f64 v[176:177], v[188:189], v[176:177]
	v_add_f64 v[176:177], v[198:199], v[176:177]
	v_mul_f64 v[176:177], v[190:191], v[176:177]
	v_add_f64 v[188:189], v[194:195], v[176:177]
	v_add_f64 v[190:191], v[188:189], -v[194:195]
	v_add_f64 v[176:177], v[176:177], -v[190:191]
	v_mul_f64 v[190:191], v[188:189], v[188:189]
	v_pk_mov_b32 v[192:193], v[8:9], v[8:9] op_sel:[0,1]
	v_fmac_f64_e32 v[192:193], s[20:21], v[190:191]
	v_pk_mov_b32 v[194:195], v[10:11], v[10:11] op_sel:[0,1]
	v_fmac_f64_e32 v[194:195], v[190:191], v[192:193]
	;; [unrolled: 2-line block ×6, first 2 shown]
	v_ldexp_f64 v[192:193], v[188:189], 1
	v_mul_f64 v[188:189], v[188:189], v[190:191]
	v_mul_f64 v[188:189], v[188:189], v[194:195]
	v_add_f64 v[190:191], v[192:193], v[188:189]
	v_add_f64 v[192:193], v[190:191], -v[192:193]
	v_ldexp_f64 v[176:177], v[176:177], 1
	v_add_f64 v[188:189], v[188:189], -v[192:193]
	v_add_f64 v[176:177], v[176:177], v[188:189]
	v_frexp_exp_i32_f64_e32 v148, v[172:173]
	v_add_f64 v[188:189], v[190:191], v[176:177]
	v_subbrev_co_u32_e32 v3, vcc, 0, v148, vcc
	v_add_f64 v[190:191], v[188:189], -v[190:191]
	v_add_f64 v[176:177], v[176:177], -v[190:191]
	v_cvt_f64_i32_e32 v[190:191], v3
	v_mul_f64 v[192:193], v[190:191], s[22:23]
	v_fma_f64 v[194:195], v[190:191], s[22:23], -v[192:193]
	v_fmac_f64_e32 v[194:195], s[24:25], v[190:191]
	v_add_f64 v[190:191], v[192:193], v[194:195]
	v_add_f64 v[192:193], v[190:191], -v[192:193]
	v_add_f64 v[192:193], v[194:195], -v[192:193]
	v_add_f64 v[194:195], v[190:191], v[188:189]
	v_add_f64 v[196:197], v[194:195], -v[190:191]
	v_add_f64 v[198:199], v[194:195], -v[196:197]
	;; [unrolled: 1-line block ×4, first 2 shown]
	v_add_f64 v[188:189], v[188:189], v[190:191]
	v_add_f64 v[190:191], v[192:193], v[176:177]
	v_add_f64 v[196:197], v[190:191], -v[192:193]
	v_add_f64 v[198:199], v[190:191], -v[196:197]
	v_add_f64 v[188:189], v[190:191], v[188:189]
	v_add_f64 v[192:193], v[192:193], -v[198:199]
	v_add_f64 v[176:177], v[176:177], -v[196:197]
	v_add_f64 v[190:191], v[194:195], v[188:189]
	v_add_f64 v[176:177], v[176:177], v[192:193]
	v_add_f64 v[192:193], v[190:191], -v[194:195]
	v_add_f64 v[188:189], v[188:189], -v[192:193]
	v_add_f64 v[176:177], v[176:177], v[188:189]
	v_add_f64 v[176:177], v[190:191], v[176:177]
	v_cmp_class_f64_e64 vcc, v[172:173], s90
	v_cndmask_b32_e32 v3, v176, v172, vcc
	v_cndmask_b32_e32 v148, v177, v173, vcc
	v_cmp_ngt_f64_e32 vcc, 0, v[172:173]
	v_cndmask_b32_e32 v148, v186, v148, vcc
	v_cmp_nge_f64_e32 vcc, 0, v[172:173]
	v_cndmask_b32_e32 v176, 0, v3, vcc
	v_cmp_neq_f64_e32 vcc, 0, v[172:173]
	v_cndmask_b32_e32 v177, v185, v148, vcc
	v_add_f64 v[172:173], v[174:175], v[176:177]
.LBB8_265:                              ;   in Loop: Header=BB8_145 Depth=1
	s_or_b64 exec, exec, s[80:81]
.LBB8_266:                              ;   in Loop: Header=BB8_145 Depth=1
	s_andn2_saveexec_b64 s[78:79], s[78:79]
	s_cbranch_execz .LBB8_280
; %bb.267:                              ;   in Loop: Header=BB8_145 Depth=1
	v_cmp_lt_u32_e32 vcc, s91, v171
                                        ; implicit-def: $sgpr82_sgpr83
                                        ; implicit-def: $vgpr3
                                        ; implicit-def: $vgpr174_vgpr175
	s_and_saveexec_b64 s[80:81], vcc
	s_xor_b64 s[80:81], exec, s[80:81]
	s_cbranch_execz .LBB8_269
; %bb.268:                              ;   in Loop: Header=BB8_145 Depth=1
	v_add_f64 v[172:173], -|v[150:151]|, 2.0
	v_add_f64 v[174:175], |v[150:151]|, s[40:41]
	v_cmp_gt_u32_e32 vcc, s92, v171
	v_cndmask_b32_e32 v3, v172, v174, vcc
	v_cndmask_b32_e32 v148, v173, v175, vcc
	v_cndmask_b32_e64 v158, 0, 1, vcc
	v_add_f64 v[172:173], |v[150:151]|, -1.0
	v_cmp_gt_u32_e32 vcc, s93, v171
	v_cndmask_b32_e32 v175, v148, v173, vcc
	v_cndmask_b32_e32 v174, v3, v172, vcc
	v_cndmask_b32_e64 v3, v158, 2, vcc
	s_mov_b64 s[82:83], 0
.LBB8_269:                              ;   in Loop: Header=BB8_145 Depth=1
	s_or_saveexec_b64 s[80:81], s[80:81]
	v_pk_mov_b32 v[172:173], s[82:83], s[82:83] op_sel:[0,1]
	s_xor_b64 exec, exec, s[80:81]
	s_cbranch_execz .LBB8_271
; %bb.270:                              ;   in Loop: Header=BB8_145 Depth=1
	v_frexp_mant_f64_e64 v[172:173], |v[150:151]|
	v_cmp_gt_f64_e32 vcc, s[18:19], v[172:173]
	v_cndmask_b32_e64 v3, v184, 2.0, vcc
	v_mul_f64 v[172:173], v[172:173], v[2:3]
	v_add_f64 v[174:175], v[172:173], 1.0
	v_rcp_f64_e32 v[176:177], v[174:175]
	v_add_f64 v[190:191], v[174:175], -1.0
	v_add_f64 v[188:189], v[172:173], -1.0
	v_add_f64 v[172:173], v[172:173], -v[190:191]
	v_fma_f64 v[190:191], -v[174:175], v[176:177], 1.0
	v_fmac_f64_e32 v[176:177], v[190:191], v[176:177]
	v_fma_f64 v[190:191], -v[174:175], v[176:177], 1.0
	v_fmac_f64_e32 v[176:177], v[190:191], v[176:177]
	v_mul_f64 v[190:191], v[188:189], v[176:177]
	v_mul_f64 v[192:193], v[174:175], v[190:191]
	v_fma_f64 v[174:175], v[190:191], v[174:175], -v[192:193]
	v_fmac_f64_e32 v[174:175], v[190:191], v[172:173]
	v_add_f64 v[172:173], v[192:193], v[174:175]
	v_add_f64 v[194:195], v[188:189], -v[172:173]
	v_add_f64 v[192:193], v[172:173], -v[192:193]
	;; [unrolled: 1-line block ×5, first 2 shown]
	v_add_f64 v[172:173], v[174:175], v[172:173]
	v_add_f64 v[172:173], v[194:195], v[172:173]
	v_mul_f64 v[172:173], v[176:177], v[172:173]
	v_add_f64 v[174:175], v[190:191], v[172:173]
	v_add_f64 v[176:177], v[174:175], -v[190:191]
	v_add_f64 v[172:173], v[172:173], -v[176:177]
	v_mul_f64 v[176:177], v[174:175], v[174:175]
	v_pk_mov_b32 v[188:189], v[8:9], v[8:9] op_sel:[0,1]
	v_fmac_f64_e32 v[188:189], s[20:21], v[176:177]
	v_pk_mov_b32 v[190:191], v[10:11], v[10:11] op_sel:[0,1]
	v_fmac_f64_e32 v[190:191], v[176:177], v[188:189]
	;; [unrolled: 2-line block ×6, first 2 shown]
	v_ldexp_f64 v[188:189], v[174:175], 1
	v_mul_f64 v[174:175], v[174:175], v[176:177]
	v_mul_f64 v[174:175], v[174:175], v[190:191]
	v_add_f64 v[176:177], v[188:189], v[174:175]
	v_add_f64 v[188:189], v[176:177], -v[188:189]
	v_ldexp_f64 v[172:173], v[172:173], 1
	v_add_f64 v[174:175], v[174:175], -v[188:189]
	v_add_f64 v[172:173], v[172:173], v[174:175]
	v_frexp_exp_i32_f64_e32 v148, v[150:151]
	v_add_f64 v[174:175], v[176:177], v[172:173]
	v_subbrev_co_u32_e32 v3, vcc, 0, v148, vcc
	v_add_f64 v[176:177], v[174:175], -v[176:177]
	v_add_f64 v[172:173], v[172:173], -v[176:177]
	v_cvt_f64_i32_e32 v[176:177], v3
	v_mul_f64 v[188:189], v[176:177], s[22:23]
	v_fma_f64 v[190:191], v[176:177], s[22:23], -v[188:189]
	v_fmac_f64_e32 v[190:191], s[24:25], v[176:177]
	v_add_f64 v[176:177], v[188:189], v[190:191]
	v_add_f64 v[188:189], v[176:177], -v[188:189]
	v_add_f64 v[188:189], v[190:191], -v[188:189]
	v_add_f64 v[190:191], v[176:177], v[174:175]
	v_add_f64 v[192:193], v[190:191], -v[176:177]
	v_add_f64 v[194:195], v[190:191], -v[192:193]
	;; [unrolled: 1-line block ×4, first 2 shown]
	v_add_f64 v[174:175], v[174:175], v[176:177]
	v_add_f64 v[176:177], v[188:189], v[172:173]
	v_add_f64 v[192:193], v[176:177], -v[188:189]
	v_add_f64 v[194:195], v[176:177], -v[192:193]
	v_add_f64 v[174:175], v[176:177], v[174:175]
	v_add_f64 v[188:189], v[188:189], -v[194:195]
	v_add_f64 v[172:173], v[172:173], -v[192:193]
	v_add_f64 v[176:177], v[190:191], v[174:175]
	v_add_f64 v[172:173], v[172:173], v[188:189]
	v_add_f64 v[188:189], v[176:177], -v[190:191]
	v_add_f64 v[174:175], v[174:175], -v[188:189]
	v_add_f64 v[172:173], v[172:173], v[174:175]
	v_add_f64 v[172:173], v[176:177], v[172:173]
	v_cmp_class_f64_e64 vcc, v[150:151], s90
	v_cndmask_b32_e32 v3, v172, v150, vcc
	v_cndmask_b32_e64 v148, -v173, -v171, vcc
	v_cmp_neq_f64_e32 vcc, 0, v[150:151]
	v_cndmask_b32_e32 v173, v187, v148, vcc
	v_cndmask_b32_e32 v172, 0, v3, vcc
	v_add_f64 v[174:175], -|v[150:151]|, 1.0
	v_add_f64 v[176:177], |v[150:151]|, s[42:43]
	v_cmp_gt_u32_e32 vcc, s94, v171
	v_cndmask_b32_e32 v3, v174, v176, vcc
	v_cndmask_b32_e32 v148, v175, v177, vcc
	v_cndmask_b32_e64 v158, 0, 1, vcc
	v_cmp_gt_u32_e32 vcc, s95, v171
	v_cndmask_b32_e32 v175, v148, v171, vcc
	v_cndmask_b32_e32 v174, v3, v150, vcc
	v_cndmask_b32_e64 v3, v158, 2, vcc
.LBB8_271:                              ;   in Loop: Header=BB8_145 Depth=1
	s_or_b64 exec, exec, s[80:81]
	v_cmp_lt_i32_e32 vcc, 1, v3
                                        ; implicit-def: $vgpr176_vgpr177
	s_and_saveexec_b64 s[80:81], vcc
	s_xor_b64 s[80:81], exec, s[80:81]
	s_cbranch_execz .LBB8_273
; %bb.272:                              ;   in Loop: Header=BB8_145 Depth=1
	v_pk_mov_b32 v[176:177], v[52:53], v[52:53] op_sel:[0,1]
	v_fmac_f64_e32 v[176:177], s[44:45], v[174:175]
	v_pk_mov_b32 v[188:189], v[54:55], v[54:55] op_sel:[0,1]
	v_fmac_f64_e32 v[188:189], v[174:175], v[176:177]
	;; [unrolled: 2-line block ×3, first 2 shown]
	v_pk_mov_b32 v[188:189], v[58:59], v[58:59] op_sel:[0,1]
	v_mov_b32_e32 v148, v76
	v_fmac_f64_e32 v[188:189], v[174:175], v[176:177]
	v_pk_mov_b32 v[176:177], v[148:149], v[148:149] op_sel:[0,1]
	v_fmac_f64_e32 v[176:177], v[174:175], v[188:189]
	v_pk_mov_b32 v[188:189], v[60:61], v[60:61] op_sel:[0,1]
	;; [unrolled: 2-line block ×5, first 2 shown]
	v_fmac_f64_e32 v[190:191], v[174:175], v[188:189]
	v_mul_f64 v[176:177], v[174:175], v[176:177]
	v_fma_f64 v[188:189], v[174:175], v[190:191], 1.0
	v_div_scale_f64 v[190:191], s[82:83], v[188:189], v[188:189], v[176:177]
	v_rcp_f64_e32 v[192:193], v[190:191]
                                        ; implicit-def: $vgpr3
	v_fma_f64 v[194:195], -v[190:191], v[192:193], 1.0
	v_fmac_f64_e32 v[192:193], v[192:193], v[194:195]
	v_fma_f64 v[194:195], -v[190:191], v[192:193], 1.0
	v_fmac_f64_e32 v[192:193], v[192:193], v[194:195]
	v_div_scale_f64 v[194:195], vcc, v[176:177], v[188:189], v[176:177]
	v_mul_f64 v[196:197], v[194:195], v[192:193]
	v_fma_f64 v[190:191], -v[190:191], v[196:197], v[194:195]
	s_nop 1
	v_div_fmas_f64 v[190:191], v[190:191], v[192:193], v[196:197]
	v_div_fixup_f64 v[176:177], v[190:191], v[188:189], v[176:177]
	v_fmac_f64_e32 v[176:177], -0.5, v[174:175]
                                        ; implicit-def: $vgpr174_vgpr175
.LBB8_273:                              ;   in Loop: Header=BB8_145 Depth=1
	s_andn2_saveexec_b64 s[80:81], s[80:81]
	s_cbranch_execz .LBB8_279
; %bb.274:                              ;   in Loop: Header=BB8_145 Depth=1
	v_cmp_ne_u32_e32 vcc, 1, v3
                                        ; implicit-def: $vgpr176_vgpr177
	s_and_saveexec_b64 s[82:83], vcc
	s_xor_b64 s[82:83], exec, s[82:83]
	s_cbranch_execz .LBB8_276
; %bb.275:                              ;   in Loop: Header=BB8_145 Depth=1
	s_mov_b32 vcc_lo, 0x428cfa52
	v_mul_f64 v[176:177], v[174:175], v[174:175]
	v_pk_mov_b32 v[188:189], v[68:69], v[68:69] op_sel:[0,1]
	s_mov_b32 vcc_hi, 0x3efa7074
	v_fmac_f64_e32 v[188:189], vcc, v[176:177]
	v_pk_mov_b32 v[190:191], v[70:71], v[70:71] op_sel:[0,1]
	v_fmac_f64_e32 v[190:191], v[176:177], v[188:189]
	v_pk_mov_b32 v[188:189], v[72:73], v[72:73] op_sel:[0,1]
	v_fmac_f64_e32 v[188:189], v[176:177], v[190:191]
	;; [unrolled: 2-line block ×9, first 2 shown]
	v_mul_f64 v[176:177], v[176:177], v[190:191]
	v_fmac_f64_e32 v[176:177], v[174:175], v[188:189]
	v_fmac_f64_e32 v[176:177], -0.5, v[174:175]
                                        ; implicit-def: $vgpr174_vgpr175
.LBB8_276:                              ;   in Loop: Header=BB8_145 Depth=1
	s_andn2_saveexec_b64 s[82:83], s[82:83]
	s_cbranch_execz .LBB8_278
; %bb.277:                              ;   in Loop: Header=BB8_145 Depth=1
	v_mul_f64 v[176:177], v[174:175], v[174:175]
	v_mul_f64 v[188:189], v[174:175], v[176:177]
	v_pk_mov_b32 v[190:191], v[88:89], v[88:89] op_sel:[0,1]
	v_fmac_f64_e32 v[190:191], s[52:53], v[188:189]
	v_pk_mov_b32 v[192:193], v[90:91], v[90:91] op_sel:[0,1]
	v_fmac_f64_e32 v[192:193], v[188:189], v[190:191]
	v_pk_mov_b32 v[190:191], v[92:93], v[92:93] op_sel:[0,1]
	v_fmac_f64_e32 v[190:191], v[188:189], v[192:193]
	v_pk_mov_b32 v[192:193], v[94:95], v[94:95] op_sel:[0,1]
	v_fmac_f64_e32 v[192:193], v[188:189], v[190:191]
	v_pk_mov_b32 v[190:191], v[96:97], v[96:97] op_sel:[0,1]
	v_fmac_f64_e32 v[190:191], s[54:55], v[188:189]
	v_pk_mov_b32 v[194:195], v[98:99], v[98:99] op_sel:[0,1]
	v_fmac_f64_e32 v[194:195], v[188:189], v[190:191]
	v_pk_mov_b32 v[190:191], v[100:101], v[100:101] op_sel:[0,1]
	v_fmac_f64_e32 v[190:191], v[188:189], v[194:195]
	v_pk_mov_b32 v[194:195], v[102:103], v[102:103] op_sel:[0,1]
	v_fmac_f64_e32 v[194:195], v[188:189], v[190:191]
	v_pk_mov_b32 v[190:191], v[104:105], v[104:105] op_sel:[0,1]
	v_fmac_f64_e32 v[190:191], s[56:57], v[188:189]
	v_pk_mov_b32 v[196:197], v[106:107], v[106:107] op_sel:[0,1]
	v_fmac_f64_e32 v[196:197], v[188:189], v[190:191]
	v_pk_mov_b32 v[190:191], v[108:109], v[108:109] op_sel:[0,1]
	v_fmac_f64_e32 v[190:191], v[188:189], v[196:197]
	v_pk_mov_b32 v[196:197], v[110:111], v[110:111] op_sel:[0,1]
	v_fmac_f64_e32 v[196:197], v[188:189], v[190:191]
	v_fmac_f64_e32 v[194:195], v[174:175], v[196:197]
	v_fma_f64 v[174:175], v[188:189], -v[194:195], s[58:59]
	v_fma_f64 v[174:175], v[176:177], v[192:193], -v[174:175]
	v_add_f64 v[176:177], v[174:175], s[60:61]
.LBB8_278:                              ;   in Loop: Header=BB8_145 Depth=1
	s_or_b64 exec, exec, s[82:83]
.LBB8_279:                              ;   in Loop: Header=BB8_145 Depth=1
	s_or_b64 exec, exec, s[80:81]
	v_add_f64 v[172:173], v[172:173], v[176:177]
.LBB8_280:                              ;   in Loop: Header=BB8_145 Depth=1
	s_or_b64 exec, exec, s[78:79]
.LBB8_281:                              ;   in Loop: Header=BB8_145 Depth=1
	s_andn2_saveexec_b64 s[8:9], s[8:9]
	s_cbranch_execz .LBB8_283
; %bb.282:                              ;   in Loop: Header=BB8_145 Depth=1
	v_frexp_mant_f64_e64 v[174:175], |v[150:151]|
	v_cmp_gt_f64_e32 vcc, s[18:19], v[174:175]
	v_cndmask_b32_e64 v3, v184, 2.0, vcc
	v_mul_f64 v[174:175], v[174:175], v[2:3]
	v_add_f64 v[176:177], v[174:175], 1.0
	v_rcp_f64_e32 v[188:189], v[176:177]
	v_add_f64 v[192:193], v[176:177], -1.0
	v_add_f64 v[190:191], v[174:175], -1.0
	v_add_f64 v[174:175], v[174:175], -v[192:193]
	v_fma_f64 v[192:193], -v[176:177], v[188:189], 1.0
	v_fmac_f64_e32 v[188:189], v[192:193], v[188:189]
	v_fma_f64 v[192:193], -v[176:177], v[188:189], 1.0
	v_fmac_f64_e32 v[188:189], v[192:193], v[188:189]
	v_mul_f64 v[192:193], v[190:191], v[188:189]
	v_mul_f64 v[194:195], v[176:177], v[192:193]
	v_fma_f64 v[176:177], v[192:193], v[176:177], -v[194:195]
	v_fmac_f64_e32 v[176:177], v[192:193], v[174:175]
	v_add_f64 v[174:175], v[194:195], v[176:177]
	v_add_f64 v[196:197], v[190:191], -v[174:175]
	v_add_f64 v[194:195], v[174:175], -v[194:195]
	;; [unrolled: 1-line block ×5, first 2 shown]
	v_add_f64 v[174:175], v[176:177], v[174:175]
	v_add_f64 v[174:175], v[196:197], v[174:175]
	v_mul_f64 v[174:175], v[188:189], v[174:175]
	v_add_f64 v[176:177], v[192:193], v[174:175]
	v_add_f64 v[188:189], v[176:177], -v[192:193]
	v_add_f64 v[174:175], v[174:175], -v[188:189]
	v_mul_f64 v[188:189], v[176:177], v[176:177]
	v_pk_mov_b32 v[190:191], v[8:9], v[8:9] op_sel:[0,1]
	v_fmac_f64_e32 v[190:191], s[20:21], v[188:189]
	v_pk_mov_b32 v[192:193], v[10:11], v[10:11] op_sel:[0,1]
	v_fmac_f64_e32 v[192:193], v[188:189], v[190:191]
	v_pk_mov_b32 v[190:191], v[12:13], v[12:13] op_sel:[0,1]
	v_fmac_f64_e32 v[190:191], v[188:189], v[192:193]
	v_pk_mov_b32 v[192:193], v[14:15], v[14:15] op_sel:[0,1]
	v_fmac_f64_e32 v[192:193], v[188:189], v[190:191]
	v_pk_mov_b32 v[190:191], v[16:17], v[16:17] op_sel:[0,1]
	v_fmac_f64_e32 v[190:191], v[188:189], v[192:193]
	v_pk_mov_b32 v[192:193], v[18:19], v[18:19] op_sel:[0,1]
	v_fmac_f64_e32 v[192:193], v[188:189], v[190:191]
	v_ldexp_f64 v[190:191], v[176:177], 1
	v_mul_f64 v[176:177], v[176:177], v[188:189]
	v_mul_f64 v[176:177], v[176:177], v[192:193]
	v_add_f64 v[188:189], v[190:191], v[176:177]
	v_add_f64 v[190:191], v[188:189], -v[190:191]
	v_ldexp_f64 v[174:175], v[174:175], 1
	v_add_f64 v[176:177], v[176:177], -v[190:191]
	v_add_f64 v[174:175], v[174:175], v[176:177]
	v_frexp_exp_i32_f64_e32 v148, v[150:151]
	v_add_f64 v[176:177], v[188:189], v[174:175]
	v_subbrev_co_u32_e32 v3, vcc, 0, v148, vcc
	v_add_f64 v[188:189], v[176:177], -v[188:189]
	v_add_f64 v[174:175], v[174:175], -v[188:189]
	v_cvt_f64_i32_e32 v[188:189], v3
	v_mul_f64 v[190:191], v[188:189], s[22:23]
	v_fma_f64 v[192:193], v[188:189], s[22:23], -v[190:191]
	v_fmac_f64_e32 v[192:193], s[24:25], v[188:189]
	v_add_f64 v[188:189], v[190:191], v[192:193]
	v_add_f64 v[190:191], v[188:189], -v[190:191]
	v_add_f64 v[190:191], v[192:193], -v[190:191]
	v_add_f64 v[192:193], v[188:189], v[176:177]
	v_add_f64 v[194:195], v[192:193], -v[188:189]
	v_add_f64 v[196:197], v[192:193], -v[194:195]
	v_add_f64 v[188:189], v[188:189], -v[196:197]
	v_add_f64 v[176:177], v[176:177], -v[194:195]
	v_add_f64 v[176:177], v[176:177], v[188:189]
	v_add_f64 v[188:189], v[190:191], v[174:175]
	v_add_f64 v[194:195], v[188:189], -v[190:191]
	v_add_f64 v[196:197], v[188:189], -v[194:195]
	v_add_f64 v[176:177], v[188:189], v[176:177]
	v_add_f64 v[190:191], v[190:191], -v[196:197]
	v_add_f64 v[174:175], v[174:175], -v[194:195]
	v_add_f64 v[188:189], v[192:193], v[176:177]
	v_add_f64 v[174:175], v[174:175], v[190:191]
	v_add_f64 v[190:191], v[188:189], -v[192:193]
	v_add_f64 v[176:177], v[176:177], -v[190:191]
	v_fma_f64 v[172:173], |v[150:151]|, s[62:63], v[112:113]
	v_add_f64 v[174:175], v[174:175], v[176:177]
	v_fma_f64 v[172:173], |v[150:151]|, v[172:173], s[64:65]
	v_add_f64 v[174:175], v[188:189], v[174:175]
	v_cmp_class_f64_e64 vcc, v[150:151], s90
	v_fma_f64 v[172:173], |v[150:151]|, v[172:173], s[66:67]
	v_cndmask_b32_e32 v3, v174, v150, vcc
	v_cndmask_b32_e64 v148, -v175, -v171, vcc
	v_cmp_neq_f64_e32 vcc, 0, v[150:151]
	v_fma_f64 v[172:173], |v[150:151]|, v[172:173], s[68:69]
	v_cndmask_b32_e32 v175, v187, v148, vcc
	v_cndmask_b32_e32 v174, 0, v3, vcc
	v_fma_f64 v[172:173], |v[150:151]|, v[172:173], v[174:175]
.LBB8_283:                              ;   in Loop: Header=BB8_145 Depth=1
	s_or_b64 exec, exec, s[8:9]
	v_cmp_le_f64_e32 vcc, 0, v[150:151]
	s_and_saveexec_b64 s[8:9], vcc
	s_xor_b64 s[78:79], exec, s[8:9]
	s_cbranch_execnz .LBB8_289
; %bb.284:                              ;   in Loop: Header=BB8_145 Depth=1
	s_andn2_saveexec_b64 s[8:9], s[78:79]
	s_cbranch_execnz .LBB8_290
.LBB8_285:                              ;   in Loop: Header=BB8_145 Depth=1
	s_or_b64 exec, exec, s[8:9]
	s_and_saveexec_b64 s[8:9], s[6:7]
	s_xor_b64 s[78:79], exec, s[8:9]
	s_cbranch_execnz .LBB8_293
.LBB8_286:                              ;   in Loop: Header=BB8_145 Depth=1
	s_or_b64 exec, exec, s[78:79]
	s_and_saveexec_b64 s[8:9], s[4:5]
	s_cbranch_execnz .LBB8_294
.LBB8_287:                              ;   in Loop: Header=BB8_145 Depth=1
	s_or_b64 exec, exec, s[8:9]
	s_and_saveexec_b64 s[6:7], s[2:3]
	s_cbranch_execnz .LBB8_295
.LBB8_288:                              ;   in Loop: Header=BB8_145 Depth=1
	s_or_b64 exec, exec, s[6:7]
	s_and_saveexec_b64 s[4:5], s[0:1]
	s_cbranch_execz .LBB8_144
	s_branch .LBB8_296
.LBB8_289:                              ;   in Loop: Header=BB8_145 Depth=1
	v_cmp_eq_f64_e32 vcc, 1.0, v[150:151]
	v_cmp_eq_f64_e64 s[8:9], 2.0, v[150:151]
	s_or_b64 s[8:9], vcc, s[8:9]
	v_cndmask_b32_e64 v173, v173, 0, s[8:9]
	v_cndmask_b32_e64 v172, v172, 0, s[8:9]
	s_andn2_saveexec_b64 s[8:9], s[78:79]
	s_cbranch_execz .LBB8_285
.LBB8_290:                              ;   in Loop: Header=BB8_145 Depth=1
	v_add_u32_e32 v3, 0xc32fffff, v171
	v_cmp_gt_u32_e32 vcc, s26, v3
	s_and_saveexec_b64 s[78:79], vcc
	s_cbranch_execz .LBB8_292
; %bb.291:                              ;   in Loop: Header=BB8_145 Depth=1
	v_mul_f64 v[174:175], |v[150:151]|, 0.5
	v_fract_f64_e32 v[176:177], v[174:175]
	v_add_f64 v[176:177], v[176:177], v[176:177]
	v_cmp_neq_f64_e64 vcc, |v[174:175]|, s[70:71]
	v_cndmask_b32_e32 v3, 0, v176, vcc
	v_cndmask_b32_e32 v148, 0, v177, vcc
	v_cmp_gt_f64_e64 vcc, |v[150:151]|, 1.0
	v_cndmask_b32_e32 v175, v171, v148, vcc
	v_cndmask_b32_e32 v174, v150, v3, vcc
	v_add_f64 v[176:177], v[174:175], v[174:175]
	v_rndne_f64_e32 v[176:177], v[176:177]
	v_fmac_f64_e32 v[174:175], -0.5, v[176:177]
	v_cvt_i32_f64_e32 v3, v[176:177]
	v_mul_f64 v[176:177], v[174:175], v[174:175]
	v_pk_mov_b32 v[188:189], v[114:115], v[114:115] op_sel:[0,1]
	v_fmac_f64_e32 v[188:189], s[72:73], v[176:177]
	v_pk_mov_b32 v[190:191], v[116:117], v[116:117] op_sel:[0,1]
	v_fmac_f64_e32 v[190:191], v[176:177], v[188:189]
	;; [unrolled: 2-line block ×5, first 2 shown]
	v_mul_f64 v[190:191], v[174:175], v[176:177]
	v_mul_f64 v[188:189], v[190:191], v[188:189]
	v_fmac_f64_e32 v[188:189], s[74:75], v[174:175]
	v_pk_mov_b32 v[174:175], v[124:125], v[124:125] op_sel:[0,1]
	v_fmac_f64_e32 v[174:175], s[76:77], v[176:177]
	v_pk_mov_b32 v[190:191], v[126:127], v[126:127] op_sel:[0,1]
	;; [unrolled: 2-line block ×6, first 2 shown]
	v_fmac_f64_e32 v[190:191], v[176:177], v[174:175]
	v_and_b32_e32 v148, 1, v3
	v_lshlrev_b32_e32 v3, 30, v3
	v_fma_f64 v[174:175], v[176:177], v[190:191], 1.0
	v_cmp_eq_u32_e32 vcc, 0, v148
	v_xor_b32_e32 v3, v3, v151
	v_cndmask_b32_e32 v158, v175, v189, vcc
	v_and_b32_e32 v3, 0x80000000, v3
	v_cndmask_b32_e32 v148, v174, v188, vcc
	v_xor_b32_e32 v3, v158, v3
	v_cmp_class_f64_e64 vcc, v[150:151], s27
	v_cndmask_b32_e32 v174, 0, v148, vcc
	v_cndmask_b32_e32 v175, v186, v3, vcc
	v_mul_f64 v[174:175], v[150:151], v[174:175]
	v_and_b32_e32 v177, 0x7fffffff, v175
	v_mov_b32_e32 v176, v174
	v_div_scale_f64 v[188:189], s[80:81], v[176:177], v[176:177], s[74:75]
	v_rcp_f64_e32 v[190:191], v[188:189]
	v_div_scale_f64 v[176:177], vcc, s[74:75], v[176:177], s[74:75]
	v_cmp_class_f64_e64 s[80:81], v[150:151], s90
	v_fma_f64 v[192:193], -v[188:189], v[190:191], 1.0
	v_fmac_f64_e32 v[190:191], v[190:191], v[192:193]
	v_fma_f64 v[192:193], -v[188:189], v[190:191], 1.0
	v_fmac_f64_e32 v[190:191], v[190:191], v[192:193]
	v_mul_f64 v[192:193], v[176:177], v[190:191]
	v_fma_f64 v[176:177], -v[188:189], v[192:193], v[176:177]
	v_div_fmas_f64 v[176:177], v[176:177], v[190:191], v[192:193]
	v_div_fixup_f64 v[174:175], v[176:177], |v[174:175]|, s[74:75]
	v_frexp_mant_f64_e32 v[176:177], v[174:175]
	v_cmp_gt_f64_e32 vcc, s[18:19], v[176:177]
	v_cndmask_b32_e64 v3, v184, 2.0, vcc
	v_mul_f64 v[176:177], v[176:177], v[2:3]
	v_add_f64 v[188:189], v[176:177], 1.0
	v_rcp_f64_e32 v[190:191], v[188:189]
	v_add_f64 v[194:195], v[188:189], -1.0
	v_add_f64 v[192:193], v[176:177], -1.0
	v_add_f64 v[176:177], v[176:177], -v[194:195]
	v_fma_f64 v[194:195], -v[188:189], v[190:191], 1.0
	v_fmac_f64_e32 v[190:191], v[194:195], v[190:191]
	v_fma_f64 v[194:195], -v[188:189], v[190:191], 1.0
	v_fmac_f64_e32 v[190:191], v[194:195], v[190:191]
	v_mul_f64 v[194:195], v[192:193], v[190:191]
	v_mul_f64 v[196:197], v[188:189], v[194:195]
	v_fma_f64 v[188:189], v[194:195], v[188:189], -v[196:197]
	v_fmac_f64_e32 v[188:189], v[194:195], v[176:177]
	v_add_f64 v[176:177], v[196:197], v[188:189]
	v_add_f64 v[198:199], v[192:193], -v[176:177]
	v_add_f64 v[196:197], v[176:177], -v[196:197]
	;; [unrolled: 1-line block ×5, first 2 shown]
	v_add_f64 v[176:177], v[188:189], v[176:177]
	v_add_f64 v[176:177], v[198:199], v[176:177]
	v_mul_f64 v[176:177], v[190:191], v[176:177]
	v_add_f64 v[188:189], v[194:195], v[176:177]
	v_add_f64 v[190:191], v[188:189], -v[194:195]
	v_add_f64 v[176:177], v[176:177], -v[190:191]
	v_mul_f64 v[190:191], v[188:189], v[188:189]
	v_pk_mov_b32 v[192:193], v[8:9], v[8:9] op_sel:[0,1]
	v_fmac_f64_e32 v[192:193], s[20:21], v[190:191]
	v_pk_mov_b32 v[194:195], v[10:11], v[10:11] op_sel:[0,1]
	v_fmac_f64_e32 v[194:195], v[190:191], v[192:193]
	;; [unrolled: 2-line block ×6, first 2 shown]
	v_ldexp_f64 v[192:193], v[188:189], 1
	v_mul_f64 v[188:189], v[188:189], v[190:191]
	v_mul_f64 v[188:189], v[188:189], v[194:195]
	v_add_f64 v[190:191], v[192:193], v[188:189]
	v_add_f64 v[192:193], v[190:191], -v[192:193]
	v_ldexp_f64 v[176:177], v[176:177], 1
	v_add_f64 v[188:189], v[188:189], -v[192:193]
	v_add_f64 v[176:177], v[176:177], v[188:189]
	v_frexp_exp_i32_f64_e32 v148, v[174:175]
	v_add_f64 v[188:189], v[190:191], v[176:177]
	v_subbrev_co_u32_e32 v3, vcc, 0, v148, vcc
	v_add_f64 v[190:191], v[188:189], -v[190:191]
	v_add_f64 v[176:177], v[176:177], -v[190:191]
	v_cvt_f64_i32_e32 v[190:191], v3
	v_mul_f64 v[192:193], v[190:191], s[22:23]
	v_fma_f64 v[194:195], v[190:191], s[22:23], -v[192:193]
	v_fmac_f64_e32 v[194:195], s[24:25], v[190:191]
	v_add_f64 v[190:191], v[192:193], v[194:195]
	v_add_f64 v[192:193], v[190:191], -v[192:193]
	v_add_f64 v[192:193], v[194:195], -v[192:193]
	v_add_f64 v[194:195], v[190:191], v[188:189]
	v_add_f64 v[196:197], v[194:195], -v[190:191]
	v_add_f64 v[198:199], v[194:195], -v[196:197]
	;; [unrolled: 1-line block ×4, first 2 shown]
	v_add_f64 v[188:189], v[188:189], v[190:191]
	v_add_f64 v[190:191], v[192:193], v[176:177]
	v_add_f64 v[196:197], v[190:191], -v[192:193]
	v_add_f64 v[198:199], v[190:191], -v[196:197]
	v_add_f64 v[188:189], v[190:191], v[188:189]
	v_add_f64 v[192:193], v[192:193], -v[198:199]
	v_add_f64 v[176:177], v[176:177], -v[196:197]
	v_add_f64 v[190:191], v[194:195], v[188:189]
	v_add_f64 v[176:177], v[176:177], v[192:193]
	v_add_f64 v[192:193], v[190:191], -v[194:195]
	v_add_f64 v[188:189], v[188:189], -v[192:193]
	v_add_f64 v[176:177], v[176:177], v[188:189]
	v_add_f64 v[176:177], v[190:191], v[176:177]
	v_cmp_class_f64_e64 vcc, v[174:175], s90
	v_cndmask_b32_e32 v3, v176, v174, vcc
	v_cndmask_b32_e32 v148, v177, v175, vcc
	v_cmp_neq_f64_e32 vcc, 0, v[174:175]
	v_cndmask_b32_e32 v175, v185, v148, vcc
	v_cndmask_b32_e32 v174, 0, v3, vcc
	v_add_f64 v[172:173], v[174:175], -v[172:173]
	v_fract_f64_e32 v[174:175], v[150:151]
	v_cmp_eq_f64_e32 vcc, 0, v[174:175]
	s_or_b64 vcc, s[80:81], vcc
	v_cndmask_b32_e32 v173, v173, v187, vcc
	v_cndmask_b32_e64 v172, v172, 0, vcc
.LBB8_292:                              ;   in Loop: Header=BB8_145 Depth=1
	s_or_b64 exec, exec, s[78:79]
	s_or_b64 exec, exec, s[8:9]
	s_and_saveexec_b64 s[8:9], s[6:7]
	s_xor_b64 s[78:79], exec, s[8:9]
	s_cbranch_execz .LBB8_286
.LBB8_293:                              ;   in Loop: Header=BB8_145 Depth=1
	v_cmp_gt_f64_e64 s[6:7], 0, v[156:157]
	v_cmp_lt_u32_e64 s[8:9], s48, v159
	v_cmp_class_f64_e32 vcc, v[156:157], v183
	s_and_b64 s[6:7], s[6:7], s[8:9]
	s_or_b64 vcc, vcc, s[6:7]
	v_cndmask_b32_e64 v3, v160, 0, vcc
	v_cndmask_b32_e32 v148, v161, v187, vcc
	v_cmp_u_f64_e32 vcc, v[156:157], v[156:157]
	v_cndmask_b32_e32 v157, v148, v157, vcc
	v_cndmask_b32_e32 v156, v3, v156, vcc
	v_mov_b32_e32 v3, s11
	v_add_co_u32_e32 v158, vcc, s10, v144
	v_addc_co_u32_e32 v159, vcc, v143, v3, vcc
	global_store_dwordx2 v[158:159], v[156:157], off
	s_or_b64 exec, exec, s[78:79]
	s_and_saveexec_b64 s[8:9], s[4:5]
	s_cbranch_execz .LBB8_287
.LBB8_294:                              ;   in Loop: Header=BB8_145 Depth=1
	v_cmp_gt_f64_e64 s[4:5], 0, v[152:153]
	v_cmp_lt_u32_e64 s[6:7], s48, v163
	v_cmp_class_f64_e32 vcc, v[152:153], v183
	s_and_b64 s[4:5], s[4:5], s[6:7]
	s_or_b64 vcc, vcc, s[4:5]
	v_cndmask_b32_e64 v3, v164, 0, vcc
	v_cndmask_b32_e32 v148, v165, v187, vcc
	v_cmp_u_f64_e32 vcc, v[152:153], v[152:153]
	v_cndmask_b32_e32 v153, v148, v153, vcc
	v_cndmask_b32_e32 v152, v3, v152, vcc
	v_mov_b32_e32 v3, s11
	v_add_co_u32_e32 v156, vcc, s10, v146
	v_addc_co_u32_e32 v157, vcc, v145, v3, vcc
	global_store_dwordx2 v[156:157], v[152:153], off
	s_or_b64 exec, exec, s[8:9]
	s_and_saveexec_b64 s[6:7], s[2:3]
	s_cbranch_execz .LBB8_288
.LBB8_295:                              ;   in Loop: Header=BB8_145 Depth=1
	v_cmp_gt_f64_e64 s[2:3], 0, v[154:155]
	v_cmp_lt_u32_e64 s[4:5], s48, v167
	v_cmp_class_f64_e32 vcc, v[154:155], v183
	s_and_b64 s[2:3], s[2:3], s[4:5]
	s_or_b64 vcc, vcc, s[2:3]
	v_cndmask_b32_e64 v3, v168, 0, vcc
	v_cndmask_b32_e32 v148, v169, v187, vcc
	v_cmp_u_f64_e32 vcc, v[154:155], v[154:155]
	v_cndmask_b32_e32 v153, v148, v155, vcc
	v_cndmask_b32_e32 v152, v3, v154, vcc
	v_mov_b32_e32 v3, s11
	v_add_co_u32_e32 v154, vcc, s10, v138
	v_addc_co_u32_e32 v155, vcc, v137, v3, vcc
	global_store_dwordx2 v[154:155], v[152:153], off
	s_or_b64 exec, exec, s[6:7]
	s_and_saveexec_b64 s[4:5], s[0:1]
	s_cbranch_execz .LBB8_144
.LBB8_296:                              ;   in Loop: Header=BB8_145 Depth=1
	v_cmp_gt_f64_e64 s[0:1], 0, v[150:151]
	v_cmp_lt_u32_e64 s[2:3], s48, v171
	v_cmp_class_f64_e32 vcc, v[150:151], v183
	s_and_b64 s[0:1], s[0:1], s[2:3]
	s_or_b64 vcc, vcc, s[0:1]
	v_cndmask_b32_e64 v3, v172, 0, vcc
	v_cndmask_b32_e32 v148, v173, v187, vcc
	v_cmp_u_f64_e32 vcc, v[150:151], v[150:151]
	v_cndmask_b32_e32 v151, v148, v151, vcc
	v_cndmask_b32_e32 v150, v3, v150, vcc
	v_mov_b32_e32 v3, s11
	v_add_co_u32_e32 v152, vcc, s10, v6
	v_addc_co_u32_e32 v153, vcc, v5, v3, vcc
	global_store_dwordx2 v[152:153], v[150:151], off
	s_branch .LBB8_144
.LBB8_297:
	s_endpgm
	.section	.rodata,"a",@progbits
	.p2align	6, 0x0
	.amdhsa_kernel _ZN2at6native12_GLOBAL__N_125multi_tensor_apply_kernelINS1_18TensorListMetadataILi2EEENS1_14UnaryOpFunctorIdLi2ELi1ELi1EEEJNS0_6LgammaIdEEEEEvT_T0_DpT1_
		.amdhsa_group_segment_fixed_size 0
		.amdhsa_private_segment_fixed_size 0
		.amdhsa_kernarg_size 3408
		.amdhsa_user_sgpr_count 6
		.amdhsa_user_sgpr_private_segment_buffer 1
		.amdhsa_user_sgpr_dispatch_ptr 0
		.amdhsa_user_sgpr_queue_ptr 0
		.amdhsa_user_sgpr_kernarg_segment_ptr 1
		.amdhsa_user_sgpr_dispatch_id 0
		.amdhsa_user_sgpr_flat_scratch_init 0
		.amdhsa_user_sgpr_kernarg_preload_length 0
		.amdhsa_user_sgpr_kernarg_preload_offset 0
		.amdhsa_user_sgpr_private_segment_size 0
		.amdhsa_uses_dynamic_stack 0
		.amdhsa_system_sgpr_private_segment_wavefront_offset 0
		.amdhsa_system_sgpr_workgroup_id_x 1
		.amdhsa_system_sgpr_workgroup_id_y 0
		.amdhsa_system_sgpr_workgroup_id_z 0
		.amdhsa_system_sgpr_workgroup_info 0
		.amdhsa_system_vgpr_workitem_id 0
		.amdhsa_next_free_vgpr 200
		.amdhsa_next_free_sgpr 96
		.amdhsa_accum_offset 200
		.amdhsa_reserve_vcc 1
		.amdhsa_reserve_flat_scratch 0
		.amdhsa_float_round_mode_32 0
		.amdhsa_float_round_mode_16_64 0
		.amdhsa_float_denorm_mode_32 3
		.amdhsa_float_denorm_mode_16_64 3
		.amdhsa_dx10_clamp 1
		.amdhsa_ieee_mode 1
		.amdhsa_fp16_overflow 0
		.amdhsa_tg_split 0
		.amdhsa_exception_fp_ieee_invalid_op 0
		.amdhsa_exception_fp_denorm_src 0
		.amdhsa_exception_fp_ieee_div_zero 0
		.amdhsa_exception_fp_ieee_overflow 0
		.amdhsa_exception_fp_ieee_underflow 0
		.amdhsa_exception_fp_ieee_inexact 0
		.amdhsa_exception_int_div_zero 0
	.end_amdhsa_kernel
	.section	.text._ZN2at6native12_GLOBAL__N_125multi_tensor_apply_kernelINS1_18TensorListMetadataILi2EEENS1_14UnaryOpFunctorIdLi2ELi1ELi1EEEJNS0_6LgammaIdEEEEEvT_T0_DpT1_,"axG",@progbits,_ZN2at6native12_GLOBAL__N_125multi_tensor_apply_kernelINS1_18TensorListMetadataILi2EEENS1_14UnaryOpFunctorIdLi2ELi1ELi1EEEJNS0_6LgammaIdEEEEEvT_T0_DpT1_,comdat
.Lfunc_end8:
	.size	_ZN2at6native12_GLOBAL__N_125multi_tensor_apply_kernelINS1_18TensorListMetadataILi2EEENS1_14UnaryOpFunctorIdLi2ELi1ELi1EEEJNS0_6LgammaIdEEEEEvT_T0_DpT1_, .Lfunc_end8-_ZN2at6native12_GLOBAL__N_125multi_tensor_apply_kernelINS1_18TensorListMetadataILi2EEENS1_14UnaryOpFunctorIdLi2ELi1ELi1EEEJNS0_6LgammaIdEEEEEvT_T0_DpT1_
                                        ; -- End function
	.section	.AMDGPU.csdata,"",@progbits
; Kernel info:
; codeLenInByte = 50708
; NumSgprs: 100
; NumVgprs: 200
; NumAgprs: 0
; TotalNumVgprs: 200
; ScratchSize: 0
; MemoryBound: 1
; FloatMode: 240
; IeeeMode: 1
; LDSByteSize: 0 bytes/workgroup (compile time only)
; SGPRBlocks: 12
; VGPRBlocks: 24
; NumSGPRsForWavesPerEU: 100
; NumVGPRsForWavesPerEU: 200
; AccumOffset: 200
; Occupancy: 2
; WaveLimiterHint : 0
; COMPUTE_PGM_RSRC2:SCRATCH_EN: 0
; COMPUTE_PGM_RSRC2:USER_SGPR: 6
; COMPUTE_PGM_RSRC2:TRAP_HANDLER: 0
; COMPUTE_PGM_RSRC2:TGID_X_EN: 1
; COMPUTE_PGM_RSRC2:TGID_Y_EN: 0
; COMPUTE_PGM_RSRC2:TGID_Z_EN: 0
; COMPUTE_PGM_RSRC2:TIDIG_COMP_CNT: 0
; COMPUTE_PGM_RSRC3_GFX90A:ACCUM_OFFSET: 49
; COMPUTE_PGM_RSRC3_GFX90A:TG_SPLIT: 0
	.section	.text._ZN2at6native12_GLOBAL__N_125multi_tensor_apply_kernelINS1_18TensorListMetadataILi2EEENS1_14UnaryOpFunctorIfLi2ELi1ELi1EEEJNS0_6LgammaIfEEEEEvT_T0_DpT1_,"axG",@progbits,_ZN2at6native12_GLOBAL__N_125multi_tensor_apply_kernelINS1_18TensorListMetadataILi2EEENS1_14UnaryOpFunctorIfLi2ELi1ELi1EEEJNS0_6LgammaIfEEEEEvT_T0_DpT1_,comdat
	.globl	_ZN2at6native12_GLOBAL__N_125multi_tensor_apply_kernelINS1_18TensorListMetadataILi2EEENS1_14UnaryOpFunctorIfLi2ELi1ELi1EEEJNS0_6LgammaIfEEEEEvT_T0_DpT1_ ; -- Begin function _ZN2at6native12_GLOBAL__N_125multi_tensor_apply_kernelINS1_18TensorListMetadataILi2EEENS1_14UnaryOpFunctorIfLi2ELi1ELi1EEEJNS0_6LgammaIfEEEEEvT_T0_DpT1_
	.p2align	8
	.type	_ZN2at6native12_GLOBAL__N_125multi_tensor_apply_kernelINS1_18TensorListMetadataILi2EEENS1_14UnaryOpFunctorIfLi2ELi1ELi1EEEJNS0_6LgammaIfEEEEEvT_T0_DpT1_,@function
_ZN2at6native12_GLOBAL__N_125multi_tensor_apply_kernelINS1_18TensorListMetadataILi2EEENS1_14UnaryOpFunctorIfLi2ELi1ELi1EEEJNS0_6LgammaIfEEEEEvT_T0_DpT1_: ; @_ZN2at6native12_GLOBAL__N_125multi_tensor_apply_kernelINS1_18TensorListMetadataILi2EEENS1_14UnaryOpFunctorIfLi2ELi1ELi1EEEJNS0_6LgammaIfEEEEEvT_T0_DpT1_
; %bb.0:
	v_mov_b32_e32 v1, s6
	global_load_ubyte v1, v1, s[4:5] offset:1536
	s_add_u32 s0, s4, s6
	s_mul_hi_u32 s2, s6, 3
	s_mul_i32 s6, s6, 3
	s_addc_u32 s7, s5, 0
	s_add_u32 s6, s0, s6
	s_addc_u32 s7, s7, s2
	s_load_dword s6, s[6:7], 0x740
	s_mov_b32 s17, 0
	s_mov_b32 s3, s17
	;; [unrolled: 1-line block ×3, first 2 shown]
	s_waitcnt lgkmcnt(0)
	s_ashr_i32 s7, s6, 31
	s_lshl_b64 s[18:19], s[6:7], 18
	s_waitcnt vmcnt(0)
	v_readfirstlane_b32 s0, v1
	s_lshl_b32 s0, s0, 3
	s_load_dwordx2 s[14:15], s[4:5], s0 offset:0x0
	s_load_dwordx2 s[8:9], s[4:5], s0 offset:0x400
	;; [unrolled: 1-line block ×3, first 2 shown]
	s_waitcnt lgkmcnt(0)
	s_add_u32 s33, s14, s18
	s_addc_u32 s38, s15, s19
	s_and_b32 s16, s33, 15
	s_add_u32 s39, s12, s18
	s_addc_u32 s40, s13, s19
	s_and_b32 s2, s8, 3
	s_and_b32 s0, s39, 15
	s_or_b64 s[2:3], s[16:17], s[2:3]
	s_or_b64 s[0:1], s[0:1], s[2:3]
	s_lshl_b64 s[2:3], s[6:7], 16
	s_sub_u32 s20, s8, s2
	s_subb_u32 s21, s9, s3
	s_cmp_eq_u64 s[0:1], 0
	s_mov_b64 s[0:1], -1
	s_cbranch_scc0 .LBB9_157
; %bb.1:
	v_mov_b32_e32 v7, 0
	v_lshlrev_b32_e32 v6, 2, v0
	v_cmp_gt_i64_e32 vcc, s[20:21], v[6:7]
	s_and_saveexec_b64 s[22:23], vcc
	s_cbranch_execz .LBB9_156
; %bb.2:
	s_load_dword s0, s[4:5], 0xc5c
	s_mov_b32 s26, 2.0
	v_lshlrev_b32_e32 v8, 4, v0
	s_mov_b64 s[24:25], 0
	s_mov_b32 s42, 0x3c800000
	s_waitcnt lgkmcnt(0)
	s_and_b32 s0, s0, 0xffff
	v_add_lshl_u32 v6, v0, s0, 2
	s_lshl_b32 s16, s0, 2
	s_lshl_b32 s41, s0, 4
	s_mov_b32 s27, 0x40400000
	s_mov_b32 s43, 0x41000000
	;; [unrolled: 1-line block ×6, first 2 shown]
	v_mov_b32_e32 v1, 0xba1c065c
	v_mov_b32_e32 v9, 0x3a500cfd
	;; [unrolled: 1-line block ×14, first 2 shown]
	s_mov_b32 s48, 0x3f666666
	s_mov_b32 s49, 0x3f3b4a23
	;; [unrolled: 1-line block ×7, first 2 shown]
	v_mov_b32_e32 v22, 0x3f7a4bb2
	v_mov_b32_e32 v23, 0x3fba3ae7
	;; [unrolled: 1-line block ×15, first 2 shown]
	s_mov_b32 s55, 0xa2863e55
	v_mov_b32_e32 v37, 0x3a9c54a1
	v_mov_b32_e32 v38, 0x3bf2027e
	;; [unrolled: 1-line block ×8, first 2 shown]
	s_mov_b32 s56, 0x3e8a8991
	s_mov_b32 s57, 0x3f528d33
	;; [unrolled: 1-line block ×5, first 2 shown]
	v_mov_b32_e32 v45, 0x40234736
	v_mov_b32_e32 v46, 0xc0a55e0e
	;; [unrolled: 1-line block ×6, first 2 shown]
	s_mov_b64 s[28:29], 0xffff
	v_mov_b32_e32 v51, 0x4f800000
	v_mov_b32_e32 v52, 0x41b17218
	;; [unrolled: 1-line block ×4, first 2 shown]
	s_branch .LBB9_4
.LBB9_3:                                ;   in Loop: Header=BB9_4 Depth=1
	s_or_b64 exec, exec, s[30:31]
	v_cmp_lt_f32_e64 s[8:9], |v4|, s59
	s_or_b64 s[2:3], s[2:3], s[8:9]
	v_cndmask_b32_e64 v57, v54, v57, s[2:3]
	v_cmp_class_f32_e64 s[2:3], v4, v50
	v_cndmask_b32_e64 v57, v57, v54, s[2:3]
	v_cmp_u_f32_e64 s[2:3], v4, v4
	v_cndmask_b32_e64 v4, v57, v4, s[2:3]
	v_cmp_lt_f32_e64 s[2:3], |v3|, s59
	s_or_b64 s[0:1], s[0:1], s[2:3]
	v_cndmask_b32_e64 v56, v54, v56, s[0:1]
	v_cmp_class_f32_e64 s[0:1], v3, v50
	v_cndmask_b32_e64 v56, v56, v54, s[0:1]
	v_cmp_u_f32_e64 s[0:1], v3, v3
	v_cndmask_b32_e64 v3, v56, v3, s[0:1]
	v_cmp_lt_f32_e64 s[0:1], |v2|, s59
	s_or_b64 vcc, vcc, s[0:1]
	v_cndmask_b32_e32 v55, v54, v55, vcc
	v_cmp_class_f32_e32 vcc, v2, v50
	v_cndmask_b32_e32 v55, v55, v54, vcc
	v_cmp_u_f32_e32 vcc, v2, v2
	v_cmp_lt_f32_e64 s[0:1], |v5|, s59
	v_cndmask_b32_e32 v2, v55, v2, vcc
	s_or_b64 vcc, s[6:7], s[0:1]
	v_cndmask_b32_e32 v55, v54, v59, vcc
	v_cmp_class_f32_e32 vcc, v5, v50
	v_cndmask_b32_e32 v55, v55, v54, vcc
	v_cmp_u_f32_e32 vcc, v5, v5
	v_cndmask_b32_e32 v5, v55, v5, vcc
	v_mov_b32_e32 v55, s40
	v_add_co_u32_e32 v56, vcc, s39, v8
	v_addc_co_u32_e32 v57, vcc, 0, v55, vcc
	v_cmp_le_i64_e32 vcc, s[20:21], v[6:7]
	v_cmp_lt_u64_e64 s[0:1], s[28:29], v[6:7]
	s_or_b64 s[0:1], vcc, s[0:1]
	s_add_u32 s33, s33, s41
	s_addc_u32 s38, s38, 0
	s_add_u32 s39, s39, s41
	s_addc_u32 s40, s40, 0
	global_store_dwordx4 v[56:57], v[2:5], off
	s_and_b64 s[0:1], exec, s[0:1]
	v_mov_b32_e32 v2, s17
	v_add_co_u32_e32 v6, vcc, s16, v6
	s_or_b64 s[24:25], s[0:1], s[24:25]
	v_addc_co_u32_e32 v7, vcc, v7, v2, vcc
	s_andn2_b64 exec, exec, s[24:25]
	s_cbranch_execz .LBB9_156
.LBB9_4:                                ; =>This Inner Loop Header: Depth=1
	v_mov_b32_e32 v3, s38
	v_add_co_u32_e32 v2, vcc, s33, v8
	v_addc_co_u32_e32 v3, vcc, 0, v3, vcc
	global_load_dwordx4 v[2:5], v[2:3], off
                                        ; implicit-def: $vgpr55
	s_waitcnt vmcnt(0)
	v_and_b32_e32 v56, 0x7fffffff, v2
	v_cmp_nlt_f32_e64 s[0:1], |v2|, s42
	s_and_saveexec_b64 s[2:3], s[0:1]
	s_xor_b64 s[2:3], exec, s[2:3]
	s_cbranch_execz .LBB9_34
; %bb.5:                                ;   in Loop: Header=BB9_4 Depth=1
	v_cmp_nlt_f32_e64 s[0:1], |v2|, 2.0
                                        ; implicit-def: $vgpr55
	s_and_saveexec_b64 s[6:7], s[0:1]
	s_xor_b64 s[6:7], exec, s[6:7]
	s_cbranch_execz .LBB9_15
; %bb.6:                                ;   in Loop: Header=BB9_4 Depth=1
	v_cmp_nlt_f32_e64 s[0:1], |v2|, s43
                                        ; implicit-def: $vgpr55
	s_and_saveexec_b64 s[8:9], s[0:1]
	s_xor_b64 s[8:9], exec, s[8:9]
	s_cbranch_execz .LBB9_12
; %bb.7:                                ;   in Loop: Header=BB9_4 Depth=1
	v_cmp_nlt_f32_e64 s[0:1], |v2|, s44
                                        ; implicit-def: $vgpr55
	s_and_saveexec_b64 s[10:11], s[0:1]
	s_xor_b64 s[10:11], exec, s[10:11]
	s_cbranch_execz .LBB9_9
; %bb.8:                                ;   in Loop: Header=BB9_4 Depth=1
	v_cmp_lt_f32_e64 vcc, |v2|, s45
	v_cndmask_b32_e32 v55, 1.0, v51, vcc
	v_mul_f32_e64 v55, |v2|, v55
	v_log_f32_e32 v55, v55
	v_mul_f32_e32 v57, 0x3f317217, v55
	v_fma_f32 v58, v55, s46, -v57
	v_fmac_f32_e32 v58, 0x3377d1cf, v55
	v_add_f32_e32 v57, v57, v58
	v_cmp_lt_f32_e64 s[0:1], |v55|, s47
	v_cndmask_b32_e64 v55, v55, v57, s[0:1]
	v_cndmask_b32_e32 v57, 0, v52, vcc
	v_sub_f32_e32 v55, v55, v57
	v_fma_f32 v55, |v2|, v55, -|v2|
.LBB9_9:                                ;   in Loop: Header=BB9_4 Depth=1
	s_andn2_saveexec_b64 s[10:11], s[10:11]
	s_cbranch_execz .LBB9_11
; %bb.10:                               ;   in Loop: Header=BB9_4 Depth=1
	v_rcp_f32_e64 v55, |v2|
	v_cmp_lt_f32_e64 vcc, |v2|, s45
	v_cndmask_b32_e32 v58, 1.0, v51, vcc
	v_mov_b32_e32 v57, 0x3a5b3dd2
	v_mul_f32_e32 v59, v55, v55
	v_mul_f32_e64 v58, |v2|, v58
	v_fmac_f32_e32 v57, 0xbad5c4e8, v59
	v_log_f32_e32 v58, v58
	v_fma_f32 v57, v59, v57, v1
	v_fma_f32 v57, v59, v57, v9
	;; [unrolled: 1-line block ×4, first 2 shown]
	v_mul_f32_e32 v59, 0x3f317217, v58
	v_fma_f32 v60, v58, s46, -v59
	v_fmac_f32_e32 v60, 0x3377d1cf, v58
	v_add_f32_e32 v59, v59, v60
	v_cmp_lt_f32_e64 s[0:1], |v58|, s47
	v_cndmask_b32_e64 v58, v58, v59, s[0:1]
	v_cndmask_b32_e32 v59, 0, v52, vcc
	v_sub_f32_e32 v58, v58, v59
	v_fma_f32 v55, v55, v57, v12
	v_add_f32_e64 v57, |v2|, -0.5
	v_add_f32_e32 v58, -1.0, v58
	v_fmac_f32_e32 v55, v57, v58
.LBB9_11:                               ;   in Loop: Header=BB9_4 Depth=1
	s_or_b64 exec, exec, s[10:11]
.LBB9_12:                               ;   in Loop: Header=BB9_4 Depth=1
	s_andn2_saveexec_b64 s[8:9], s[8:9]
	s_cbranch_execz .LBB9_14
; %bb.13:                               ;   in Loop: Header=BB9_4 Depth=1
	v_cvt_i32_f32_e32 v55, v56
	v_mov_b32_e32 v59, 0x3af135b4
	v_mov_b32_e32 v60, 0x3a4beed6
	v_cvt_f32_i32_e32 v57, v55
	v_cmp_lt_i32_e32 vcc, 3, v55
	v_sub_f32_e64 v58, |v2|, v57
	v_fmac_f32_e32 v59, 0x3805ff67, v58
	v_fmac_f32_e32 v60, 0x36f5d7bd, v58
	v_fma_f32 v57, v58, v59, v13
	v_fma_f32 v59, v58, v60, v18
	;; [unrolled: 1-line block ×5, first 2 shown]
	v_fma_f32 v59, v58, v59, 1.0
	v_rcp_f32_e32 v59, v59
	v_add_f32_e32 v62, 4.0, v58
	v_add_f32_e32 v63, 0x40a00000, v58
	v_add_f32_e32 v64, 0x40c00000, v58
	v_pk_add_f32 v[60:61], v[58:59], s[26:27] op_sel_hi:[0,1]
	v_cndmask_b32_e32 v61, 1.0, v61, vcc
	v_cmp_lt_i32_e32 vcc, 2, v55
	v_cndmask_b32_e32 v60, 1.0, v60, vcc
	v_cmp_lt_i32_e32 vcc, 4, v55
	v_mul_f32_e32 v60, v60, v61
	v_cndmask_b32_e32 v61, 1.0, v62, vcc
	v_cmp_lt_i32_e32 vcc, 5, v55
	v_mul_f32_e32 v60, v61, v60
	v_cndmask_b32_e32 v61, 1.0, v63, vcc
	v_cmp_lt_i32_e32 vcc, 6, v55
	v_mul_f32_e32 v60, v61, v60
	v_cndmask_b32_e32 v55, 1.0, v64, vcc
	v_mul_f32_e32 v55, v55, v60
	v_cmp_gt_f32_e32 vcc, s45, v55
	v_fma_f32 v57, v58, v57, v14
	v_cndmask_b32_e32 v60, 1.0, v51, vcc
	v_fma_f32 v57, v58, v57, v15
	v_mul_f32_e32 v55, v55, v60
	v_fma_f32 v57, v58, v57, v16
	v_log_f32_e32 v55, v55
	v_fma_f32 v57, v58, v57, v17
	v_mul_f32_e32 v57, v58, v57
	v_mul_f32_e32 v57, v57, v59
	v_fmac_f32_e32 v57, 0.5, v58
	v_mul_f32_e32 v58, 0x3f317217, v55
	v_fma_f32 v59, v55, s46, -v58
	v_fmac_f32_e32 v59, 0x3377d1cf, v55
	v_add_f32_e32 v58, v58, v59
	v_cmp_lt_f32_e64 s[0:1], |v55|, s47
	v_cndmask_b32_e64 v55, v55, v58, s[0:1]
	v_cndmask_b32_e32 v58, 0, v52, vcc
	v_sub_f32_e32 v55, v55, v58
	v_add_f32_e32 v55, v55, v57
.LBB9_14:                               ;   in Loop: Header=BB9_4 Depth=1
	s_or_b64 exec, exec, s[8:9]
.LBB9_15:                               ;   in Loop: Header=BB9_4 Depth=1
	s_andn2_saveexec_b64 s[0:1], s[6:7]
	s_cbranch_execz .LBB9_33
; %bb.16:                               ;   in Loop: Header=BB9_4 Depth=1
	v_cmp_le_f32_e64 s[6:7], |v2|, s48
                                        ; implicit-def: $vgpr55
                                        ; implicit-def: $vgpr58
                                        ; implicit-def: $vgpr57
	s_and_saveexec_b64 s[8:9], s[6:7]
	s_xor_b64 s[6:7], exec, s[8:9]
	s_cbranch_execz .LBB9_18
; %bb.17:                               ;   in Loop: Header=BB9_4 Depth=1
	v_cmp_lt_f32_e64 vcc, |v2|, s45
	v_cndmask_b32_e32 v55, 1.0, v51, vcc
	v_mul_f32_e64 v55, |v2|, v55
	v_log_f32_e32 v55, v55
	v_cndmask_b32_e32 v57, 0, v52, vcc
	v_cmp_lt_f32_e64 s[8:9], |v2|, s51
	v_mul_f32_e32 v58, 0x3f317217, v55
	v_fma_f32 v59, v55, s46, -v58
	v_fmac_f32_e32 v59, 0x3377d1cf, v55
	v_add_f32_e32 v58, v58, v59
	v_cmp_lt_f32_e64 vcc, |v55|, s47
	v_cndmask_b32_e32 v55, v55, v58, vcc
	v_sub_f32_e32 v55, v55, v57
	v_sub_f32_e64 v57, 1.0, |v2|
	v_add_f32_e64 v58, |v2|, s50
	v_cmp_lt_f32_e64 vcc, |v2|, s49
	v_cndmask_b32_e32 v57, v57, v58, vcc
	v_cndmask_b32_e64 v58, 0, 1, vcc
	v_xor_b32_e32 v55, 0x80000000, v55
	v_cndmask_b32_e64 v57, v57, |v2|, s[8:9]
	v_cndmask_b32_e64 v58, v58, 2, s[8:9]
.LBB9_18:                               ;   in Loop: Header=BB9_4 Depth=1
	s_andn2_saveexec_b64 s[6:7], s[6:7]
; %bb.19:                               ;   in Loop: Header=BB9_4 Depth=1
	v_sub_f32_e64 v55, 2.0, |v2|
	v_add_f32_e64 v57, |v2|, s53
	v_cmp_lt_f32_e64 vcc, |v2|, s52
	v_cndmask_b32_e32 v57, v55, v57, vcc
	v_cndmask_b32_e64 v55, v55, 1.0, vcc
	v_cvt_i32_f32_e32 v55, v55
	v_add_f32_e64 v58, |v2|, -1.0
	v_cmp_lt_f32_e64 vcc, |v2|, s54
	v_cndmask_b32_e32 v57, v57, v58, vcc
	v_cndmask_b32_e64 v58, v55, 2, vcc
	v_mov_b32_e32 v55, 0
; %bb.20:                               ;   in Loop: Header=BB9_4 Depth=1
	s_or_b64 exec, exec, s[6:7]
	v_cmp_lt_i32_e32 vcc, 0, v58
	s_and_saveexec_b64 s[6:7], vcc
	s_xor_b64 s[6:7], exec, s[6:7]
	s_cbranch_execz .LBB9_28
; %bb.21:                               ;   in Loop: Header=BB9_4 Depth=1
	v_cmp_lt_i32_e32 vcc, 1, v58
	s_and_saveexec_b64 s[8:9], vcc
	s_xor_b64 s[8:9], exec, s[8:9]
	s_cbranch_execz .LBB9_25
; %bb.22:                               ;   in Loop: Header=BB9_4 Depth=1
	v_cmp_eq_u32_e32 vcc, 2, v58
	s_and_saveexec_b64 s[10:11], vcc
	s_cbranch_execz .LBB9_24
; %bb.23:                               ;   in Loop: Header=BB9_4 Depth=1
	v_mov_b32_e32 v59, 0x3dd572af
	v_fmac_f32_e32 v59, 0x3b52d5db, v57
	v_fma_f32 v59, v57, v59, v25
	v_mov_b32_e32 v58, 0x3e6a7578
	v_fma_f32 v59, v57, v59, v26
	v_fmac_f32_e32 v58, 0x3c5b3c5e, v57
	v_fma_f32 v59, v57, v59, v27
	v_fma_f32 v58, v57, v58, v22
	v_fma_f32 v59, v57, v59, 1.0
	v_fma_f32 v58, v57, v58, v23
	v_rcp_f32_e32 v59, v59
	v_fma_f32 v58, v57, v58, v24
	v_fma_f32 v58, v57, v58, v17
	v_mul_f32_e32 v58, v57, v58
	v_mul_f32_e32 v58, v58, v59
	v_fmac_f32_e32 v58, -0.5, v57
	v_add_f32_e32 v55, v55, v58
.LBB9_24:                               ;   in Loop: Header=BB9_4 Depth=1
	s_or_b64 exec, exec, s[10:11]
                                        ; implicit-def: $vgpr57
.LBB9_25:                               ;   in Loop: Header=BB9_4 Depth=1
	s_andn2_saveexec_b64 s[8:9], s[8:9]
	s_cbranch_execz .LBB9_27
; %bb.26:                               ;   in Loop: Header=BB9_4 Depth=1
	v_mul_f32_e32 v58, v57, v57
	v_mul_f32_e32 v59, v57, v58
	v_mov_b32_e32 v61, 0x3a66f867
	v_mov_b32_e32 v62, 0xba0d3085
	v_fmac_f32_e32 v61, 0xb9a3f927, v59
	v_fmac_f32_e32 v62, 0x39afe9f7, v59
	v_mov_b32_e32 v60, 0xbab7f476
	v_fma_f32 v61, v59, v61, v31
	v_fma_f32 v62, v59, v62, v34
	v_fmac_f32_e32 v60, 0x39a57b6b, v59
	v_fma_f32 v61, v59, v61, v32
	v_fma_f32 v62, v59, v62, v35
	;; [unrolled: 1-line block ×6, first 2 shown]
	v_fmac_f32_e32 v61, v57, v62
	v_fma_f32 v60, v59, v60, v30
	v_fma_f32 v57, v59, -v61, s55
	v_fma_f32 v57, v58, v60, -v57
	v_add_f32_e32 v57, 0xbdf8cdce, v57
	v_add_f32_e32 v55, v55, v57
.LBB9_27:                               ;   in Loop: Header=BB9_4 Depth=1
	s_or_b64 exec, exec, s[8:9]
                                        ; implicit-def: $vgpr58
                                        ; implicit-def: $vgpr57
.LBB9_28:                               ;   in Loop: Header=BB9_4 Depth=1
	s_andn2_saveexec_b64 s[6:7], s[6:7]
	s_cbranch_execz .LBB9_32
; %bb.29:                               ;   in Loop: Header=BB9_4 Depth=1
	v_cmp_eq_u32_e32 vcc, 0, v58
	s_and_saveexec_b64 s[8:9], vcc
	s_cbranch_execz .LBB9_31
; %bb.30:                               ;   in Loop: Header=BB9_4 Depth=1
	v_mul_f32_e32 v58, v57, v57
	v_mov_b32_e32 v60, 0x38e28445
	v_mov_b32_e32 v59, 0x39679767
	v_fmac_f32_e32 v60, 0x383c2c75, v58
	v_fmac_f32_e32 v59, 0x37d383a2, v58
	v_fma_f32 v60, v58, v60, v41
	v_fma_f32 v59, v58, v59, v37
	;; [unrolled: 1-line block ×8, first 2 shown]
	v_mul_f32_e32 v58, v58, v60
	v_fmac_f32_e32 v58, v57, v59
	v_fmac_f32_e32 v58, -0.5, v57
	v_add_f32_e32 v55, v55, v58
.LBB9_31:                               ;   in Loop: Header=BB9_4 Depth=1
	s_or_b64 exec, exec, s[8:9]
.LBB9_32:                               ;   in Loop: Header=BB9_4 Depth=1
	s_or_b64 exec, exec, s[6:7]
.LBB9_33:                               ;   in Loop: Header=BB9_4 Depth=1
	s_or_b64 exec, exec, s[0:1]
.LBB9_34:                               ;   in Loop: Header=BB9_4 Depth=1
	s_andn2_saveexec_b64 s[2:3], s[2:3]
	s_cbranch_execz .LBB9_36
; %bb.35:                               ;   in Loop: Header=BB9_4 Depth=1
	v_cmp_lt_f32_e64 vcc, |v2|, s45
	v_cndmask_b32_e32 v55, 1.0, v51, vcc
	v_mul_f32_e64 v55, |v2|, v55
	v_log_f32_e32 v55, v55
	v_fma_f32 v57, |v2|, s56, v53
	v_fma_f32 v57, |v2|, v57, s57
	;; [unrolled: 1-line block ×3, first 2 shown]
	v_mul_f32_e32 v58, 0x3f317217, v55
	v_fma_f32 v59, v55, s46, -v58
	v_fmac_f32_e32 v59, 0x3377d1cf, v55
	v_add_f32_e32 v58, v58, v59
	v_cmp_lt_f32_e64 s[0:1], |v55|, s47
	v_cndmask_b32_e64 v55, v55, v58, s[0:1]
	v_cndmask_b32_e32 v58, 0, v52, vcc
	v_sub_f32_e32 v55, v55, v58
	v_fma_f32 v55, |v2|, v57, -v55
.LBB9_36:                               ;   in Loop: Header=BB9_4 Depth=1
	s_or_b64 exec, exec, s[2:3]
	v_cmp_le_f32_e32 vcc, 0, v2
	v_cmp_nle_f32_e64 s[0:1], 0, v2
	s_and_saveexec_b64 s[2:3], s[0:1]
	s_xor_b64 s[6:7], exec, s[2:3]
	s_cbranch_execz .LBB9_40
; %bb.37:                               ;   in Loop: Header=BB9_4 Depth=1
	v_cmp_lt_f32_e64 s[0:1], |v2|, s59
	v_cmp_gt_f32_e64 s[2:3], |v2|, s60
	s_and_b64 s[0:1], s[0:1], s[2:3]
	s_and_saveexec_b64 s[8:9], s[0:1]
	s_cbranch_execz .LBB9_39
; %bb.38:                               ;   in Loop: Header=BB9_4 Depth=1
	v_mul_f32_e64 v57, |v2|, 0.5
	v_floor_f32_e32 v58, v57
	v_sub_f32_e32 v58, v57, v58
	v_min_f32_e32 v58, 0x3f7fffff, v58
	v_add_f32_e32 v58, v58, v58
	v_cmp_neq_f32_e64 s[0:1], s47, v57
	v_cndmask_b32_e64 v57, 0, v58, s[0:1]
	v_cmp_gt_f32_e64 s[0:1], |v2|, 1.0
	v_cndmask_b32_e64 v57, |v2|, v57, s[0:1]
	v_add_f32_e32 v58, v57, v57
	v_rndne_f32_e32 v58, v58
	v_fmac_f32_e32 v57, -0.5, v58
	v_mul_f32_e32 v59, v57, v57
	v_mov_b32_e32 v60, 0xbf1f24be
	v_fmac_f32_e32 v60, 0x3e75aa41, v59
	v_fma_f32 v60, v59, v60, v45
	v_fma_f32 v60, v59, v60, v46
	v_mul_f32_e32 v61, v57, v59
	v_mul_f32_e32 v60, v61, v60
	v_fmac_f32_e32 v60, 0x40490fdb, v57
	v_mov_b32_e32 v57, 0x3e642e9d
	v_cvt_i32_f32_e32 v58, v58
	v_fmac_f32_e32 v57, 0x3d4be544, v59
	v_fma_f32 v57, v59, v57, v47
	v_fma_f32 v57, v59, v57, v48
	;; [unrolled: 1-line block ×3, first 2 shown]
	v_fma_f32 v57, v59, v57, 1.0
	v_and_b32_e32 v59, 1, v58
	v_lshlrev_b32_e32 v58, 30, v58
	v_cmp_eq_u32_e64 s[0:1], 0, v59
	v_and_b32_e32 v58, 0x80000000, v58
	v_xor_b32_e32 v56, v56, v2
	v_cndmask_b32_e64 v57, v57, v60, s[0:1]
	v_xor_b32_e32 v56, v56, v58
	v_xor_b32_e32 v56, v56, v57
	v_mul_f32_e32 v56, v2, v56
	v_frexp_mant_f32_e64 v57, |v56|
	v_rcp_f32_e32 v57, v57
	v_frexp_exp_i32_f32_e32 v56, v56
	v_sub_u32_e32 v56, 2, v56
	v_mul_f32_e32 v57, 0x3f490fdb, v57
	v_ldexp_f32 v56, v57, v56
	v_cmp_gt_f32_e64 s[0:1], s45, v56
	v_cndmask_b32_e64 v57, 1.0, v51, s[0:1]
	v_mul_f32_e32 v56, v56, v57
	v_log_f32_e32 v56, v56
	v_mul_f32_e32 v57, 0x3f317217, v56
	v_fma_f32 v58, v56, s46, -v57
	v_fmac_f32_e32 v58, 0x3377d1cf, v56
	v_add_f32_e32 v57, v57, v58
	v_cmp_lt_f32_e64 s[2:3], |v56|, s47
	v_cndmask_b32_e64 v56, v56, v57, s[2:3]
	v_cndmask_b32_e64 v57, 0, v52, s[0:1]
	v_sub_f32_e32 v56, v56, v57
	v_sub_f32_e32 v55, v56, v55
	v_floor_f32_e32 v56, v2
	v_sub_f32_e32 v56, v2, v56
	v_min_f32_e32 v56, 0x3f7fffff, v56
	v_cmp_neq_f32_e64 s[0:1], 0, v56
	v_cndmask_b32_e64 v55, v54, v55, s[0:1]
.LBB9_39:                               ;   in Loop: Header=BB9_4 Depth=1
	s_or_b64 exec, exec, s[8:9]
.LBB9_40:                               ;   in Loop: Header=BB9_4 Depth=1
	s_andn2_saveexec_b64 s[6:7], s[6:7]
; %bb.41:                               ;   in Loop: Header=BB9_4 Depth=1
	v_cmp_eq_f32_e64 s[0:1], 1.0, v2
	v_cmp_eq_f32_e64 s[2:3], 2.0, v2
	s_or_b64 s[0:1], s[0:1], s[2:3]
	v_cndmask_b32_e64 v55, v55, 0, s[0:1]
; %bb.42:                               ;   in Loop: Header=BB9_4 Depth=1
	s_or_b64 exec, exec, s[6:7]
	v_and_b32_e32 v57, 0x7fffffff, v3
	v_cmp_nlt_f32_e64 s[0:1], |v3|, s42
                                        ; implicit-def: $vgpr56
	s_and_saveexec_b64 s[2:3], s[0:1]
	s_xor_b64 s[6:7], exec, s[2:3]
	s_cbranch_execz .LBB9_72
; %bb.43:                               ;   in Loop: Header=BB9_4 Depth=1
	v_cmp_nlt_f32_e64 s[0:1], |v3|, 2.0
                                        ; implicit-def: $vgpr56
	s_and_saveexec_b64 s[2:3], s[0:1]
	s_xor_b64 s[8:9], exec, s[2:3]
	s_cbranch_execz .LBB9_53
; %bb.44:                               ;   in Loop: Header=BB9_4 Depth=1
	v_cmp_nlt_f32_e64 s[0:1], |v3|, s43
                                        ; implicit-def: $vgpr56
	s_and_saveexec_b64 s[2:3], s[0:1]
	s_xor_b64 s[10:11], exec, s[2:3]
	s_cbranch_execz .LBB9_50
; %bb.45:                               ;   in Loop: Header=BB9_4 Depth=1
	v_cmp_nlt_f32_e64 s[0:1], |v3|, s44
                                        ; implicit-def: $vgpr56
	s_and_saveexec_b64 s[2:3], s[0:1]
	s_xor_b64 s[30:31], exec, s[2:3]
	s_cbranch_execz .LBB9_47
; %bb.46:                               ;   in Loop: Header=BB9_4 Depth=1
	v_cmp_lt_f32_e64 s[0:1], |v3|, s45
	v_cndmask_b32_e64 v56, 1.0, v51, s[0:1]
	v_mul_f32_e64 v56, |v3|, v56
	v_log_f32_e32 v56, v56
	v_mul_f32_e32 v58, 0x3f317217, v56
	v_fma_f32 v59, v56, s46, -v58
	v_fmac_f32_e32 v59, 0x3377d1cf, v56
	v_add_f32_e32 v58, v58, v59
	v_cmp_lt_f32_e64 s[2:3], |v56|, s47
	v_cndmask_b32_e64 v56, v56, v58, s[2:3]
	v_cndmask_b32_e64 v58, 0, v52, s[0:1]
	v_sub_f32_e32 v56, v56, v58
	v_fma_f32 v56, |v3|, v56, -|v3|
.LBB9_47:                               ;   in Loop: Header=BB9_4 Depth=1
	s_andn2_saveexec_b64 s[30:31], s[30:31]
	s_cbranch_execz .LBB9_49
; %bb.48:                               ;   in Loop: Header=BB9_4 Depth=1
	v_rcp_f32_e64 v56, |v3|
	v_cmp_lt_f32_e64 s[0:1], |v3|, s45
	v_cndmask_b32_e64 v59, 1.0, v51, s[0:1]
	v_mov_b32_e32 v58, 0x3a5b3dd2
	v_mul_f32_e32 v60, v56, v56
	v_mul_f32_e64 v59, |v3|, v59
	v_fmac_f32_e32 v58, 0xbad5c4e8, v60
	v_log_f32_e32 v59, v59
	v_fma_f32 v58, v60, v58, v1
	v_fma_f32 v58, v60, v58, v9
	v_fma_f32 v58, v60, v58, v10
	v_fma_f32 v58, v60, v58, v11
	v_mul_f32_e32 v60, 0x3f317217, v59
	v_fma_f32 v61, v59, s46, -v60
	v_fmac_f32_e32 v61, 0x3377d1cf, v59
	v_add_f32_e32 v60, v60, v61
	v_cmp_lt_f32_e64 s[2:3], |v59|, s47
	v_cndmask_b32_e64 v59, v59, v60, s[2:3]
	v_cndmask_b32_e64 v60, 0, v52, s[0:1]
	v_sub_f32_e32 v59, v59, v60
	v_fma_f32 v56, v56, v58, v12
	v_add_f32_e64 v58, |v3|, -0.5
	v_add_f32_e32 v59, -1.0, v59
	v_fmac_f32_e32 v56, v58, v59
.LBB9_49:                               ;   in Loop: Header=BB9_4 Depth=1
	s_or_b64 exec, exec, s[30:31]
.LBB9_50:                               ;   in Loop: Header=BB9_4 Depth=1
	s_andn2_saveexec_b64 s[10:11], s[10:11]
	s_cbranch_execz .LBB9_52
; %bb.51:                               ;   in Loop: Header=BB9_4 Depth=1
	v_cvt_i32_f32_e32 v60, v57
	v_mov_b32_e32 v58, 0x3af135b4
	v_mov_b32_e32 v59, 0x3a4beed6
	v_cvt_f32_i32_e32 v56, v60
	v_cmp_lt_i32_e64 s[0:1], 3, v60
	v_sub_f32_e64 v56, |v3|, v56
	v_fmac_f32_e32 v58, 0x3805ff67, v56
	v_fmac_f32_e32 v59, 0x36f5d7bd, v56
	v_fma_f32 v58, v56, v58, v13
	v_fma_f32 v59, v56, v59, v18
	;; [unrolled: 1-line block ×9, first 2 shown]
	v_fma_f32 v58, v56, v58, 1.0
	v_rcp_f32_e32 v62, v58
	v_pk_add_f32 v[58:59], v[56:57], s[26:27] op_sel_hi:[0,1]
	v_cndmask_b32_e64 v59, 1.0, v59, s[0:1]
	v_cmp_lt_i32_e64 s[0:1], 2, v60
	v_add_f32_e32 v63, 4.0, v56
	v_cndmask_b32_e64 v58, 1.0, v58, s[0:1]
	v_cmp_lt_i32_e64 s[0:1], 4, v60
	v_add_f32_e32 v64, 0x40a00000, v56
	v_mul_f32_e32 v58, v58, v59
	v_cndmask_b32_e64 v59, 1.0, v63, s[0:1]
	v_cmp_lt_i32_e64 s[0:1], 5, v60
	v_add_f32_e32 v65, 0x40c00000, v56
	v_mul_f32_e32 v58, v59, v58
	v_cndmask_b32_e64 v59, 1.0, v64, s[0:1]
	v_cmp_lt_i32_e64 s[0:1], 6, v60
	v_mul_f32_e32 v58, v59, v58
	v_cndmask_b32_e64 v59, 1.0, v65, s[0:1]
	v_mul_f32_e32 v58, v59, v58
	v_cmp_gt_f32_e64 s[0:1], s45, v58
	v_cndmask_b32_e64 v59, 1.0, v51, s[0:1]
	v_mul_f32_e32 v58, v58, v59
	v_log_f32_e32 v58, v58
	v_mul_f32_e32 v59, v56, v61
	v_mul_f32_e32 v59, v59, v62
	v_fmac_f32_e32 v59, 0.5, v56
	v_mul_f32_e32 v56, 0x3f317217, v58
	v_fma_f32 v60, v58, s46, -v56
	v_fmac_f32_e32 v60, 0x3377d1cf, v58
	v_add_f32_e32 v56, v56, v60
	v_cmp_lt_f32_e64 s[2:3], |v58|, s47
	v_cndmask_b32_e64 v56, v58, v56, s[2:3]
	v_cndmask_b32_e64 v58, 0, v52, s[0:1]
	v_sub_f32_e32 v56, v56, v58
	v_add_f32_e32 v56, v56, v59
.LBB9_52:                               ;   in Loop: Header=BB9_4 Depth=1
	s_or_b64 exec, exec, s[10:11]
.LBB9_53:                               ;   in Loop: Header=BB9_4 Depth=1
	s_andn2_saveexec_b64 s[2:3], s[8:9]
	s_cbranch_execz .LBB9_71
; %bb.54:                               ;   in Loop: Header=BB9_4 Depth=1
	v_cmp_le_f32_e64 s[0:1], |v3|, s48
                                        ; implicit-def: $vgpr56
                                        ; implicit-def: $vgpr59
                                        ; implicit-def: $vgpr58
	s_and_saveexec_b64 s[8:9], s[0:1]
	s_xor_b64 s[8:9], exec, s[8:9]
	s_cbranch_execz .LBB9_56
; %bb.55:                               ;   in Loop: Header=BB9_4 Depth=1
	v_cmp_lt_f32_e64 s[0:1], |v3|, s45
	v_cndmask_b32_e64 v56, 1.0, v51, s[0:1]
	v_mul_f32_e64 v56, |v3|, v56
	v_log_f32_e32 v56, v56
	v_cndmask_b32_e64 v58, 0, v52, s[0:1]
	v_mul_f32_e32 v59, 0x3f317217, v56
	v_fma_f32 v60, v56, s46, -v59
	v_fmac_f32_e32 v60, 0x3377d1cf, v56
	v_add_f32_e32 v59, v59, v60
	v_cmp_lt_f32_e64 s[0:1], |v56|, s47
	v_cndmask_b32_e64 v56, v56, v59, s[0:1]
	v_sub_f32_e32 v56, v56, v58
	v_sub_f32_e64 v58, 1.0, |v3|
	v_add_f32_e64 v59, |v3|, s50
	v_cmp_lt_f32_e64 s[0:1], |v3|, s49
	v_cndmask_b32_e64 v58, v58, v59, s[0:1]
	v_cndmask_b32_e64 v59, 0, 1, s[0:1]
	v_cmp_lt_f32_e64 s[0:1], |v3|, s51
	v_xor_b32_e32 v56, 0x80000000, v56
	v_cndmask_b32_e64 v58, v58, |v3|, s[0:1]
	v_cndmask_b32_e64 v59, v59, 2, s[0:1]
.LBB9_56:                               ;   in Loop: Header=BB9_4 Depth=1
	s_andn2_saveexec_b64 s[8:9], s[8:9]
; %bb.57:                               ;   in Loop: Header=BB9_4 Depth=1
	v_sub_f32_e64 v56, 2.0, |v3|
	v_add_f32_e64 v58, |v3|, s53
	v_cmp_lt_f32_e64 s[0:1], |v3|, s52
	v_cndmask_b32_e64 v58, v56, v58, s[0:1]
	v_cndmask_b32_e64 v56, v56, 1.0, s[0:1]
	v_cvt_i32_f32_e32 v56, v56
	v_add_f32_e64 v59, |v3|, -1.0
	v_cmp_lt_f32_e64 s[0:1], |v3|, s54
	v_cndmask_b32_e64 v58, v58, v59, s[0:1]
	v_cndmask_b32_e64 v59, v56, 2, s[0:1]
	v_mov_b32_e32 v56, 0
; %bb.58:                               ;   in Loop: Header=BB9_4 Depth=1
	s_or_b64 exec, exec, s[8:9]
	v_cmp_lt_i32_e64 s[0:1], 0, v59
	s_and_saveexec_b64 s[8:9], s[0:1]
	s_xor_b64 s[8:9], exec, s[8:9]
	s_cbranch_execz .LBB9_66
; %bb.59:                               ;   in Loop: Header=BB9_4 Depth=1
	v_cmp_lt_i32_e64 s[0:1], 1, v59
	s_and_saveexec_b64 s[10:11], s[0:1]
	s_xor_b64 s[10:11], exec, s[10:11]
	s_cbranch_execz .LBB9_63
; %bb.60:                               ;   in Loop: Header=BB9_4 Depth=1
	v_cmp_eq_u32_e64 s[0:1], 2, v59
	s_and_saveexec_b64 s[30:31], s[0:1]
	s_cbranch_execz .LBB9_62
; %bb.61:                               ;   in Loop: Header=BB9_4 Depth=1
	v_mov_b32_e32 v60, 0x3dd572af
	v_fmac_f32_e32 v60, 0x3b52d5db, v58
	v_fma_f32 v60, v58, v60, v25
	v_mov_b32_e32 v59, 0x3e6a7578
	v_fma_f32 v60, v58, v60, v26
	v_fmac_f32_e32 v59, 0x3c5b3c5e, v58
	v_fma_f32 v60, v58, v60, v27
	v_fma_f32 v59, v58, v59, v22
	v_fma_f32 v60, v58, v60, 1.0
	v_fma_f32 v59, v58, v59, v23
	v_rcp_f32_e32 v60, v60
	v_fma_f32 v59, v58, v59, v24
	v_fma_f32 v59, v58, v59, v17
	v_mul_f32_e32 v59, v58, v59
	v_mul_f32_e32 v59, v59, v60
	v_fmac_f32_e32 v59, -0.5, v58
	v_add_f32_e32 v56, v56, v59
.LBB9_62:                               ;   in Loop: Header=BB9_4 Depth=1
	s_or_b64 exec, exec, s[30:31]
                                        ; implicit-def: $vgpr58
.LBB9_63:                               ;   in Loop: Header=BB9_4 Depth=1
	s_andn2_saveexec_b64 s[0:1], s[10:11]
	s_cbranch_execz .LBB9_65
; %bb.64:                               ;   in Loop: Header=BB9_4 Depth=1
	v_mul_f32_e32 v59, v58, v58
	v_mul_f32_e32 v60, v58, v59
	v_mov_b32_e32 v62, 0x3a66f867
	v_mov_b32_e32 v63, 0xba0d3085
	v_fmac_f32_e32 v62, 0xb9a3f927, v60
	v_fmac_f32_e32 v63, 0x39afe9f7, v60
	v_mov_b32_e32 v61, 0xbab7f476
	v_fma_f32 v62, v60, v62, v31
	v_fma_f32 v63, v60, v63, v34
	v_fmac_f32_e32 v61, 0x39a57b6b, v60
	v_fma_f32 v62, v60, v62, v32
	v_fma_f32 v63, v60, v63, v35
	v_fma_f32 v61, v60, v61, v28
	v_fma_f32 v62, v60, v62, v33
	v_fma_f32 v63, v60, v63, v36
	v_fma_f32 v61, v60, v61, v29
	v_fmac_f32_e32 v62, v58, v63
	v_fma_f32 v61, v60, v61, v30
	v_fma_f32 v58, v60, -v62, s55
	v_fma_f32 v58, v59, v61, -v58
	v_add_f32_e32 v58, 0xbdf8cdce, v58
	v_add_f32_e32 v56, v56, v58
.LBB9_65:                               ;   in Loop: Header=BB9_4 Depth=1
	s_or_b64 exec, exec, s[0:1]
                                        ; implicit-def: $vgpr59
                                        ; implicit-def: $vgpr58
.LBB9_66:                               ;   in Loop: Header=BB9_4 Depth=1
	s_andn2_saveexec_b64 s[8:9], s[8:9]
	s_cbranch_execz .LBB9_70
; %bb.67:                               ;   in Loop: Header=BB9_4 Depth=1
	v_cmp_eq_u32_e64 s[0:1], 0, v59
	s_and_saveexec_b64 s[10:11], s[0:1]
	s_cbranch_execz .LBB9_69
; %bb.68:                               ;   in Loop: Header=BB9_4 Depth=1
	v_mul_f32_e32 v59, v58, v58
	v_mov_b32_e32 v61, 0x38e28445
	v_mov_b32_e32 v60, 0x39679767
	v_fmac_f32_e32 v61, 0x383c2c75, v59
	v_fmac_f32_e32 v60, 0x37d383a2, v59
	v_fma_f32 v61, v59, v61, v41
	v_fma_f32 v60, v59, v60, v37
	;; [unrolled: 1-line block ×8, first 2 shown]
	v_mul_f32_e32 v59, v59, v61
	v_fmac_f32_e32 v59, v58, v60
	v_fmac_f32_e32 v59, -0.5, v58
	v_add_f32_e32 v56, v56, v59
.LBB9_69:                               ;   in Loop: Header=BB9_4 Depth=1
	s_or_b64 exec, exec, s[10:11]
.LBB9_70:                               ;   in Loop: Header=BB9_4 Depth=1
	s_or_b64 exec, exec, s[8:9]
.LBB9_71:                               ;   in Loop: Header=BB9_4 Depth=1
	s_or_b64 exec, exec, s[2:3]
.LBB9_72:                               ;   in Loop: Header=BB9_4 Depth=1
	s_andn2_saveexec_b64 s[6:7], s[6:7]
	s_cbranch_execz .LBB9_74
; %bb.73:                               ;   in Loop: Header=BB9_4 Depth=1
	v_cmp_lt_f32_e64 s[0:1], |v3|, s45
	v_cndmask_b32_e64 v56, 1.0, v51, s[0:1]
	v_mul_f32_e64 v56, |v3|, v56
	v_log_f32_e32 v56, v56
	v_fma_f32 v58, |v3|, s56, v53
	v_fma_f32 v58, |v3|, v58, s57
	v_fma_f32 v58, |v3|, v58, s58
	v_mul_f32_e32 v59, 0x3f317217, v56
	v_fma_f32 v60, v56, s46, -v59
	v_fmac_f32_e32 v60, 0x3377d1cf, v56
	v_add_f32_e32 v59, v59, v60
	v_cmp_lt_f32_e64 s[2:3], |v56|, s47
	v_cndmask_b32_e64 v56, v56, v59, s[2:3]
	v_cndmask_b32_e64 v59, 0, v52, s[0:1]
	v_sub_f32_e32 v56, v56, v59
	v_fma_f32 v56, |v3|, v58, -v56
.LBB9_74:                               ;   in Loop: Header=BB9_4 Depth=1
	s_or_b64 exec, exec, s[6:7]
	v_cmp_le_f32_e64 s[0:1], 0, v3
	v_cmp_nle_f32_e64 s[2:3], 0, v3
	s_and_saveexec_b64 s[6:7], s[2:3]
	s_xor_b64 s[8:9], exec, s[6:7]
	s_cbranch_execz .LBB9_78
; %bb.75:                               ;   in Loop: Header=BB9_4 Depth=1
	v_cmp_lt_f32_e64 s[2:3], |v3|, s59
	v_cmp_gt_f32_e64 s[6:7], |v3|, s60
	s_and_b64 s[2:3], s[2:3], s[6:7]
	s_and_saveexec_b64 s[10:11], s[2:3]
	s_cbranch_execz .LBB9_77
; %bb.76:                               ;   in Loop: Header=BB9_4 Depth=1
	v_mul_f32_e64 v58, |v3|, 0.5
	v_floor_f32_e32 v59, v58
	v_sub_f32_e32 v59, v58, v59
	v_min_f32_e32 v59, 0x3f7fffff, v59
	v_add_f32_e32 v59, v59, v59
	v_cmp_neq_f32_e64 s[2:3], s47, v58
	v_cndmask_b32_e64 v58, 0, v59, s[2:3]
	v_cmp_gt_f32_e64 s[2:3], |v3|, 1.0
	v_cndmask_b32_e64 v58, |v3|, v58, s[2:3]
	v_add_f32_e32 v59, v58, v58
	v_rndne_f32_e32 v59, v59
	v_fmac_f32_e32 v58, -0.5, v59
	v_mul_f32_e32 v60, v58, v58
	v_mov_b32_e32 v61, 0xbf1f24be
	v_fmac_f32_e32 v61, 0x3e75aa41, v60
	v_fma_f32 v61, v60, v61, v45
	v_fma_f32 v61, v60, v61, v46
	v_mul_f32_e32 v62, v58, v60
	v_mul_f32_e32 v61, v62, v61
	v_fmac_f32_e32 v61, 0x40490fdb, v58
	v_mov_b32_e32 v58, 0x3e642e9d
	v_cvt_i32_f32_e32 v59, v59
	v_fmac_f32_e32 v58, 0x3d4be544, v60
	v_fma_f32 v58, v60, v58, v47
	v_fma_f32 v58, v60, v58, v48
	;; [unrolled: 1-line block ×3, first 2 shown]
	v_fma_f32 v58, v60, v58, 1.0
	v_and_b32_e32 v60, 1, v59
	v_lshlrev_b32_e32 v59, 30, v59
	v_cmp_eq_u32_e64 s[2:3], 0, v60
	v_and_b32_e32 v59, 0x80000000, v59
	v_xor_b32_e32 v57, v57, v3
	v_cndmask_b32_e64 v58, v58, v61, s[2:3]
	v_xor_b32_e32 v57, v57, v59
	v_xor_b32_e32 v57, v57, v58
	v_mul_f32_e32 v57, v3, v57
	v_frexp_mant_f32_e64 v58, |v57|
	v_rcp_f32_e32 v58, v58
	v_frexp_exp_i32_f32_e32 v57, v57
	v_sub_u32_e32 v57, 2, v57
	v_mul_f32_e32 v58, 0x3f490fdb, v58
	v_ldexp_f32 v57, v58, v57
	v_cmp_gt_f32_e64 s[2:3], s45, v57
	v_cndmask_b32_e64 v58, 1.0, v51, s[2:3]
	v_mul_f32_e32 v57, v57, v58
	v_log_f32_e32 v57, v57
	v_mul_f32_e32 v58, 0x3f317217, v57
	v_fma_f32 v59, v57, s46, -v58
	v_fmac_f32_e32 v59, 0x3377d1cf, v57
	v_add_f32_e32 v58, v58, v59
	v_cmp_lt_f32_e64 s[6:7], |v57|, s47
	v_cndmask_b32_e64 v57, v57, v58, s[6:7]
	v_cndmask_b32_e64 v58, 0, v52, s[2:3]
	v_sub_f32_e32 v57, v57, v58
	v_sub_f32_e32 v56, v57, v56
	v_floor_f32_e32 v57, v3
	v_sub_f32_e32 v57, v3, v57
	v_min_f32_e32 v57, 0x3f7fffff, v57
	v_cmp_neq_f32_e64 s[2:3], 0, v57
	v_cndmask_b32_e64 v56, v54, v56, s[2:3]
.LBB9_77:                               ;   in Loop: Header=BB9_4 Depth=1
	s_or_b64 exec, exec, s[10:11]
.LBB9_78:                               ;   in Loop: Header=BB9_4 Depth=1
	s_andn2_saveexec_b64 s[8:9], s[8:9]
; %bb.79:                               ;   in Loop: Header=BB9_4 Depth=1
	v_cmp_eq_f32_e64 s[2:3], 1.0, v3
	v_cmp_eq_f32_e64 s[6:7], 2.0, v3
	s_or_b64 s[2:3], s[2:3], s[6:7]
	v_cndmask_b32_e64 v56, v56, 0, s[2:3]
; %bb.80:                               ;   in Loop: Header=BB9_4 Depth=1
	s_or_b64 exec, exec, s[8:9]
	v_and_b32_e32 v58, 0x7fffffff, v4
	v_cmp_nlt_f32_e64 s[2:3], |v4|, s42
                                        ; implicit-def: $vgpr57
	s_and_saveexec_b64 s[6:7], s[2:3]
	s_xor_b64 s[8:9], exec, s[6:7]
	s_cbranch_execz .LBB9_110
; %bb.81:                               ;   in Loop: Header=BB9_4 Depth=1
	v_cmp_nlt_f32_e64 s[2:3], |v4|, 2.0
                                        ; implicit-def: $vgpr57
	s_and_saveexec_b64 s[6:7], s[2:3]
	s_xor_b64 s[10:11], exec, s[6:7]
	s_cbranch_execz .LBB9_91
; %bb.82:                               ;   in Loop: Header=BB9_4 Depth=1
	v_cmp_nlt_f32_e64 s[2:3], |v4|, s43
                                        ; implicit-def: $vgpr57
	s_and_saveexec_b64 s[6:7], s[2:3]
	s_xor_b64 s[30:31], exec, s[6:7]
	s_cbranch_execz .LBB9_88
; %bb.83:                               ;   in Loop: Header=BB9_4 Depth=1
	v_cmp_nlt_f32_e64 s[2:3], |v4|, s44
                                        ; implicit-def: $vgpr57
	s_and_saveexec_b64 s[6:7], s[2:3]
	s_xor_b64 s[34:35], exec, s[6:7]
	s_cbranch_execz .LBB9_85
; %bb.84:                               ;   in Loop: Header=BB9_4 Depth=1
	v_cmp_lt_f32_e64 s[2:3], |v4|, s45
	v_cndmask_b32_e64 v57, 1.0, v51, s[2:3]
	v_mul_f32_e64 v57, |v4|, v57
	v_log_f32_e32 v57, v57
	v_mul_f32_e32 v59, 0x3f317217, v57
	v_fma_f32 v60, v57, s46, -v59
	v_fmac_f32_e32 v60, 0x3377d1cf, v57
	v_add_f32_e32 v59, v59, v60
	v_cmp_lt_f32_e64 s[6:7], |v57|, s47
	v_cndmask_b32_e64 v57, v57, v59, s[6:7]
	v_cndmask_b32_e64 v59, 0, v52, s[2:3]
	v_sub_f32_e32 v57, v57, v59
	v_fma_f32 v57, |v4|, v57, -|v4|
.LBB9_85:                               ;   in Loop: Header=BB9_4 Depth=1
	s_andn2_saveexec_b64 s[34:35], s[34:35]
	s_cbranch_execz .LBB9_87
; %bb.86:                               ;   in Loop: Header=BB9_4 Depth=1
	v_rcp_f32_e64 v57, |v4|
	v_cmp_lt_f32_e64 s[2:3], |v4|, s45
	v_cndmask_b32_e64 v60, 1.0, v51, s[2:3]
	v_mov_b32_e32 v59, 0x3a5b3dd2
	v_mul_f32_e32 v61, v57, v57
	v_mul_f32_e64 v60, |v4|, v60
	v_fmac_f32_e32 v59, 0xbad5c4e8, v61
	v_log_f32_e32 v60, v60
	v_fma_f32 v59, v61, v59, v1
	v_fma_f32 v59, v61, v59, v9
	;; [unrolled: 1-line block ×4, first 2 shown]
	v_mul_f32_e32 v61, 0x3f317217, v60
	v_fma_f32 v62, v60, s46, -v61
	v_fmac_f32_e32 v62, 0x3377d1cf, v60
	v_add_f32_e32 v61, v61, v62
	v_cmp_lt_f32_e64 s[6:7], |v60|, s47
	v_cndmask_b32_e64 v60, v60, v61, s[6:7]
	v_cndmask_b32_e64 v61, 0, v52, s[2:3]
	v_sub_f32_e32 v60, v60, v61
	v_fma_f32 v57, v57, v59, v12
	v_add_f32_e64 v59, |v4|, -0.5
	v_add_f32_e32 v60, -1.0, v60
	v_fmac_f32_e32 v57, v59, v60
.LBB9_87:                               ;   in Loop: Header=BB9_4 Depth=1
	s_or_b64 exec, exec, s[34:35]
.LBB9_88:                               ;   in Loop: Header=BB9_4 Depth=1
	s_andn2_saveexec_b64 s[30:31], s[30:31]
	s_cbranch_execz .LBB9_90
; %bb.89:                               ;   in Loop: Header=BB9_4 Depth=1
	v_cvt_i32_f32_e32 v57, v58
	v_mov_b32_e32 v61, 0x3af135b4
	v_mov_b32_e32 v62, 0x3a4beed6
	v_cvt_f32_i32_e32 v59, v57
	v_cmp_lt_i32_e64 s[2:3], 3, v57
	v_sub_f32_e64 v60, |v4|, v59
	v_fmac_f32_e32 v61, 0x3805ff67, v60
	v_fmac_f32_e32 v62, 0x36f5d7bd, v60
	v_fma_f32 v59, v60, v61, v13
	v_fma_f32 v61, v60, v62, v18
	;; [unrolled: 1-line block ×5, first 2 shown]
	v_fma_f32 v61, v60, v61, 1.0
	v_rcp_f32_e32 v61, v61
	v_add_f32_e32 v64, 4.0, v60
	v_add_f32_e32 v65, 0x40a00000, v60
	v_add_f32_e32 v66, 0x40c00000, v60
	v_pk_add_f32 v[62:63], v[60:61], s[26:27] op_sel_hi:[0,1]
	v_cndmask_b32_e64 v63, 1.0, v63, s[2:3]
	v_cmp_lt_i32_e64 s[2:3], 2, v57
	v_cndmask_b32_e64 v62, 1.0, v62, s[2:3]
	v_cmp_lt_i32_e64 s[2:3], 4, v57
	v_mul_f32_e32 v62, v62, v63
	v_cndmask_b32_e64 v63, 1.0, v64, s[2:3]
	v_cmp_lt_i32_e64 s[2:3], 5, v57
	v_mul_f32_e32 v62, v63, v62
	;; [unrolled: 3-line block ×3, first 2 shown]
	v_cndmask_b32_e64 v57, 1.0, v66, s[2:3]
	v_mul_f32_e32 v57, v57, v62
	v_cmp_gt_f32_e64 s[2:3], s45, v57
	v_fma_f32 v59, v60, v59, v14
	v_cndmask_b32_e64 v62, 1.0, v51, s[2:3]
	v_fma_f32 v59, v60, v59, v15
	v_mul_f32_e32 v57, v57, v62
	v_fma_f32 v59, v60, v59, v16
	v_log_f32_e32 v57, v57
	v_fma_f32 v59, v60, v59, v17
	v_mul_f32_e32 v59, v60, v59
	v_mul_f32_e32 v59, v59, v61
	v_fmac_f32_e32 v59, 0.5, v60
	v_mul_f32_e32 v60, 0x3f317217, v57
	v_fma_f32 v61, v57, s46, -v60
	v_fmac_f32_e32 v61, 0x3377d1cf, v57
	v_add_f32_e32 v60, v60, v61
	v_cmp_lt_f32_e64 s[6:7], |v57|, s47
	v_cndmask_b32_e64 v57, v57, v60, s[6:7]
	v_cndmask_b32_e64 v60, 0, v52, s[2:3]
	v_sub_f32_e32 v57, v57, v60
	v_add_f32_e32 v57, v57, v59
.LBB9_90:                               ;   in Loop: Header=BB9_4 Depth=1
	s_or_b64 exec, exec, s[30:31]
.LBB9_91:                               ;   in Loop: Header=BB9_4 Depth=1
	s_andn2_saveexec_b64 s[6:7], s[10:11]
	s_cbranch_execz .LBB9_109
; %bb.92:                               ;   in Loop: Header=BB9_4 Depth=1
	v_cmp_le_f32_e64 s[2:3], |v4|, s48
                                        ; implicit-def: $vgpr57
                                        ; implicit-def: $vgpr60
                                        ; implicit-def: $vgpr59
	s_and_saveexec_b64 s[10:11], s[2:3]
	s_xor_b64 s[10:11], exec, s[10:11]
	s_cbranch_execz .LBB9_94
; %bb.93:                               ;   in Loop: Header=BB9_4 Depth=1
	v_cmp_lt_f32_e64 s[2:3], |v4|, s45
	v_cndmask_b32_e64 v57, 1.0, v51, s[2:3]
	v_mul_f32_e64 v57, |v4|, v57
	v_log_f32_e32 v57, v57
	v_cndmask_b32_e64 v59, 0, v52, s[2:3]
	v_mul_f32_e32 v60, 0x3f317217, v57
	v_fma_f32 v61, v57, s46, -v60
	v_fmac_f32_e32 v61, 0x3377d1cf, v57
	v_add_f32_e32 v60, v60, v61
	v_cmp_lt_f32_e64 s[2:3], |v57|, s47
	v_cndmask_b32_e64 v57, v57, v60, s[2:3]
	v_sub_f32_e32 v57, v57, v59
	v_sub_f32_e64 v59, 1.0, |v4|
	v_add_f32_e64 v60, |v4|, s50
	v_cmp_lt_f32_e64 s[2:3], |v4|, s49
	v_cndmask_b32_e64 v59, v59, v60, s[2:3]
	v_cndmask_b32_e64 v60, 0, 1, s[2:3]
	v_cmp_lt_f32_e64 s[2:3], |v4|, s51
	v_xor_b32_e32 v57, 0x80000000, v57
	v_cndmask_b32_e64 v59, v59, |v4|, s[2:3]
	v_cndmask_b32_e64 v60, v60, 2, s[2:3]
.LBB9_94:                               ;   in Loop: Header=BB9_4 Depth=1
	s_andn2_saveexec_b64 s[10:11], s[10:11]
; %bb.95:                               ;   in Loop: Header=BB9_4 Depth=1
	v_sub_f32_e64 v57, 2.0, |v4|
	v_add_f32_e64 v59, |v4|, s53
	v_cmp_lt_f32_e64 s[2:3], |v4|, s52
	v_cndmask_b32_e64 v59, v57, v59, s[2:3]
	v_cndmask_b32_e64 v57, v57, 1.0, s[2:3]
	v_cvt_i32_f32_e32 v57, v57
	v_add_f32_e64 v60, |v4|, -1.0
	v_cmp_lt_f32_e64 s[2:3], |v4|, s54
	v_cndmask_b32_e64 v59, v59, v60, s[2:3]
	v_cndmask_b32_e64 v60, v57, 2, s[2:3]
	v_mov_b32_e32 v57, 0
; %bb.96:                               ;   in Loop: Header=BB9_4 Depth=1
	s_or_b64 exec, exec, s[10:11]
	v_cmp_lt_i32_e64 s[2:3], 0, v60
	s_and_saveexec_b64 s[10:11], s[2:3]
	s_xor_b64 s[10:11], exec, s[10:11]
	s_cbranch_execz .LBB9_104
; %bb.97:                               ;   in Loop: Header=BB9_4 Depth=1
	v_cmp_lt_i32_e64 s[2:3], 1, v60
	s_and_saveexec_b64 s[30:31], s[2:3]
	s_xor_b64 s[30:31], exec, s[30:31]
	s_cbranch_execz .LBB9_101
; %bb.98:                               ;   in Loop: Header=BB9_4 Depth=1
	v_cmp_eq_u32_e64 s[2:3], 2, v60
	s_and_saveexec_b64 s[34:35], s[2:3]
	s_cbranch_execz .LBB9_100
; %bb.99:                               ;   in Loop: Header=BB9_4 Depth=1
	v_mov_b32_e32 v61, 0x3dd572af
	v_fmac_f32_e32 v61, 0x3b52d5db, v59
	v_fma_f32 v61, v59, v61, v25
	v_mov_b32_e32 v60, 0x3e6a7578
	v_fma_f32 v61, v59, v61, v26
	v_fmac_f32_e32 v60, 0x3c5b3c5e, v59
	v_fma_f32 v61, v59, v61, v27
	v_fma_f32 v60, v59, v60, v22
	v_fma_f32 v61, v59, v61, 1.0
	v_fma_f32 v60, v59, v60, v23
	v_rcp_f32_e32 v61, v61
	v_fma_f32 v60, v59, v60, v24
	v_fma_f32 v60, v59, v60, v17
	v_mul_f32_e32 v60, v59, v60
	v_mul_f32_e32 v60, v60, v61
	v_fmac_f32_e32 v60, -0.5, v59
	v_add_f32_e32 v57, v57, v60
.LBB9_100:                              ;   in Loop: Header=BB9_4 Depth=1
	s_or_b64 exec, exec, s[34:35]
                                        ; implicit-def: $vgpr59
.LBB9_101:                              ;   in Loop: Header=BB9_4 Depth=1
	s_andn2_saveexec_b64 s[2:3], s[30:31]
	s_cbranch_execz .LBB9_103
; %bb.102:                              ;   in Loop: Header=BB9_4 Depth=1
	v_mul_f32_e32 v60, v59, v59
	v_mul_f32_e32 v61, v59, v60
	v_mov_b32_e32 v63, 0x3a66f867
	v_mov_b32_e32 v64, 0xba0d3085
	v_fmac_f32_e32 v63, 0xb9a3f927, v61
	v_fmac_f32_e32 v64, 0x39afe9f7, v61
	v_mov_b32_e32 v62, 0xbab7f476
	v_fma_f32 v63, v61, v63, v31
	v_fma_f32 v64, v61, v64, v34
	v_fmac_f32_e32 v62, 0x39a57b6b, v61
	v_fma_f32 v63, v61, v63, v32
	v_fma_f32 v64, v61, v64, v35
	;; [unrolled: 1-line block ×6, first 2 shown]
	v_fmac_f32_e32 v63, v59, v64
	v_fma_f32 v62, v61, v62, v30
	v_fma_f32 v59, v61, -v63, s55
	v_fma_f32 v59, v60, v62, -v59
	v_add_f32_e32 v59, 0xbdf8cdce, v59
	v_add_f32_e32 v57, v57, v59
.LBB9_103:                              ;   in Loop: Header=BB9_4 Depth=1
	s_or_b64 exec, exec, s[2:3]
                                        ; implicit-def: $vgpr60
                                        ; implicit-def: $vgpr59
.LBB9_104:                              ;   in Loop: Header=BB9_4 Depth=1
	s_andn2_saveexec_b64 s[10:11], s[10:11]
	s_cbranch_execz .LBB9_108
; %bb.105:                              ;   in Loop: Header=BB9_4 Depth=1
	v_cmp_eq_u32_e64 s[2:3], 0, v60
	s_and_saveexec_b64 s[30:31], s[2:3]
	s_cbranch_execz .LBB9_107
; %bb.106:                              ;   in Loop: Header=BB9_4 Depth=1
	v_mul_f32_e32 v60, v59, v59
	v_mov_b32_e32 v62, 0x38e28445
	v_mov_b32_e32 v61, 0x39679767
	v_fmac_f32_e32 v62, 0x383c2c75, v60
	v_fmac_f32_e32 v61, 0x37d383a2, v60
	v_fma_f32 v62, v60, v62, v41
	v_fma_f32 v61, v60, v61, v37
	;; [unrolled: 1-line block ×8, first 2 shown]
	v_mul_f32_e32 v60, v60, v62
	v_fmac_f32_e32 v60, v59, v61
	v_fmac_f32_e32 v60, -0.5, v59
	v_add_f32_e32 v57, v57, v60
.LBB9_107:                              ;   in Loop: Header=BB9_4 Depth=1
	s_or_b64 exec, exec, s[30:31]
.LBB9_108:                              ;   in Loop: Header=BB9_4 Depth=1
	s_or_b64 exec, exec, s[10:11]
.LBB9_109:                              ;   in Loop: Header=BB9_4 Depth=1
	s_or_b64 exec, exec, s[6:7]
.LBB9_110:                              ;   in Loop: Header=BB9_4 Depth=1
	s_andn2_saveexec_b64 s[8:9], s[8:9]
	s_cbranch_execz .LBB9_112
; %bb.111:                              ;   in Loop: Header=BB9_4 Depth=1
	v_cmp_lt_f32_e64 s[2:3], |v4|, s45
	v_cndmask_b32_e64 v57, 1.0, v51, s[2:3]
	v_mul_f32_e64 v57, |v4|, v57
	v_log_f32_e32 v57, v57
	v_fma_f32 v59, |v4|, s56, v53
	v_fma_f32 v59, |v4|, v59, s57
	;; [unrolled: 1-line block ×3, first 2 shown]
	v_mul_f32_e32 v60, 0x3f317217, v57
	v_fma_f32 v61, v57, s46, -v60
	v_fmac_f32_e32 v61, 0x3377d1cf, v57
	v_add_f32_e32 v60, v60, v61
	v_cmp_lt_f32_e64 s[6:7], |v57|, s47
	v_cndmask_b32_e64 v57, v57, v60, s[6:7]
	v_cndmask_b32_e64 v60, 0, v52, s[2:3]
	v_sub_f32_e32 v57, v57, v60
	v_fma_f32 v57, |v4|, v59, -v57
.LBB9_112:                              ;   in Loop: Header=BB9_4 Depth=1
	s_or_b64 exec, exec, s[8:9]
	v_cmp_le_f32_e64 s[2:3], 0, v4
	v_cmp_nle_f32_e64 s[6:7], 0, v4
	s_and_saveexec_b64 s[8:9], s[6:7]
	s_xor_b64 s[10:11], exec, s[8:9]
	s_cbranch_execz .LBB9_116
; %bb.113:                              ;   in Loop: Header=BB9_4 Depth=1
	v_cmp_lt_f32_e64 s[6:7], |v4|, s59
	v_cmp_gt_f32_e64 s[8:9], |v4|, s60
	s_and_b64 s[6:7], s[6:7], s[8:9]
	s_and_saveexec_b64 s[30:31], s[6:7]
	s_cbranch_execz .LBB9_115
; %bb.114:                              ;   in Loop: Header=BB9_4 Depth=1
	v_mul_f32_e64 v59, |v4|, 0.5
	v_floor_f32_e32 v60, v59
	v_sub_f32_e32 v60, v59, v60
	v_min_f32_e32 v60, 0x3f7fffff, v60
	v_add_f32_e32 v60, v60, v60
	v_cmp_neq_f32_e64 s[6:7], s47, v59
	v_cndmask_b32_e64 v59, 0, v60, s[6:7]
	v_cmp_gt_f32_e64 s[6:7], |v4|, 1.0
	v_cndmask_b32_e64 v59, |v4|, v59, s[6:7]
	v_add_f32_e32 v60, v59, v59
	v_rndne_f32_e32 v60, v60
	v_fmac_f32_e32 v59, -0.5, v60
	v_mul_f32_e32 v61, v59, v59
	v_mov_b32_e32 v62, 0xbf1f24be
	v_fmac_f32_e32 v62, 0x3e75aa41, v61
	v_fma_f32 v62, v61, v62, v45
	v_fma_f32 v62, v61, v62, v46
	v_mul_f32_e32 v63, v59, v61
	v_mul_f32_e32 v62, v63, v62
	v_fmac_f32_e32 v62, 0x40490fdb, v59
	v_mov_b32_e32 v59, 0x3e642e9d
	v_cvt_i32_f32_e32 v60, v60
	v_fmac_f32_e32 v59, 0x3d4be544, v61
	v_fma_f32 v59, v61, v59, v47
	v_fma_f32 v59, v61, v59, v48
	;; [unrolled: 1-line block ×3, first 2 shown]
	v_fma_f32 v59, v61, v59, 1.0
	v_and_b32_e32 v61, 1, v60
	v_lshlrev_b32_e32 v60, 30, v60
	v_cmp_eq_u32_e64 s[6:7], 0, v61
	v_and_b32_e32 v60, 0x80000000, v60
	v_xor_b32_e32 v58, v58, v4
	v_cndmask_b32_e64 v59, v59, v62, s[6:7]
	v_xor_b32_e32 v58, v58, v60
	v_xor_b32_e32 v58, v58, v59
	v_mul_f32_e32 v58, v4, v58
	v_frexp_mant_f32_e64 v59, |v58|
	v_rcp_f32_e32 v59, v59
	v_frexp_exp_i32_f32_e32 v58, v58
	v_sub_u32_e32 v58, 2, v58
	v_mul_f32_e32 v59, 0x3f490fdb, v59
	v_ldexp_f32 v58, v59, v58
	v_cmp_gt_f32_e64 s[6:7], s45, v58
	v_cndmask_b32_e64 v59, 1.0, v51, s[6:7]
	v_mul_f32_e32 v58, v58, v59
	v_log_f32_e32 v58, v58
	v_mul_f32_e32 v59, 0x3f317217, v58
	v_fma_f32 v60, v58, s46, -v59
	v_fmac_f32_e32 v60, 0x3377d1cf, v58
	v_add_f32_e32 v59, v59, v60
	v_cmp_lt_f32_e64 s[8:9], |v58|, s47
	v_cndmask_b32_e64 v58, v58, v59, s[8:9]
	v_cndmask_b32_e64 v59, 0, v52, s[6:7]
	v_sub_f32_e32 v58, v58, v59
	v_sub_f32_e32 v57, v58, v57
	v_floor_f32_e32 v58, v4
	v_sub_f32_e32 v58, v4, v58
	v_min_f32_e32 v58, 0x3f7fffff, v58
	v_cmp_neq_f32_e64 s[6:7], 0, v58
	v_cndmask_b32_e64 v57, v54, v57, s[6:7]
.LBB9_115:                              ;   in Loop: Header=BB9_4 Depth=1
	s_or_b64 exec, exec, s[30:31]
.LBB9_116:                              ;   in Loop: Header=BB9_4 Depth=1
	s_andn2_saveexec_b64 s[10:11], s[10:11]
; %bb.117:                              ;   in Loop: Header=BB9_4 Depth=1
	v_cmp_eq_f32_e64 s[6:7], 1.0, v4
	v_cmp_eq_f32_e64 s[8:9], 2.0, v4
	s_or_b64 s[6:7], s[6:7], s[8:9]
	v_cndmask_b32_e64 v57, v57, 0, s[6:7]
; %bb.118:                              ;   in Loop: Header=BB9_4 Depth=1
	s_or_b64 exec, exec, s[10:11]
	v_and_b32_e32 v58, 0x7fffffff, v5
	v_cmp_nlt_f32_e64 s[6:7], |v5|, s42
                                        ; implicit-def: $vgpr59
	s_and_saveexec_b64 s[8:9], s[6:7]
	s_xor_b64 s[10:11], exec, s[8:9]
	s_cbranch_execz .LBB9_148
; %bb.119:                              ;   in Loop: Header=BB9_4 Depth=1
	v_cmp_nlt_f32_e64 s[6:7], |v5|, 2.0
                                        ; implicit-def: $vgpr59
	s_and_saveexec_b64 s[8:9], s[6:7]
	s_xor_b64 s[30:31], exec, s[8:9]
	s_cbranch_execz .LBB9_129
; %bb.120:                              ;   in Loop: Header=BB9_4 Depth=1
	v_cmp_nlt_f32_e64 s[6:7], |v5|, s43
                                        ; implicit-def: $vgpr59
	s_and_saveexec_b64 s[8:9], s[6:7]
	s_xor_b64 s[34:35], exec, s[8:9]
	s_cbranch_execz .LBB9_126
; %bb.121:                              ;   in Loop: Header=BB9_4 Depth=1
	v_cmp_nlt_f32_e64 s[6:7], |v5|, s44
                                        ; implicit-def: $vgpr59
	s_and_saveexec_b64 s[8:9], s[6:7]
	s_xor_b64 s[36:37], exec, s[8:9]
	s_cbranch_execz .LBB9_123
; %bb.122:                              ;   in Loop: Header=BB9_4 Depth=1
	v_cmp_lt_f32_e64 s[6:7], |v5|, s45
	v_cndmask_b32_e64 v59, 1.0, v51, s[6:7]
	v_mul_f32_e64 v59, |v5|, v59
	v_log_f32_e32 v59, v59
	v_mul_f32_e32 v60, 0x3f317217, v59
	v_fma_f32 v61, v59, s46, -v60
	v_fmac_f32_e32 v61, 0x3377d1cf, v59
	v_add_f32_e32 v60, v60, v61
	v_cmp_lt_f32_e64 s[8:9], |v59|, s47
	v_cndmask_b32_e64 v59, v59, v60, s[8:9]
	v_cndmask_b32_e64 v60, 0, v52, s[6:7]
	v_sub_f32_e32 v59, v59, v60
	v_fma_f32 v59, |v5|, v59, -|v5|
.LBB9_123:                              ;   in Loop: Header=BB9_4 Depth=1
	s_andn2_saveexec_b64 s[36:37], s[36:37]
	s_cbranch_execz .LBB9_125
; %bb.124:                              ;   in Loop: Header=BB9_4 Depth=1
	v_rcp_f32_e64 v59, |v5|
	v_cmp_lt_f32_e64 s[6:7], |v5|, s45
	v_cndmask_b32_e64 v61, 1.0, v51, s[6:7]
	v_mov_b32_e32 v60, 0x3a5b3dd2
	v_mul_f32_e32 v62, v59, v59
	v_mul_f32_e64 v61, |v5|, v61
	v_fmac_f32_e32 v60, 0xbad5c4e8, v62
	v_log_f32_e32 v61, v61
	v_fma_f32 v60, v62, v60, v1
	v_fma_f32 v60, v62, v60, v9
	;; [unrolled: 1-line block ×4, first 2 shown]
	v_mul_f32_e32 v62, 0x3f317217, v61
	v_fma_f32 v63, v61, s46, -v62
	v_fmac_f32_e32 v63, 0x3377d1cf, v61
	v_add_f32_e32 v62, v62, v63
	v_cmp_lt_f32_e64 s[8:9], |v61|, s47
	v_cndmask_b32_e64 v61, v61, v62, s[8:9]
	v_cndmask_b32_e64 v62, 0, v52, s[6:7]
	v_sub_f32_e32 v61, v61, v62
	v_fma_f32 v59, v59, v60, v12
	v_add_f32_e64 v60, |v5|, -0.5
	v_add_f32_e32 v61, -1.0, v61
	v_fmac_f32_e32 v59, v60, v61
.LBB9_125:                              ;   in Loop: Header=BB9_4 Depth=1
	s_or_b64 exec, exec, s[36:37]
.LBB9_126:                              ;   in Loop: Header=BB9_4 Depth=1
	s_andn2_saveexec_b64 s[34:35], s[34:35]
	s_cbranch_execz .LBB9_128
; %bb.127:                              ;   in Loop: Header=BB9_4 Depth=1
	v_cvt_i32_f32_e32 v59, v58
	v_mov_b32_e32 v61, 0x3af135b4
	v_mov_b32_e32 v62, 0x3a4beed6
	v_cvt_f32_i32_e32 v60, v59
	v_cmp_lt_i32_e64 s[6:7], 3, v59
	v_sub_f32_e64 v60, |v5|, v60
	v_fmac_f32_e32 v61, 0x3805ff67, v60
	v_fmac_f32_e32 v62, 0x36f5d7bd, v60
	v_fma_f32 v61, v60, v61, v13
	v_fma_f32 v62, v60, v62, v18
	v_fma_f32 v61, v60, v61, v14
	v_fma_f32 v62, v60, v62, v19
	v_fma_f32 v61, v60, v61, v15
	v_fma_f32 v62, v60, v62, v20
	v_fma_f32 v61, v60, v61, v16
	v_fma_f32 v62, v60, v62, v21
	v_fma_f32 v61, v60, v61, v17
	v_fma_f32 v62, v60, v62, 1.0
	v_rcp_f32_e32 v64, v62
	v_pk_add_f32 v[62:63], v[60:61], s[26:27] op_sel_hi:[0,1]
	v_cndmask_b32_e64 v63, 1.0, v63, s[6:7]
	v_cmp_lt_i32_e64 s[6:7], 2, v59
	v_add_f32_e32 v65, 4.0, v60
	v_cndmask_b32_e64 v62, 1.0, v62, s[6:7]
	v_cmp_lt_i32_e64 s[6:7], 4, v59
	v_add_f32_e32 v66, 0x40a00000, v60
	v_mul_f32_e32 v62, v62, v63
	v_cndmask_b32_e64 v63, 1.0, v65, s[6:7]
	v_cmp_lt_i32_e64 s[6:7], 5, v59
	v_add_f32_e32 v67, 0x40c00000, v60
	v_mul_f32_e32 v62, v63, v62
	v_cndmask_b32_e64 v63, 1.0, v66, s[6:7]
	v_cmp_lt_i32_e64 s[6:7], 6, v59
	v_mul_f32_e32 v62, v63, v62
	v_cndmask_b32_e64 v59, 1.0, v67, s[6:7]
	v_mul_f32_e32 v59, v59, v62
	v_cmp_gt_f32_e64 s[6:7], s45, v59
	v_cndmask_b32_e64 v62, 1.0, v51, s[6:7]
	v_mul_f32_e32 v59, v59, v62
	v_log_f32_e32 v59, v59
	v_mul_f32_e32 v61, v60, v61
	v_mul_f32_e32 v61, v61, v64
	v_fmac_f32_e32 v61, 0.5, v60
	v_mul_f32_e32 v60, 0x3f317217, v59
	v_fma_f32 v62, v59, s46, -v60
	v_fmac_f32_e32 v62, 0x3377d1cf, v59
	v_add_f32_e32 v60, v60, v62
	v_cmp_lt_f32_e64 s[8:9], |v59|, s47
	v_cndmask_b32_e64 v59, v59, v60, s[8:9]
	v_cndmask_b32_e64 v60, 0, v52, s[6:7]
	v_sub_f32_e32 v59, v59, v60
	v_add_f32_e32 v59, v59, v61
.LBB9_128:                              ;   in Loop: Header=BB9_4 Depth=1
	s_or_b64 exec, exec, s[34:35]
.LBB9_129:                              ;   in Loop: Header=BB9_4 Depth=1
	s_andn2_saveexec_b64 s[8:9], s[30:31]
	s_cbranch_execz .LBB9_147
; %bb.130:                              ;   in Loop: Header=BB9_4 Depth=1
	v_cmp_le_f32_e64 s[6:7], |v5|, s48
                                        ; implicit-def: $vgpr59
                                        ; implicit-def: $vgpr61
                                        ; implicit-def: $vgpr60
	s_and_saveexec_b64 s[30:31], s[6:7]
	s_xor_b64 s[30:31], exec, s[30:31]
	s_cbranch_execz .LBB9_132
; %bb.131:                              ;   in Loop: Header=BB9_4 Depth=1
	v_cmp_lt_f32_e64 s[6:7], |v5|, s45
	v_cndmask_b32_e64 v59, 1.0, v51, s[6:7]
	v_mul_f32_e64 v59, |v5|, v59
	v_log_f32_e32 v59, v59
	v_cndmask_b32_e64 v60, 0, v52, s[6:7]
	v_mul_f32_e32 v61, 0x3f317217, v59
	v_fma_f32 v62, v59, s46, -v61
	v_fmac_f32_e32 v62, 0x3377d1cf, v59
	v_add_f32_e32 v61, v61, v62
	v_cmp_lt_f32_e64 s[6:7], |v59|, s47
	v_cndmask_b32_e64 v59, v59, v61, s[6:7]
	v_sub_f32_e32 v59, v59, v60
	v_sub_f32_e64 v60, 1.0, |v5|
	v_add_f32_e64 v61, |v5|, s50
	v_cmp_lt_f32_e64 s[6:7], |v5|, s49
	v_cndmask_b32_e64 v60, v60, v61, s[6:7]
	v_cndmask_b32_e64 v61, 0, 1, s[6:7]
	v_cmp_lt_f32_e64 s[6:7], |v5|, s51
	v_xor_b32_e32 v59, 0x80000000, v59
	v_cndmask_b32_e64 v60, v60, |v5|, s[6:7]
	v_cndmask_b32_e64 v61, v61, 2, s[6:7]
.LBB9_132:                              ;   in Loop: Header=BB9_4 Depth=1
	s_andn2_saveexec_b64 s[30:31], s[30:31]
; %bb.133:                              ;   in Loop: Header=BB9_4 Depth=1
	v_sub_f32_e64 v59, 2.0, |v5|
	v_add_f32_e64 v60, |v5|, s53
	v_cmp_lt_f32_e64 s[6:7], |v5|, s52
	v_cndmask_b32_e64 v60, v59, v60, s[6:7]
	v_cndmask_b32_e64 v59, v59, 1.0, s[6:7]
	v_cvt_i32_f32_e32 v59, v59
	v_add_f32_e64 v61, |v5|, -1.0
	v_cmp_lt_f32_e64 s[6:7], |v5|, s54
	v_cndmask_b32_e64 v60, v60, v61, s[6:7]
	v_cndmask_b32_e64 v61, v59, 2, s[6:7]
	v_mov_b32_e32 v59, 0
; %bb.134:                              ;   in Loop: Header=BB9_4 Depth=1
	s_or_b64 exec, exec, s[30:31]
	v_cmp_lt_i32_e64 s[6:7], 0, v61
	s_and_saveexec_b64 s[30:31], s[6:7]
	s_xor_b64 s[30:31], exec, s[30:31]
	s_cbranch_execz .LBB9_142
; %bb.135:                              ;   in Loop: Header=BB9_4 Depth=1
	v_cmp_lt_i32_e64 s[6:7], 1, v61
	s_and_saveexec_b64 s[34:35], s[6:7]
	s_xor_b64 s[34:35], exec, s[34:35]
	s_cbranch_execz .LBB9_139
; %bb.136:                              ;   in Loop: Header=BB9_4 Depth=1
	v_cmp_eq_u32_e64 s[6:7], 2, v61
	s_and_saveexec_b64 s[36:37], s[6:7]
	s_cbranch_execz .LBB9_138
; %bb.137:                              ;   in Loop: Header=BB9_4 Depth=1
	v_mov_b32_e32 v62, 0x3dd572af
	v_fmac_f32_e32 v62, 0x3b52d5db, v60
	v_fma_f32 v62, v60, v62, v25
	v_mov_b32_e32 v61, 0x3e6a7578
	v_fma_f32 v62, v60, v62, v26
	v_fmac_f32_e32 v61, 0x3c5b3c5e, v60
	v_fma_f32 v62, v60, v62, v27
	v_fma_f32 v61, v60, v61, v22
	v_fma_f32 v62, v60, v62, 1.0
	v_fma_f32 v61, v60, v61, v23
	v_rcp_f32_e32 v62, v62
	v_fma_f32 v61, v60, v61, v24
	v_fma_f32 v61, v60, v61, v17
	v_mul_f32_e32 v61, v60, v61
	v_mul_f32_e32 v61, v61, v62
	v_fmac_f32_e32 v61, -0.5, v60
	v_add_f32_e32 v59, v59, v61
.LBB9_138:                              ;   in Loop: Header=BB9_4 Depth=1
	s_or_b64 exec, exec, s[36:37]
                                        ; implicit-def: $vgpr60
.LBB9_139:                              ;   in Loop: Header=BB9_4 Depth=1
	s_andn2_saveexec_b64 s[6:7], s[34:35]
	s_cbranch_execz .LBB9_141
; %bb.140:                              ;   in Loop: Header=BB9_4 Depth=1
	v_mul_f32_e32 v61, v60, v60
	v_mul_f32_e32 v62, v60, v61
	v_mov_b32_e32 v64, 0x3a66f867
	v_mov_b32_e32 v65, 0xba0d3085
	v_fmac_f32_e32 v64, 0xb9a3f927, v62
	v_fmac_f32_e32 v65, 0x39afe9f7, v62
	v_mov_b32_e32 v63, 0xbab7f476
	v_fma_f32 v64, v62, v64, v31
	v_fma_f32 v65, v62, v65, v34
	v_fmac_f32_e32 v63, 0x39a57b6b, v62
	v_fma_f32 v64, v62, v64, v32
	v_fma_f32 v65, v62, v65, v35
	;; [unrolled: 1-line block ×6, first 2 shown]
	v_fmac_f32_e32 v64, v60, v65
	v_fma_f32 v63, v62, v63, v30
	v_fma_f32 v60, v62, -v64, s55
	v_fma_f32 v60, v61, v63, -v60
	v_add_f32_e32 v60, 0xbdf8cdce, v60
	v_add_f32_e32 v59, v59, v60
.LBB9_141:                              ;   in Loop: Header=BB9_4 Depth=1
	s_or_b64 exec, exec, s[6:7]
                                        ; implicit-def: $vgpr61
                                        ; implicit-def: $vgpr60
.LBB9_142:                              ;   in Loop: Header=BB9_4 Depth=1
	s_andn2_saveexec_b64 s[30:31], s[30:31]
	s_cbranch_execz .LBB9_146
; %bb.143:                              ;   in Loop: Header=BB9_4 Depth=1
	v_cmp_eq_u32_e64 s[6:7], 0, v61
	s_and_saveexec_b64 s[34:35], s[6:7]
	s_cbranch_execz .LBB9_145
; %bb.144:                              ;   in Loop: Header=BB9_4 Depth=1
	v_mul_f32_e32 v61, v60, v60
	v_mov_b32_e32 v63, 0x38e28445
	v_mov_b32_e32 v62, 0x39679767
	v_fmac_f32_e32 v63, 0x383c2c75, v61
	v_fmac_f32_e32 v62, 0x37d383a2, v61
	v_fma_f32 v63, v61, v63, v41
	v_fma_f32 v62, v61, v62, v37
	;; [unrolled: 1-line block ×8, first 2 shown]
	v_mul_f32_e32 v61, v61, v63
	v_fmac_f32_e32 v61, v60, v62
	v_fmac_f32_e32 v61, -0.5, v60
	v_add_f32_e32 v59, v59, v61
.LBB9_145:                              ;   in Loop: Header=BB9_4 Depth=1
	s_or_b64 exec, exec, s[34:35]
.LBB9_146:                              ;   in Loop: Header=BB9_4 Depth=1
	s_or_b64 exec, exec, s[30:31]
.LBB9_147:                              ;   in Loop: Header=BB9_4 Depth=1
	s_or_b64 exec, exec, s[8:9]
.LBB9_148:                              ;   in Loop: Header=BB9_4 Depth=1
	s_andn2_saveexec_b64 s[10:11], s[10:11]
	s_cbranch_execz .LBB9_150
; %bb.149:                              ;   in Loop: Header=BB9_4 Depth=1
	v_cmp_lt_f32_e64 s[6:7], |v5|, s45
	v_cndmask_b32_e64 v59, 1.0, v51, s[6:7]
	v_mul_f32_e64 v59, |v5|, v59
	v_log_f32_e32 v59, v59
	v_fma_f32 v60, |v5|, s56, v53
	v_fma_f32 v60, |v5|, v60, s57
	;; [unrolled: 1-line block ×3, first 2 shown]
	v_mul_f32_e32 v61, 0x3f317217, v59
	v_fma_f32 v62, v59, s46, -v61
	v_fmac_f32_e32 v62, 0x3377d1cf, v59
	v_add_f32_e32 v61, v61, v62
	v_cmp_lt_f32_e64 s[8:9], |v59|, s47
	v_cndmask_b32_e64 v59, v59, v61, s[8:9]
	v_cndmask_b32_e64 v61, 0, v52, s[6:7]
	v_sub_f32_e32 v59, v59, v61
	v_fma_f32 v59, |v5|, v60, -v59
.LBB9_150:                              ;   in Loop: Header=BB9_4 Depth=1
	s_or_b64 exec, exec, s[10:11]
	v_cmp_le_f32_e64 s[6:7], 0, v5
	v_cmp_nle_f32_e64 s[8:9], 0, v5
	s_and_saveexec_b64 s[10:11], s[8:9]
	s_xor_b64 s[30:31], exec, s[10:11]
	s_cbranch_execz .LBB9_154
; %bb.151:                              ;   in Loop: Header=BB9_4 Depth=1
	v_cmp_lt_f32_e64 s[8:9], |v5|, s59
	v_cmp_gt_f32_e64 s[10:11], |v5|, s60
	s_and_b64 s[8:9], s[8:9], s[10:11]
	s_and_saveexec_b64 s[34:35], s[8:9]
	s_cbranch_execz .LBB9_153
; %bb.152:                              ;   in Loop: Header=BB9_4 Depth=1
	v_mul_f32_e64 v60, |v5|, 0.5
	v_floor_f32_e32 v61, v60
	v_sub_f32_e32 v61, v60, v61
	v_min_f32_e32 v61, 0x3f7fffff, v61
	v_add_f32_e32 v61, v61, v61
	v_cmp_neq_f32_e64 s[8:9], s47, v60
	v_cndmask_b32_e64 v60, 0, v61, s[8:9]
	v_cmp_gt_f32_e64 s[8:9], |v5|, 1.0
	v_cndmask_b32_e64 v60, |v5|, v60, s[8:9]
	v_add_f32_e32 v61, v60, v60
	v_rndne_f32_e32 v61, v61
	v_fmac_f32_e32 v60, -0.5, v61
	v_mul_f32_e32 v62, v60, v60
	v_mov_b32_e32 v63, 0xbf1f24be
	v_fmac_f32_e32 v63, 0x3e75aa41, v62
	v_fma_f32 v63, v62, v63, v45
	v_fma_f32 v63, v62, v63, v46
	v_mul_f32_e32 v64, v60, v62
	v_mul_f32_e32 v63, v64, v63
	v_fmac_f32_e32 v63, 0x40490fdb, v60
	v_mov_b32_e32 v60, 0x3e642e9d
	v_cvt_i32_f32_e32 v61, v61
	v_fmac_f32_e32 v60, 0x3d4be544, v62
	v_fma_f32 v60, v62, v60, v47
	v_fma_f32 v60, v62, v60, v48
	;; [unrolled: 1-line block ×3, first 2 shown]
	v_fma_f32 v60, v62, v60, 1.0
	v_and_b32_e32 v62, 1, v61
	v_lshlrev_b32_e32 v61, 30, v61
	v_cmp_eq_u32_e64 s[8:9], 0, v62
	v_and_b32_e32 v61, 0x80000000, v61
	v_xor_b32_e32 v58, v58, v5
	v_cndmask_b32_e64 v60, v60, v63, s[8:9]
	v_xor_b32_e32 v58, v58, v61
	v_xor_b32_e32 v58, v58, v60
	v_mul_f32_e32 v58, v5, v58
	v_frexp_mant_f32_e64 v60, |v58|
	v_rcp_f32_e32 v60, v60
	v_frexp_exp_i32_f32_e32 v58, v58
	v_sub_u32_e32 v58, 2, v58
	v_mul_f32_e32 v60, 0x3f490fdb, v60
	v_ldexp_f32 v58, v60, v58
	v_cmp_gt_f32_e64 s[8:9], s45, v58
	v_cndmask_b32_e64 v60, 1.0, v51, s[8:9]
	v_mul_f32_e32 v58, v58, v60
	v_log_f32_e32 v58, v58
	v_mul_f32_e32 v60, 0x3f317217, v58
	v_fma_f32 v61, v58, s46, -v60
	v_fmac_f32_e32 v61, 0x3377d1cf, v58
	v_add_f32_e32 v60, v60, v61
	v_cmp_lt_f32_e64 s[10:11], |v58|, s47
	v_cndmask_b32_e64 v58, v58, v60, s[10:11]
	v_cndmask_b32_e64 v60, 0, v52, s[8:9]
	v_sub_f32_e32 v58, v58, v60
	v_sub_f32_e32 v58, v58, v59
	v_floor_f32_e32 v59, v5
	v_sub_f32_e32 v59, v5, v59
	v_min_f32_e32 v59, 0x3f7fffff, v59
	v_cmp_neq_f32_e64 s[8:9], 0, v59
	v_cndmask_b32_e64 v59, v54, v58, s[8:9]
.LBB9_153:                              ;   in Loop: Header=BB9_4 Depth=1
	s_or_b64 exec, exec, s[34:35]
.LBB9_154:                              ;   in Loop: Header=BB9_4 Depth=1
	s_andn2_saveexec_b64 s[30:31], s[30:31]
	s_cbranch_execz .LBB9_3
; %bb.155:                              ;   in Loop: Header=BB9_4 Depth=1
	v_cmp_eq_f32_e64 s[8:9], 1.0, v5
	v_cmp_eq_f32_e64 s[10:11], 2.0, v5
	s_or_b64 s[8:9], s[8:9], s[10:11]
	v_cndmask_b32_e64 v59, v59, 0, s[8:9]
	s_branch .LBB9_3
.LBB9_156:
	s_or_b64 exec, exec, s[22:23]
	s_mov_b64 s[0:1], 0
.LBB9_157:
	s_andn2_b64 vcc, exec, s[0:1]
	s_cbranch_vccnz .LBB9_329
; %bb.158:
	v_cmp_lt_i64_e64 s[0:1], s[20:21], 1
	s_and_b64 vcc, exec, s[0:1]
	s_cbranch_vccnz .LBB9_329
; %bb.159:
	s_load_dword s0, s[4:5], 0xc5c
	v_mov_b32_e32 v2, 0x10000
	v_mov_b32_e32 v3, 0
	v_cmp_lt_u64_e32 vcc, s[20:21], v[2:3]
	v_lshlrev_b32_e32 v10, 2, v0
	s_waitcnt lgkmcnt(0)
	s_and_b32 s2, s0, 0xffff
	s_and_b64 s[0:1], vcc, exec
	v_mov_b32_e32 v13, s15
	v_add_co_u32_e32 v2, vcc, s14, v10
	v_addc_co_u32_e32 v1, vcc, 0, v13, vcc
	v_mov_b32_e32 v11, 0
	v_mov_b32_e32 v15, s13
	v_add_co_u32_e32 v4, vcc, s12, v10
	v_addc_co_u32_e32 v3, vcc, 0, v15, vcc
	v_mad_u64_u32 v[8:9], s[0:1], s2, 12, v[10:11]
	v_add_co_u32_e32 v6, vcc, s14, v8
	v_addc_co_u32_e32 v5, vcc, v13, v9, vcc
	v_add_co_u32_e32 v8, vcc, s12, v8
	s_mul_i32 s4, s2, 3
	v_addc_co_u32_e32 v7, vcc, v15, v9, vcc
	v_add_co_u32_e32 v17, vcc, s4, v0
	v_addc_co_u32_e64 v18, s[0:1], 0, 0, vcc
	s_cselect_b32 s23, s21, 0
	s_cselect_b32 s22, s20, 0x10000
	s_lshl_b32 s0, s2, 3
	v_add_co_u32_e32 v11, vcc, s0, v10
	v_addc_co_u32_e64 v14, s[0:1], 0, 0, vcc
	v_add_co_u32_e32 v10, vcc, s14, v11
	v_addc_co_u32_e32 v9, vcc, v13, v14, vcc
	v_add_co_u32_e32 v12, vcc, s12, v11
	s_lshl_b32 s3, s2, 1
	v_addc_co_u32_e32 v11, vcc, v15, v14, vcc
	v_add_co_u32_e32 v19, vcc, s3, v0
	v_addc_co_u32_e64 v20, s[0:1], 0, 0, vcc
	v_add_co_u32_e32 v21, vcc, s2, v0
	v_lshlrev_b32_e32 v16, 2, v21
	v_addc_co_u32_e64 v22, s[0:1], 0, 0, vcc
	v_add_co_u32_e32 v14, vcc, s14, v16
	v_addc_co_u32_e32 v13, vcc, 0, v13, vcc
	v_add_co_u32_e32 v16, vcc, s12, v16
	s_mov_b32 s26, 2.0
	s_mov_b32 s33, 0
	s_lshl_b32 s36, s2, 2
	s_lshl_b32 s37, s2, 4
	v_addc_co_u32_e32 v15, vcc, 0, v15, vcc
	s_mov_b64 s[24:25], 0
	s_mov_b32 s38, 0x3c800000
	s_mov_b32 s27, 0x40400000
	;; [unrolled: 1-line block ×7, first 2 shown]
	v_mov_b32_e32 v23, 0xba1c065c
	v_mov_b32_e32 v24, 0x3a500cfd
	;; [unrolled: 1-line block ×14, first 2 shown]
	s_mov_b32 s44, 0x3f666666
	s_mov_b32 s45, 0x3f3b4a23
	;; [unrolled: 1-line block ×7, first 2 shown]
	v_mov_b32_e32 v37, 0x3f7a4bb2
	v_mov_b32_e32 v38, 0x3fba3ae7
	;; [unrolled: 1-line block ×6, first 2 shown]
	s_mov_b32 s51, 0xa2863e55
	s_mov_b32 s52, 0x3e8a8991
	;; [unrolled: 1-line block ×6, first 2 shown]
	v_mov_b32_e32 v43, 0x3bc7e707
	v_mov_b32_e32 v44, 0xbd064d47
	;; [unrolled: 1-line block ×27, first 2 shown]
	s_branch .LBB9_161
.LBB9_160:                              ;   in Loop: Header=BB9_161 Depth=1
	s_or_b64 exec, exec, s[0:1]
	s_add_u32 s24, s24, s36
	s_addc_u32 s25, s25, 0
	v_pk_mov_b32 v[70:71], s[20:21], s[20:21] op_sel:[0,1]
	v_cmp_ge_i64_e32 vcc, s[24:25], v[70:71]
	v_mov_b32_e32 v70, 0xffff
	v_mov_b32_e32 v71, 0
	v_cmp_gt_u64_e64 s[0:1], s[24:25], v[70:71]
	s_or_b64 s[0:1], vcc, s[0:1]
	v_mov_b32_e32 v70, s33
	v_add_co_u32_e32 v2, vcc, s37, v2
	v_addc_co_u32_e32 v1, vcc, v1, v70, vcc
	v_add_co_u32_e32 v4, vcc, s37, v4
	v_addc_co_u32_e32 v3, vcc, v3, v70, vcc
	;; [unrolled: 2-line block ×8, first 2 shown]
	s_and_b64 vcc, exec, s[0:1]
	s_cbranch_vccnz .LBB9_329
.LBB9_161:                              ; =>This Inner Loop Header: Depth=1
	v_mov_b32_e32 v71, s25
	v_add_co_u32_e32 v70, vcc, s24, v0
	v_addc_co_u32_e32 v71, vcc, 0, v71, vcc
	v_cmp_gt_u64_e32 vcc, s[22:23], v[70:71]
	v_mov_b32_e32 v71, 0
	s_and_saveexec_b64 s[2:3], vcc
	s_cbranch_execz .LBB9_163
; %bb.162:                              ;   in Loop: Header=BB9_161 Depth=1
	v_mov_b32_e32 v71, s19
	v_add_co_u32_e64 v70, s[0:1], s18, v2
	v_addc_co_u32_e64 v71, s[0:1], v1, v71, s[0:1]
	global_load_dword v71, v[70:71], off
.LBB9_163:                              ;   in Loop: Header=BB9_161 Depth=1
	s_or_b64 exec, exec, s[2:3]
	v_mov_b32_e32 v70, s25
	v_add_co_u32_e64 v72, s[0:1], s24, v21
	v_addc_co_u32_e64 v73, s[0:1], v22, v70, s[0:1]
	v_cmp_gt_u64_e64 s[0:1], s[22:23], v[72:73]
	v_mov_b32_e32 v72, 0
	s_and_saveexec_b64 s[4:5], s[0:1]
	s_cbranch_execz .LBB9_165
; %bb.164:                              ;   in Loop: Header=BB9_161 Depth=1
	v_mov_b32_e32 v70, s19
	v_add_co_u32_e64 v72, s[2:3], s18, v14
	v_addc_co_u32_e64 v73, s[2:3], v13, v70, s[2:3]
	global_load_dword v72, v[72:73], off
.LBB9_165:                              ;   in Loop: Header=BB9_161 Depth=1
	s_or_b64 exec, exec, s[4:5]
	v_mov_b32_e32 v70, s25
	v_add_co_u32_e64 v74, s[2:3], s24, v19
	v_addc_co_u32_e64 v75, s[2:3], v20, v70, s[2:3]
	v_cmp_gt_u64_e64 s[2:3], s[22:23], v[74:75]
	v_mov_b32_e32 v70, 0
	v_mov_b32_e32 v73, 0
	s_and_saveexec_b64 s[6:7], s[2:3]
	s_cbranch_execz .LBB9_167
; %bb.166:                              ;   in Loop: Header=BB9_161 Depth=1
	v_mov_b32_e32 v73, s19
	v_add_co_u32_e64 v74, s[4:5], s18, v10
	v_addc_co_u32_e64 v75, s[4:5], v9, v73, s[4:5]
	global_load_dword v73, v[74:75], off
.LBB9_167:                              ;   in Loop: Header=BB9_161 Depth=1
	s_or_b64 exec, exec, s[6:7]
	v_mov_b32_e32 v75, s25
	v_add_co_u32_e64 v74, s[4:5], s24, v17
	v_addc_co_u32_e64 v75, s[4:5], v18, v75, s[4:5]
	v_cmp_gt_u64_e64 s[4:5], s[22:23], v[74:75]
	s_and_saveexec_b64 s[8:9], s[4:5]
	s_cbranch_execz .LBB9_169
; %bb.168:                              ;   in Loop: Header=BB9_161 Depth=1
	v_mov_b32_e32 v70, s19
	v_add_co_u32_e64 v74, s[6:7], s18, v6
	v_addc_co_u32_e64 v75, s[6:7], v5, v70, s[6:7]
	global_load_dword v70, v[74:75], off
.LBB9_169:                              ;   in Loop: Header=BB9_161 Depth=1
	s_or_b64 exec, exec, s[8:9]
	s_waitcnt vmcnt(0)
	v_and_b32_e32 v75, 0x7fffffff, v71
	v_cmp_nlt_f32_e64 s[6:7], |v71|, s38
                                        ; implicit-def: $vgpr74
	s_and_saveexec_b64 s[8:9], s[6:7]
	s_xor_b64 s[10:11], exec, s[8:9]
	s_cbranch_execz .LBB9_199
; %bb.170:                              ;   in Loop: Header=BB9_161 Depth=1
	v_cmp_nlt_f32_e64 s[6:7], |v71|, 2.0
                                        ; implicit-def: $vgpr74
	s_and_saveexec_b64 s[8:9], s[6:7]
	s_xor_b64 s[12:13], exec, s[8:9]
	s_cbranch_execz .LBB9_180
; %bb.171:                              ;   in Loop: Header=BB9_161 Depth=1
	v_cmp_nlt_f32_e64 s[6:7], |v71|, s39
                                        ; implicit-def: $vgpr74
	s_and_saveexec_b64 s[8:9], s[6:7]
	s_xor_b64 s[14:15], exec, s[8:9]
	s_cbranch_execz .LBB9_177
; %bb.172:                              ;   in Loop: Header=BB9_161 Depth=1
	v_cmp_nlt_f32_e64 s[6:7], |v71|, s40
                                        ; implicit-def: $vgpr74
	s_and_saveexec_b64 s[8:9], s[6:7]
	s_xor_b64 s[16:17], exec, s[8:9]
	s_cbranch_execz .LBB9_174
; %bb.173:                              ;   in Loop: Header=BB9_161 Depth=1
	v_cmp_lt_f32_e64 s[6:7], |v71|, s41
	v_cndmask_b32_e64 v74, 1.0, v66, s[6:7]
	v_mul_f32_e64 v74, |v71|, v74
	v_log_f32_e32 v74, v74
	v_mul_f32_e32 v76, 0x3f317217, v74
	v_fma_f32 v77, v74, s42, -v76
	v_fmac_f32_e32 v77, 0x3377d1cf, v74
	v_add_f32_e32 v76, v76, v77
	v_cmp_lt_f32_e64 s[8:9], |v74|, s43
	v_cndmask_b32_e64 v74, v74, v76, s[8:9]
	v_cndmask_b32_e64 v76, 0, v67, s[6:7]
	v_sub_f32_e32 v74, v74, v76
	v_fma_f32 v74, |v71|, v74, -|v71|
.LBB9_174:                              ;   in Loop: Header=BB9_161 Depth=1
	s_andn2_saveexec_b64 s[16:17], s[16:17]
	s_cbranch_execz .LBB9_176
; %bb.175:                              ;   in Loop: Header=BB9_161 Depth=1
	v_rcp_f32_e64 v74, |v71|
	v_cmp_lt_f32_e64 s[6:7], |v71|, s41
	v_cndmask_b32_e64 v77, 1.0, v66, s[6:7]
	v_mov_b32_e32 v76, 0x3a5b3dd2
	v_mul_f32_e32 v78, v74, v74
	v_mul_f32_e64 v77, |v71|, v77
	v_fmac_f32_e32 v76, 0xbad5c4e8, v78
	v_log_f32_e32 v77, v77
	v_fma_f32 v76, v78, v76, v23
	v_fma_f32 v76, v78, v76, v24
	;; [unrolled: 1-line block ×4, first 2 shown]
	v_mul_f32_e32 v78, 0x3f317217, v77
	v_fma_f32 v79, v77, s42, -v78
	v_fmac_f32_e32 v79, 0x3377d1cf, v77
	v_add_f32_e32 v78, v78, v79
	v_cmp_lt_f32_e64 s[8:9], |v77|, s43
	v_cndmask_b32_e64 v77, v77, v78, s[8:9]
	v_cndmask_b32_e64 v78, 0, v67, s[6:7]
	v_sub_f32_e32 v77, v77, v78
	v_fma_f32 v74, v74, v76, v27
	v_add_f32_e64 v76, |v71|, -0.5
	v_add_f32_e32 v77, -1.0, v77
	v_fmac_f32_e32 v74, v76, v77
.LBB9_176:                              ;   in Loop: Header=BB9_161 Depth=1
	s_or_b64 exec, exec, s[16:17]
.LBB9_177:                              ;   in Loop: Header=BB9_161 Depth=1
	s_andn2_saveexec_b64 s[14:15], s[14:15]
	s_cbranch_execz .LBB9_179
; %bb.178:                              ;   in Loop: Header=BB9_161 Depth=1
	v_cvt_i32_f32_e32 v78, v75
	v_mov_b32_e32 v76, 0x3af135b4
	v_mov_b32_e32 v77, 0x3a4beed6
	v_cvt_f32_i32_e32 v74, v78
	v_cmp_lt_i32_e64 s[6:7], 3, v78
	v_sub_f32_e64 v74, |v71|, v74
	v_fmac_f32_e32 v76, 0x3805ff67, v74
	v_fmac_f32_e32 v77, 0x36f5d7bd, v74
	v_fma_f32 v76, v74, v76, v28
	v_fma_f32 v77, v74, v77, v33
	;; [unrolled: 1-line block ×9, first 2 shown]
	v_fma_f32 v76, v74, v76, 1.0
	v_rcp_f32_e32 v80, v76
	v_pk_add_f32 v[76:77], v[74:75], s[26:27] op_sel_hi:[0,1]
	v_cndmask_b32_e64 v77, 1.0, v77, s[6:7]
	v_cmp_lt_i32_e64 s[6:7], 2, v78
	v_add_f32_e32 v81, 4.0, v74
	v_cndmask_b32_e64 v76, 1.0, v76, s[6:7]
	v_cmp_lt_i32_e64 s[6:7], 4, v78
	v_add_f32_e32 v82, 0x40a00000, v74
	v_mul_f32_e32 v76, v76, v77
	v_cndmask_b32_e64 v77, 1.0, v81, s[6:7]
	v_cmp_lt_i32_e64 s[6:7], 5, v78
	v_add_f32_e32 v83, 0x40c00000, v74
	v_mul_f32_e32 v76, v77, v76
	v_cndmask_b32_e64 v77, 1.0, v82, s[6:7]
	v_cmp_lt_i32_e64 s[6:7], 6, v78
	v_mul_f32_e32 v76, v77, v76
	v_cndmask_b32_e64 v77, 1.0, v83, s[6:7]
	v_mul_f32_e32 v76, v77, v76
	v_cmp_gt_f32_e64 s[6:7], s41, v76
	v_cndmask_b32_e64 v77, 1.0, v66, s[6:7]
	v_mul_f32_e32 v76, v76, v77
	v_log_f32_e32 v76, v76
	v_mul_f32_e32 v77, v74, v79
	v_mul_f32_e32 v77, v77, v80
	v_fmac_f32_e32 v77, 0.5, v74
	v_mul_f32_e32 v74, 0x3f317217, v76
	v_fma_f32 v78, v76, s42, -v74
	v_fmac_f32_e32 v78, 0x3377d1cf, v76
	v_add_f32_e32 v74, v74, v78
	v_cmp_lt_f32_e64 s[8:9], |v76|, s43
	v_cndmask_b32_e64 v74, v76, v74, s[8:9]
	v_cndmask_b32_e64 v76, 0, v67, s[6:7]
	v_sub_f32_e32 v74, v74, v76
	v_add_f32_e32 v74, v74, v77
.LBB9_179:                              ;   in Loop: Header=BB9_161 Depth=1
	s_or_b64 exec, exec, s[14:15]
.LBB9_180:                              ;   in Loop: Header=BB9_161 Depth=1
	s_andn2_saveexec_b64 s[8:9], s[12:13]
	s_cbranch_execz .LBB9_198
; %bb.181:                              ;   in Loop: Header=BB9_161 Depth=1
	v_cmp_le_f32_e64 s[6:7], |v71|, s44
                                        ; implicit-def: $vgpr74
                                        ; implicit-def: $vgpr77
                                        ; implicit-def: $vgpr76
	s_and_saveexec_b64 s[12:13], s[6:7]
	s_xor_b64 s[12:13], exec, s[12:13]
	s_cbranch_execz .LBB9_183
; %bb.182:                              ;   in Loop: Header=BB9_161 Depth=1
	v_cmp_lt_f32_e64 s[6:7], |v71|, s41
	v_cndmask_b32_e64 v74, 1.0, v66, s[6:7]
	v_mul_f32_e64 v74, |v71|, v74
	v_log_f32_e32 v74, v74
	v_cndmask_b32_e64 v76, 0, v67, s[6:7]
	v_mul_f32_e32 v77, 0x3f317217, v74
	v_fma_f32 v78, v74, s42, -v77
	v_fmac_f32_e32 v78, 0x3377d1cf, v74
	v_add_f32_e32 v77, v77, v78
	v_cmp_lt_f32_e64 s[6:7], |v74|, s43
	v_cndmask_b32_e64 v74, v74, v77, s[6:7]
	v_sub_f32_e32 v74, v74, v76
	v_sub_f32_e64 v76, 1.0, |v71|
	v_add_f32_e64 v77, |v71|, s46
	v_cmp_lt_f32_e64 s[6:7], |v71|, s45
	v_cndmask_b32_e64 v76, v76, v77, s[6:7]
	v_cndmask_b32_e64 v77, 0, 1, s[6:7]
	v_cmp_lt_f32_e64 s[6:7], |v71|, s47
	v_xor_b32_e32 v74, 0x80000000, v74
	v_cndmask_b32_e64 v76, v76, |v71|, s[6:7]
	v_cndmask_b32_e64 v77, v77, 2, s[6:7]
.LBB9_183:                              ;   in Loop: Header=BB9_161 Depth=1
	s_andn2_saveexec_b64 s[12:13], s[12:13]
; %bb.184:                              ;   in Loop: Header=BB9_161 Depth=1
	v_sub_f32_e64 v74, 2.0, |v71|
	v_add_f32_e64 v76, |v71|, s49
	v_cmp_lt_f32_e64 s[6:7], |v71|, s48
	v_cndmask_b32_e64 v76, v74, v76, s[6:7]
	v_cndmask_b32_e64 v74, v74, 1.0, s[6:7]
	v_cvt_i32_f32_e32 v74, v74
	v_add_f32_e64 v77, |v71|, -1.0
	v_cmp_lt_f32_e64 s[6:7], |v71|, s50
	v_cndmask_b32_e64 v76, v76, v77, s[6:7]
	v_cndmask_b32_e64 v77, v74, 2, s[6:7]
	v_mov_b32_e32 v74, 0
; %bb.185:                              ;   in Loop: Header=BB9_161 Depth=1
	s_or_b64 exec, exec, s[12:13]
	v_cmp_lt_i32_e64 s[6:7], 0, v77
	s_and_saveexec_b64 s[12:13], s[6:7]
	s_xor_b64 s[12:13], exec, s[12:13]
	s_cbranch_execz .LBB9_193
; %bb.186:                              ;   in Loop: Header=BB9_161 Depth=1
	v_cmp_lt_i32_e64 s[6:7], 1, v77
	s_and_saveexec_b64 s[14:15], s[6:7]
	s_xor_b64 s[14:15], exec, s[14:15]
	s_cbranch_execz .LBB9_190
; %bb.187:                              ;   in Loop: Header=BB9_161 Depth=1
	v_cmp_eq_u32_e64 s[6:7], 2, v77
	s_and_saveexec_b64 s[16:17], s[6:7]
	s_cbranch_execz .LBB9_189
; %bb.188:                              ;   in Loop: Header=BB9_161 Depth=1
	v_mov_b32_e32 v78, 0x3dd572af
	v_fmac_f32_e32 v78, 0x3b52d5db, v76
	v_fma_f32 v78, v76, v78, v40
	v_mov_b32_e32 v77, 0x3e6a7578
	v_fma_f32 v78, v76, v78, v41
	v_fmac_f32_e32 v77, 0x3c5b3c5e, v76
	v_fma_f32 v78, v76, v78, v42
	v_fma_f32 v77, v76, v77, v37
	v_fma_f32 v78, v76, v78, 1.0
	v_fma_f32 v77, v76, v77, v38
	v_rcp_f32_e32 v78, v78
	v_fma_f32 v77, v76, v77, v39
	v_fma_f32 v77, v76, v77, v32
	v_mul_f32_e32 v77, v76, v77
	v_mul_f32_e32 v77, v77, v78
	v_fmac_f32_e32 v77, -0.5, v76
	v_add_f32_e32 v74, v74, v77
.LBB9_189:                              ;   in Loop: Header=BB9_161 Depth=1
	s_or_b64 exec, exec, s[16:17]
                                        ; implicit-def: $vgpr76
.LBB9_190:                              ;   in Loop: Header=BB9_161 Depth=1
	s_andn2_saveexec_b64 s[6:7], s[14:15]
	s_cbranch_execz .LBB9_192
; %bb.191:                              ;   in Loop: Header=BB9_161 Depth=1
	v_mul_f32_e32 v77, v76, v76
	v_mul_f32_e32 v78, v76, v77
	v_mov_b32_e32 v80, 0x3a66f867
	v_mov_b32_e32 v81, 0xba0d3085
	v_fmac_f32_e32 v80, 0xb9a3f927, v78
	v_fmac_f32_e32 v81, 0x39afe9f7, v78
	v_mov_b32_e32 v79, 0xbab7f476
	v_fma_f32 v80, v78, v80, v46
	v_fma_f32 v81, v78, v81, v49
	v_fmac_f32_e32 v79, 0x39a57b6b, v78
	v_fma_f32 v80, v78, v80, v47
	v_fma_f32 v81, v78, v81, v50
	;; [unrolled: 1-line block ×6, first 2 shown]
	v_fmac_f32_e32 v80, v76, v81
	v_fma_f32 v79, v78, v79, v45
	v_fma_f32 v76, v78, -v80, s51
	v_fma_f32 v76, v77, v79, -v76
	v_add_f32_e32 v76, 0xbdf8cdce, v76
	v_add_f32_e32 v74, v74, v76
.LBB9_192:                              ;   in Loop: Header=BB9_161 Depth=1
	s_or_b64 exec, exec, s[6:7]
                                        ; implicit-def: $vgpr77
                                        ; implicit-def: $vgpr76
.LBB9_193:                              ;   in Loop: Header=BB9_161 Depth=1
	s_andn2_saveexec_b64 s[12:13], s[12:13]
	s_cbranch_execz .LBB9_197
; %bb.194:                              ;   in Loop: Header=BB9_161 Depth=1
	v_cmp_eq_u32_e64 s[6:7], 0, v77
	s_and_saveexec_b64 s[14:15], s[6:7]
	s_cbranch_execz .LBB9_196
; %bb.195:                              ;   in Loop: Header=BB9_161 Depth=1
	v_mul_f32_e32 v77, v76, v76
	v_mov_b32_e32 v79, 0x38e28445
	v_mov_b32_e32 v78, 0x39679767
	v_fmac_f32_e32 v79, 0x383c2c75, v77
	v_fmac_f32_e32 v78, 0x37d383a2, v77
	v_fma_f32 v79, v77, v79, v56
	v_fma_f32 v78, v77, v78, v52
	;; [unrolled: 1-line block ×8, first 2 shown]
	v_mul_f32_e32 v77, v77, v79
	v_fmac_f32_e32 v77, v76, v78
	v_fmac_f32_e32 v77, -0.5, v76
	v_add_f32_e32 v74, v74, v77
.LBB9_196:                              ;   in Loop: Header=BB9_161 Depth=1
	s_or_b64 exec, exec, s[14:15]
.LBB9_197:                              ;   in Loop: Header=BB9_161 Depth=1
	s_or_b64 exec, exec, s[12:13]
.LBB9_198:                              ;   in Loop: Header=BB9_161 Depth=1
	s_or_b64 exec, exec, s[8:9]
.LBB9_199:                              ;   in Loop: Header=BB9_161 Depth=1
	s_andn2_saveexec_b64 s[10:11], s[10:11]
	s_cbranch_execz .LBB9_201
; %bb.200:                              ;   in Loop: Header=BB9_161 Depth=1
	v_cmp_lt_f32_e64 s[6:7], |v71|, s41
	v_cndmask_b32_e64 v74, 1.0, v66, s[6:7]
	v_mul_f32_e64 v74, |v71|, v74
	v_log_f32_e32 v74, v74
	v_fma_f32 v76, |v71|, s52, v68
	v_fma_f32 v76, |v71|, v76, s53
	;; [unrolled: 1-line block ×3, first 2 shown]
	v_mul_f32_e32 v77, 0x3f317217, v74
	v_fma_f32 v78, v74, s42, -v77
	v_fmac_f32_e32 v78, 0x3377d1cf, v74
	v_add_f32_e32 v77, v77, v78
	v_cmp_lt_f32_e64 s[8:9], |v74|, s43
	v_cndmask_b32_e64 v74, v74, v77, s[8:9]
	v_cndmask_b32_e64 v77, 0, v67, s[6:7]
	v_sub_f32_e32 v74, v74, v77
	v_fma_f32 v74, |v71|, v76, -v74
.LBB9_201:                              ;   in Loop: Header=BB9_161 Depth=1
	s_or_b64 exec, exec, s[10:11]
	v_cmp_le_f32_e64 s[6:7], 0, v71
	v_cmp_nle_f32_e64 s[8:9], 0, v71
	s_and_saveexec_b64 s[10:11], s[8:9]
	s_xor_b64 s[12:13], exec, s[10:11]
	s_cbranch_execz .LBB9_205
; %bb.202:                              ;   in Loop: Header=BB9_161 Depth=1
	v_cmp_lt_f32_e64 s[8:9], |v71|, s55
	v_cmp_gt_f32_e64 s[10:11], |v71|, s56
	s_and_b64 s[8:9], s[8:9], s[10:11]
	s_and_saveexec_b64 s[14:15], s[8:9]
	s_cbranch_execz .LBB9_204
; %bb.203:                              ;   in Loop: Header=BB9_161 Depth=1
	v_mul_f32_e64 v76, |v71|, 0.5
	v_floor_f32_e32 v77, v76
	v_sub_f32_e32 v77, v76, v77
	v_min_f32_e32 v77, 0x3f7fffff, v77
	v_add_f32_e32 v77, v77, v77
	v_cmp_neq_f32_e64 s[8:9], s43, v76
	v_cndmask_b32_e64 v76, 0, v77, s[8:9]
	v_cmp_gt_f32_e64 s[8:9], |v71|, 1.0
	v_cndmask_b32_e64 v76, |v71|, v76, s[8:9]
	v_add_f32_e32 v77, v76, v76
	v_rndne_f32_e32 v77, v77
	v_fmac_f32_e32 v76, -0.5, v77
	v_mul_f32_e32 v78, v76, v76
	v_mov_b32_e32 v79, 0xbf1f24be
	v_fmac_f32_e32 v79, 0x3e75aa41, v78
	v_fma_f32 v79, v78, v79, v60
	v_fma_f32 v79, v78, v79, v61
	v_mul_f32_e32 v80, v76, v78
	v_mul_f32_e32 v79, v80, v79
	v_fmac_f32_e32 v79, 0x40490fdb, v76
	v_mov_b32_e32 v76, 0x3e642e9d
	v_cvt_i32_f32_e32 v77, v77
	v_fmac_f32_e32 v76, 0x3d4be544, v78
	v_fma_f32 v76, v78, v76, v62
	v_fma_f32 v76, v78, v76, v63
	;; [unrolled: 1-line block ×3, first 2 shown]
	v_fma_f32 v76, v78, v76, 1.0
	v_and_b32_e32 v78, 1, v77
	v_lshlrev_b32_e32 v77, 30, v77
	v_cmp_eq_u32_e64 s[8:9], 0, v78
	v_and_b32_e32 v77, 0x80000000, v77
	v_xor_b32_e32 v75, v75, v71
	v_cndmask_b32_e64 v76, v76, v79, s[8:9]
	v_xor_b32_e32 v75, v75, v77
	v_xor_b32_e32 v75, v75, v76
	v_mul_f32_e32 v75, v71, v75
	v_frexp_mant_f32_e64 v76, |v75|
	v_rcp_f32_e32 v76, v76
	v_frexp_exp_i32_f32_e32 v75, v75
	v_sub_u32_e32 v75, 2, v75
	v_mul_f32_e32 v76, 0x3f490fdb, v76
	v_ldexp_f32 v75, v76, v75
	v_cmp_gt_f32_e64 s[8:9], s41, v75
	v_cndmask_b32_e64 v76, 1.0, v66, s[8:9]
	v_mul_f32_e32 v75, v75, v76
	v_log_f32_e32 v75, v75
	v_mul_f32_e32 v76, 0x3f317217, v75
	v_fma_f32 v77, v75, s42, -v76
	v_fmac_f32_e32 v77, 0x3377d1cf, v75
	v_add_f32_e32 v76, v76, v77
	v_cmp_lt_f32_e64 s[10:11], |v75|, s43
	v_cndmask_b32_e64 v75, v75, v76, s[10:11]
	v_cndmask_b32_e64 v76, 0, v67, s[8:9]
	v_sub_f32_e32 v75, v75, v76
	v_sub_f32_e32 v74, v75, v74
	v_floor_f32_e32 v75, v71
	v_sub_f32_e32 v75, v71, v75
	v_min_f32_e32 v75, 0x3f7fffff, v75
	v_cmp_neq_f32_e64 s[8:9], 0, v75
	v_cndmask_b32_e64 v74, v69, v74, s[8:9]
.LBB9_204:                              ;   in Loop: Header=BB9_161 Depth=1
	s_or_b64 exec, exec, s[14:15]
.LBB9_205:                              ;   in Loop: Header=BB9_161 Depth=1
	s_andn2_saveexec_b64 s[12:13], s[12:13]
; %bb.206:                              ;   in Loop: Header=BB9_161 Depth=1
	v_cmp_eq_f32_e64 s[8:9], 1.0, v71
	v_cmp_eq_f32_e64 s[10:11], 2.0, v71
	s_or_b64 s[8:9], s[8:9], s[10:11]
	v_cndmask_b32_e64 v74, v74, 0, s[8:9]
; %bb.207:                              ;   in Loop: Header=BB9_161 Depth=1
	s_or_b64 exec, exec, s[12:13]
	v_and_b32_e32 v76, 0x7fffffff, v72
	v_cmp_nlt_f32_e64 s[8:9], |v72|, s38
                                        ; implicit-def: $vgpr75
	s_and_saveexec_b64 s[10:11], s[8:9]
	s_xor_b64 s[12:13], exec, s[10:11]
	s_cbranch_execz .LBB9_237
; %bb.208:                              ;   in Loop: Header=BB9_161 Depth=1
	v_cmp_nlt_f32_e64 s[8:9], |v72|, 2.0
                                        ; implicit-def: $vgpr75
	s_and_saveexec_b64 s[10:11], s[8:9]
	s_xor_b64 s[14:15], exec, s[10:11]
	s_cbranch_execz .LBB9_218
; %bb.209:                              ;   in Loop: Header=BB9_161 Depth=1
	v_cmp_nlt_f32_e64 s[8:9], |v72|, s39
                                        ; implicit-def: $vgpr75
	s_and_saveexec_b64 s[10:11], s[8:9]
	s_xor_b64 s[16:17], exec, s[10:11]
	s_cbranch_execz .LBB9_215
; %bb.210:                              ;   in Loop: Header=BB9_161 Depth=1
	v_cmp_nlt_f32_e64 s[8:9], |v72|, s40
                                        ; implicit-def: $vgpr75
	s_and_saveexec_b64 s[10:11], s[8:9]
	s_xor_b64 s[28:29], exec, s[10:11]
	s_cbranch_execz .LBB9_212
; %bb.211:                              ;   in Loop: Header=BB9_161 Depth=1
	v_cmp_lt_f32_e64 s[8:9], |v72|, s41
	v_cndmask_b32_e64 v75, 1.0, v66, s[8:9]
	v_mul_f32_e64 v75, |v72|, v75
	v_log_f32_e32 v75, v75
	v_mul_f32_e32 v77, 0x3f317217, v75
	v_fma_f32 v78, v75, s42, -v77
	v_fmac_f32_e32 v78, 0x3377d1cf, v75
	v_add_f32_e32 v77, v77, v78
	v_cmp_lt_f32_e64 s[10:11], |v75|, s43
	v_cndmask_b32_e64 v75, v75, v77, s[10:11]
	v_cndmask_b32_e64 v77, 0, v67, s[8:9]
	v_sub_f32_e32 v75, v75, v77
	v_fma_f32 v75, |v72|, v75, -|v72|
.LBB9_212:                              ;   in Loop: Header=BB9_161 Depth=1
	s_andn2_saveexec_b64 s[28:29], s[28:29]
	s_cbranch_execz .LBB9_214
; %bb.213:                              ;   in Loop: Header=BB9_161 Depth=1
	v_rcp_f32_e64 v75, |v72|
	v_cmp_lt_f32_e64 s[8:9], |v72|, s41
	v_cndmask_b32_e64 v78, 1.0, v66, s[8:9]
	v_mov_b32_e32 v77, 0x3a5b3dd2
	v_mul_f32_e32 v79, v75, v75
	v_mul_f32_e64 v78, |v72|, v78
	v_fmac_f32_e32 v77, 0xbad5c4e8, v79
	v_log_f32_e32 v78, v78
	v_fma_f32 v77, v79, v77, v23
	v_fma_f32 v77, v79, v77, v24
	;; [unrolled: 1-line block ×4, first 2 shown]
	v_mul_f32_e32 v79, 0x3f317217, v78
	v_fma_f32 v80, v78, s42, -v79
	v_fmac_f32_e32 v80, 0x3377d1cf, v78
	v_add_f32_e32 v79, v79, v80
	v_cmp_lt_f32_e64 s[10:11], |v78|, s43
	v_cndmask_b32_e64 v78, v78, v79, s[10:11]
	v_cndmask_b32_e64 v79, 0, v67, s[8:9]
	v_sub_f32_e32 v78, v78, v79
	v_fma_f32 v75, v75, v77, v27
	v_add_f32_e64 v77, |v72|, -0.5
	v_add_f32_e32 v78, -1.0, v78
	v_fmac_f32_e32 v75, v77, v78
.LBB9_214:                              ;   in Loop: Header=BB9_161 Depth=1
	s_or_b64 exec, exec, s[28:29]
.LBB9_215:                              ;   in Loop: Header=BB9_161 Depth=1
	s_andn2_saveexec_b64 s[16:17], s[16:17]
	s_cbranch_execz .LBB9_217
; %bb.216:                              ;   in Loop: Header=BB9_161 Depth=1
	v_cvt_i32_f32_e32 v75, v76
	v_mov_b32_e32 v79, 0x3af135b4
	v_mov_b32_e32 v80, 0x3a4beed6
	v_cvt_f32_i32_e32 v77, v75
	v_cmp_lt_i32_e64 s[8:9], 3, v75
	v_sub_f32_e64 v78, |v72|, v77
	v_fmac_f32_e32 v79, 0x3805ff67, v78
	v_fmac_f32_e32 v80, 0x36f5d7bd, v78
	v_fma_f32 v77, v78, v79, v28
	v_fma_f32 v79, v78, v80, v33
	;; [unrolled: 1-line block ×5, first 2 shown]
	v_fma_f32 v79, v78, v79, 1.0
	v_rcp_f32_e32 v79, v79
	v_add_f32_e32 v82, 4.0, v78
	v_add_f32_e32 v83, 0x40a00000, v78
	v_add_f32_e32 v84, 0x40c00000, v78
	v_pk_add_f32 v[80:81], v[78:79], s[26:27] op_sel_hi:[0,1]
	v_cndmask_b32_e64 v81, 1.0, v81, s[8:9]
	v_cmp_lt_i32_e64 s[8:9], 2, v75
	v_cndmask_b32_e64 v80, 1.0, v80, s[8:9]
	v_cmp_lt_i32_e64 s[8:9], 4, v75
	v_mul_f32_e32 v80, v80, v81
	v_cndmask_b32_e64 v81, 1.0, v82, s[8:9]
	v_cmp_lt_i32_e64 s[8:9], 5, v75
	v_mul_f32_e32 v80, v81, v80
	;; [unrolled: 3-line block ×3, first 2 shown]
	v_cndmask_b32_e64 v75, 1.0, v84, s[8:9]
	v_mul_f32_e32 v75, v75, v80
	v_cmp_gt_f32_e64 s[8:9], s41, v75
	v_fma_f32 v77, v78, v77, v29
	v_cndmask_b32_e64 v80, 1.0, v66, s[8:9]
	v_fma_f32 v77, v78, v77, v30
	v_mul_f32_e32 v75, v75, v80
	v_fma_f32 v77, v78, v77, v31
	v_log_f32_e32 v75, v75
	v_fma_f32 v77, v78, v77, v32
	v_mul_f32_e32 v77, v78, v77
	v_mul_f32_e32 v77, v77, v79
	v_fmac_f32_e32 v77, 0.5, v78
	v_mul_f32_e32 v78, 0x3f317217, v75
	v_fma_f32 v79, v75, s42, -v78
	v_fmac_f32_e32 v79, 0x3377d1cf, v75
	v_add_f32_e32 v78, v78, v79
	v_cmp_lt_f32_e64 s[10:11], |v75|, s43
	v_cndmask_b32_e64 v75, v75, v78, s[10:11]
	v_cndmask_b32_e64 v78, 0, v67, s[8:9]
	v_sub_f32_e32 v75, v75, v78
	v_add_f32_e32 v75, v75, v77
.LBB9_217:                              ;   in Loop: Header=BB9_161 Depth=1
	s_or_b64 exec, exec, s[16:17]
.LBB9_218:                              ;   in Loop: Header=BB9_161 Depth=1
	s_andn2_saveexec_b64 s[10:11], s[14:15]
	s_cbranch_execz .LBB9_236
; %bb.219:                              ;   in Loop: Header=BB9_161 Depth=1
	v_cmp_le_f32_e64 s[8:9], |v72|, s44
                                        ; implicit-def: $vgpr75
                                        ; implicit-def: $vgpr78
                                        ; implicit-def: $vgpr77
	s_and_saveexec_b64 s[14:15], s[8:9]
	s_xor_b64 s[14:15], exec, s[14:15]
	s_cbranch_execz .LBB9_221
; %bb.220:                              ;   in Loop: Header=BB9_161 Depth=1
	v_cmp_lt_f32_e64 s[8:9], |v72|, s41
	v_cndmask_b32_e64 v75, 1.0, v66, s[8:9]
	v_mul_f32_e64 v75, |v72|, v75
	v_log_f32_e32 v75, v75
	v_cndmask_b32_e64 v77, 0, v67, s[8:9]
	v_mul_f32_e32 v78, 0x3f317217, v75
	v_fma_f32 v79, v75, s42, -v78
	v_fmac_f32_e32 v79, 0x3377d1cf, v75
	v_add_f32_e32 v78, v78, v79
	v_cmp_lt_f32_e64 s[8:9], |v75|, s43
	v_cndmask_b32_e64 v75, v75, v78, s[8:9]
	v_sub_f32_e32 v75, v75, v77
	v_sub_f32_e64 v77, 1.0, |v72|
	v_add_f32_e64 v78, |v72|, s46
	v_cmp_lt_f32_e64 s[8:9], |v72|, s45
	v_cndmask_b32_e64 v77, v77, v78, s[8:9]
	v_cndmask_b32_e64 v78, 0, 1, s[8:9]
	v_cmp_lt_f32_e64 s[8:9], |v72|, s47
	v_xor_b32_e32 v75, 0x80000000, v75
	v_cndmask_b32_e64 v77, v77, |v72|, s[8:9]
	v_cndmask_b32_e64 v78, v78, 2, s[8:9]
.LBB9_221:                              ;   in Loop: Header=BB9_161 Depth=1
	s_andn2_saveexec_b64 s[14:15], s[14:15]
; %bb.222:                              ;   in Loop: Header=BB9_161 Depth=1
	v_sub_f32_e64 v75, 2.0, |v72|
	v_add_f32_e64 v77, |v72|, s49
	v_cmp_lt_f32_e64 s[8:9], |v72|, s48
	v_cndmask_b32_e64 v77, v75, v77, s[8:9]
	v_cndmask_b32_e64 v75, v75, 1.0, s[8:9]
	v_cvt_i32_f32_e32 v75, v75
	v_add_f32_e64 v78, |v72|, -1.0
	v_cmp_lt_f32_e64 s[8:9], |v72|, s50
	v_cndmask_b32_e64 v77, v77, v78, s[8:9]
	v_cndmask_b32_e64 v78, v75, 2, s[8:9]
	v_mov_b32_e32 v75, 0
; %bb.223:                              ;   in Loop: Header=BB9_161 Depth=1
	s_or_b64 exec, exec, s[14:15]
	v_cmp_lt_i32_e64 s[8:9], 0, v78
	s_and_saveexec_b64 s[14:15], s[8:9]
	s_xor_b64 s[14:15], exec, s[14:15]
	s_cbranch_execz .LBB9_231
; %bb.224:                              ;   in Loop: Header=BB9_161 Depth=1
	v_cmp_lt_i32_e64 s[8:9], 1, v78
	s_and_saveexec_b64 s[16:17], s[8:9]
	s_xor_b64 s[16:17], exec, s[16:17]
	s_cbranch_execz .LBB9_228
; %bb.225:                              ;   in Loop: Header=BB9_161 Depth=1
	v_cmp_eq_u32_e64 s[8:9], 2, v78
	s_and_saveexec_b64 s[28:29], s[8:9]
	s_cbranch_execz .LBB9_227
; %bb.226:                              ;   in Loop: Header=BB9_161 Depth=1
	v_mov_b32_e32 v79, 0x3dd572af
	v_fmac_f32_e32 v79, 0x3b52d5db, v77
	v_fma_f32 v79, v77, v79, v40
	v_mov_b32_e32 v78, 0x3e6a7578
	v_fma_f32 v79, v77, v79, v41
	v_fmac_f32_e32 v78, 0x3c5b3c5e, v77
	v_fma_f32 v79, v77, v79, v42
	v_fma_f32 v78, v77, v78, v37
	v_fma_f32 v79, v77, v79, 1.0
	v_fma_f32 v78, v77, v78, v38
	v_rcp_f32_e32 v79, v79
	v_fma_f32 v78, v77, v78, v39
	v_fma_f32 v78, v77, v78, v32
	v_mul_f32_e32 v78, v77, v78
	v_mul_f32_e32 v78, v78, v79
	v_fmac_f32_e32 v78, -0.5, v77
	v_add_f32_e32 v75, v75, v78
.LBB9_227:                              ;   in Loop: Header=BB9_161 Depth=1
	s_or_b64 exec, exec, s[28:29]
                                        ; implicit-def: $vgpr77
.LBB9_228:                              ;   in Loop: Header=BB9_161 Depth=1
	s_andn2_saveexec_b64 s[8:9], s[16:17]
	s_cbranch_execz .LBB9_230
; %bb.229:                              ;   in Loop: Header=BB9_161 Depth=1
	v_mul_f32_e32 v78, v77, v77
	v_mul_f32_e32 v79, v77, v78
	v_mov_b32_e32 v81, 0x3a66f867
	v_mov_b32_e32 v82, 0xba0d3085
	v_fmac_f32_e32 v81, 0xb9a3f927, v79
	v_fmac_f32_e32 v82, 0x39afe9f7, v79
	v_mov_b32_e32 v80, 0xbab7f476
	v_fma_f32 v81, v79, v81, v46
	v_fma_f32 v82, v79, v82, v49
	v_fmac_f32_e32 v80, 0x39a57b6b, v79
	v_fma_f32 v81, v79, v81, v47
	v_fma_f32 v82, v79, v82, v50
	;; [unrolled: 1-line block ×6, first 2 shown]
	v_fmac_f32_e32 v81, v77, v82
	v_fma_f32 v80, v79, v80, v45
	v_fma_f32 v77, v79, -v81, s51
	v_fma_f32 v77, v78, v80, -v77
	v_add_f32_e32 v77, 0xbdf8cdce, v77
	v_add_f32_e32 v75, v75, v77
.LBB9_230:                              ;   in Loop: Header=BB9_161 Depth=1
	s_or_b64 exec, exec, s[8:9]
                                        ; implicit-def: $vgpr78
                                        ; implicit-def: $vgpr77
.LBB9_231:                              ;   in Loop: Header=BB9_161 Depth=1
	s_andn2_saveexec_b64 s[14:15], s[14:15]
	s_cbranch_execz .LBB9_235
; %bb.232:                              ;   in Loop: Header=BB9_161 Depth=1
	v_cmp_eq_u32_e64 s[8:9], 0, v78
	s_and_saveexec_b64 s[16:17], s[8:9]
	s_cbranch_execz .LBB9_234
; %bb.233:                              ;   in Loop: Header=BB9_161 Depth=1
	v_mul_f32_e32 v78, v77, v77
	v_mov_b32_e32 v80, 0x38e28445
	v_mov_b32_e32 v79, 0x39679767
	v_fmac_f32_e32 v80, 0x383c2c75, v78
	v_fmac_f32_e32 v79, 0x37d383a2, v78
	v_fma_f32 v80, v78, v80, v56
	v_fma_f32 v79, v78, v79, v52
	;; [unrolled: 1-line block ×8, first 2 shown]
	v_mul_f32_e32 v78, v78, v80
	v_fmac_f32_e32 v78, v77, v79
	v_fmac_f32_e32 v78, -0.5, v77
	v_add_f32_e32 v75, v75, v78
.LBB9_234:                              ;   in Loop: Header=BB9_161 Depth=1
	s_or_b64 exec, exec, s[16:17]
.LBB9_235:                              ;   in Loop: Header=BB9_161 Depth=1
	s_or_b64 exec, exec, s[14:15]
.LBB9_236:                              ;   in Loop: Header=BB9_161 Depth=1
	s_or_b64 exec, exec, s[10:11]
.LBB9_237:                              ;   in Loop: Header=BB9_161 Depth=1
	s_andn2_saveexec_b64 s[12:13], s[12:13]
	s_cbranch_execz .LBB9_239
; %bb.238:                              ;   in Loop: Header=BB9_161 Depth=1
	v_cmp_lt_f32_e64 s[8:9], |v72|, s41
	v_cndmask_b32_e64 v75, 1.0, v66, s[8:9]
	v_mul_f32_e64 v75, |v72|, v75
	v_log_f32_e32 v75, v75
	v_fma_f32 v77, |v72|, s52, v68
	v_fma_f32 v77, |v72|, v77, s53
	;; [unrolled: 1-line block ×3, first 2 shown]
	v_mul_f32_e32 v78, 0x3f317217, v75
	v_fma_f32 v79, v75, s42, -v78
	v_fmac_f32_e32 v79, 0x3377d1cf, v75
	v_add_f32_e32 v78, v78, v79
	v_cmp_lt_f32_e64 s[10:11], |v75|, s43
	v_cndmask_b32_e64 v75, v75, v78, s[10:11]
	v_cndmask_b32_e64 v78, 0, v67, s[8:9]
	v_sub_f32_e32 v75, v75, v78
	v_fma_f32 v75, |v72|, v77, -v75
.LBB9_239:                              ;   in Loop: Header=BB9_161 Depth=1
	s_or_b64 exec, exec, s[12:13]
	v_cmp_le_f32_e64 s[8:9], 0, v72
	v_cmp_nle_f32_e64 s[10:11], 0, v72
	s_and_saveexec_b64 s[12:13], s[10:11]
	s_xor_b64 s[14:15], exec, s[12:13]
	s_cbranch_execz .LBB9_243
; %bb.240:                              ;   in Loop: Header=BB9_161 Depth=1
	v_cmp_lt_f32_e64 s[10:11], |v72|, s55
	v_cmp_gt_f32_e64 s[12:13], |v72|, s56
	s_and_b64 s[10:11], s[10:11], s[12:13]
	s_and_saveexec_b64 s[16:17], s[10:11]
	s_cbranch_execz .LBB9_242
; %bb.241:                              ;   in Loop: Header=BB9_161 Depth=1
	v_mul_f32_e64 v77, |v72|, 0.5
	v_floor_f32_e32 v78, v77
	v_sub_f32_e32 v78, v77, v78
	v_min_f32_e32 v78, 0x3f7fffff, v78
	v_add_f32_e32 v78, v78, v78
	v_cmp_neq_f32_e64 s[10:11], s43, v77
	v_cndmask_b32_e64 v77, 0, v78, s[10:11]
	v_cmp_gt_f32_e64 s[10:11], |v72|, 1.0
	v_cndmask_b32_e64 v77, |v72|, v77, s[10:11]
	v_add_f32_e32 v78, v77, v77
	v_rndne_f32_e32 v78, v78
	v_fmac_f32_e32 v77, -0.5, v78
	v_mul_f32_e32 v79, v77, v77
	v_mov_b32_e32 v80, 0xbf1f24be
	v_fmac_f32_e32 v80, 0x3e75aa41, v79
	v_fma_f32 v80, v79, v80, v60
	v_fma_f32 v80, v79, v80, v61
	v_mul_f32_e32 v81, v77, v79
	v_mul_f32_e32 v80, v81, v80
	v_fmac_f32_e32 v80, 0x40490fdb, v77
	v_mov_b32_e32 v77, 0x3e642e9d
	v_cvt_i32_f32_e32 v78, v78
	v_fmac_f32_e32 v77, 0x3d4be544, v79
	v_fma_f32 v77, v79, v77, v62
	v_fma_f32 v77, v79, v77, v63
	v_fma_f32 v77, v79, v77, v64
	v_fma_f32 v77, v79, v77, 1.0
	v_and_b32_e32 v79, 1, v78
	v_lshlrev_b32_e32 v78, 30, v78
	v_cmp_eq_u32_e64 s[10:11], 0, v79
	v_and_b32_e32 v78, 0x80000000, v78
	v_xor_b32_e32 v76, v76, v72
	v_cndmask_b32_e64 v77, v77, v80, s[10:11]
	v_xor_b32_e32 v76, v76, v78
	v_xor_b32_e32 v76, v76, v77
	v_mul_f32_e32 v76, v72, v76
	v_frexp_mant_f32_e64 v77, |v76|
	v_rcp_f32_e32 v77, v77
	v_frexp_exp_i32_f32_e32 v76, v76
	v_sub_u32_e32 v76, 2, v76
	v_mul_f32_e32 v77, 0x3f490fdb, v77
	v_ldexp_f32 v76, v77, v76
	v_cmp_gt_f32_e64 s[10:11], s41, v76
	v_cndmask_b32_e64 v77, 1.0, v66, s[10:11]
	v_mul_f32_e32 v76, v76, v77
	v_log_f32_e32 v76, v76
	v_mul_f32_e32 v77, 0x3f317217, v76
	v_fma_f32 v78, v76, s42, -v77
	v_fmac_f32_e32 v78, 0x3377d1cf, v76
	v_add_f32_e32 v77, v77, v78
	v_cmp_lt_f32_e64 s[12:13], |v76|, s43
	v_cndmask_b32_e64 v76, v76, v77, s[12:13]
	v_cndmask_b32_e64 v77, 0, v67, s[10:11]
	v_sub_f32_e32 v76, v76, v77
	v_sub_f32_e32 v75, v76, v75
	v_floor_f32_e32 v76, v72
	v_sub_f32_e32 v76, v72, v76
	v_min_f32_e32 v76, 0x3f7fffff, v76
	v_cmp_neq_f32_e64 s[10:11], 0, v76
	v_cndmask_b32_e64 v75, v69, v75, s[10:11]
.LBB9_242:                              ;   in Loop: Header=BB9_161 Depth=1
	s_or_b64 exec, exec, s[16:17]
.LBB9_243:                              ;   in Loop: Header=BB9_161 Depth=1
	s_andn2_saveexec_b64 s[14:15], s[14:15]
; %bb.244:                              ;   in Loop: Header=BB9_161 Depth=1
	v_cmp_eq_f32_e64 s[10:11], 1.0, v72
	v_cmp_eq_f32_e64 s[12:13], 2.0, v72
	s_or_b64 s[10:11], s[10:11], s[12:13]
	v_cndmask_b32_e64 v75, v75, 0, s[10:11]
; %bb.245:                              ;   in Loop: Header=BB9_161 Depth=1
	s_or_b64 exec, exec, s[14:15]
	v_and_b32_e32 v77, 0x7fffffff, v73
	v_cmp_nlt_f32_e64 s[10:11], |v73|, s38
                                        ; implicit-def: $vgpr76
	s_and_saveexec_b64 s[12:13], s[10:11]
	s_xor_b64 s[14:15], exec, s[12:13]
	s_cbranch_execz .LBB9_275
; %bb.246:                              ;   in Loop: Header=BB9_161 Depth=1
	v_cmp_nlt_f32_e64 s[10:11], |v73|, 2.0
                                        ; implicit-def: $vgpr76
	s_and_saveexec_b64 s[12:13], s[10:11]
	s_xor_b64 s[16:17], exec, s[12:13]
	s_cbranch_execz .LBB9_256
; %bb.247:                              ;   in Loop: Header=BB9_161 Depth=1
	v_cmp_nlt_f32_e64 s[10:11], |v73|, s39
                                        ; implicit-def: $vgpr76
	s_and_saveexec_b64 s[12:13], s[10:11]
	s_xor_b64 s[28:29], exec, s[12:13]
	s_cbranch_execz .LBB9_253
; %bb.248:                              ;   in Loop: Header=BB9_161 Depth=1
	v_cmp_nlt_f32_e64 s[10:11], |v73|, s40
                                        ; implicit-def: $vgpr76
	s_and_saveexec_b64 s[12:13], s[10:11]
	s_xor_b64 s[30:31], exec, s[12:13]
	s_cbranch_execz .LBB9_250
; %bb.249:                              ;   in Loop: Header=BB9_161 Depth=1
	v_cmp_lt_f32_e64 s[10:11], |v73|, s41
	v_cndmask_b32_e64 v76, 1.0, v66, s[10:11]
	v_mul_f32_e64 v76, |v73|, v76
	v_log_f32_e32 v76, v76
	v_mul_f32_e32 v78, 0x3f317217, v76
	v_fma_f32 v79, v76, s42, -v78
	v_fmac_f32_e32 v79, 0x3377d1cf, v76
	v_add_f32_e32 v78, v78, v79
	v_cmp_lt_f32_e64 s[12:13], |v76|, s43
	v_cndmask_b32_e64 v76, v76, v78, s[12:13]
	v_cndmask_b32_e64 v78, 0, v67, s[10:11]
	v_sub_f32_e32 v76, v76, v78
	v_fma_f32 v76, |v73|, v76, -|v73|
.LBB9_250:                              ;   in Loop: Header=BB9_161 Depth=1
	s_andn2_saveexec_b64 s[30:31], s[30:31]
	s_cbranch_execz .LBB9_252
; %bb.251:                              ;   in Loop: Header=BB9_161 Depth=1
	v_rcp_f32_e64 v76, |v73|
	v_cmp_lt_f32_e64 s[10:11], |v73|, s41
	v_cndmask_b32_e64 v79, 1.0, v66, s[10:11]
	v_mov_b32_e32 v78, 0x3a5b3dd2
	v_mul_f32_e32 v80, v76, v76
	v_mul_f32_e64 v79, |v73|, v79
	v_fmac_f32_e32 v78, 0xbad5c4e8, v80
	v_log_f32_e32 v79, v79
	v_fma_f32 v78, v80, v78, v23
	v_fma_f32 v78, v80, v78, v24
	v_fma_f32 v78, v80, v78, v25
	v_fma_f32 v78, v80, v78, v26
	v_mul_f32_e32 v80, 0x3f317217, v79
	v_fma_f32 v81, v79, s42, -v80
	v_fmac_f32_e32 v81, 0x3377d1cf, v79
	v_add_f32_e32 v80, v80, v81
	v_cmp_lt_f32_e64 s[12:13], |v79|, s43
	v_cndmask_b32_e64 v79, v79, v80, s[12:13]
	v_cndmask_b32_e64 v80, 0, v67, s[10:11]
	v_sub_f32_e32 v79, v79, v80
	v_fma_f32 v76, v76, v78, v27
	v_add_f32_e64 v78, |v73|, -0.5
	v_add_f32_e32 v79, -1.0, v79
	v_fmac_f32_e32 v76, v78, v79
.LBB9_252:                              ;   in Loop: Header=BB9_161 Depth=1
	s_or_b64 exec, exec, s[30:31]
.LBB9_253:                              ;   in Loop: Header=BB9_161 Depth=1
	s_andn2_saveexec_b64 s[28:29], s[28:29]
	s_cbranch_execz .LBB9_255
; %bb.254:                              ;   in Loop: Header=BB9_161 Depth=1
	v_cvt_i32_f32_e32 v80, v77
	v_mov_b32_e32 v78, 0x3af135b4
	v_mov_b32_e32 v79, 0x3a4beed6
	v_cvt_f32_i32_e32 v76, v80
	v_cmp_lt_i32_e64 s[10:11], 3, v80
	v_sub_f32_e64 v76, |v73|, v76
	v_fmac_f32_e32 v78, 0x3805ff67, v76
	v_fmac_f32_e32 v79, 0x36f5d7bd, v76
	v_fma_f32 v78, v76, v78, v28
	v_fma_f32 v79, v76, v79, v33
	v_fma_f32 v78, v76, v78, v29
	v_fma_f32 v79, v76, v79, v34
	v_fma_f32 v78, v76, v78, v30
	v_fma_f32 v79, v76, v79, v35
	v_fma_f32 v78, v76, v78, v31
	v_fma_f32 v81, v76, v78, v32
	v_fma_f32 v78, v76, v79, v36
	v_fma_f32 v78, v76, v78, 1.0
	v_rcp_f32_e32 v82, v78
	v_pk_add_f32 v[78:79], v[76:77], s[26:27] op_sel_hi:[0,1]
	v_cndmask_b32_e64 v79, 1.0, v79, s[10:11]
	v_cmp_lt_i32_e64 s[10:11], 2, v80
	v_add_f32_e32 v83, 4.0, v76
	v_cndmask_b32_e64 v78, 1.0, v78, s[10:11]
	v_cmp_lt_i32_e64 s[10:11], 4, v80
	v_add_f32_e32 v84, 0x40a00000, v76
	v_mul_f32_e32 v78, v78, v79
	v_cndmask_b32_e64 v79, 1.0, v83, s[10:11]
	v_cmp_lt_i32_e64 s[10:11], 5, v80
	v_add_f32_e32 v85, 0x40c00000, v76
	v_mul_f32_e32 v78, v79, v78
	v_cndmask_b32_e64 v79, 1.0, v84, s[10:11]
	v_cmp_lt_i32_e64 s[10:11], 6, v80
	v_mul_f32_e32 v78, v79, v78
	v_cndmask_b32_e64 v79, 1.0, v85, s[10:11]
	v_mul_f32_e32 v78, v79, v78
	v_cmp_gt_f32_e64 s[10:11], s41, v78
	v_cndmask_b32_e64 v79, 1.0, v66, s[10:11]
	v_mul_f32_e32 v78, v78, v79
	v_log_f32_e32 v78, v78
	v_mul_f32_e32 v79, v76, v81
	v_mul_f32_e32 v79, v79, v82
	v_fmac_f32_e32 v79, 0.5, v76
	v_mul_f32_e32 v76, 0x3f317217, v78
	v_fma_f32 v80, v78, s42, -v76
	v_fmac_f32_e32 v80, 0x3377d1cf, v78
	v_add_f32_e32 v76, v76, v80
	v_cmp_lt_f32_e64 s[12:13], |v78|, s43
	v_cndmask_b32_e64 v76, v78, v76, s[12:13]
	v_cndmask_b32_e64 v78, 0, v67, s[10:11]
	v_sub_f32_e32 v76, v76, v78
	v_add_f32_e32 v76, v76, v79
.LBB9_255:                              ;   in Loop: Header=BB9_161 Depth=1
	s_or_b64 exec, exec, s[28:29]
.LBB9_256:                              ;   in Loop: Header=BB9_161 Depth=1
	s_andn2_saveexec_b64 s[12:13], s[16:17]
	s_cbranch_execz .LBB9_274
; %bb.257:                              ;   in Loop: Header=BB9_161 Depth=1
	v_cmp_le_f32_e64 s[10:11], |v73|, s44
                                        ; implicit-def: $vgpr76
                                        ; implicit-def: $vgpr79
                                        ; implicit-def: $vgpr78
	s_and_saveexec_b64 s[16:17], s[10:11]
	s_xor_b64 s[16:17], exec, s[16:17]
	s_cbranch_execz .LBB9_259
; %bb.258:                              ;   in Loop: Header=BB9_161 Depth=1
	v_cmp_lt_f32_e64 s[10:11], |v73|, s41
	v_cndmask_b32_e64 v76, 1.0, v66, s[10:11]
	v_mul_f32_e64 v76, |v73|, v76
	v_log_f32_e32 v76, v76
	v_cndmask_b32_e64 v78, 0, v67, s[10:11]
	v_mul_f32_e32 v79, 0x3f317217, v76
	v_fma_f32 v80, v76, s42, -v79
	v_fmac_f32_e32 v80, 0x3377d1cf, v76
	v_add_f32_e32 v79, v79, v80
	v_cmp_lt_f32_e64 s[10:11], |v76|, s43
	v_cndmask_b32_e64 v76, v76, v79, s[10:11]
	v_sub_f32_e32 v76, v76, v78
	v_sub_f32_e64 v78, 1.0, |v73|
	v_add_f32_e64 v79, |v73|, s46
	v_cmp_lt_f32_e64 s[10:11], |v73|, s45
	v_cndmask_b32_e64 v78, v78, v79, s[10:11]
	v_cndmask_b32_e64 v79, 0, 1, s[10:11]
	v_cmp_lt_f32_e64 s[10:11], |v73|, s47
	v_xor_b32_e32 v76, 0x80000000, v76
	v_cndmask_b32_e64 v78, v78, |v73|, s[10:11]
	v_cndmask_b32_e64 v79, v79, 2, s[10:11]
.LBB9_259:                              ;   in Loop: Header=BB9_161 Depth=1
	s_andn2_saveexec_b64 s[16:17], s[16:17]
; %bb.260:                              ;   in Loop: Header=BB9_161 Depth=1
	v_sub_f32_e64 v76, 2.0, |v73|
	v_add_f32_e64 v78, |v73|, s49
	v_cmp_lt_f32_e64 s[10:11], |v73|, s48
	v_cndmask_b32_e64 v78, v76, v78, s[10:11]
	v_cndmask_b32_e64 v76, v76, 1.0, s[10:11]
	v_cvt_i32_f32_e32 v76, v76
	v_add_f32_e64 v79, |v73|, -1.0
	v_cmp_lt_f32_e64 s[10:11], |v73|, s50
	v_cndmask_b32_e64 v78, v78, v79, s[10:11]
	v_cndmask_b32_e64 v79, v76, 2, s[10:11]
	v_mov_b32_e32 v76, 0
; %bb.261:                              ;   in Loop: Header=BB9_161 Depth=1
	s_or_b64 exec, exec, s[16:17]
	v_cmp_lt_i32_e64 s[10:11], 0, v79
	s_and_saveexec_b64 s[16:17], s[10:11]
	s_xor_b64 s[16:17], exec, s[16:17]
	s_cbranch_execz .LBB9_269
; %bb.262:                              ;   in Loop: Header=BB9_161 Depth=1
	v_cmp_lt_i32_e64 s[10:11], 1, v79
	s_and_saveexec_b64 s[28:29], s[10:11]
	s_xor_b64 s[28:29], exec, s[28:29]
	s_cbranch_execz .LBB9_266
; %bb.263:                              ;   in Loop: Header=BB9_161 Depth=1
	v_cmp_eq_u32_e64 s[10:11], 2, v79
	s_and_saveexec_b64 s[30:31], s[10:11]
	s_cbranch_execz .LBB9_265
; %bb.264:                              ;   in Loop: Header=BB9_161 Depth=1
	v_mov_b32_e32 v80, 0x3dd572af
	v_fmac_f32_e32 v80, 0x3b52d5db, v78
	v_fma_f32 v80, v78, v80, v40
	v_mov_b32_e32 v79, 0x3e6a7578
	v_fma_f32 v80, v78, v80, v41
	v_fmac_f32_e32 v79, 0x3c5b3c5e, v78
	v_fma_f32 v80, v78, v80, v42
	v_fma_f32 v79, v78, v79, v37
	v_fma_f32 v80, v78, v80, 1.0
	v_fma_f32 v79, v78, v79, v38
	v_rcp_f32_e32 v80, v80
	v_fma_f32 v79, v78, v79, v39
	v_fma_f32 v79, v78, v79, v32
	v_mul_f32_e32 v79, v78, v79
	v_mul_f32_e32 v79, v79, v80
	v_fmac_f32_e32 v79, -0.5, v78
	v_add_f32_e32 v76, v76, v79
.LBB9_265:                              ;   in Loop: Header=BB9_161 Depth=1
	s_or_b64 exec, exec, s[30:31]
                                        ; implicit-def: $vgpr78
.LBB9_266:                              ;   in Loop: Header=BB9_161 Depth=1
	s_andn2_saveexec_b64 s[10:11], s[28:29]
	s_cbranch_execz .LBB9_268
; %bb.267:                              ;   in Loop: Header=BB9_161 Depth=1
	v_mul_f32_e32 v79, v78, v78
	v_mul_f32_e32 v80, v78, v79
	v_mov_b32_e32 v82, 0x3a66f867
	v_mov_b32_e32 v83, 0xba0d3085
	v_fmac_f32_e32 v82, 0xb9a3f927, v80
	v_fmac_f32_e32 v83, 0x39afe9f7, v80
	v_mov_b32_e32 v81, 0xbab7f476
	v_fma_f32 v82, v80, v82, v46
	v_fma_f32 v83, v80, v83, v49
	v_fmac_f32_e32 v81, 0x39a57b6b, v80
	v_fma_f32 v82, v80, v82, v47
	v_fma_f32 v83, v80, v83, v50
	;; [unrolled: 1-line block ×6, first 2 shown]
	v_fmac_f32_e32 v82, v78, v83
	v_fma_f32 v81, v80, v81, v45
	v_fma_f32 v78, v80, -v82, s51
	v_fma_f32 v78, v79, v81, -v78
	v_add_f32_e32 v78, 0xbdf8cdce, v78
	v_add_f32_e32 v76, v76, v78
.LBB9_268:                              ;   in Loop: Header=BB9_161 Depth=1
	s_or_b64 exec, exec, s[10:11]
                                        ; implicit-def: $vgpr79
                                        ; implicit-def: $vgpr78
.LBB9_269:                              ;   in Loop: Header=BB9_161 Depth=1
	s_andn2_saveexec_b64 s[16:17], s[16:17]
	s_cbranch_execz .LBB9_273
; %bb.270:                              ;   in Loop: Header=BB9_161 Depth=1
	v_cmp_eq_u32_e64 s[10:11], 0, v79
	s_and_saveexec_b64 s[28:29], s[10:11]
	s_cbranch_execz .LBB9_272
; %bb.271:                              ;   in Loop: Header=BB9_161 Depth=1
	v_mul_f32_e32 v79, v78, v78
	v_mov_b32_e32 v81, 0x38e28445
	v_mov_b32_e32 v80, 0x39679767
	v_fmac_f32_e32 v81, 0x383c2c75, v79
	v_fmac_f32_e32 v80, 0x37d383a2, v79
	v_fma_f32 v81, v79, v81, v56
	v_fma_f32 v80, v79, v80, v52
	;; [unrolled: 1-line block ×8, first 2 shown]
	v_mul_f32_e32 v79, v79, v81
	v_fmac_f32_e32 v79, v78, v80
	v_fmac_f32_e32 v79, -0.5, v78
	v_add_f32_e32 v76, v76, v79
.LBB9_272:                              ;   in Loop: Header=BB9_161 Depth=1
	s_or_b64 exec, exec, s[28:29]
.LBB9_273:                              ;   in Loop: Header=BB9_161 Depth=1
	s_or_b64 exec, exec, s[16:17]
.LBB9_274:                              ;   in Loop: Header=BB9_161 Depth=1
	s_or_b64 exec, exec, s[12:13]
.LBB9_275:                              ;   in Loop: Header=BB9_161 Depth=1
	s_andn2_saveexec_b64 s[14:15], s[14:15]
	s_cbranch_execz .LBB9_277
; %bb.276:                              ;   in Loop: Header=BB9_161 Depth=1
	v_cmp_lt_f32_e64 s[10:11], |v73|, s41
	v_cndmask_b32_e64 v76, 1.0, v66, s[10:11]
	v_mul_f32_e64 v76, |v73|, v76
	v_log_f32_e32 v76, v76
	v_fma_f32 v78, |v73|, s52, v68
	v_fma_f32 v78, |v73|, v78, s53
	;; [unrolled: 1-line block ×3, first 2 shown]
	v_mul_f32_e32 v79, 0x3f317217, v76
	v_fma_f32 v80, v76, s42, -v79
	v_fmac_f32_e32 v80, 0x3377d1cf, v76
	v_add_f32_e32 v79, v79, v80
	v_cmp_lt_f32_e64 s[12:13], |v76|, s43
	v_cndmask_b32_e64 v76, v76, v79, s[12:13]
	v_cndmask_b32_e64 v79, 0, v67, s[10:11]
	v_sub_f32_e32 v76, v76, v79
	v_fma_f32 v76, |v73|, v78, -v76
.LBB9_277:                              ;   in Loop: Header=BB9_161 Depth=1
	s_or_b64 exec, exec, s[14:15]
	v_cmp_le_f32_e64 s[10:11], 0, v73
	v_cmp_nle_f32_e64 s[12:13], 0, v73
	s_and_saveexec_b64 s[14:15], s[12:13]
	s_xor_b64 s[16:17], exec, s[14:15]
	s_cbranch_execz .LBB9_281
; %bb.278:                              ;   in Loop: Header=BB9_161 Depth=1
	v_cmp_lt_f32_e64 s[12:13], |v73|, s55
	v_cmp_gt_f32_e64 s[14:15], |v73|, s56
	s_and_b64 s[12:13], s[12:13], s[14:15]
	s_and_saveexec_b64 s[28:29], s[12:13]
	s_cbranch_execz .LBB9_280
; %bb.279:                              ;   in Loop: Header=BB9_161 Depth=1
	v_mul_f32_e64 v78, |v73|, 0.5
	v_floor_f32_e32 v79, v78
	v_sub_f32_e32 v79, v78, v79
	v_min_f32_e32 v79, 0x3f7fffff, v79
	v_add_f32_e32 v79, v79, v79
	v_cmp_neq_f32_e64 s[12:13], s43, v78
	v_cndmask_b32_e64 v78, 0, v79, s[12:13]
	v_cmp_gt_f32_e64 s[12:13], |v73|, 1.0
	v_cndmask_b32_e64 v78, |v73|, v78, s[12:13]
	v_add_f32_e32 v79, v78, v78
	v_rndne_f32_e32 v79, v79
	v_fmac_f32_e32 v78, -0.5, v79
	v_mul_f32_e32 v80, v78, v78
	v_mov_b32_e32 v81, 0xbf1f24be
	v_fmac_f32_e32 v81, 0x3e75aa41, v80
	v_fma_f32 v81, v80, v81, v60
	v_fma_f32 v81, v80, v81, v61
	v_mul_f32_e32 v82, v78, v80
	v_mul_f32_e32 v81, v82, v81
	v_fmac_f32_e32 v81, 0x40490fdb, v78
	v_mov_b32_e32 v78, 0x3e642e9d
	v_cvt_i32_f32_e32 v79, v79
	v_fmac_f32_e32 v78, 0x3d4be544, v80
	v_fma_f32 v78, v80, v78, v62
	v_fma_f32 v78, v80, v78, v63
	;; [unrolled: 1-line block ×3, first 2 shown]
	v_fma_f32 v78, v80, v78, 1.0
	v_and_b32_e32 v80, 1, v79
	v_lshlrev_b32_e32 v79, 30, v79
	v_cmp_eq_u32_e64 s[12:13], 0, v80
	v_and_b32_e32 v79, 0x80000000, v79
	v_xor_b32_e32 v77, v77, v73
	v_cndmask_b32_e64 v78, v78, v81, s[12:13]
	v_xor_b32_e32 v77, v77, v79
	v_xor_b32_e32 v77, v77, v78
	v_mul_f32_e32 v77, v73, v77
	v_frexp_mant_f32_e64 v78, |v77|
	v_rcp_f32_e32 v78, v78
	v_frexp_exp_i32_f32_e32 v77, v77
	v_sub_u32_e32 v77, 2, v77
	v_mul_f32_e32 v78, 0x3f490fdb, v78
	v_ldexp_f32 v77, v78, v77
	v_cmp_gt_f32_e64 s[12:13], s41, v77
	v_cndmask_b32_e64 v78, 1.0, v66, s[12:13]
	v_mul_f32_e32 v77, v77, v78
	v_log_f32_e32 v77, v77
	v_mul_f32_e32 v78, 0x3f317217, v77
	v_fma_f32 v79, v77, s42, -v78
	v_fmac_f32_e32 v79, 0x3377d1cf, v77
	v_add_f32_e32 v78, v78, v79
	v_cmp_lt_f32_e64 s[14:15], |v77|, s43
	v_cndmask_b32_e64 v77, v77, v78, s[14:15]
	v_cndmask_b32_e64 v78, 0, v67, s[12:13]
	v_sub_f32_e32 v77, v77, v78
	v_sub_f32_e32 v76, v77, v76
	v_floor_f32_e32 v77, v73
	v_sub_f32_e32 v77, v73, v77
	v_min_f32_e32 v77, 0x3f7fffff, v77
	v_cmp_neq_f32_e64 s[12:13], 0, v77
	v_cndmask_b32_e64 v76, v69, v76, s[12:13]
.LBB9_280:                              ;   in Loop: Header=BB9_161 Depth=1
	s_or_b64 exec, exec, s[28:29]
.LBB9_281:                              ;   in Loop: Header=BB9_161 Depth=1
	s_andn2_saveexec_b64 s[16:17], s[16:17]
; %bb.282:                              ;   in Loop: Header=BB9_161 Depth=1
	v_cmp_eq_f32_e64 s[12:13], 1.0, v73
	v_cmp_eq_f32_e64 s[14:15], 2.0, v73
	s_or_b64 s[12:13], s[12:13], s[14:15]
	v_cndmask_b32_e64 v76, v76, 0, s[12:13]
; %bb.283:                              ;   in Loop: Header=BB9_161 Depth=1
	s_or_b64 exec, exec, s[16:17]
	v_and_b32_e32 v77, 0x7fffffff, v70
	v_cmp_nlt_f32_e64 s[12:13], |v70|, s38
                                        ; implicit-def: $vgpr78
	s_and_saveexec_b64 s[14:15], s[12:13]
	s_xor_b64 s[16:17], exec, s[14:15]
	s_cbranch_execz .LBB9_313
; %bb.284:                              ;   in Loop: Header=BB9_161 Depth=1
	v_cmp_nlt_f32_e64 s[12:13], |v70|, 2.0
                                        ; implicit-def: $vgpr78
	s_and_saveexec_b64 s[14:15], s[12:13]
	s_xor_b64 s[28:29], exec, s[14:15]
	s_cbranch_execz .LBB9_294
; %bb.285:                              ;   in Loop: Header=BB9_161 Depth=1
	v_cmp_nlt_f32_e64 s[12:13], |v70|, s39
                                        ; implicit-def: $vgpr78
	s_and_saveexec_b64 s[14:15], s[12:13]
	s_xor_b64 s[30:31], exec, s[14:15]
	s_cbranch_execz .LBB9_291
; %bb.286:                              ;   in Loop: Header=BB9_161 Depth=1
	v_cmp_nlt_f32_e64 s[12:13], |v70|, s40
                                        ; implicit-def: $vgpr78
	s_and_saveexec_b64 s[14:15], s[12:13]
	s_xor_b64 s[34:35], exec, s[14:15]
	s_cbranch_execz .LBB9_288
; %bb.287:                              ;   in Loop: Header=BB9_161 Depth=1
	v_cmp_lt_f32_e64 s[12:13], |v70|, s41
	v_cndmask_b32_e64 v78, 1.0, v66, s[12:13]
	v_mul_f32_e64 v78, |v70|, v78
	v_log_f32_e32 v78, v78
	v_mul_f32_e32 v79, 0x3f317217, v78
	v_fma_f32 v80, v78, s42, -v79
	v_fmac_f32_e32 v80, 0x3377d1cf, v78
	v_add_f32_e32 v79, v79, v80
	v_cmp_lt_f32_e64 s[14:15], |v78|, s43
	v_cndmask_b32_e64 v78, v78, v79, s[14:15]
	v_cndmask_b32_e64 v79, 0, v67, s[12:13]
	v_sub_f32_e32 v78, v78, v79
	v_fma_f32 v78, |v70|, v78, -|v70|
.LBB9_288:                              ;   in Loop: Header=BB9_161 Depth=1
	s_andn2_saveexec_b64 s[34:35], s[34:35]
	s_cbranch_execz .LBB9_290
; %bb.289:                              ;   in Loop: Header=BB9_161 Depth=1
	v_rcp_f32_e64 v78, |v70|
	v_cmp_lt_f32_e64 s[12:13], |v70|, s41
	v_cndmask_b32_e64 v80, 1.0, v66, s[12:13]
	v_mov_b32_e32 v79, 0x3a5b3dd2
	v_mul_f32_e32 v81, v78, v78
	v_mul_f32_e64 v80, |v70|, v80
	v_fmac_f32_e32 v79, 0xbad5c4e8, v81
	v_log_f32_e32 v80, v80
	v_fma_f32 v79, v81, v79, v23
	v_fma_f32 v79, v81, v79, v24
	;; [unrolled: 1-line block ×4, first 2 shown]
	v_mul_f32_e32 v81, 0x3f317217, v80
	v_fma_f32 v82, v80, s42, -v81
	v_fmac_f32_e32 v82, 0x3377d1cf, v80
	v_add_f32_e32 v81, v81, v82
	v_cmp_lt_f32_e64 s[14:15], |v80|, s43
	v_cndmask_b32_e64 v80, v80, v81, s[14:15]
	v_cndmask_b32_e64 v81, 0, v67, s[12:13]
	v_sub_f32_e32 v80, v80, v81
	v_fma_f32 v78, v78, v79, v27
	v_add_f32_e64 v79, |v70|, -0.5
	v_add_f32_e32 v80, -1.0, v80
	v_fmac_f32_e32 v78, v79, v80
.LBB9_290:                              ;   in Loop: Header=BB9_161 Depth=1
	s_or_b64 exec, exec, s[34:35]
.LBB9_291:                              ;   in Loop: Header=BB9_161 Depth=1
	s_andn2_saveexec_b64 s[30:31], s[30:31]
	s_cbranch_execz .LBB9_293
; %bb.292:                              ;   in Loop: Header=BB9_161 Depth=1
	v_cvt_i32_f32_e32 v79, v77
	v_mov_b32_e32 v80, 0x3af135b4
	v_mov_b32_e32 v81, 0x3a4beed6
	v_cvt_f32_i32_e32 v78, v79
	v_cmp_lt_i32_e64 s[12:13], 3, v79
	v_sub_f32_e64 v78, |v70|, v78
	v_fmac_f32_e32 v80, 0x3805ff67, v78
	v_fmac_f32_e32 v81, 0x36f5d7bd, v78
	v_fma_f32 v80, v78, v80, v28
	v_fma_f32 v81, v78, v81, v33
	;; [unrolled: 1-line block ×9, first 2 shown]
	v_fma_f32 v80, v78, v80, 1.0
	v_rcp_f32_e32 v83, v80
	v_pk_add_f32 v[80:81], v[78:79], s[26:27] op_sel_hi:[0,1]
	v_cndmask_b32_e64 v81, 1.0, v81, s[12:13]
	v_cmp_lt_i32_e64 s[12:13], 2, v79
	v_add_f32_e32 v84, 4.0, v78
	v_cndmask_b32_e64 v80, 1.0, v80, s[12:13]
	v_cmp_lt_i32_e64 s[12:13], 4, v79
	v_add_f32_e32 v85, 0x40a00000, v78
	v_mul_f32_e32 v80, v80, v81
	v_cndmask_b32_e64 v81, 1.0, v84, s[12:13]
	v_cmp_lt_i32_e64 s[12:13], 5, v79
	v_add_f32_e32 v86, 0x40c00000, v78
	v_mul_f32_e32 v80, v81, v80
	v_cndmask_b32_e64 v81, 1.0, v85, s[12:13]
	v_cmp_lt_i32_e64 s[12:13], 6, v79
	v_mul_f32_e32 v80, v81, v80
	v_cndmask_b32_e64 v79, 1.0, v86, s[12:13]
	v_mul_f32_e32 v79, v79, v80
	v_cmp_gt_f32_e64 s[12:13], s41, v79
	v_cndmask_b32_e64 v80, 1.0, v66, s[12:13]
	v_mul_f32_e32 v79, v79, v80
	v_log_f32_e32 v79, v79
	v_mul_f32_e32 v80, v78, v82
	v_mul_f32_e32 v80, v80, v83
	v_fmac_f32_e32 v80, 0.5, v78
	v_mul_f32_e32 v78, 0x3f317217, v79
	v_fma_f32 v81, v79, s42, -v78
	v_fmac_f32_e32 v81, 0x3377d1cf, v79
	v_add_f32_e32 v78, v78, v81
	v_cmp_lt_f32_e64 s[14:15], |v79|, s43
	v_cndmask_b32_e64 v78, v79, v78, s[14:15]
	v_cndmask_b32_e64 v79, 0, v67, s[12:13]
	v_sub_f32_e32 v78, v78, v79
	v_add_f32_e32 v78, v78, v80
.LBB9_293:                              ;   in Loop: Header=BB9_161 Depth=1
	s_or_b64 exec, exec, s[30:31]
.LBB9_294:                              ;   in Loop: Header=BB9_161 Depth=1
	s_andn2_saveexec_b64 s[14:15], s[28:29]
	s_cbranch_execz .LBB9_312
; %bb.295:                              ;   in Loop: Header=BB9_161 Depth=1
	v_cmp_le_f32_e64 s[12:13], |v70|, s44
                                        ; implicit-def: $vgpr78
                                        ; implicit-def: $vgpr80
                                        ; implicit-def: $vgpr79
	s_and_saveexec_b64 s[28:29], s[12:13]
	s_xor_b64 s[28:29], exec, s[28:29]
	s_cbranch_execz .LBB9_297
; %bb.296:                              ;   in Loop: Header=BB9_161 Depth=1
	v_cmp_lt_f32_e64 s[12:13], |v70|, s41
	v_cndmask_b32_e64 v78, 1.0, v66, s[12:13]
	v_mul_f32_e64 v78, |v70|, v78
	v_log_f32_e32 v78, v78
	v_cndmask_b32_e64 v79, 0, v67, s[12:13]
	v_mul_f32_e32 v80, 0x3f317217, v78
	v_fma_f32 v81, v78, s42, -v80
	v_fmac_f32_e32 v81, 0x3377d1cf, v78
	v_add_f32_e32 v80, v80, v81
	v_cmp_lt_f32_e64 s[12:13], |v78|, s43
	v_cndmask_b32_e64 v78, v78, v80, s[12:13]
	v_sub_f32_e32 v78, v78, v79
	v_sub_f32_e64 v79, 1.0, |v70|
	v_add_f32_e64 v80, |v70|, s46
	v_cmp_lt_f32_e64 s[12:13], |v70|, s45
	v_cndmask_b32_e64 v79, v79, v80, s[12:13]
	v_cndmask_b32_e64 v80, 0, 1, s[12:13]
	v_cmp_lt_f32_e64 s[12:13], |v70|, s47
	v_xor_b32_e32 v78, 0x80000000, v78
	v_cndmask_b32_e64 v79, v79, |v70|, s[12:13]
	v_cndmask_b32_e64 v80, v80, 2, s[12:13]
.LBB9_297:                              ;   in Loop: Header=BB9_161 Depth=1
	s_andn2_saveexec_b64 s[28:29], s[28:29]
; %bb.298:                              ;   in Loop: Header=BB9_161 Depth=1
	v_sub_f32_e64 v78, 2.0, |v70|
	v_add_f32_e64 v79, |v70|, s49
	v_cmp_lt_f32_e64 s[12:13], |v70|, s48
	v_cndmask_b32_e64 v79, v78, v79, s[12:13]
	v_cndmask_b32_e64 v78, v78, 1.0, s[12:13]
	v_cvt_i32_f32_e32 v78, v78
	v_add_f32_e64 v80, |v70|, -1.0
	v_cmp_lt_f32_e64 s[12:13], |v70|, s50
	v_cndmask_b32_e64 v79, v79, v80, s[12:13]
	v_cndmask_b32_e64 v80, v78, 2, s[12:13]
	v_mov_b32_e32 v78, 0
; %bb.299:                              ;   in Loop: Header=BB9_161 Depth=1
	s_or_b64 exec, exec, s[28:29]
	v_cmp_lt_i32_e64 s[12:13], 0, v80
	s_and_saveexec_b64 s[28:29], s[12:13]
	s_xor_b64 s[28:29], exec, s[28:29]
	s_cbranch_execz .LBB9_307
; %bb.300:                              ;   in Loop: Header=BB9_161 Depth=1
	v_cmp_lt_i32_e64 s[12:13], 1, v80
	s_and_saveexec_b64 s[30:31], s[12:13]
	s_xor_b64 s[30:31], exec, s[30:31]
	s_cbranch_execz .LBB9_304
; %bb.301:                              ;   in Loop: Header=BB9_161 Depth=1
	v_cmp_eq_u32_e64 s[12:13], 2, v80
	s_and_saveexec_b64 s[34:35], s[12:13]
	s_cbranch_execz .LBB9_303
; %bb.302:                              ;   in Loop: Header=BB9_161 Depth=1
	v_mov_b32_e32 v81, 0x3dd572af
	v_fmac_f32_e32 v81, 0x3b52d5db, v79
	v_fma_f32 v81, v79, v81, v40
	v_mov_b32_e32 v80, 0x3e6a7578
	v_fma_f32 v81, v79, v81, v41
	v_fmac_f32_e32 v80, 0x3c5b3c5e, v79
	v_fma_f32 v81, v79, v81, v42
	v_fma_f32 v80, v79, v80, v37
	v_fma_f32 v81, v79, v81, 1.0
	v_fma_f32 v80, v79, v80, v38
	v_rcp_f32_e32 v81, v81
	v_fma_f32 v80, v79, v80, v39
	v_fma_f32 v80, v79, v80, v32
	v_mul_f32_e32 v80, v79, v80
	v_mul_f32_e32 v80, v80, v81
	v_fmac_f32_e32 v80, -0.5, v79
	v_add_f32_e32 v78, v78, v80
.LBB9_303:                              ;   in Loop: Header=BB9_161 Depth=1
	s_or_b64 exec, exec, s[34:35]
                                        ; implicit-def: $vgpr79
.LBB9_304:                              ;   in Loop: Header=BB9_161 Depth=1
	s_andn2_saveexec_b64 s[12:13], s[30:31]
	s_cbranch_execz .LBB9_306
; %bb.305:                              ;   in Loop: Header=BB9_161 Depth=1
	v_mul_f32_e32 v80, v79, v79
	v_mul_f32_e32 v81, v79, v80
	v_mov_b32_e32 v83, 0x3a66f867
	v_mov_b32_e32 v84, 0xba0d3085
	v_fmac_f32_e32 v83, 0xb9a3f927, v81
	v_fmac_f32_e32 v84, 0x39afe9f7, v81
	v_mov_b32_e32 v82, 0xbab7f476
	v_fma_f32 v83, v81, v83, v46
	v_fma_f32 v84, v81, v84, v49
	v_fmac_f32_e32 v82, 0x39a57b6b, v81
	v_fma_f32 v83, v81, v83, v47
	v_fma_f32 v84, v81, v84, v50
	;; [unrolled: 1-line block ×6, first 2 shown]
	v_fmac_f32_e32 v83, v79, v84
	v_fma_f32 v82, v81, v82, v45
	v_fma_f32 v79, v81, -v83, s51
	v_fma_f32 v79, v80, v82, -v79
	v_add_f32_e32 v79, 0xbdf8cdce, v79
	v_add_f32_e32 v78, v78, v79
.LBB9_306:                              ;   in Loop: Header=BB9_161 Depth=1
	s_or_b64 exec, exec, s[12:13]
                                        ; implicit-def: $vgpr80
                                        ; implicit-def: $vgpr79
.LBB9_307:                              ;   in Loop: Header=BB9_161 Depth=1
	s_andn2_saveexec_b64 s[28:29], s[28:29]
	s_cbranch_execz .LBB9_311
; %bb.308:                              ;   in Loop: Header=BB9_161 Depth=1
	v_cmp_eq_u32_e64 s[12:13], 0, v80
	s_and_saveexec_b64 s[30:31], s[12:13]
	s_cbranch_execz .LBB9_310
; %bb.309:                              ;   in Loop: Header=BB9_161 Depth=1
	v_mul_f32_e32 v80, v79, v79
	v_mov_b32_e32 v82, 0x38e28445
	v_mov_b32_e32 v81, 0x39679767
	v_fmac_f32_e32 v82, 0x383c2c75, v80
	v_fmac_f32_e32 v81, 0x37d383a2, v80
	v_fma_f32 v82, v80, v82, v56
	v_fma_f32 v81, v80, v81, v52
	;; [unrolled: 1-line block ×8, first 2 shown]
	v_mul_f32_e32 v80, v80, v82
	v_fmac_f32_e32 v80, v79, v81
	v_fmac_f32_e32 v80, -0.5, v79
	v_add_f32_e32 v78, v78, v80
.LBB9_310:                              ;   in Loop: Header=BB9_161 Depth=1
	s_or_b64 exec, exec, s[30:31]
.LBB9_311:                              ;   in Loop: Header=BB9_161 Depth=1
	s_or_b64 exec, exec, s[28:29]
.LBB9_312:                              ;   in Loop: Header=BB9_161 Depth=1
	s_or_b64 exec, exec, s[14:15]
.LBB9_313:                              ;   in Loop: Header=BB9_161 Depth=1
	s_andn2_saveexec_b64 s[16:17], s[16:17]
	s_cbranch_execz .LBB9_315
; %bb.314:                              ;   in Loop: Header=BB9_161 Depth=1
	v_cmp_lt_f32_e64 s[12:13], |v70|, s41
	v_cndmask_b32_e64 v78, 1.0, v66, s[12:13]
	v_mul_f32_e64 v78, |v70|, v78
	v_log_f32_e32 v78, v78
	v_fma_f32 v79, |v70|, s52, v68
	v_fma_f32 v79, |v70|, v79, s53
	;; [unrolled: 1-line block ×3, first 2 shown]
	v_mul_f32_e32 v80, 0x3f317217, v78
	v_fma_f32 v81, v78, s42, -v80
	v_fmac_f32_e32 v81, 0x3377d1cf, v78
	v_add_f32_e32 v80, v80, v81
	v_cmp_lt_f32_e64 s[14:15], |v78|, s43
	v_cndmask_b32_e64 v78, v78, v80, s[14:15]
	v_cndmask_b32_e64 v80, 0, v67, s[12:13]
	v_sub_f32_e32 v78, v78, v80
	v_fma_f32 v78, |v70|, v79, -v78
.LBB9_315:                              ;   in Loop: Header=BB9_161 Depth=1
	s_or_b64 exec, exec, s[16:17]
	v_cmp_le_f32_e64 s[12:13], 0, v70
	v_cmp_nle_f32_e64 s[14:15], 0, v70
	s_and_saveexec_b64 s[16:17], s[14:15]
	s_xor_b64 s[28:29], exec, s[16:17]
	s_cbranch_execnz .LBB9_321
; %bb.316:                              ;   in Loop: Header=BB9_161 Depth=1
	s_andn2_saveexec_b64 s[28:29], s[28:29]
	s_cbranch_execnz .LBB9_324
.LBB9_317:                              ;   in Loop: Header=BB9_161 Depth=1
	s_or_b64 exec, exec, s[28:29]
	s_and_saveexec_b64 s[14:15], vcc
	s_xor_b64 s[14:15], exec, s[14:15]
	s_cbranch_execnz .LBB9_325
.LBB9_318:                              ;   in Loop: Header=BB9_161 Depth=1
	s_or_b64 exec, exec, s[14:15]
	s_and_saveexec_b64 s[6:7], s[0:1]
	s_cbranch_execnz .LBB9_326
.LBB9_319:                              ;   in Loop: Header=BB9_161 Depth=1
	s_or_b64 exec, exec, s[6:7]
	s_and_saveexec_b64 s[0:1], s[2:3]
	s_cbranch_execnz .LBB9_327
.LBB9_320:                              ;   in Loop: Header=BB9_161 Depth=1
	s_or_b64 exec, exec, s[0:1]
	s_and_saveexec_b64 s[0:1], s[4:5]
	s_cbranch_execz .LBB9_160
	s_branch .LBB9_328
.LBB9_321:                              ;   in Loop: Header=BB9_161 Depth=1
	v_cmp_lt_f32_e64 s[14:15], |v70|, s55
	v_cmp_gt_f32_e64 s[16:17], |v70|, s56
	s_and_b64 s[14:15], s[14:15], s[16:17]
	s_and_saveexec_b64 s[30:31], s[14:15]
	s_cbranch_execz .LBB9_323
; %bb.322:                              ;   in Loop: Header=BB9_161 Depth=1
	v_mul_f32_e64 v79, |v70|, 0.5
	v_floor_f32_e32 v80, v79
	v_sub_f32_e32 v80, v79, v80
	v_min_f32_e32 v80, 0x3f7fffff, v80
	v_add_f32_e32 v80, v80, v80
	v_cmp_neq_f32_e64 s[14:15], s43, v79
	v_cndmask_b32_e64 v79, 0, v80, s[14:15]
	v_cmp_gt_f32_e64 s[14:15], |v70|, 1.0
	v_cndmask_b32_e64 v79, |v70|, v79, s[14:15]
	v_add_f32_e32 v80, v79, v79
	v_rndne_f32_e32 v80, v80
	v_fmac_f32_e32 v79, -0.5, v80
	v_mul_f32_e32 v81, v79, v79
	v_mov_b32_e32 v82, 0xbf1f24be
	v_fmac_f32_e32 v82, 0x3e75aa41, v81
	v_fma_f32 v82, v81, v82, v60
	v_fma_f32 v82, v81, v82, v61
	v_mul_f32_e32 v83, v79, v81
	v_mul_f32_e32 v82, v83, v82
	v_fmac_f32_e32 v82, 0x40490fdb, v79
	v_mov_b32_e32 v79, 0x3e642e9d
	v_cvt_i32_f32_e32 v80, v80
	v_fmac_f32_e32 v79, 0x3d4be544, v81
	v_fma_f32 v79, v81, v79, v62
	v_fma_f32 v79, v81, v79, v63
	v_fma_f32 v79, v81, v79, v64
	v_fma_f32 v79, v81, v79, 1.0
	v_and_b32_e32 v81, 1, v80
	v_lshlrev_b32_e32 v80, 30, v80
	v_cmp_eq_u32_e64 s[14:15], 0, v81
	v_and_b32_e32 v80, 0x80000000, v80
	v_xor_b32_e32 v77, v77, v70
	v_cndmask_b32_e64 v79, v79, v82, s[14:15]
	v_xor_b32_e32 v77, v77, v80
	v_xor_b32_e32 v77, v77, v79
	v_mul_f32_e32 v77, v70, v77
	v_frexp_mant_f32_e64 v79, |v77|
	v_rcp_f32_e32 v79, v79
	v_frexp_exp_i32_f32_e32 v77, v77
	v_sub_u32_e32 v77, 2, v77
	v_mul_f32_e32 v79, 0x3f490fdb, v79
	v_ldexp_f32 v77, v79, v77
	v_cmp_gt_f32_e64 s[14:15], s41, v77
	v_cndmask_b32_e64 v79, 1.0, v66, s[14:15]
	v_mul_f32_e32 v77, v77, v79
	v_log_f32_e32 v77, v77
	v_mul_f32_e32 v79, 0x3f317217, v77
	v_fma_f32 v80, v77, s42, -v79
	v_fmac_f32_e32 v80, 0x3377d1cf, v77
	v_add_f32_e32 v79, v79, v80
	v_cmp_lt_f32_e64 s[16:17], |v77|, s43
	v_cndmask_b32_e64 v77, v77, v79, s[16:17]
	v_cndmask_b32_e64 v79, 0, v67, s[14:15]
	v_sub_f32_e32 v77, v77, v79
	v_sub_f32_e32 v77, v77, v78
	v_floor_f32_e32 v78, v70
	v_sub_f32_e32 v78, v70, v78
	v_min_f32_e32 v78, 0x3f7fffff, v78
	v_cmp_neq_f32_e64 s[14:15], 0, v78
	v_cndmask_b32_e64 v78, v69, v77, s[14:15]
.LBB9_323:                              ;   in Loop: Header=BB9_161 Depth=1
	s_or_b64 exec, exec, s[30:31]
	s_andn2_saveexec_b64 s[28:29], s[28:29]
	s_cbranch_execz .LBB9_317
.LBB9_324:                              ;   in Loop: Header=BB9_161 Depth=1
	v_cmp_eq_f32_e64 s[14:15], 1.0, v70
	v_cmp_eq_f32_e64 s[16:17], 2.0, v70
	s_or_b64 s[14:15], s[14:15], s[16:17]
	v_cndmask_b32_e64 v78, v78, 0, s[14:15]
	s_or_b64 exec, exec, s[28:29]
	s_and_saveexec_b64 s[14:15], vcc
	s_xor_b64 s[14:15], exec, s[14:15]
	s_cbranch_execz .LBB9_318
.LBB9_325:                              ;   in Loop: Header=BB9_161 Depth=1
	v_cmp_lt_f32_e64 s[16:17], |v71|, s55
	s_or_b64 vcc, s[6:7], s[16:17]
	v_cndmask_b32_e32 v74, v69, v74, vcc
	v_cmp_class_f32_e32 vcc, v71, v65
	v_cndmask_b32_e32 v74, v74, v69, vcc
	v_cmp_u_f32_e32 vcc, v71, v71
	v_cndmask_b32_e32 v71, v74, v71, vcc
	v_mov_b32_e32 v74, s19
	v_add_co_u32_e32 v80, vcc, s18, v4
	v_addc_co_u32_e32 v81, vcc, v3, v74, vcc
	global_store_dword v[80:81], v71, off
	s_or_b64 exec, exec, s[14:15]
	s_and_saveexec_b64 s[6:7], s[0:1]
	s_cbranch_execz .LBB9_319
.LBB9_326:                              ;   in Loop: Header=BB9_161 Depth=1
	v_cmp_lt_f32_e64 s[0:1], |v72|, s55
	s_or_b64 vcc, s[8:9], s[0:1]
	v_cndmask_b32_e32 v71, v69, v75, vcc
	v_cmp_class_f32_e32 vcc, v72, v65
	v_cndmask_b32_e32 v71, v71, v69, vcc
	v_cmp_u_f32_e32 vcc, v72, v72
	v_cndmask_b32_e32 v71, v71, v72, vcc
	v_mov_b32_e32 v72, s19
	v_add_co_u32_e32 v74, vcc, s18, v16
	v_addc_co_u32_e32 v75, vcc, v15, v72, vcc
	global_store_dword v[74:75], v71, off
	s_or_b64 exec, exec, s[6:7]
	s_and_saveexec_b64 s[0:1], s[2:3]
	s_cbranch_execz .LBB9_320
.LBB9_327:                              ;   in Loop: Header=BB9_161 Depth=1
	v_cmp_lt_f32_e64 s[2:3], |v73|, s55
	s_or_b64 vcc, s[10:11], s[2:3]
	v_cndmask_b32_e32 v71, v69, v76, vcc
	v_cmp_class_f32_e32 vcc, v73, v65
	v_cndmask_b32_e32 v71, v71, v69, vcc
	v_cmp_u_f32_e32 vcc, v73, v73
	v_cndmask_b32_e32 v71, v71, v73, vcc
	v_mov_b32_e32 v73, s19
	v_add_co_u32_e32 v72, vcc, s18, v12
	v_addc_co_u32_e32 v73, vcc, v11, v73, vcc
	global_store_dword v[72:73], v71, off
	s_or_b64 exec, exec, s[0:1]
	s_and_saveexec_b64 s[0:1], s[4:5]
	s_cbranch_execz .LBB9_160
.LBB9_328:                              ;   in Loop: Header=BB9_161 Depth=1
	v_cmp_lt_f32_e64 s[2:3], |v70|, s55
	s_or_b64 vcc, s[12:13], s[2:3]
	v_cndmask_b32_e32 v71, v69, v78, vcc
	v_cmp_class_f32_e32 vcc, v70, v65
	v_cndmask_b32_e32 v71, v71, v69, vcc
	v_cmp_u_f32_e32 vcc, v70, v70
	v_cndmask_b32_e32 v72, v71, v70, vcc
	v_mov_b32_e32 v71, s19
	v_add_co_u32_e32 v70, vcc, s18, v8
	v_addc_co_u32_e32 v71, vcc, v7, v71, vcc
	global_store_dword v[70:71], v72, off
	s_branch .LBB9_160
.LBB9_329:
	s_endpgm
	.section	.rodata,"a",@progbits
	.p2align	6, 0x0
	.amdhsa_kernel _ZN2at6native12_GLOBAL__N_125multi_tensor_apply_kernelINS1_18TensorListMetadataILi2EEENS1_14UnaryOpFunctorIfLi2ELi1ELi1EEEJNS0_6LgammaIfEEEEEvT_T0_DpT1_
		.amdhsa_group_segment_fixed_size 0
		.amdhsa_private_segment_fixed_size 0
		.amdhsa_kernarg_size 3408
		.amdhsa_user_sgpr_count 6
		.amdhsa_user_sgpr_private_segment_buffer 1
		.amdhsa_user_sgpr_dispatch_ptr 0
		.amdhsa_user_sgpr_queue_ptr 0
		.amdhsa_user_sgpr_kernarg_segment_ptr 1
		.amdhsa_user_sgpr_dispatch_id 0
		.amdhsa_user_sgpr_flat_scratch_init 0
		.amdhsa_user_sgpr_kernarg_preload_length 0
		.amdhsa_user_sgpr_kernarg_preload_offset 0
		.amdhsa_user_sgpr_private_segment_size 0
		.amdhsa_uses_dynamic_stack 0
		.amdhsa_system_sgpr_private_segment_wavefront_offset 0
		.amdhsa_system_sgpr_workgroup_id_x 1
		.amdhsa_system_sgpr_workgroup_id_y 0
		.amdhsa_system_sgpr_workgroup_id_z 0
		.amdhsa_system_sgpr_workgroup_info 0
		.amdhsa_system_vgpr_workitem_id 0
		.amdhsa_next_free_vgpr 87
		.amdhsa_next_free_sgpr 61
		.amdhsa_accum_offset 88
		.amdhsa_reserve_vcc 1
		.amdhsa_reserve_flat_scratch 0
		.amdhsa_float_round_mode_32 0
		.amdhsa_float_round_mode_16_64 0
		.amdhsa_float_denorm_mode_32 3
		.amdhsa_float_denorm_mode_16_64 3
		.amdhsa_dx10_clamp 1
		.amdhsa_ieee_mode 1
		.amdhsa_fp16_overflow 0
		.amdhsa_tg_split 0
		.amdhsa_exception_fp_ieee_invalid_op 0
		.amdhsa_exception_fp_denorm_src 0
		.amdhsa_exception_fp_ieee_div_zero 0
		.amdhsa_exception_fp_ieee_overflow 0
		.amdhsa_exception_fp_ieee_underflow 0
		.amdhsa_exception_fp_ieee_inexact 0
		.amdhsa_exception_int_div_zero 0
	.end_amdhsa_kernel
	.section	.text._ZN2at6native12_GLOBAL__N_125multi_tensor_apply_kernelINS1_18TensorListMetadataILi2EEENS1_14UnaryOpFunctorIfLi2ELi1ELi1EEEJNS0_6LgammaIfEEEEEvT_T0_DpT1_,"axG",@progbits,_ZN2at6native12_GLOBAL__N_125multi_tensor_apply_kernelINS1_18TensorListMetadataILi2EEENS1_14UnaryOpFunctorIfLi2ELi1ELi1EEEJNS0_6LgammaIfEEEEEvT_T0_DpT1_,comdat
.Lfunc_end9:
	.size	_ZN2at6native12_GLOBAL__N_125multi_tensor_apply_kernelINS1_18TensorListMetadataILi2EEENS1_14UnaryOpFunctorIfLi2ELi1ELi1EEEJNS0_6LgammaIfEEEEEvT_T0_DpT1_, .Lfunc_end9-_ZN2at6native12_GLOBAL__N_125multi_tensor_apply_kernelINS1_18TensorListMetadataILi2EEENS1_14UnaryOpFunctorIfLi2ELi1ELi1EEEJNS0_6LgammaIfEEEEEvT_T0_DpT1_
                                        ; -- End function
	.section	.AMDGPU.csdata,"",@progbits
; Kernel info:
; codeLenInByte = 19244
; NumSgprs: 65
; NumVgprs: 87
; NumAgprs: 0
; TotalNumVgprs: 87
; ScratchSize: 0
; MemoryBound: 0
; FloatMode: 240
; IeeeMode: 1
; LDSByteSize: 0 bytes/workgroup (compile time only)
; SGPRBlocks: 8
; VGPRBlocks: 10
; NumSGPRsForWavesPerEU: 65
; NumVGPRsForWavesPerEU: 87
; AccumOffset: 88
; Occupancy: 5
; WaveLimiterHint : 0
; COMPUTE_PGM_RSRC2:SCRATCH_EN: 0
; COMPUTE_PGM_RSRC2:USER_SGPR: 6
; COMPUTE_PGM_RSRC2:TRAP_HANDLER: 0
; COMPUTE_PGM_RSRC2:TGID_X_EN: 1
; COMPUTE_PGM_RSRC2:TGID_Y_EN: 0
; COMPUTE_PGM_RSRC2:TGID_Z_EN: 0
; COMPUTE_PGM_RSRC2:TIDIG_COMP_CNT: 0
; COMPUTE_PGM_RSRC3_GFX90A:ACCUM_OFFSET: 21
; COMPUTE_PGM_RSRC3_GFX90A:TG_SPLIT: 0
	.section	.text._ZN2at6native12_GLOBAL__N_125multi_tensor_apply_kernelINS1_18TensorListMetadataILi2EEENS1_14UnaryOpFunctorIN3c104HalfELi2ELi1ELi1EEEJNS0_6LgammaIfEEEEEvT_T0_DpT1_,"axG",@progbits,_ZN2at6native12_GLOBAL__N_125multi_tensor_apply_kernelINS1_18TensorListMetadataILi2EEENS1_14UnaryOpFunctorIN3c104HalfELi2ELi1ELi1EEEJNS0_6LgammaIfEEEEEvT_T0_DpT1_,comdat
	.globl	_ZN2at6native12_GLOBAL__N_125multi_tensor_apply_kernelINS1_18TensorListMetadataILi2EEENS1_14UnaryOpFunctorIN3c104HalfELi2ELi1ELi1EEEJNS0_6LgammaIfEEEEEvT_T0_DpT1_ ; -- Begin function _ZN2at6native12_GLOBAL__N_125multi_tensor_apply_kernelINS1_18TensorListMetadataILi2EEENS1_14UnaryOpFunctorIN3c104HalfELi2ELi1ELi1EEEJNS0_6LgammaIfEEEEEvT_T0_DpT1_
	.p2align	8
	.type	_ZN2at6native12_GLOBAL__N_125multi_tensor_apply_kernelINS1_18TensorListMetadataILi2EEENS1_14UnaryOpFunctorIN3c104HalfELi2ELi1ELi1EEEJNS0_6LgammaIfEEEEEvT_T0_DpT1_,@function
_ZN2at6native12_GLOBAL__N_125multi_tensor_apply_kernelINS1_18TensorListMetadataILi2EEENS1_14UnaryOpFunctorIN3c104HalfELi2ELi1ELi1EEEJNS0_6LgammaIfEEEEEvT_T0_DpT1_: ; @_ZN2at6native12_GLOBAL__N_125multi_tensor_apply_kernelINS1_18TensorListMetadataILi2EEENS1_14UnaryOpFunctorIN3c104HalfELi2ELi1ELi1EEEJNS0_6LgammaIfEEEEEvT_T0_DpT1_
; %bb.0:
	v_mov_b32_e32 v1, s6
	global_load_ubyte v1, v1, s[4:5] offset:1536
	s_add_u32 s0, s4, s6
	s_mul_hi_u32 s2, s6, 3
	s_mul_i32 s6, s6, 3
	s_addc_u32 s7, s5, 0
	s_add_u32 s6, s0, s6
	s_addc_u32 s7, s7, s2
	s_load_dword s6, s[6:7], 0x740
	s_mov_b32 s17, 0
	s_mov_b32 s3, s17
	;; [unrolled: 1-line block ×3, first 2 shown]
	s_waitcnt lgkmcnt(0)
	s_ashr_i32 s7, s6, 31
	s_lshl_b64 s[18:19], s[6:7], 17
	s_waitcnt vmcnt(0)
	v_readfirstlane_b32 s0, v1
	s_lshl_b32 s0, s0, 3
	s_load_dwordx2 s[14:15], s[4:5], s0 offset:0x0
	s_load_dwordx2 s[8:9], s[4:5], s0 offset:0x400
	;; [unrolled: 1-line block ×3, first 2 shown]
	s_waitcnt lgkmcnt(0)
	s_add_u32 s33, s14, s18
	s_addc_u32 s38, s15, s19
	s_and_b32 s16, s33, 7
	s_add_u32 s39, s12, s18
	s_addc_u32 s40, s13, s19
	s_and_b32 s2, s8, 3
	s_and_b32 s0, s39, 7
	s_or_b64 s[2:3], s[16:17], s[2:3]
	s_or_b64 s[0:1], s[0:1], s[2:3]
	s_lshl_b64 s[2:3], s[6:7], 16
	s_sub_u32 s20, s8, s2
	s_subb_u32 s21, s9, s3
	s_cmp_eq_u64 s[0:1], 0
	s_mov_b64 s[0:1], -1
	s_cbranch_scc0 .LBB10_157
; %bb.1:
	v_mov_b32_e32 v3, 0
	v_lshlrev_b32_e32 v2, 2, v0
	v_cmp_gt_i64_e32 vcc, s[20:21], v[2:3]
	s_and_saveexec_b64 s[22:23], vcc
	s_cbranch_execz .LBB10_156
; %bb.2:
	s_load_dword s0, s[4:5], 0xc5c
	s_mov_b32 s26, 2.0
	v_lshlrev_b32_e32 v4, 3, v0
	s_mov_b64 s[24:25], 0
	s_mov_b32 s42, 0x3c800000
	s_waitcnt lgkmcnt(0)
	s_and_b32 s0, s0, 0xffff
	v_add_lshl_u32 v2, v0, s0, 2
	s_lshl_b32 s16, s0, 2
	s_lshl_b32 s41, s0, 3
	s_mov_b32 s27, 0x40400000
	s_mov_b32 s43, 0x41000000
	;; [unrolled: 1-line block ×6, first 2 shown]
	v_mov_b32_e32 v1, 0xba1c065c
	v_mov_b32_e32 v5, 0x3a500cfd
	v_mov_b32_e32 v8, 0xbb360b61
	v_mov_b32_e32 v9, 0x3daaaaab
	v_mov_b32_e32 v10, 0x3ed67f1d
	v_mov_b32_e32 v11, 0x3cda40e4
	v_mov_b32_e32 v12, 0x3e15dce6
	v_mov_b32_e32 v13, 0x3ea6cc7a
	v_mov_b32_e32 v14, 0x3e5c245a
	v_mov_b32_e32 v15, 0xbd9e233f
	v_mov_b32_e32 v16, 0x3c98bf54
	v_mov_b32_e32 v17, 0x3e300f6e
	v_mov_b32_e32 v18, 0x3f38d0c5
	v_mov_b32_e32 v19, 0x3fb22d3b
	s_mov_b32 s48, 0x3f666666
	s_mov_b32 s49, 0x3f3b4a23
	;; [unrolled: 1-line block ×7, first 2 shown]
	v_mov_b32_e32 v20, 0x3f7a4bb2
	v_mov_b32_e32 v21, 0x3fba3ae7
	;; [unrolled: 1-line block ×15, first 2 shown]
	s_mov_b32 s55, 0xa2863e55
	v_mov_b32_e32 v35, 0x3a9c54a1
	v_mov_b32_e32 v36, 0x3bf2027e
	;; [unrolled: 1-line block ×8, first 2 shown]
	s_mov_b32 s56, 0x3e8a8991
	s_mov_b32 s57, 0x3f528d33
	;; [unrolled: 1-line block ×5, first 2 shown]
	v_mov_b32_e32 v43, 0x40234736
	v_mov_b32_e32 v44, 0xc0a55e0e
	;; [unrolled: 1-line block ×6, first 2 shown]
	s_mov_b32 s61, 0x5040100
	s_mov_b64 s[28:29], 0xffff
	v_mov_b32_e32 v49, 0x4f800000
	v_mov_b32_e32 v50, 0x41b17218
	;; [unrolled: 1-line block ×5, first 2 shown]
	s_branch .LBB10_4
.LBB10_3:                               ;   in Loop: Header=BB10_4 Depth=1
	s_or_b64 exec, exec, s[30:31]
	v_cvt_f16_f32_e32 v60, v60
	v_cmp_lt_f32_e64 s[8:9], |v59|, s59
	s_or_b64 s[2:3], s[2:3], s[8:9]
	v_cvt_f16_f32_e32 v58, v58
	v_cndmask_b32_e64 v60, v53, v60, s[2:3]
	v_cmp_class_f32_e64 s[2:3], v59, v48
	v_cndmask_b32_e64 v59, v60, v53, s[2:3]
	v_cmp_u_f16_e64 s[2:3], v7, v7
	v_cndmask_b32_e64 v59, v59, v7, s[2:3]
	v_cmp_lt_f32_e64 s[2:3], |v57|, s59
	s_or_b64 s[0:1], s[0:1], s[2:3]
	v_cndmask_b32_e64 v7, v53, v58, s[0:1]
	v_cmp_class_f32_e64 s[0:1], v57, v48
	v_cvt_f16_f32_e32 v55, v55
	v_cndmask_b32_e64 v7, v7, v53, s[0:1]
	v_cmp_u_f16_e64 s[0:1], v56, v56
	v_cndmask_b32_e64 v56, v7, v56, s[0:1]
	v_cmp_lt_f32_e64 s[0:1], |v54|, s59
	s_or_b64 vcc, vcc, s[0:1]
	v_cndmask_b32_e32 v7, v53, v55, vcc
	v_cmp_class_f32_e32 vcc, v54, v48
	v_cvt_f16_f32_e32 v54, v64
	v_cndmask_b32_e32 v7, v7, v53, vcc
	v_cmp_u_f16_e32 vcc, v6, v6
	v_cmp_lt_f32_e64 s[0:1], |v62|, s59
	v_cndmask_b32_e32 v57, v7, v6, vcc
	s_or_b64 vcc, s[6:7], s[0:1]
	v_cndmask_b32_e32 v6, v53, v54, vcc
	v_cmp_class_f32_e32 vcc, v62, v48
	v_cndmask_b32_e32 v6, v6, v53, vcc
	v_cmp_u_f16_e32 vcc, v61, v61
	v_cndmask_b32_e32 v54, v6, v61, vcc
	v_mov_b32_e32 v7, s40
	v_add_co_u32_e32 v6, vcc, s39, v4
	v_addc_co_u32_e32 v7, vcc, 0, v7, vcc
	v_cmp_le_i64_e32 vcc, s[20:21], v[2:3]
	v_cmp_lt_u64_e64 s[0:1], s[28:29], v[2:3]
	s_or_b64 s[0:1], vcc, s[0:1]
	s_add_u32 s33, s33, s41
	s_addc_u32 s38, s38, 0
	s_add_u32 s39, s39, s41
	v_perm_b32 v55, v54, v59, s61
	v_perm_b32 v54, v56, v57, s61
	s_addc_u32 s40, s40, 0
	global_store_dwordx2 v[6:7], v[54:55], off
	v_mov_b32_e32 v6, s17
	s_and_b64 s[0:1], exec, s[0:1]
	v_add_co_u32_e32 v2, vcc, s16, v2
	s_or_b64 s[24:25], s[0:1], s[24:25]
	v_addc_co_u32_e32 v3, vcc, v3, v6, vcc
	s_andn2_b64 exec, exec, s[24:25]
	s_cbranch_execz .LBB10_156
.LBB10_4:                               ; =>This Inner Loop Header: Depth=1
	v_mov_b32_e32 v7, s38
	v_add_co_u32_e32 v6, vcc, s33, v4
	v_addc_co_u32_e32 v7, vcc, 0, v7, vcc
	global_load_dwordx2 v[6:7], v[6:7], off
                                        ; implicit-def: $vgpr55
	s_waitcnt vmcnt(0)
	v_cvt_f32_f16_e32 v54, v6
	v_and_b32_e32 v56, 0x7fffffff, v54
	v_cmp_nlt_f32_e64 s[0:1], |v54|, s42
	s_and_saveexec_b64 s[2:3], s[0:1]
	s_xor_b64 s[2:3], exec, s[2:3]
	s_cbranch_execz .LBB10_34
; %bb.5:                                ;   in Loop: Header=BB10_4 Depth=1
	v_cmp_nlt_f32_e64 s[0:1], |v54|, 2.0
                                        ; implicit-def: $vgpr55
	s_and_saveexec_b64 s[6:7], s[0:1]
	s_xor_b64 s[6:7], exec, s[6:7]
	s_cbranch_execz .LBB10_15
; %bb.6:                                ;   in Loop: Header=BB10_4 Depth=1
	v_cmp_nlt_f32_e64 s[0:1], |v54|, s43
                                        ; implicit-def: $vgpr55
	s_and_saveexec_b64 s[8:9], s[0:1]
	s_xor_b64 s[8:9], exec, s[8:9]
	s_cbranch_execz .LBB10_12
; %bb.7:                                ;   in Loop: Header=BB10_4 Depth=1
	v_cmp_nlt_f32_e64 s[0:1], |v54|, s44
                                        ; implicit-def: $vgpr55
	s_and_saveexec_b64 s[10:11], s[0:1]
	s_xor_b64 s[10:11], exec, s[10:11]
	s_cbranch_execz .LBB10_9
; %bb.8:                                ;   in Loop: Header=BB10_4 Depth=1
	v_cmp_lt_f32_e64 vcc, |v54|, s45
	v_cndmask_b32_e32 v55, 1.0, v49, vcc
	v_mul_f32_e64 v55, |v54|, v55
	v_log_f32_e32 v55, v55
	v_mul_f32_e32 v57, 0x3f317217, v55
	v_fma_f32 v58, v55, s46, -v57
	v_fmac_f32_e32 v58, 0x3377d1cf, v55
	v_add_f32_e32 v57, v57, v58
	v_cmp_lt_f32_e64 s[0:1], |v55|, s47
	v_cndmask_b32_e64 v55, v55, v57, s[0:1]
	v_cndmask_b32_e32 v57, 0, v50, vcc
	v_sub_f32_e32 v55, v55, v57
	v_fma_f32 v55, |v54|, v55, -|v54|
.LBB10_9:                               ;   in Loop: Header=BB10_4 Depth=1
	s_andn2_saveexec_b64 s[10:11], s[10:11]
	s_cbranch_execz .LBB10_11
; %bb.10:                               ;   in Loop: Header=BB10_4 Depth=1
	v_rcp_f32_e64 v55, |v54|
	v_cmp_lt_f32_e64 vcc, |v54|, s45
	v_cndmask_b32_e32 v58, 1.0, v49, vcc
	v_mov_b32_e32 v57, 0x3a5b3dd2
	v_mul_f32_e32 v59, v55, v55
	v_mul_f32_e64 v58, |v54|, v58
	v_fmac_f32_e32 v57, 0xbad5c4e8, v59
	v_log_f32_e32 v58, v58
	v_fma_f32 v57, v59, v57, v1
	v_fma_f32 v57, v59, v57, v5
	;; [unrolled: 1-line block ×4, first 2 shown]
	v_mul_f32_e32 v59, 0x3f317217, v58
	v_fma_f32 v60, v58, s46, -v59
	v_fmac_f32_e32 v60, 0x3377d1cf, v58
	v_add_f32_e32 v59, v59, v60
	v_cmp_lt_f32_e64 s[0:1], |v58|, s47
	v_cndmask_b32_e64 v58, v58, v59, s[0:1]
	v_cndmask_b32_e32 v59, 0, v50, vcc
	v_sub_f32_e32 v58, v58, v59
	v_fma_f32 v55, v55, v57, v10
	v_add_f32_e64 v57, |v54|, -0.5
	v_add_f32_e32 v58, -1.0, v58
	v_fmac_f32_e32 v55, v57, v58
.LBB10_11:                              ;   in Loop: Header=BB10_4 Depth=1
	s_or_b64 exec, exec, s[10:11]
.LBB10_12:                              ;   in Loop: Header=BB10_4 Depth=1
	s_andn2_saveexec_b64 s[8:9], s[8:9]
	s_cbranch_execz .LBB10_14
; %bb.13:                               ;   in Loop: Header=BB10_4 Depth=1
	v_cvt_i32_f32_e32 v55, v56
	v_mov_b32_e32 v59, 0x3af135b4
	v_mov_b32_e32 v60, 0x3a4beed6
	v_cvt_f32_i32_e32 v57, v55
	v_cmp_lt_i32_e32 vcc, 3, v55
	v_sub_f32_e64 v58, |v54|, v57
	v_fmac_f32_e32 v59, 0x3805ff67, v58
	v_fmac_f32_e32 v60, 0x36f5d7bd, v58
	v_fma_f32 v57, v58, v59, v11
	v_fma_f32 v59, v58, v60, v16
	v_fma_f32 v59, v58, v59, v17
	v_fma_f32 v59, v58, v59, v18
	v_fma_f32 v59, v58, v59, v19
	v_fma_f32 v59, v58, v59, 1.0
	v_rcp_f32_e32 v59, v59
	v_add_f32_e32 v62, 4.0, v58
	v_add_f32_e32 v63, 0x40a00000, v58
	v_add_f32_e32 v64, 0x40c00000, v58
	v_pk_add_f32 v[60:61], v[58:59], s[26:27] op_sel_hi:[0,1]
	v_cndmask_b32_e32 v61, 1.0, v61, vcc
	v_cmp_lt_i32_e32 vcc, 2, v55
	v_cndmask_b32_e32 v60, 1.0, v60, vcc
	v_cmp_lt_i32_e32 vcc, 4, v55
	v_mul_f32_e32 v60, v60, v61
	v_cndmask_b32_e32 v61, 1.0, v62, vcc
	v_cmp_lt_i32_e32 vcc, 5, v55
	v_mul_f32_e32 v60, v61, v60
	;; [unrolled: 3-line block ×3, first 2 shown]
	v_cndmask_b32_e32 v55, 1.0, v64, vcc
	v_mul_f32_e32 v55, v55, v60
	v_cmp_gt_f32_e32 vcc, s45, v55
	v_fma_f32 v57, v58, v57, v12
	v_cndmask_b32_e32 v60, 1.0, v49, vcc
	v_fma_f32 v57, v58, v57, v13
	v_mul_f32_e32 v55, v55, v60
	v_fma_f32 v57, v58, v57, v14
	v_log_f32_e32 v55, v55
	v_fma_f32 v57, v58, v57, v15
	v_mul_f32_e32 v57, v58, v57
	v_mul_f32_e32 v57, v57, v59
	v_fmac_f32_e32 v57, 0.5, v58
	v_mul_f32_e32 v58, 0x3f317217, v55
	v_fma_f32 v59, v55, s46, -v58
	v_fmac_f32_e32 v59, 0x3377d1cf, v55
	v_add_f32_e32 v58, v58, v59
	v_cmp_lt_f32_e64 s[0:1], |v55|, s47
	v_cndmask_b32_e64 v55, v55, v58, s[0:1]
	v_cndmask_b32_e32 v58, 0, v50, vcc
	v_sub_f32_e32 v55, v55, v58
	v_add_f32_e32 v55, v55, v57
.LBB10_14:                              ;   in Loop: Header=BB10_4 Depth=1
	s_or_b64 exec, exec, s[8:9]
.LBB10_15:                              ;   in Loop: Header=BB10_4 Depth=1
	s_andn2_saveexec_b64 s[0:1], s[6:7]
	s_cbranch_execz .LBB10_33
; %bb.16:                               ;   in Loop: Header=BB10_4 Depth=1
	v_cmp_le_f32_e64 s[6:7], |v54|, s48
                                        ; implicit-def: $vgpr55
                                        ; implicit-def: $vgpr58
                                        ; implicit-def: $vgpr57
	s_and_saveexec_b64 s[8:9], s[6:7]
	s_xor_b64 s[6:7], exec, s[8:9]
	s_cbranch_execz .LBB10_18
; %bb.17:                               ;   in Loop: Header=BB10_4 Depth=1
	v_cmp_lt_f32_e64 vcc, |v54|, s45
	v_cndmask_b32_e32 v55, 1.0, v49, vcc
	v_mul_f32_e64 v55, |v54|, v55
	v_log_f32_e32 v55, v55
	v_cndmask_b32_e32 v57, 0, v50, vcc
	v_cmp_lt_f32_e64 s[8:9], |v54|, s51
	v_mul_f32_e32 v58, 0x3f317217, v55
	v_fma_f32 v59, v55, s46, -v58
	v_fmac_f32_e32 v59, 0x3377d1cf, v55
	v_add_f32_e32 v58, v58, v59
	v_cmp_lt_f32_e64 vcc, |v55|, s47
	v_cndmask_b32_e32 v55, v55, v58, vcc
	v_sub_f32_e32 v55, v55, v57
	v_sub_f32_e64 v57, 1.0, |v54|
	v_add_f32_e64 v58, |v54|, s50
	v_cmp_lt_f32_e64 vcc, |v54|, s49
	v_cndmask_b32_e32 v57, v57, v58, vcc
	v_cndmask_b32_e64 v58, 0, 1, vcc
	v_xor_b32_e32 v55, 0x80000000, v55
	v_cndmask_b32_e64 v57, v57, |v54|, s[8:9]
	v_cndmask_b32_e64 v58, v58, 2, s[8:9]
.LBB10_18:                              ;   in Loop: Header=BB10_4 Depth=1
	s_andn2_saveexec_b64 s[6:7], s[6:7]
; %bb.19:                               ;   in Loop: Header=BB10_4 Depth=1
	v_sub_f32_e64 v55, 2.0, |v54|
	v_add_f32_e64 v57, |v54|, s53
	v_cmp_lt_f32_e64 vcc, |v54|, s52
	v_cndmask_b32_e32 v57, v55, v57, vcc
	v_cndmask_b32_e64 v55, v55, 1.0, vcc
	v_cvt_i32_f32_e32 v55, v55
	v_add_f32_e64 v58, |v54|, -1.0
	v_cmp_lt_f32_e64 vcc, |v54|, s54
	v_cndmask_b32_e32 v57, v57, v58, vcc
	v_cndmask_b32_e64 v58, v55, 2, vcc
	v_mov_b32_e32 v55, 0
; %bb.20:                               ;   in Loop: Header=BB10_4 Depth=1
	s_or_b64 exec, exec, s[6:7]
	v_cmp_lt_i32_e32 vcc, 0, v58
	s_and_saveexec_b64 s[6:7], vcc
	s_xor_b64 s[6:7], exec, s[6:7]
	s_cbranch_execz .LBB10_28
; %bb.21:                               ;   in Loop: Header=BB10_4 Depth=1
	v_cmp_lt_i32_e32 vcc, 1, v58
	s_and_saveexec_b64 s[8:9], vcc
	s_xor_b64 s[8:9], exec, s[8:9]
	s_cbranch_execz .LBB10_25
; %bb.22:                               ;   in Loop: Header=BB10_4 Depth=1
	v_cmp_eq_u32_e32 vcc, 2, v58
	s_and_saveexec_b64 s[10:11], vcc
	s_cbranch_execz .LBB10_24
; %bb.23:                               ;   in Loop: Header=BB10_4 Depth=1
	v_mov_b32_e32 v59, 0x3dd572af
	v_fmac_f32_e32 v59, 0x3b52d5db, v57
	v_fma_f32 v59, v57, v59, v23
	v_mov_b32_e32 v58, 0x3e6a7578
	v_fma_f32 v59, v57, v59, v24
	v_fmac_f32_e32 v58, 0x3c5b3c5e, v57
	v_fma_f32 v59, v57, v59, v25
	v_fma_f32 v58, v57, v58, v20
	v_fma_f32 v59, v57, v59, 1.0
	v_fma_f32 v58, v57, v58, v21
	v_rcp_f32_e32 v59, v59
	v_fma_f32 v58, v57, v58, v22
	v_fma_f32 v58, v57, v58, v15
	v_mul_f32_e32 v58, v57, v58
	v_mul_f32_e32 v58, v58, v59
	v_fmac_f32_e32 v58, -0.5, v57
	v_add_f32_e32 v55, v55, v58
.LBB10_24:                              ;   in Loop: Header=BB10_4 Depth=1
	s_or_b64 exec, exec, s[10:11]
                                        ; implicit-def: $vgpr57
.LBB10_25:                              ;   in Loop: Header=BB10_4 Depth=1
	s_andn2_saveexec_b64 s[8:9], s[8:9]
	s_cbranch_execz .LBB10_27
; %bb.26:                               ;   in Loop: Header=BB10_4 Depth=1
	v_mul_f32_e32 v58, v57, v57
	v_mul_f32_e32 v59, v57, v58
	v_mov_b32_e32 v61, 0x3a66f867
	v_mov_b32_e32 v62, 0xba0d3085
	v_fmac_f32_e32 v61, 0xb9a3f927, v59
	v_fmac_f32_e32 v62, 0x39afe9f7, v59
	v_mov_b32_e32 v60, 0xbab7f476
	v_fma_f32 v61, v59, v61, v29
	v_fma_f32 v62, v59, v62, v32
	v_fmac_f32_e32 v60, 0x39a57b6b, v59
	v_fma_f32 v61, v59, v61, v30
	v_fma_f32 v62, v59, v62, v33
	v_fma_f32 v60, v59, v60, v26
	v_fma_f32 v61, v59, v61, v31
	v_fma_f32 v62, v59, v62, v34
	v_fma_f32 v60, v59, v60, v27
	v_fmac_f32_e32 v61, v57, v62
	v_fma_f32 v60, v59, v60, v28
	v_fma_f32 v57, v59, -v61, s55
	v_fma_f32 v57, v58, v60, -v57
	v_add_f32_e32 v57, 0xbdf8cdce, v57
	v_add_f32_e32 v55, v55, v57
.LBB10_27:                              ;   in Loop: Header=BB10_4 Depth=1
	s_or_b64 exec, exec, s[8:9]
                                        ; implicit-def: $vgpr58
                                        ; implicit-def: $vgpr57
.LBB10_28:                              ;   in Loop: Header=BB10_4 Depth=1
	s_andn2_saveexec_b64 s[6:7], s[6:7]
	s_cbranch_execz .LBB10_32
; %bb.29:                               ;   in Loop: Header=BB10_4 Depth=1
	v_cmp_eq_u32_e32 vcc, 0, v58
	s_and_saveexec_b64 s[8:9], vcc
	s_cbranch_execz .LBB10_31
; %bb.30:                               ;   in Loop: Header=BB10_4 Depth=1
	v_mul_f32_e32 v58, v57, v57
	v_mov_b32_e32 v60, 0x38e28445
	v_mov_b32_e32 v59, 0x39679767
	v_fmac_f32_e32 v60, 0x383c2c75, v58
	v_fmac_f32_e32 v59, 0x37d383a2, v58
	v_fma_f32 v60, v58, v60, v39
	v_fma_f32 v59, v58, v59, v35
	;; [unrolled: 1-line block ×8, first 2 shown]
	v_mul_f32_e32 v58, v58, v60
	v_fmac_f32_e32 v58, v57, v59
	v_fmac_f32_e32 v58, -0.5, v57
	v_add_f32_e32 v55, v55, v58
.LBB10_31:                              ;   in Loop: Header=BB10_4 Depth=1
	s_or_b64 exec, exec, s[8:9]
.LBB10_32:                              ;   in Loop: Header=BB10_4 Depth=1
	s_or_b64 exec, exec, s[6:7]
.LBB10_33:                              ;   in Loop: Header=BB10_4 Depth=1
	s_or_b64 exec, exec, s[0:1]
.LBB10_34:                              ;   in Loop: Header=BB10_4 Depth=1
	s_andn2_saveexec_b64 s[2:3], s[2:3]
	s_cbranch_execz .LBB10_36
; %bb.35:                               ;   in Loop: Header=BB10_4 Depth=1
	v_cmp_lt_f32_e64 vcc, |v54|, s45
	v_cndmask_b32_e32 v55, 1.0, v49, vcc
	v_mul_f32_e64 v55, |v54|, v55
	v_log_f32_e32 v55, v55
	v_fma_f32 v57, |v54|, s56, v51
	v_fma_f32 v57, |v54|, v57, s57
	v_fma_f32 v57, |v54|, v57, s58
	v_mul_f32_e32 v58, 0x3f317217, v55
	v_fma_f32 v59, v55, s46, -v58
	v_fmac_f32_e32 v59, 0x3377d1cf, v55
	v_add_f32_e32 v58, v58, v59
	v_cmp_lt_f32_e64 s[0:1], |v55|, s47
	v_cndmask_b32_e64 v55, v55, v58, s[0:1]
	v_cndmask_b32_e32 v58, 0, v50, vcc
	v_sub_f32_e32 v55, v55, v58
	v_fma_f32 v55, |v54|, v57, -v55
.LBB10_36:                              ;   in Loop: Header=BB10_4 Depth=1
	s_or_b64 exec, exec, s[2:3]
	v_cmp_le_f16_e32 vcc, 0, v6
	v_cmp_nle_f16_e64 s[0:1], 0, v6
	s_and_saveexec_b64 s[2:3], s[0:1]
	s_xor_b64 s[6:7], exec, s[2:3]
	s_cbranch_execz .LBB10_40
; %bb.37:                               ;   in Loop: Header=BB10_4 Depth=1
	v_cmp_lt_f32_e64 s[0:1], |v54|, s59
	v_cmp_gt_f32_e64 s[2:3], |v54|, s60
	s_and_b64 s[0:1], s[0:1], s[2:3]
	s_and_saveexec_b64 s[8:9], s[0:1]
	s_cbranch_execz .LBB10_39
; %bb.38:                               ;   in Loop: Header=BB10_4 Depth=1
	v_mul_f32_e64 v57, |v54|, 0.5
	v_floor_f32_e32 v58, v57
	v_sub_f32_e32 v58, v57, v58
	v_min_f32_e32 v58, 0x3f7fffff, v58
	v_add_f32_e32 v58, v58, v58
	v_cmp_neq_f32_e64 s[0:1], s47, v57
	v_cndmask_b32_e64 v57, 0, v58, s[0:1]
	v_cmp_gt_f32_e64 s[0:1], |v54|, 1.0
	v_cndmask_b32_e64 v57, |v54|, v57, s[0:1]
	v_add_f32_e32 v58, v57, v57
	v_rndne_f32_e32 v58, v58
	v_fmac_f32_e32 v57, -0.5, v58
	v_mul_f32_e32 v59, v57, v57
	v_mov_b32_e32 v60, 0xbf1f24be
	v_fmac_f32_e32 v60, 0x3e75aa41, v59
	v_fma_f32 v60, v59, v60, v43
	v_fma_f32 v60, v59, v60, v44
	v_mul_f32_e32 v61, v57, v59
	v_mul_f32_e32 v60, v61, v60
	v_fmac_f32_e32 v60, 0x40490fdb, v57
	v_mov_b32_e32 v57, 0x3e642e9d
	v_cvt_i32_f32_e32 v58, v58
	v_fmac_f32_e32 v57, 0x3d4be544, v59
	v_fma_f32 v57, v59, v57, v45
	v_fma_f32 v57, v59, v57, v46
	;; [unrolled: 1-line block ×3, first 2 shown]
	v_fma_f32 v57, v59, v57, 1.0
	v_and_b32_e32 v59, 1, v58
	v_lshlrev_b32_e32 v58, 30, v58
	v_cmp_eq_u32_e64 s[0:1], 0, v59
	v_and_b32_e32 v58, 0x80000000, v58
	v_xor_b32_e32 v56, v56, v54
	v_cndmask_b32_e64 v57, v57, v60, s[0:1]
	v_xor_b32_e32 v56, v56, v58
	v_xor_b32_e32 v56, v56, v57
	v_mul_f32_e32 v56, v54, v56
	v_frexp_mant_f32_e64 v57, |v56|
	v_rcp_f32_e32 v57, v57
	v_frexp_exp_i32_f32_e32 v56, v56
	v_sub_u32_e32 v56, 2, v56
	v_mul_f32_e32 v57, 0x3f490fdb, v57
	v_ldexp_f32 v56, v57, v56
	v_cmp_gt_f32_e64 s[0:1], s45, v56
	v_cndmask_b32_e64 v57, 1.0, v49, s[0:1]
	v_mul_f32_e32 v56, v56, v57
	v_log_f32_e32 v56, v56
	v_mul_f32_e32 v57, 0x3f317217, v56
	v_fma_f32 v58, v56, s46, -v57
	v_fmac_f32_e32 v58, 0x3377d1cf, v56
	v_add_f32_e32 v57, v57, v58
	v_cmp_lt_f32_e64 s[2:3], |v56|, s47
	v_cndmask_b32_e64 v56, v56, v57, s[2:3]
	v_cndmask_b32_e64 v57, 0, v50, s[0:1]
	v_sub_f32_e32 v56, v56, v57
	v_sub_f32_e32 v55, v56, v55
	v_floor_f32_e32 v56, v54
	v_sub_f32_e32 v56, v54, v56
	v_min_f32_e32 v56, 0x3f7fffff, v56
	v_cmp_neq_f32_e64 s[0:1], 0, v56
	v_cndmask_b32_e64 v55, v52, v55, s[0:1]
.LBB10_39:                              ;   in Loop: Header=BB10_4 Depth=1
	s_or_b64 exec, exec, s[8:9]
.LBB10_40:                              ;   in Loop: Header=BB10_4 Depth=1
	s_andn2_saveexec_b64 s[6:7], s[6:7]
; %bb.41:                               ;   in Loop: Header=BB10_4 Depth=1
	v_cmp_eq_f16_e64 s[0:1], 1.0, v6
	v_cmp_eq_f16_e64 s[2:3], 2.0, v6
	s_or_b64 s[0:1], s[0:1], s[2:3]
	v_cndmask_b32_e64 v55, v55, 0, s[0:1]
; %bb.42:                               ;   in Loop: Header=BB10_4 Depth=1
	s_or_b64 exec, exec, s[6:7]
	v_lshrrev_b32_e32 v56, 16, v6
	v_cvt_f32_f16_e32 v57, v56
                                        ; implicit-def: $vgpr58
	v_and_b32_e32 v59, 0x7fffffff, v57
	v_cmp_nlt_f32_e64 s[0:1], |v57|, s42
	s_and_saveexec_b64 s[2:3], s[0:1]
	s_xor_b64 s[6:7], exec, s[2:3]
	s_cbranch_execz .LBB10_72
; %bb.43:                               ;   in Loop: Header=BB10_4 Depth=1
	v_cmp_nlt_f32_e64 s[0:1], |v57|, 2.0
                                        ; implicit-def: $vgpr58
	s_and_saveexec_b64 s[2:3], s[0:1]
	s_xor_b64 s[8:9], exec, s[2:3]
	s_cbranch_execz .LBB10_53
; %bb.44:                               ;   in Loop: Header=BB10_4 Depth=1
	v_cmp_nlt_f32_e64 s[0:1], |v57|, s43
                                        ; implicit-def: $vgpr58
	s_and_saveexec_b64 s[2:3], s[0:1]
	s_xor_b64 s[10:11], exec, s[2:3]
	s_cbranch_execz .LBB10_50
; %bb.45:                               ;   in Loop: Header=BB10_4 Depth=1
	v_cmp_nlt_f32_e64 s[0:1], |v57|, s44
                                        ; implicit-def: $vgpr58
	s_and_saveexec_b64 s[2:3], s[0:1]
	s_xor_b64 s[30:31], exec, s[2:3]
	s_cbranch_execz .LBB10_47
; %bb.46:                               ;   in Loop: Header=BB10_4 Depth=1
	v_cmp_lt_f32_e64 s[0:1], |v57|, s45
	v_cndmask_b32_e64 v58, 1.0, v49, s[0:1]
	v_mul_f32_e64 v58, |v57|, v58
	v_log_f32_e32 v58, v58
	v_mul_f32_e32 v60, 0x3f317217, v58
	v_fma_f32 v61, v58, s46, -v60
	v_fmac_f32_e32 v61, 0x3377d1cf, v58
	v_add_f32_e32 v60, v60, v61
	v_cmp_lt_f32_e64 s[2:3], |v58|, s47
	v_cndmask_b32_e64 v58, v58, v60, s[2:3]
	v_cndmask_b32_e64 v60, 0, v50, s[0:1]
	v_sub_f32_e32 v58, v58, v60
	v_fma_f32 v58, |v57|, v58, -|v57|
.LBB10_47:                              ;   in Loop: Header=BB10_4 Depth=1
	s_andn2_saveexec_b64 s[30:31], s[30:31]
	s_cbranch_execz .LBB10_49
; %bb.48:                               ;   in Loop: Header=BB10_4 Depth=1
	v_rcp_f32_e64 v58, |v57|
	v_cmp_lt_f32_e64 s[0:1], |v57|, s45
	v_cndmask_b32_e64 v61, 1.0, v49, s[0:1]
	v_mov_b32_e32 v60, 0x3a5b3dd2
	v_mul_f32_e32 v62, v58, v58
	v_mul_f32_e64 v61, |v57|, v61
	v_fmac_f32_e32 v60, 0xbad5c4e8, v62
	v_log_f32_e32 v61, v61
	v_fma_f32 v60, v62, v60, v1
	v_fma_f32 v60, v62, v60, v5
	v_fma_f32 v60, v62, v60, v8
	v_fma_f32 v60, v62, v60, v9
	v_mul_f32_e32 v62, 0x3f317217, v61
	v_fma_f32 v63, v61, s46, -v62
	v_fmac_f32_e32 v63, 0x3377d1cf, v61
	v_add_f32_e32 v62, v62, v63
	v_cmp_lt_f32_e64 s[2:3], |v61|, s47
	v_cndmask_b32_e64 v61, v61, v62, s[2:3]
	v_cndmask_b32_e64 v62, 0, v50, s[0:1]
	v_sub_f32_e32 v61, v61, v62
	v_fma_f32 v58, v58, v60, v10
	v_add_f32_e64 v60, |v57|, -0.5
	v_add_f32_e32 v61, -1.0, v61
	v_fmac_f32_e32 v58, v60, v61
.LBB10_49:                              ;   in Loop: Header=BB10_4 Depth=1
	s_or_b64 exec, exec, s[30:31]
.LBB10_50:                              ;   in Loop: Header=BB10_4 Depth=1
	s_andn2_saveexec_b64 s[10:11], s[10:11]
	s_cbranch_execz .LBB10_52
; %bb.51:                               ;   in Loop: Header=BB10_4 Depth=1
	v_cvt_i32_f32_e32 v62, v59
	v_mov_b32_e32 v60, 0x3af135b4
	v_mov_b32_e32 v61, 0x3a4beed6
	v_cvt_f32_i32_e32 v58, v62
	v_cmp_lt_i32_e64 s[0:1], 3, v62
	v_sub_f32_e64 v58, |v57|, v58
	v_fmac_f32_e32 v60, 0x3805ff67, v58
	v_fmac_f32_e32 v61, 0x36f5d7bd, v58
	v_fma_f32 v60, v58, v60, v11
	v_fma_f32 v61, v58, v61, v16
	;; [unrolled: 1-line block ×9, first 2 shown]
	v_fma_f32 v60, v58, v60, 1.0
	v_rcp_f32_e32 v64, v60
	v_pk_add_f32 v[60:61], v[58:59], s[26:27] op_sel_hi:[0,1]
	v_cndmask_b32_e64 v61, 1.0, v61, s[0:1]
	v_cmp_lt_i32_e64 s[0:1], 2, v62
	v_add_f32_e32 v65, 4.0, v58
	v_cndmask_b32_e64 v60, 1.0, v60, s[0:1]
	v_cmp_lt_i32_e64 s[0:1], 4, v62
	v_add_f32_e32 v66, 0x40a00000, v58
	v_mul_f32_e32 v60, v60, v61
	v_cndmask_b32_e64 v61, 1.0, v65, s[0:1]
	v_cmp_lt_i32_e64 s[0:1], 5, v62
	v_add_f32_e32 v67, 0x40c00000, v58
	v_mul_f32_e32 v60, v61, v60
	v_cndmask_b32_e64 v61, 1.0, v66, s[0:1]
	v_cmp_lt_i32_e64 s[0:1], 6, v62
	v_mul_f32_e32 v60, v61, v60
	v_cndmask_b32_e64 v61, 1.0, v67, s[0:1]
	v_mul_f32_e32 v60, v61, v60
	v_cmp_gt_f32_e64 s[0:1], s45, v60
	v_cndmask_b32_e64 v61, 1.0, v49, s[0:1]
	v_mul_f32_e32 v60, v60, v61
	v_log_f32_e32 v60, v60
	v_mul_f32_e32 v61, v58, v63
	v_mul_f32_e32 v61, v61, v64
	v_fmac_f32_e32 v61, 0.5, v58
	v_mul_f32_e32 v58, 0x3f317217, v60
	v_fma_f32 v62, v60, s46, -v58
	v_fmac_f32_e32 v62, 0x3377d1cf, v60
	v_add_f32_e32 v58, v58, v62
	v_cmp_lt_f32_e64 s[2:3], |v60|, s47
	v_cndmask_b32_e64 v58, v60, v58, s[2:3]
	v_cndmask_b32_e64 v60, 0, v50, s[0:1]
	v_sub_f32_e32 v58, v58, v60
	v_add_f32_e32 v58, v58, v61
.LBB10_52:                              ;   in Loop: Header=BB10_4 Depth=1
	s_or_b64 exec, exec, s[10:11]
.LBB10_53:                              ;   in Loop: Header=BB10_4 Depth=1
	s_andn2_saveexec_b64 s[2:3], s[8:9]
	s_cbranch_execz .LBB10_71
; %bb.54:                               ;   in Loop: Header=BB10_4 Depth=1
	v_cmp_le_f32_e64 s[0:1], |v57|, s48
                                        ; implicit-def: $vgpr58
                                        ; implicit-def: $vgpr61
                                        ; implicit-def: $vgpr60
	s_and_saveexec_b64 s[8:9], s[0:1]
	s_xor_b64 s[8:9], exec, s[8:9]
	s_cbranch_execz .LBB10_56
; %bb.55:                               ;   in Loop: Header=BB10_4 Depth=1
	v_cmp_lt_f32_e64 s[0:1], |v57|, s45
	v_cndmask_b32_e64 v58, 1.0, v49, s[0:1]
	v_mul_f32_e64 v58, |v57|, v58
	v_log_f32_e32 v58, v58
	v_cndmask_b32_e64 v60, 0, v50, s[0:1]
	v_mul_f32_e32 v61, 0x3f317217, v58
	v_fma_f32 v62, v58, s46, -v61
	v_fmac_f32_e32 v62, 0x3377d1cf, v58
	v_add_f32_e32 v61, v61, v62
	v_cmp_lt_f32_e64 s[0:1], |v58|, s47
	v_cndmask_b32_e64 v58, v58, v61, s[0:1]
	v_sub_f32_e32 v58, v58, v60
	v_sub_f32_e64 v60, 1.0, |v57|
	v_add_f32_e64 v61, |v57|, s50
	v_cmp_lt_f32_e64 s[0:1], |v57|, s49
	v_cndmask_b32_e64 v60, v60, v61, s[0:1]
	v_cndmask_b32_e64 v61, 0, 1, s[0:1]
	v_cmp_lt_f32_e64 s[0:1], |v57|, s51
	v_xor_b32_e32 v58, 0x80000000, v58
	v_cndmask_b32_e64 v60, v60, |v57|, s[0:1]
	v_cndmask_b32_e64 v61, v61, 2, s[0:1]
.LBB10_56:                              ;   in Loop: Header=BB10_4 Depth=1
	s_andn2_saveexec_b64 s[8:9], s[8:9]
; %bb.57:                               ;   in Loop: Header=BB10_4 Depth=1
	v_sub_f32_e64 v58, 2.0, |v57|
	v_add_f32_e64 v60, |v57|, s53
	v_cmp_lt_f32_e64 s[0:1], |v57|, s52
	v_cndmask_b32_e64 v60, v58, v60, s[0:1]
	v_cndmask_b32_e64 v58, v58, 1.0, s[0:1]
	v_cvt_i32_f32_e32 v58, v58
	v_add_f32_e64 v61, |v57|, -1.0
	v_cmp_lt_f32_e64 s[0:1], |v57|, s54
	v_cndmask_b32_e64 v60, v60, v61, s[0:1]
	v_cndmask_b32_e64 v61, v58, 2, s[0:1]
	v_mov_b32_e32 v58, 0
; %bb.58:                               ;   in Loop: Header=BB10_4 Depth=1
	s_or_b64 exec, exec, s[8:9]
	v_cmp_lt_i32_e64 s[0:1], 0, v61
	s_and_saveexec_b64 s[8:9], s[0:1]
	s_xor_b64 s[8:9], exec, s[8:9]
	s_cbranch_execz .LBB10_66
; %bb.59:                               ;   in Loop: Header=BB10_4 Depth=1
	v_cmp_lt_i32_e64 s[0:1], 1, v61
	s_and_saveexec_b64 s[10:11], s[0:1]
	s_xor_b64 s[10:11], exec, s[10:11]
	s_cbranch_execz .LBB10_63
; %bb.60:                               ;   in Loop: Header=BB10_4 Depth=1
	v_cmp_eq_u32_e64 s[0:1], 2, v61
	s_and_saveexec_b64 s[30:31], s[0:1]
	s_cbranch_execz .LBB10_62
; %bb.61:                               ;   in Loop: Header=BB10_4 Depth=1
	v_mov_b32_e32 v62, 0x3dd572af
	v_fmac_f32_e32 v62, 0x3b52d5db, v60
	v_fma_f32 v62, v60, v62, v23
	v_mov_b32_e32 v61, 0x3e6a7578
	v_fma_f32 v62, v60, v62, v24
	v_fmac_f32_e32 v61, 0x3c5b3c5e, v60
	v_fma_f32 v62, v60, v62, v25
	v_fma_f32 v61, v60, v61, v20
	v_fma_f32 v62, v60, v62, 1.0
	v_fma_f32 v61, v60, v61, v21
	v_rcp_f32_e32 v62, v62
	v_fma_f32 v61, v60, v61, v22
	v_fma_f32 v61, v60, v61, v15
	v_mul_f32_e32 v61, v60, v61
	v_mul_f32_e32 v61, v61, v62
	v_fmac_f32_e32 v61, -0.5, v60
	v_add_f32_e32 v58, v58, v61
.LBB10_62:                              ;   in Loop: Header=BB10_4 Depth=1
	s_or_b64 exec, exec, s[30:31]
                                        ; implicit-def: $vgpr60
.LBB10_63:                              ;   in Loop: Header=BB10_4 Depth=1
	s_andn2_saveexec_b64 s[0:1], s[10:11]
	s_cbranch_execz .LBB10_65
; %bb.64:                               ;   in Loop: Header=BB10_4 Depth=1
	v_mul_f32_e32 v61, v60, v60
	v_mul_f32_e32 v62, v60, v61
	v_mov_b32_e32 v64, 0x3a66f867
	v_mov_b32_e32 v65, 0xba0d3085
	v_fmac_f32_e32 v64, 0xb9a3f927, v62
	v_fmac_f32_e32 v65, 0x39afe9f7, v62
	v_mov_b32_e32 v63, 0xbab7f476
	v_fma_f32 v64, v62, v64, v29
	v_fma_f32 v65, v62, v65, v32
	v_fmac_f32_e32 v63, 0x39a57b6b, v62
	v_fma_f32 v64, v62, v64, v30
	v_fma_f32 v65, v62, v65, v33
	;; [unrolled: 1-line block ×6, first 2 shown]
	v_fmac_f32_e32 v64, v60, v65
	v_fma_f32 v63, v62, v63, v28
	v_fma_f32 v60, v62, -v64, s55
	v_fma_f32 v60, v61, v63, -v60
	v_add_f32_e32 v60, 0xbdf8cdce, v60
	v_add_f32_e32 v58, v58, v60
.LBB10_65:                              ;   in Loop: Header=BB10_4 Depth=1
	s_or_b64 exec, exec, s[0:1]
                                        ; implicit-def: $vgpr61
                                        ; implicit-def: $vgpr60
.LBB10_66:                              ;   in Loop: Header=BB10_4 Depth=1
	s_andn2_saveexec_b64 s[8:9], s[8:9]
	s_cbranch_execz .LBB10_70
; %bb.67:                               ;   in Loop: Header=BB10_4 Depth=1
	v_cmp_eq_u32_e64 s[0:1], 0, v61
	s_and_saveexec_b64 s[10:11], s[0:1]
	s_cbranch_execz .LBB10_69
; %bb.68:                               ;   in Loop: Header=BB10_4 Depth=1
	v_mul_f32_e32 v61, v60, v60
	v_mov_b32_e32 v63, 0x38e28445
	v_mov_b32_e32 v62, 0x39679767
	v_fmac_f32_e32 v63, 0x383c2c75, v61
	v_fmac_f32_e32 v62, 0x37d383a2, v61
	v_fma_f32 v63, v61, v63, v39
	v_fma_f32 v62, v61, v62, v35
	;; [unrolled: 1-line block ×8, first 2 shown]
	v_mul_f32_e32 v61, v61, v63
	v_fmac_f32_e32 v61, v60, v62
	v_fmac_f32_e32 v61, -0.5, v60
	v_add_f32_e32 v58, v58, v61
.LBB10_69:                              ;   in Loop: Header=BB10_4 Depth=1
	s_or_b64 exec, exec, s[10:11]
.LBB10_70:                              ;   in Loop: Header=BB10_4 Depth=1
	s_or_b64 exec, exec, s[8:9]
.LBB10_71:                              ;   in Loop: Header=BB10_4 Depth=1
	s_or_b64 exec, exec, s[2:3]
.LBB10_72:                              ;   in Loop: Header=BB10_4 Depth=1
	s_andn2_saveexec_b64 s[6:7], s[6:7]
	s_cbranch_execz .LBB10_74
; %bb.73:                               ;   in Loop: Header=BB10_4 Depth=1
	v_cmp_lt_f32_e64 s[0:1], |v57|, s45
	v_cndmask_b32_e64 v58, 1.0, v49, s[0:1]
	v_mul_f32_e64 v58, |v57|, v58
	v_log_f32_e32 v58, v58
	v_fma_f32 v60, |v57|, s56, v51
	v_fma_f32 v60, |v57|, v60, s57
	;; [unrolled: 1-line block ×3, first 2 shown]
	v_mul_f32_e32 v61, 0x3f317217, v58
	v_fma_f32 v62, v58, s46, -v61
	v_fmac_f32_e32 v62, 0x3377d1cf, v58
	v_add_f32_e32 v61, v61, v62
	v_cmp_lt_f32_e64 s[2:3], |v58|, s47
	v_cndmask_b32_e64 v58, v58, v61, s[2:3]
	v_cndmask_b32_e64 v61, 0, v50, s[0:1]
	v_sub_f32_e32 v58, v58, v61
	v_fma_f32 v58, |v57|, v60, -v58
.LBB10_74:                              ;   in Loop: Header=BB10_4 Depth=1
	s_or_b64 exec, exec, s[6:7]
	v_cmp_le_f16_e64 s[0:1], 0, v56
	v_cmp_nle_f16_e64 s[2:3], 0, v56
	s_and_saveexec_b64 s[6:7], s[2:3]
	s_xor_b64 s[8:9], exec, s[6:7]
	s_cbranch_execz .LBB10_78
; %bb.75:                               ;   in Loop: Header=BB10_4 Depth=1
	v_cmp_lt_f32_e64 s[2:3], |v57|, s59
	v_cmp_gt_f32_e64 s[6:7], |v57|, s60
	s_and_b64 s[2:3], s[2:3], s[6:7]
	s_and_saveexec_b64 s[10:11], s[2:3]
	s_cbranch_execz .LBB10_77
; %bb.76:                               ;   in Loop: Header=BB10_4 Depth=1
	v_mul_f32_e64 v60, |v57|, 0.5
	v_floor_f32_e32 v61, v60
	v_sub_f32_e32 v61, v60, v61
	v_min_f32_e32 v61, 0x3f7fffff, v61
	v_add_f32_e32 v61, v61, v61
	v_cmp_neq_f32_e64 s[2:3], s47, v60
	v_cndmask_b32_e64 v60, 0, v61, s[2:3]
	v_cmp_gt_f32_e64 s[2:3], |v57|, 1.0
	v_cndmask_b32_e64 v60, |v57|, v60, s[2:3]
	v_add_f32_e32 v61, v60, v60
	v_rndne_f32_e32 v61, v61
	v_fmac_f32_e32 v60, -0.5, v61
	v_mul_f32_e32 v62, v60, v60
	v_mov_b32_e32 v63, 0xbf1f24be
	v_fmac_f32_e32 v63, 0x3e75aa41, v62
	v_fma_f32 v63, v62, v63, v43
	v_fma_f32 v63, v62, v63, v44
	v_mul_f32_e32 v64, v60, v62
	v_mul_f32_e32 v63, v64, v63
	v_fmac_f32_e32 v63, 0x40490fdb, v60
	v_mov_b32_e32 v60, 0x3e642e9d
	v_cvt_i32_f32_e32 v61, v61
	v_fmac_f32_e32 v60, 0x3d4be544, v62
	v_fma_f32 v60, v62, v60, v45
	v_fma_f32 v60, v62, v60, v46
	;; [unrolled: 1-line block ×3, first 2 shown]
	v_fma_f32 v60, v62, v60, 1.0
	v_and_b32_e32 v62, 1, v61
	v_lshlrev_b32_e32 v61, 30, v61
	v_cmp_eq_u32_e64 s[2:3], 0, v62
	v_and_b32_e32 v61, 0x80000000, v61
	v_xor_b32_e32 v59, v59, v57
	v_cndmask_b32_e64 v60, v60, v63, s[2:3]
	v_xor_b32_e32 v59, v59, v61
	v_xor_b32_e32 v59, v59, v60
	v_mul_f32_e32 v59, v57, v59
	v_frexp_mant_f32_e64 v60, |v59|
	v_rcp_f32_e32 v60, v60
	v_frexp_exp_i32_f32_e32 v59, v59
	v_sub_u32_e32 v59, 2, v59
	v_mul_f32_e32 v60, 0x3f490fdb, v60
	v_ldexp_f32 v59, v60, v59
	v_cmp_gt_f32_e64 s[2:3], s45, v59
	v_cndmask_b32_e64 v60, 1.0, v49, s[2:3]
	v_mul_f32_e32 v59, v59, v60
	v_log_f32_e32 v59, v59
	v_mul_f32_e32 v60, 0x3f317217, v59
	v_fma_f32 v61, v59, s46, -v60
	v_fmac_f32_e32 v61, 0x3377d1cf, v59
	v_add_f32_e32 v60, v60, v61
	v_cmp_lt_f32_e64 s[6:7], |v59|, s47
	v_cndmask_b32_e64 v59, v59, v60, s[6:7]
	v_cndmask_b32_e64 v60, 0, v50, s[2:3]
	v_sub_f32_e32 v59, v59, v60
	v_sub_f32_e32 v58, v59, v58
	v_floor_f32_e32 v59, v57
	v_sub_f32_e32 v59, v57, v59
	v_min_f32_e32 v59, 0x3f7fffff, v59
	v_cmp_neq_f32_e64 s[2:3], 0, v59
	v_cndmask_b32_e64 v58, v52, v58, s[2:3]
.LBB10_77:                              ;   in Loop: Header=BB10_4 Depth=1
	s_or_b64 exec, exec, s[10:11]
.LBB10_78:                              ;   in Loop: Header=BB10_4 Depth=1
	s_andn2_saveexec_b64 s[8:9], s[8:9]
; %bb.79:                               ;   in Loop: Header=BB10_4 Depth=1
	v_cmp_eq_f16_e64 s[2:3], 1.0, v56
	v_cmp_eq_f16_e64 s[6:7], 2.0, v56
	s_or_b64 s[2:3], s[2:3], s[6:7]
	v_cndmask_b32_e64 v58, v58, 0, s[2:3]
; %bb.80:                               ;   in Loop: Header=BB10_4 Depth=1
	s_or_b64 exec, exec, s[8:9]
	v_cvt_f32_f16_e32 v59, v7
                                        ; implicit-def: $vgpr60
	v_and_b32_e32 v61, 0x7fffffff, v59
	v_cmp_nlt_f32_e64 s[2:3], |v59|, s42
	s_and_saveexec_b64 s[6:7], s[2:3]
	s_xor_b64 s[8:9], exec, s[6:7]
	s_cbranch_execz .LBB10_110
; %bb.81:                               ;   in Loop: Header=BB10_4 Depth=1
	v_cmp_nlt_f32_e64 s[2:3], |v59|, 2.0
                                        ; implicit-def: $vgpr60
	s_and_saveexec_b64 s[6:7], s[2:3]
	s_xor_b64 s[10:11], exec, s[6:7]
	s_cbranch_execz .LBB10_91
; %bb.82:                               ;   in Loop: Header=BB10_4 Depth=1
	v_cmp_nlt_f32_e64 s[2:3], |v59|, s43
                                        ; implicit-def: $vgpr60
	s_and_saveexec_b64 s[6:7], s[2:3]
	s_xor_b64 s[30:31], exec, s[6:7]
	s_cbranch_execz .LBB10_88
; %bb.83:                               ;   in Loop: Header=BB10_4 Depth=1
	v_cmp_nlt_f32_e64 s[2:3], |v59|, s44
                                        ; implicit-def: $vgpr60
	s_and_saveexec_b64 s[6:7], s[2:3]
	s_xor_b64 s[34:35], exec, s[6:7]
	s_cbranch_execz .LBB10_85
; %bb.84:                               ;   in Loop: Header=BB10_4 Depth=1
	v_cmp_lt_f32_e64 s[2:3], |v59|, s45
	v_cndmask_b32_e64 v60, 1.0, v49, s[2:3]
	v_mul_f32_e64 v60, |v59|, v60
	v_log_f32_e32 v60, v60
	v_mul_f32_e32 v62, 0x3f317217, v60
	v_fma_f32 v63, v60, s46, -v62
	v_fmac_f32_e32 v63, 0x3377d1cf, v60
	v_add_f32_e32 v62, v62, v63
	v_cmp_lt_f32_e64 s[6:7], |v60|, s47
	v_cndmask_b32_e64 v60, v60, v62, s[6:7]
	v_cndmask_b32_e64 v62, 0, v50, s[2:3]
	v_sub_f32_e32 v60, v60, v62
	v_fma_f32 v60, |v59|, v60, -|v59|
.LBB10_85:                              ;   in Loop: Header=BB10_4 Depth=1
	s_andn2_saveexec_b64 s[34:35], s[34:35]
	s_cbranch_execz .LBB10_87
; %bb.86:                               ;   in Loop: Header=BB10_4 Depth=1
	v_rcp_f32_e64 v60, |v59|
	v_cmp_lt_f32_e64 s[2:3], |v59|, s45
	v_cndmask_b32_e64 v63, 1.0, v49, s[2:3]
	v_mov_b32_e32 v62, 0x3a5b3dd2
	v_mul_f32_e32 v64, v60, v60
	v_mul_f32_e64 v63, |v59|, v63
	v_fmac_f32_e32 v62, 0xbad5c4e8, v64
	v_log_f32_e32 v63, v63
	v_fma_f32 v62, v64, v62, v1
	v_fma_f32 v62, v64, v62, v5
	;; [unrolled: 1-line block ×4, first 2 shown]
	v_mul_f32_e32 v64, 0x3f317217, v63
	v_fma_f32 v65, v63, s46, -v64
	v_fmac_f32_e32 v65, 0x3377d1cf, v63
	v_add_f32_e32 v64, v64, v65
	v_cmp_lt_f32_e64 s[6:7], |v63|, s47
	v_cndmask_b32_e64 v63, v63, v64, s[6:7]
	v_cndmask_b32_e64 v64, 0, v50, s[2:3]
	v_sub_f32_e32 v63, v63, v64
	v_fma_f32 v60, v60, v62, v10
	v_add_f32_e64 v62, |v59|, -0.5
	v_add_f32_e32 v63, -1.0, v63
	v_fmac_f32_e32 v60, v62, v63
.LBB10_87:                              ;   in Loop: Header=BB10_4 Depth=1
	s_or_b64 exec, exec, s[34:35]
.LBB10_88:                              ;   in Loop: Header=BB10_4 Depth=1
	s_andn2_saveexec_b64 s[30:31], s[30:31]
	s_cbranch_execz .LBB10_90
; %bb.89:                               ;   in Loop: Header=BB10_4 Depth=1
	v_cvt_i32_f32_e32 v64, v61
	v_mov_b32_e32 v62, 0x3af135b4
	v_mov_b32_e32 v63, 0x3a4beed6
	v_cvt_f32_i32_e32 v60, v64
	v_cmp_lt_i32_e64 s[2:3], 3, v64
	v_sub_f32_e64 v60, |v59|, v60
	v_fmac_f32_e32 v62, 0x3805ff67, v60
	v_fmac_f32_e32 v63, 0x36f5d7bd, v60
	v_fma_f32 v62, v60, v62, v11
	v_fma_f32 v63, v60, v63, v16
	;; [unrolled: 1-line block ×9, first 2 shown]
	v_fma_f32 v62, v60, v62, 1.0
	v_rcp_f32_e32 v66, v62
	v_pk_add_f32 v[62:63], v[60:61], s[26:27] op_sel_hi:[0,1]
	v_cndmask_b32_e64 v63, 1.0, v63, s[2:3]
	v_cmp_lt_i32_e64 s[2:3], 2, v64
	v_add_f32_e32 v67, 4.0, v60
	v_cndmask_b32_e64 v62, 1.0, v62, s[2:3]
	v_cmp_lt_i32_e64 s[2:3], 4, v64
	v_add_f32_e32 v68, 0x40a00000, v60
	v_mul_f32_e32 v62, v62, v63
	v_cndmask_b32_e64 v63, 1.0, v67, s[2:3]
	v_cmp_lt_i32_e64 s[2:3], 5, v64
	v_add_f32_e32 v69, 0x40c00000, v60
	v_mul_f32_e32 v62, v63, v62
	v_cndmask_b32_e64 v63, 1.0, v68, s[2:3]
	v_cmp_lt_i32_e64 s[2:3], 6, v64
	v_mul_f32_e32 v62, v63, v62
	v_cndmask_b32_e64 v63, 1.0, v69, s[2:3]
	v_mul_f32_e32 v62, v63, v62
	v_cmp_gt_f32_e64 s[2:3], s45, v62
	v_cndmask_b32_e64 v63, 1.0, v49, s[2:3]
	v_mul_f32_e32 v62, v62, v63
	v_log_f32_e32 v62, v62
	v_mul_f32_e32 v63, v60, v65
	v_mul_f32_e32 v63, v63, v66
	v_fmac_f32_e32 v63, 0.5, v60
	v_mul_f32_e32 v60, 0x3f317217, v62
	v_fma_f32 v64, v62, s46, -v60
	v_fmac_f32_e32 v64, 0x3377d1cf, v62
	v_add_f32_e32 v60, v60, v64
	v_cmp_lt_f32_e64 s[6:7], |v62|, s47
	v_cndmask_b32_e64 v60, v62, v60, s[6:7]
	v_cndmask_b32_e64 v62, 0, v50, s[2:3]
	v_sub_f32_e32 v60, v60, v62
	v_add_f32_e32 v60, v60, v63
.LBB10_90:                              ;   in Loop: Header=BB10_4 Depth=1
	s_or_b64 exec, exec, s[30:31]
.LBB10_91:                              ;   in Loop: Header=BB10_4 Depth=1
	s_andn2_saveexec_b64 s[6:7], s[10:11]
	s_cbranch_execz .LBB10_109
; %bb.92:                               ;   in Loop: Header=BB10_4 Depth=1
	v_cmp_le_f32_e64 s[2:3], |v59|, s48
                                        ; implicit-def: $vgpr60
                                        ; implicit-def: $vgpr63
                                        ; implicit-def: $vgpr62
	s_and_saveexec_b64 s[10:11], s[2:3]
	s_xor_b64 s[10:11], exec, s[10:11]
	s_cbranch_execz .LBB10_94
; %bb.93:                               ;   in Loop: Header=BB10_4 Depth=1
	v_cmp_lt_f32_e64 s[2:3], |v59|, s45
	v_cndmask_b32_e64 v60, 1.0, v49, s[2:3]
	v_mul_f32_e64 v60, |v59|, v60
	v_log_f32_e32 v60, v60
	v_cndmask_b32_e64 v62, 0, v50, s[2:3]
	v_mul_f32_e32 v63, 0x3f317217, v60
	v_fma_f32 v64, v60, s46, -v63
	v_fmac_f32_e32 v64, 0x3377d1cf, v60
	v_add_f32_e32 v63, v63, v64
	v_cmp_lt_f32_e64 s[2:3], |v60|, s47
	v_cndmask_b32_e64 v60, v60, v63, s[2:3]
	v_sub_f32_e32 v60, v60, v62
	v_sub_f32_e64 v62, 1.0, |v59|
	v_add_f32_e64 v63, |v59|, s50
	v_cmp_lt_f32_e64 s[2:3], |v59|, s49
	v_cndmask_b32_e64 v62, v62, v63, s[2:3]
	v_cndmask_b32_e64 v63, 0, 1, s[2:3]
	v_cmp_lt_f32_e64 s[2:3], |v59|, s51
	v_xor_b32_e32 v60, 0x80000000, v60
	v_cndmask_b32_e64 v62, v62, |v59|, s[2:3]
	v_cndmask_b32_e64 v63, v63, 2, s[2:3]
.LBB10_94:                              ;   in Loop: Header=BB10_4 Depth=1
	s_andn2_saveexec_b64 s[10:11], s[10:11]
; %bb.95:                               ;   in Loop: Header=BB10_4 Depth=1
	v_sub_f32_e64 v60, 2.0, |v59|
	v_add_f32_e64 v62, |v59|, s53
	v_cmp_lt_f32_e64 s[2:3], |v59|, s52
	v_cndmask_b32_e64 v62, v60, v62, s[2:3]
	v_cndmask_b32_e64 v60, v60, 1.0, s[2:3]
	v_cvt_i32_f32_e32 v60, v60
	v_add_f32_e64 v63, |v59|, -1.0
	v_cmp_lt_f32_e64 s[2:3], |v59|, s54
	v_cndmask_b32_e64 v62, v62, v63, s[2:3]
	v_cndmask_b32_e64 v63, v60, 2, s[2:3]
	v_mov_b32_e32 v60, 0
; %bb.96:                               ;   in Loop: Header=BB10_4 Depth=1
	s_or_b64 exec, exec, s[10:11]
	v_cmp_lt_i32_e64 s[2:3], 0, v63
	s_and_saveexec_b64 s[10:11], s[2:3]
	s_xor_b64 s[10:11], exec, s[10:11]
	s_cbranch_execz .LBB10_104
; %bb.97:                               ;   in Loop: Header=BB10_4 Depth=1
	v_cmp_lt_i32_e64 s[2:3], 1, v63
	s_and_saveexec_b64 s[30:31], s[2:3]
	s_xor_b64 s[30:31], exec, s[30:31]
	s_cbranch_execz .LBB10_101
; %bb.98:                               ;   in Loop: Header=BB10_4 Depth=1
	v_cmp_eq_u32_e64 s[2:3], 2, v63
	s_and_saveexec_b64 s[34:35], s[2:3]
	s_cbranch_execz .LBB10_100
; %bb.99:                               ;   in Loop: Header=BB10_4 Depth=1
	v_mov_b32_e32 v64, 0x3dd572af
	v_fmac_f32_e32 v64, 0x3b52d5db, v62
	v_fma_f32 v64, v62, v64, v23
	v_mov_b32_e32 v63, 0x3e6a7578
	v_fma_f32 v64, v62, v64, v24
	v_fmac_f32_e32 v63, 0x3c5b3c5e, v62
	v_fma_f32 v64, v62, v64, v25
	v_fma_f32 v63, v62, v63, v20
	v_fma_f32 v64, v62, v64, 1.0
	v_fma_f32 v63, v62, v63, v21
	v_rcp_f32_e32 v64, v64
	v_fma_f32 v63, v62, v63, v22
	v_fma_f32 v63, v62, v63, v15
	v_mul_f32_e32 v63, v62, v63
	v_mul_f32_e32 v63, v63, v64
	v_fmac_f32_e32 v63, -0.5, v62
	v_add_f32_e32 v60, v60, v63
.LBB10_100:                             ;   in Loop: Header=BB10_4 Depth=1
	s_or_b64 exec, exec, s[34:35]
                                        ; implicit-def: $vgpr62
.LBB10_101:                             ;   in Loop: Header=BB10_4 Depth=1
	s_andn2_saveexec_b64 s[2:3], s[30:31]
	s_cbranch_execz .LBB10_103
; %bb.102:                              ;   in Loop: Header=BB10_4 Depth=1
	v_mul_f32_e32 v63, v62, v62
	v_mul_f32_e32 v64, v62, v63
	v_mov_b32_e32 v66, 0x3a66f867
	v_mov_b32_e32 v67, 0xba0d3085
	v_fmac_f32_e32 v66, 0xb9a3f927, v64
	v_fmac_f32_e32 v67, 0x39afe9f7, v64
	v_mov_b32_e32 v65, 0xbab7f476
	v_fma_f32 v66, v64, v66, v29
	v_fma_f32 v67, v64, v67, v32
	v_fmac_f32_e32 v65, 0x39a57b6b, v64
	v_fma_f32 v66, v64, v66, v30
	v_fma_f32 v67, v64, v67, v33
	v_fma_f32 v65, v64, v65, v26
	v_fma_f32 v66, v64, v66, v31
	v_fma_f32 v67, v64, v67, v34
	v_fma_f32 v65, v64, v65, v27
	v_fmac_f32_e32 v66, v62, v67
	v_fma_f32 v65, v64, v65, v28
	v_fma_f32 v62, v64, -v66, s55
	v_fma_f32 v62, v63, v65, -v62
	v_add_f32_e32 v62, 0xbdf8cdce, v62
	v_add_f32_e32 v60, v60, v62
.LBB10_103:                             ;   in Loop: Header=BB10_4 Depth=1
	s_or_b64 exec, exec, s[2:3]
                                        ; implicit-def: $vgpr63
                                        ; implicit-def: $vgpr62
.LBB10_104:                             ;   in Loop: Header=BB10_4 Depth=1
	s_andn2_saveexec_b64 s[10:11], s[10:11]
	s_cbranch_execz .LBB10_108
; %bb.105:                              ;   in Loop: Header=BB10_4 Depth=1
	v_cmp_eq_u32_e64 s[2:3], 0, v63
	s_and_saveexec_b64 s[30:31], s[2:3]
	s_cbranch_execz .LBB10_107
; %bb.106:                              ;   in Loop: Header=BB10_4 Depth=1
	v_mul_f32_e32 v63, v62, v62
	v_mov_b32_e32 v65, 0x38e28445
	v_mov_b32_e32 v64, 0x39679767
	v_fmac_f32_e32 v65, 0x383c2c75, v63
	v_fmac_f32_e32 v64, 0x37d383a2, v63
	v_fma_f32 v65, v63, v65, v39
	v_fma_f32 v64, v63, v64, v35
	;; [unrolled: 1-line block ×8, first 2 shown]
	v_mul_f32_e32 v63, v63, v65
	v_fmac_f32_e32 v63, v62, v64
	v_fmac_f32_e32 v63, -0.5, v62
	v_add_f32_e32 v60, v60, v63
.LBB10_107:                             ;   in Loop: Header=BB10_4 Depth=1
	s_or_b64 exec, exec, s[30:31]
.LBB10_108:                             ;   in Loop: Header=BB10_4 Depth=1
	s_or_b64 exec, exec, s[10:11]
.LBB10_109:                             ;   in Loop: Header=BB10_4 Depth=1
	s_or_b64 exec, exec, s[6:7]
.LBB10_110:                             ;   in Loop: Header=BB10_4 Depth=1
	s_andn2_saveexec_b64 s[8:9], s[8:9]
	s_cbranch_execz .LBB10_112
; %bb.111:                              ;   in Loop: Header=BB10_4 Depth=1
	v_cmp_lt_f32_e64 s[2:3], |v59|, s45
	v_cndmask_b32_e64 v60, 1.0, v49, s[2:3]
	v_mul_f32_e64 v60, |v59|, v60
	v_log_f32_e32 v60, v60
	v_fma_f32 v62, |v59|, s56, v51
	v_fma_f32 v62, |v59|, v62, s57
	;; [unrolled: 1-line block ×3, first 2 shown]
	v_mul_f32_e32 v63, 0x3f317217, v60
	v_fma_f32 v64, v60, s46, -v63
	v_fmac_f32_e32 v64, 0x3377d1cf, v60
	v_add_f32_e32 v63, v63, v64
	v_cmp_lt_f32_e64 s[6:7], |v60|, s47
	v_cndmask_b32_e64 v60, v60, v63, s[6:7]
	v_cndmask_b32_e64 v63, 0, v50, s[2:3]
	v_sub_f32_e32 v60, v60, v63
	v_fma_f32 v60, |v59|, v62, -v60
.LBB10_112:                             ;   in Loop: Header=BB10_4 Depth=1
	s_or_b64 exec, exec, s[8:9]
	v_cmp_le_f16_e64 s[2:3], 0, v7
	v_cmp_nle_f16_e64 s[6:7], 0, v7
	s_and_saveexec_b64 s[8:9], s[6:7]
	s_xor_b64 s[10:11], exec, s[8:9]
	s_cbranch_execz .LBB10_116
; %bb.113:                              ;   in Loop: Header=BB10_4 Depth=1
	v_cmp_lt_f32_e64 s[6:7], |v59|, s59
	v_cmp_gt_f32_e64 s[8:9], |v59|, s60
	s_and_b64 s[6:7], s[6:7], s[8:9]
	s_and_saveexec_b64 s[30:31], s[6:7]
	s_cbranch_execz .LBB10_115
; %bb.114:                              ;   in Loop: Header=BB10_4 Depth=1
	v_mul_f32_e64 v62, |v59|, 0.5
	v_floor_f32_e32 v63, v62
	v_sub_f32_e32 v63, v62, v63
	v_min_f32_e32 v63, 0x3f7fffff, v63
	v_add_f32_e32 v63, v63, v63
	v_cmp_neq_f32_e64 s[6:7], s47, v62
	v_cndmask_b32_e64 v62, 0, v63, s[6:7]
	v_cmp_gt_f32_e64 s[6:7], |v59|, 1.0
	v_cndmask_b32_e64 v62, |v59|, v62, s[6:7]
	v_add_f32_e32 v63, v62, v62
	v_rndne_f32_e32 v63, v63
	v_fmac_f32_e32 v62, -0.5, v63
	v_mul_f32_e32 v64, v62, v62
	v_mov_b32_e32 v65, 0xbf1f24be
	v_fmac_f32_e32 v65, 0x3e75aa41, v64
	v_fma_f32 v65, v64, v65, v43
	v_fma_f32 v65, v64, v65, v44
	v_mul_f32_e32 v66, v62, v64
	v_mul_f32_e32 v65, v66, v65
	v_fmac_f32_e32 v65, 0x40490fdb, v62
	v_mov_b32_e32 v62, 0x3e642e9d
	v_cvt_i32_f32_e32 v63, v63
	v_fmac_f32_e32 v62, 0x3d4be544, v64
	v_fma_f32 v62, v64, v62, v45
	v_fma_f32 v62, v64, v62, v46
	;; [unrolled: 1-line block ×3, first 2 shown]
	v_fma_f32 v62, v64, v62, 1.0
	v_and_b32_e32 v64, 1, v63
	v_lshlrev_b32_e32 v63, 30, v63
	v_cmp_eq_u32_e64 s[6:7], 0, v64
	v_and_b32_e32 v63, 0x80000000, v63
	v_xor_b32_e32 v61, v61, v59
	v_cndmask_b32_e64 v62, v62, v65, s[6:7]
	v_xor_b32_e32 v61, v61, v63
	v_xor_b32_e32 v61, v61, v62
	v_mul_f32_e32 v61, v59, v61
	v_frexp_mant_f32_e64 v62, |v61|
	v_rcp_f32_e32 v62, v62
	v_frexp_exp_i32_f32_e32 v61, v61
	v_sub_u32_e32 v61, 2, v61
	v_mul_f32_e32 v62, 0x3f490fdb, v62
	v_ldexp_f32 v61, v62, v61
	v_cmp_gt_f32_e64 s[6:7], s45, v61
	v_cndmask_b32_e64 v62, 1.0, v49, s[6:7]
	v_mul_f32_e32 v61, v61, v62
	v_log_f32_e32 v61, v61
	v_mul_f32_e32 v62, 0x3f317217, v61
	v_fma_f32 v63, v61, s46, -v62
	v_fmac_f32_e32 v63, 0x3377d1cf, v61
	v_add_f32_e32 v62, v62, v63
	v_cmp_lt_f32_e64 s[8:9], |v61|, s47
	v_cndmask_b32_e64 v61, v61, v62, s[8:9]
	v_cndmask_b32_e64 v62, 0, v50, s[6:7]
	v_sub_f32_e32 v61, v61, v62
	v_sub_f32_e32 v60, v61, v60
	v_floor_f32_e32 v61, v59
	v_sub_f32_e32 v61, v59, v61
	v_min_f32_e32 v61, 0x3f7fffff, v61
	v_cmp_neq_f32_e64 s[6:7], 0, v61
	v_cndmask_b32_e64 v60, v52, v60, s[6:7]
.LBB10_115:                             ;   in Loop: Header=BB10_4 Depth=1
	s_or_b64 exec, exec, s[30:31]
.LBB10_116:                             ;   in Loop: Header=BB10_4 Depth=1
	s_andn2_saveexec_b64 s[10:11], s[10:11]
; %bb.117:                              ;   in Loop: Header=BB10_4 Depth=1
	v_cmp_eq_f16_e64 s[6:7], 1.0, v7
	v_cmp_eq_f16_e64 s[8:9], 2.0, v7
	s_or_b64 s[6:7], s[6:7], s[8:9]
	v_cndmask_b32_e64 v60, v60, 0, s[6:7]
; %bb.118:                              ;   in Loop: Header=BB10_4 Depth=1
	s_or_b64 exec, exec, s[10:11]
	v_lshrrev_b32_e32 v61, 16, v7
	v_cvt_f32_f16_e32 v62, v61
                                        ; implicit-def: $vgpr64
	v_and_b32_e32 v63, 0x7fffffff, v62
	v_cmp_nlt_f32_e64 s[6:7], |v62|, s42
	s_and_saveexec_b64 s[8:9], s[6:7]
	s_xor_b64 s[10:11], exec, s[8:9]
	s_cbranch_execz .LBB10_148
; %bb.119:                              ;   in Loop: Header=BB10_4 Depth=1
	v_cmp_nlt_f32_e64 s[6:7], |v62|, 2.0
                                        ; implicit-def: $vgpr64
	s_and_saveexec_b64 s[8:9], s[6:7]
	s_xor_b64 s[30:31], exec, s[8:9]
	s_cbranch_execz .LBB10_129
; %bb.120:                              ;   in Loop: Header=BB10_4 Depth=1
	v_cmp_nlt_f32_e64 s[6:7], |v62|, s43
                                        ; implicit-def: $vgpr64
	s_and_saveexec_b64 s[8:9], s[6:7]
	s_xor_b64 s[34:35], exec, s[8:9]
	s_cbranch_execz .LBB10_126
; %bb.121:                              ;   in Loop: Header=BB10_4 Depth=1
	v_cmp_nlt_f32_e64 s[6:7], |v62|, s44
                                        ; implicit-def: $vgpr64
	s_and_saveexec_b64 s[8:9], s[6:7]
	s_xor_b64 s[36:37], exec, s[8:9]
	s_cbranch_execz .LBB10_123
; %bb.122:                              ;   in Loop: Header=BB10_4 Depth=1
	v_cmp_lt_f32_e64 s[6:7], |v62|, s45
	v_cndmask_b32_e64 v64, 1.0, v49, s[6:7]
	v_mul_f32_e64 v64, |v62|, v64
	v_log_f32_e32 v64, v64
	v_mul_f32_e32 v65, 0x3f317217, v64
	v_fma_f32 v66, v64, s46, -v65
	v_fmac_f32_e32 v66, 0x3377d1cf, v64
	v_add_f32_e32 v65, v65, v66
	v_cmp_lt_f32_e64 s[8:9], |v64|, s47
	v_cndmask_b32_e64 v64, v64, v65, s[8:9]
	v_cndmask_b32_e64 v65, 0, v50, s[6:7]
	v_sub_f32_e32 v64, v64, v65
	v_fma_f32 v64, |v62|, v64, -|v62|
.LBB10_123:                             ;   in Loop: Header=BB10_4 Depth=1
	s_andn2_saveexec_b64 s[36:37], s[36:37]
	s_cbranch_execz .LBB10_125
; %bb.124:                              ;   in Loop: Header=BB10_4 Depth=1
	v_rcp_f32_e64 v64, |v62|
	v_cmp_lt_f32_e64 s[6:7], |v62|, s45
	v_cndmask_b32_e64 v66, 1.0, v49, s[6:7]
	v_mov_b32_e32 v65, 0x3a5b3dd2
	v_mul_f32_e32 v67, v64, v64
	v_mul_f32_e64 v66, |v62|, v66
	v_fmac_f32_e32 v65, 0xbad5c4e8, v67
	v_log_f32_e32 v66, v66
	v_fma_f32 v65, v67, v65, v1
	v_fma_f32 v65, v67, v65, v5
	;; [unrolled: 1-line block ×4, first 2 shown]
	v_mul_f32_e32 v67, 0x3f317217, v66
	v_fma_f32 v68, v66, s46, -v67
	v_fmac_f32_e32 v68, 0x3377d1cf, v66
	v_add_f32_e32 v67, v67, v68
	v_cmp_lt_f32_e64 s[8:9], |v66|, s47
	v_cndmask_b32_e64 v66, v66, v67, s[8:9]
	v_cndmask_b32_e64 v67, 0, v50, s[6:7]
	v_sub_f32_e32 v66, v66, v67
	v_fma_f32 v64, v64, v65, v10
	v_add_f32_e64 v65, |v62|, -0.5
	v_add_f32_e32 v66, -1.0, v66
	v_fmac_f32_e32 v64, v65, v66
.LBB10_125:                             ;   in Loop: Header=BB10_4 Depth=1
	s_or_b64 exec, exec, s[36:37]
.LBB10_126:                             ;   in Loop: Header=BB10_4 Depth=1
	s_andn2_saveexec_b64 s[34:35], s[34:35]
	s_cbranch_execz .LBB10_128
; %bb.127:                              ;   in Loop: Header=BB10_4 Depth=1
	v_cvt_i32_f32_e32 v66, v63
	v_mov_b32_e32 v67, 0x3a4beed6
	v_mov_b32_e32 v65, 0x3af135b4
	v_cvt_f32_i32_e32 v64, v66
	v_cmp_lt_i32_e64 s[6:7], 2, v66
	v_cmp_lt_i32_e64 s[8:9], 3, v66
	v_sub_f32_e64 v64, |v62|, v64
	v_fmac_f32_e32 v67, 0x36f5d7bd, v64
	v_fma_f32 v67, v64, v67, v16
	v_fma_f32 v67, v64, v67, v17
	v_fmac_f32_e32 v65, 0x3805ff67, v64
	v_fma_f32 v67, v64, v67, v18
	v_fma_f32 v65, v64, v65, v11
	;; [unrolled: 1-line block ×4, first 2 shown]
	v_fma_f32 v67, v64, v67, 1.0
	v_fma_f32 v65, v64, v65, v13
	v_rcp_f32_e32 v67, v67
	v_fma_f32 v65, v64, v65, v14
	v_fma_f32 v65, v64, v65, v15
	v_mul_f32_e32 v65, v64, v65
	v_mul_f32_e32 v67, v65, v67
	v_fmac_f32_e32 v67, 0.5, v64
	v_add_f32_e32 v68, 4.0, v64
	v_add_f32_e32 v69, 0x40a00000, v64
	v_add_f32_e32 v70, 0x40c00000, v64
	v_pk_add_f32 v[64:65], v[64:65], s[26:27] op_sel_hi:[0,1]
	v_cndmask_b32_e64 v65, 1.0, v65, s[8:9]
	v_cndmask_b32_e64 v64, 1.0, v64, s[6:7]
	v_cmp_lt_i32_e64 s[6:7], 4, v66
	v_mul_f32_e32 v64, v64, v65
	v_cndmask_b32_e64 v65, 1.0, v68, s[6:7]
	v_cmp_lt_i32_e64 s[6:7], 5, v66
	v_mul_f32_e32 v64, v65, v64
	;; [unrolled: 3-line block ×3, first 2 shown]
	v_cndmask_b32_e64 v65, 1.0, v70, s[6:7]
	v_mul_f32_e32 v64, v65, v64
	v_cmp_gt_f32_e64 s[6:7], s45, v64
	v_cndmask_b32_e64 v65, 1.0, v49, s[6:7]
	v_mul_f32_e32 v64, v64, v65
	v_log_f32_e32 v64, v64
	v_mul_f32_e32 v65, 0x3f317217, v64
	v_fma_f32 v66, v64, s46, -v65
	v_fmac_f32_e32 v66, 0x3377d1cf, v64
	v_add_f32_e32 v65, v65, v66
	v_cmp_lt_f32_e64 s[8:9], |v64|, s47
	v_cndmask_b32_e64 v64, v64, v65, s[8:9]
	v_cndmask_b32_e64 v65, 0, v50, s[6:7]
	v_sub_f32_e32 v64, v64, v65
	v_add_f32_e32 v64, v64, v67
.LBB10_128:                             ;   in Loop: Header=BB10_4 Depth=1
	s_or_b64 exec, exec, s[34:35]
.LBB10_129:                             ;   in Loop: Header=BB10_4 Depth=1
	s_andn2_saveexec_b64 s[8:9], s[30:31]
	s_cbranch_execz .LBB10_147
; %bb.130:                              ;   in Loop: Header=BB10_4 Depth=1
	v_cmp_le_f32_e64 s[6:7], |v62|, s48
                                        ; implicit-def: $vgpr64
                                        ; implicit-def: $vgpr66
                                        ; implicit-def: $vgpr65
	s_and_saveexec_b64 s[30:31], s[6:7]
	s_xor_b64 s[30:31], exec, s[30:31]
	s_cbranch_execz .LBB10_132
; %bb.131:                              ;   in Loop: Header=BB10_4 Depth=1
	v_cmp_lt_f32_e64 s[6:7], |v62|, s45
	v_cndmask_b32_e64 v64, 1.0, v49, s[6:7]
	v_mul_f32_e64 v64, |v62|, v64
	v_log_f32_e32 v64, v64
	v_cndmask_b32_e64 v65, 0, v50, s[6:7]
	v_mul_f32_e32 v66, 0x3f317217, v64
	v_fma_f32 v67, v64, s46, -v66
	v_fmac_f32_e32 v67, 0x3377d1cf, v64
	v_add_f32_e32 v66, v66, v67
	v_cmp_lt_f32_e64 s[6:7], |v64|, s47
	v_cndmask_b32_e64 v64, v64, v66, s[6:7]
	v_sub_f32_e32 v64, v64, v65
	v_sub_f32_e64 v65, 1.0, |v62|
	v_add_f32_e64 v66, |v62|, s50
	v_cmp_lt_f32_e64 s[6:7], |v62|, s49
	v_cndmask_b32_e64 v65, v65, v66, s[6:7]
	v_cndmask_b32_e64 v66, 0, 1, s[6:7]
	v_cmp_lt_f32_e64 s[6:7], |v62|, s51
	v_xor_b32_e32 v64, 0x80000000, v64
	v_cndmask_b32_e64 v65, v65, |v62|, s[6:7]
	v_cndmask_b32_e64 v66, v66, 2, s[6:7]
.LBB10_132:                             ;   in Loop: Header=BB10_4 Depth=1
	s_andn2_saveexec_b64 s[30:31], s[30:31]
; %bb.133:                              ;   in Loop: Header=BB10_4 Depth=1
	v_sub_f32_e64 v64, 2.0, |v62|
	v_add_f32_e64 v65, |v62|, s53
	v_cmp_lt_f32_e64 s[6:7], |v62|, s52
	v_cndmask_b32_e64 v65, v64, v65, s[6:7]
	v_cndmask_b32_e64 v64, v64, 1.0, s[6:7]
	v_cvt_i32_f32_e32 v64, v64
	v_add_f32_e64 v66, |v62|, -1.0
	v_cmp_lt_f32_e64 s[6:7], |v62|, s54
	v_cndmask_b32_e64 v65, v65, v66, s[6:7]
	v_cndmask_b32_e64 v66, v64, 2, s[6:7]
	v_mov_b32_e32 v64, 0
; %bb.134:                              ;   in Loop: Header=BB10_4 Depth=1
	s_or_b64 exec, exec, s[30:31]
	v_cmp_lt_i32_e64 s[6:7], 0, v66
	s_and_saveexec_b64 s[30:31], s[6:7]
	s_xor_b64 s[30:31], exec, s[30:31]
	s_cbranch_execz .LBB10_142
; %bb.135:                              ;   in Loop: Header=BB10_4 Depth=1
	v_cmp_lt_i32_e64 s[6:7], 1, v66
	s_and_saveexec_b64 s[34:35], s[6:7]
	s_xor_b64 s[34:35], exec, s[34:35]
	s_cbranch_execz .LBB10_139
; %bb.136:                              ;   in Loop: Header=BB10_4 Depth=1
	v_cmp_eq_u32_e64 s[6:7], 2, v66
	s_and_saveexec_b64 s[36:37], s[6:7]
	s_cbranch_execz .LBB10_138
; %bb.137:                              ;   in Loop: Header=BB10_4 Depth=1
	v_mov_b32_e32 v67, 0x3dd572af
	v_fmac_f32_e32 v67, 0x3b52d5db, v65
	v_fma_f32 v67, v65, v67, v23
	v_mov_b32_e32 v66, 0x3e6a7578
	v_fma_f32 v67, v65, v67, v24
	v_fmac_f32_e32 v66, 0x3c5b3c5e, v65
	v_fma_f32 v67, v65, v67, v25
	v_fma_f32 v66, v65, v66, v20
	v_fma_f32 v67, v65, v67, 1.0
	v_fma_f32 v66, v65, v66, v21
	v_rcp_f32_e32 v67, v67
	v_fma_f32 v66, v65, v66, v22
	v_fma_f32 v66, v65, v66, v15
	v_mul_f32_e32 v66, v65, v66
	v_mul_f32_e32 v66, v66, v67
	v_fmac_f32_e32 v66, -0.5, v65
	v_add_f32_e32 v64, v64, v66
.LBB10_138:                             ;   in Loop: Header=BB10_4 Depth=1
	s_or_b64 exec, exec, s[36:37]
                                        ; implicit-def: $vgpr65
.LBB10_139:                             ;   in Loop: Header=BB10_4 Depth=1
	s_andn2_saveexec_b64 s[6:7], s[34:35]
	s_cbranch_execz .LBB10_141
; %bb.140:                              ;   in Loop: Header=BB10_4 Depth=1
	v_mul_f32_e32 v66, v65, v65
	v_mul_f32_e32 v67, v65, v66
	v_mov_b32_e32 v69, 0x3a66f867
	v_mov_b32_e32 v70, 0xba0d3085
	v_fmac_f32_e32 v69, 0xb9a3f927, v67
	v_fmac_f32_e32 v70, 0x39afe9f7, v67
	v_mov_b32_e32 v68, 0xbab7f476
	v_fma_f32 v69, v67, v69, v29
	v_fma_f32 v70, v67, v70, v32
	v_fmac_f32_e32 v68, 0x39a57b6b, v67
	v_fma_f32 v69, v67, v69, v30
	v_fma_f32 v70, v67, v70, v33
	;; [unrolled: 1-line block ×6, first 2 shown]
	v_fmac_f32_e32 v69, v65, v70
	v_fma_f32 v68, v67, v68, v28
	v_fma_f32 v65, v67, -v69, s55
	v_fma_f32 v65, v66, v68, -v65
	v_add_f32_e32 v65, 0xbdf8cdce, v65
	v_add_f32_e32 v64, v64, v65
.LBB10_141:                             ;   in Loop: Header=BB10_4 Depth=1
	s_or_b64 exec, exec, s[6:7]
                                        ; implicit-def: $vgpr66
                                        ; implicit-def: $vgpr65
.LBB10_142:                             ;   in Loop: Header=BB10_4 Depth=1
	s_andn2_saveexec_b64 s[30:31], s[30:31]
	s_cbranch_execz .LBB10_146
; %bb.143:                              ;   in Loop: Header=BB10_4 Depth=1
	v_cmp_eq_u32_e64 s[6:7], 0, v66
	s_and_saveexec_b64 s[34:35], s[6:7]
	s_cbranch_execz .LBB10_145
; %bb.144:                              ;   in Loop: Header=BB10_4 Depth=1
	v_mul_f32_e32 v66, v65, v65
	v_mov_b32_e32 v68, 0x38e28445
	v_mov_b32_e32 v67, 0x39679767
	v_fmac_f32_e32 v68, 0x383c2c75, v66
	v_fmac_f32_e32 v67, 0x37d383a2, v66
	v_fma_f32 v68, v66, v68, v39
	v_fma_f32 v67, v66, v67, v35
	;; [unrolled: 1-line block ×8, first 2 shown]
	v_mul_f32_e32 v66, v66, v68
	v_fmac_f32_e32 v66, v65, v67
	v_fmac_f32_e32 v66, -0.5, v65
	v_add_f32_e32 v64, v64, v66
.LBB10_145:                             ;   in Loop: Header=BB10_4 Depth=1
	s_or_b64 exec, exec, s[34:35]
.LBB10_146:                             ;   in Loop: Header=BB10_4 Depth=1
	s_or_b64 exec, exec, s[30:31]
.LBB10_147:                             ;   in Loop: Header=BB10_4 Depth=1
	s_or_b64 exec, exec, s[8:9]
.LBB10_148:                             ;   in Loop: Header=BB10_4 Depth=1
	s_andn2_saveexec_b64 s[10:11], s[10:11]
	s_cbranch_execz .LBB10_150
; %bb.149:                              ;   in Loop: Header=BB10_4 Depth=1
	v_cmp_lt_f32_e64 s[6:7], |v62|, s45
	v_cndmask_b32_e64 v64, 1.0, v49, s[6:7]
	v_mul_f32_e64 v64, |v62|, v64
	v_log_f32_e32 v64, v64
	v_fma_f32 v65, |v62|, s56, v51
	v_fma_f32 v65, |v62|, v65, s57
	;; [unrolled: 1-line block ×3, first 2 shown]
	v_mul_f32_e32 v66, 0x3f317217, v64
	v_fma_f32 v67, v64, s46, -v66
	v_fmac_f32_e32 v67, 0x3377d1cf, v64
	v_add_f32_e32 v66, v66, v67
	v_cmp_lt_f32_e64 s[8:9], |v64|, s47
	v_cndmask_b32_e64 v64, v64, v66, s[8:9]
	v_cndmask_b32_e64 v66, 0, v50, s[6:7]
	v_sub_f32_e32 v64, v64, v66
	v_fma_f32 v64, |v62|, v65, -v64
.LBB10_150:                             ;   in Loop: Header=BB10_4 Depth=1
	s_or_b64 exec, exec, s[10:11]
	v_cmp_le_f16_e64 s[6:7], 0, v61
	v_cmp_nle_f16_e64 s[8:9], 0, v61
	s_and_saveexec_b64 s[10:11], s[8:9]
	s_xor_b64 s[30:31], exec, s[10:11]
	s_cbranch_execz .LBB10_154
; %bb.151:                              ;   in Loop: Header=BB10_4 Depth=1
	v_cmp_lt_f32_e64 s[8:9], |v62|, s59
	v_cmp_gt_f32_e64 s[10:11], |v62|, s60
	s_and_b64 s[8:9], s[8:9], s[10:11]
	s_and_saveexec_b64 s[34:35], s[8:9]
	s_cbranch_execz .LBB10_153
; %bb.152:                              ;   in Loop: Header=BB10_4 Depth=1
	v_mul_f32_e64 v65, |v62|, 0.5
	v_floor_f32_e32 v66, v65
	v_sub_f32_e32 v66, v65, v66
	v_min_f32_e32 v66, 0x3f7fffff, v66
	v_add_f32_e32 v66, v66, v66
	v_cmp_neq_f32_e64 s[8:9], s47, v65
	v_cndmask_b32_e64 v65, 0, v66, s[8:9]
	v_cmp_gt_f32_e64 s[8:9], |v62|, 1.0
	v_cndmask_b32_e64 v65, |v62|, v65, s[8:9]
	v_add_f32_e32 v66, v65, v65
	v_rndne_f32_e32 v66, v66
	v_fmac_f32_e32 v65, -0.5, v66
	v_mul_f32_e32 v67, v65, v65
	v_mov_b32_e32 v68, 0xbf1f24be
	v_fmac_f32_e32 v68, 0x3e75aa41, v67
	v_fma_f32 v68, v67, v68, v43
	v_fma_f32 v68, v67, v68, v44
	v_mul_f32_e32 v69, v65, v67
	v_mul_f32_e32 v68, v69, v68
	v_fmac_f32_e32 v68, 0x40490fdb, v65
	v_mov_b32_e32 v65, 0x3e642e9d
	v_cvt_i32_f32_e32 v66, v66
	v_fmac_f32_e32 v65, 0x3d4be544, v67
	v_fma_f32 v65, v67, v65, v45
	v_fma_f32 v65, v67, v65, v46
	;; [unrolled: 1-line block ×3, first 2 shown]
	v_fma_f32 v65, v67, v65, 1.0
	v_and_b32_e32 v67, 1, v66
	v_lshlrev_b32_e32 v66, 30, v66
	v_cmp_eq_u32_e64 s[8:9], 0, v67
	v_and_b32_e32 v66, 0x80000000, v66
	v_xor_b32_e32 v63, v63, v62
	v_cndmask_b32_e64 v65, v65, v68, s[8:9]
	v_xor_b32_e32 v63, v63, v66
	v_xor_b32_e32 v63, v63, v65
	v_mul_f32_e32 v63, v62, v63
	v_frexp_mant_f32_e64 v65, |v63|
	v_rcp_f32_e32 v65, v65
	v_frexp_exp_i32_f32_e32 v63, v63
	v_sub_u32_e32 v63, 2, v63
	v_mul_f32_e32 v65, 0x3f490fdb, v65
	v_ldexp_f32 v63, v65, v63
	v_cmp_gt_f32_e64 s[8:9], s45, v63
	v_cndmask_b32_e64 v65, 1.0, v49, s[8:9]
	v_mul_f32_e32 v63, v63, v65
	v_log_f32_e32 v63, v63
	v_mul_f32_e32 v65, 0x3f317217, v63
	v_fma_f32 v66, v63, s46, -v65
	v_fmac_f32_e32 v66, 0x3377d1cf, v63
	v_add_f32_e32 v65, v65, v66
	v_cmp_lt_f32_e64 s[10:11], |v63|, s47
	v_cndmask_b32_e64 v63, v63, v65, s[10:11]
	v_cndmask_b32_e64 v65, 0, v50, s[8:9]
	v_sub_f32_e32 v63, v63, v65
	v_sub_f32_e32 v63, v63, v64
	v_floor_f32_e32 v64, v62
	v_sub_f32_e32 v64, v62, v64
	v_min_f32_e32 v64, 0x3f7fffff, v64
	v_cmp_neq_f32_e64 s[8:9], 0, v64
	v_cndmask_b32_e64 v64, v52, v63, s[8:9]
.LBB10_153:                             ;   in Loop: Header=BB10_4 Depth=1
	s_or_b64 exec, exec, s[34:35]
.LBB10_154:                             ;   in Loop: Header=BB10_4 Depth=1
	s_andn2_saveexec_b64 s[30:31], s[30:31]
	s_cbranch_execz .LBB10_3
; %bb.155:                              ;   in Loop: Header=BB10_4 Depth=1
	v_cmp_eq_f16_e64 s[8:9], 1.0, v61
	v_cmp_eq_f16_e64 s[10:11], 2.0, v61
	s_or_b64 s[8:9], s[8:9], s[10:11]
	v_cndmask_b32_e64 v64, v64, 0, s[8:9]
	s_branch .LBB10_3
.LBB10_156:
	s_or_b64 exec, exec, s[22:23]
	s_mov_b64 s[0:1], 0
.LBB10_157:
	s_andn2_b64 vcc, exec, s[0:1]
	s_cbranch_vccnz .LBB10_329
; %bb.158:
	v_cmp_lt_i64_e64 s[0:1], s[20:21], 1
	s_and_b64 vcc, exec, s[0:1]
	s_cbranch_vccnz .LBB10_329
; %bb.159:
	s_load_dword s0, s[4:5], 0xc5c
	v_mov_b32_e32 v2, 0x10000
	v_mov_b32_e32 v3, 0
	v_cmp_lt_u64_e32 vcc, s[20:21], v[2:3]
	v_lshlrev_b32_e32 v10, 1, v0
	s_waitcnt lgkmcnt(0)
	s_and_b32 s2, s0, 0xffff
	s_and_b64 s[0:1], vcc, exec
	v_mov_b32_e32 v13, s15
	v_add_co_u32_e32 v2, vcc, s14, v10
	v_addc_co_u32_e32 v1, vcc, 0, v13, vcc
	v_mov_b32_e32 v11, 0
	v_mov_b32_e32 v15, s13
	v_add_co_u32_e32 v4, vcc, s12, v10
	v_addc_co_u32_e32 v3, vcc, 0, v15, vcc
	v_mad_u64_u32 v[8:9], s[0:1], s2, 6, v[10:11]
	v_add_co_u32_e32 v6, vcc, s14, v8
	v_addc_co_u32_e32 v5, vcc, v13, v9, vcc
	v_add_co_u32_e32 v8, vcc, s12, v8
	s_mul_i32 s4, s2, 3
	v_addc_co_u32_e32 v7, vcc, v15, v9, vcc
	s_cselect_b32 s23, s21, 0
	s_cselect_b32 s22, s20, 0x10000
	s_lshl_b32 s36, s2, 2
	v_add_co_u32_e32 v17, vcc, s4, v0
	v_addc_co_u32_e64 v18, s[0:1], 0, 0, vcc
	v_add_co_u32_e32 v11, vcc, s36, v10
	v_addc_co_u32_e64 v14, s[0:1], 0, 0, vcc
	v_add_co_u32_e32 v10, vcc, s14, v11
	v_addc_co_u32_e32 v9, vcc, v13, v14, vcc
	v_add_co_u32_e32 v12, vcc, s12, v11
	s_lshl_b32 s3, s2, 1
	v_addc_co_u32_e32 v11, vcc, v15, v14, vcc
	v_add_co_u32_e32 v19, vcc, s3, v0
	v_addc_co_u32_e64 v20, s[0:1], 0, 0, vcc
	v_add_co_u32_e32 v21, vcc, s2, v0
	v_lshlrev_b32_e32 v16, 1, v21
	v_addc_co_u32_e64 v22, s[0:1], 0, 0, vcc
	v_add_co_u32_e32 v14, vcc, s14, v16
	v_addc_co_u32_e32 v13, vcc, 0, v13, vcc
	v_add_co_u32_e32 v16, vcc, s12, v16
	s_mov_b32 s26, 2.0
	s_mov_b32 s33, 0
	s_lshl_b32 s37, s2, 3
	v_addc_co_u32_e32 v15, vcc, 0, v15, vcc
	s_mov_b64 s[24:25], 0
	s_mov_b32 s38, 0x3c800000
	s_mov_b32 s27, 0x40400000
	;; [unrolled: 1-line block ×7, first 2 shown]
	v_mov_b32_e32 v23, 0xba1c065c
	v_mov_b32_e32 v24, 0x3a500cfd
	;; [unrolled: 1-line block ×14, first 2 shown]
	s_mov_b32 s44, 0x3f666666
	s_mov_b32 s45, 0x3f3b4a23
	;; [unrolled: 1-line block ×7, first 2 shown]
	v_mov_b32_e32 v37, 0x3f7a4bb2
	v_mov_b32_e32 v38, 0x3fba3ae7
	;; [unrolled: 1-line block ×6, first 2 shown]
	s_mov_b32 s51, 0xa2863e55
	s_mov_b32 s52, 0x3e8a8991
	;; [unrolled: 1-line block ×6, first 2 shown]
	v_mov_b32_e32 v43, 0x3bc7e707
	v_mov_b32_e32 v44, 0xbd064d47
	;; [unrolled: 1-line block ×28, first 2 shown]
	s_branch .LBB10_161
.LBB10_160:                             ;   in Loop: Header=BB10_161 Depth=1
	s_or_b64 exec, exec, s[0:1]
	s_add_u32 s24, s24, s36
	s_addc_u32 s25, s25, 0
	v_pk_mov_b32 v[72:73], s[20:21], s[20:21] op_sel:[0,1]
	v_cmp_ge_i64_e32 vcc, s[24:25], v[72:73]
	v_mov_b32_e32 v72, 0xffff
	v_mov_b32_e32 v73, 0
	v_cmp_gt_u64_e64 s[0:1], s[24:25], v[72:73]
	s_or_b64 s[0:1], vcc, s[0:1]
	v_mov_b32_e32 v71, s33
	v_add_co_u32_e32 v2, vcc, s37, v2
	v_addc_co_u32_e32 v1, vcc, v1, v71, vcc
	v_add_co_u32_e32 v4, vcc, s37, v4
	v_addc_co_u32_e32 v3, vcc, v3, v71, vcc
	;; [unrolled: 2-line block ×8, first 2 shown]
	s_and_b64 vcc, exec, s[0:1]
	s_cbranch_vccnz .LBB10_329
.LBB10_161:                             ; =>This Inner Loop Header: Depth=1
	v_mov_b32_e32 v71, s25
	v_add_co_u32_e32 v72, vcc, s24, v0
	v_addc_co_u32_e32 v73, vcc, 0, v71, vcc
	v_cmp_gt_u64_e64 s[4:5], s[22:23], v[72:73]
	v_mov_b32_e32 v74, 0
	s_and_saveexec_b64 s[0:1], s[4:5]
	s_cbranch_execz .LBB10_163
; %bb.162:                              ;   in Loop: Header=BB10_161 Depth=1
	v_mov_b32_e32 v71, s19
	v_add_co_u32_e32 v72, vcc, s18, v2
	v_addc_co_u32_e32 v73, vcc, v1, v71, vcc
	global_load_ushort v74, v[72:73], off
.LBB10_163:                             ;   in Loop: Header=BB10_161 Depth=1
	s_or_b64 exec, exec, s[0:1]
	v_mov_b32_e32 v71, s25
	v_add_co_u32_e32 v72, vcc, s24, v21
	v_addc_co_u32_e32 v73, vcc, v22, v71, vcc
	v_cmp_gt_u64_e64 s[2:3], s[22:23], v[72:73]
	v_mov_b32_e32 v73, 0
	s_and_saveexec_b64 s[0:1], s[2:3]
	s_cbranch_execz .LBB10_165
; %bb.164:                              ;   in Loop: Header=BB10_161 Depth=1
	v_mov_b32_e32 v71, s19
	v_add_co_u32_e32 v72, vcc, s18, v14
	v_addc_co_u32_e32 v73, vcc, v13, v71, vcc
	global_load_ushort v73, v[72:73], off
.LBB10_165:                             ;   in Loop: Header=BB10_161 Depth=1
	s_or_b64 exec, exec, s[0:1]
	v_mov_b32_e32 v71, s25
	v_add_co_u32_e32 v76, vcc, s24, v19
	v_addc_co_u32_e32 v77, vcc, v20, v71, vcc
	v_cmp_gt_u64_e64 s[0:1], s[22:23], v[76:77]
	v_mov_b32_e32 v71, 0
	v_mov_b32_e32 v72, 0
	s_and_saveexec_b64 s[6:7], s[0:1]
	s_cbranch_execz .LBB10_167
; %bb.166:                              ;   in Loop: Header=BB10_161 Depth=1
	v_mov_b32_e32 v72, s19
	v_add_co_u32_e32 v76, vcc, s18, v10
	v_addc_co_u32_e32 v77, vcc, v9, v72, vcc
	global_load_ushort v72, v[76:77], off
.LBB10_167:                             ;   in Loop: Header=BB10_161 Depth=1
	s_or_b64 exec, exec, s[6:7]
	v_mov_b32_e32 v75, s25
	v_add_co_u32_e32 v76, vcc, s24, v17
	v_addc_co_u32_e32 v77, vcc, v18, v75, vcc
	v_cmp_gt_u64_e32 vcc, s[22:23], v[76:77]
	s_and_saveexec_b64 s[8:9], vcc
	s_cbranch_execz .LBB10_169
; %bb.168:                              ;   in Loop: Header=BB10_161 Depth=1
	v_mov_b32_e32 v71, s19
	v_add_co_u32_e64 v76, s[6:7], s18, v6
	v_addc_co_u32_e64 v77, s[6:7], v5, v71, s[6:7]
	global_load_ushort v71, v[76:77], off
.LBB10_169:                             ;   in Loop: Header=BB10_161 Depth=1
	s_or_b64 exec, exec, s[8:9]
	s_waitcnt vmcnt(0)
	v_cvt_f32_f16_e32 v75, v74
                                        ; implicit-def: $vgpr76
	v_and_b32_e32 v77, 0x7fffffff, v75
	v_cmp_nlt_f32_e64 s[6:7], |v75|, s38
	s_and_saveexec_b64 s[8:9], s[6:7]
	s_xor_b64 s[10:11], exec, s[8:9]
	s_cbranch_execz .LBB10_199
; %bb.170:                              ;   in Loop: Header=BB10_161 Depth=1
	v_cmp_nlt_f32_e64 s[6:7], |v75|, 2.0
                                        ; implicit-def: $vgpr76
	s_and_saveexec_b64 s[8:9], s[6:7]
	s_xor_b64 s[12:13], exec, s[8:9]
	s_cbranch_execz .LBB10_180
; %bb.171:                              ;   in Loop: Header=BB10_161 Depth=1
	v_cmp_nlt_f32_e64 s[6:7], |v75|, s39
                                        ; implicit-def: $vgpr76
	s_and_saveexec_b64 s[8:9], s[6:7]
	s_xor_b64 s[14:15], exec, s[8:9]
	s_cbranch_execz .LBB10_177
; %bb.172:                              ;   in Loop: Header=BB10_161 Depth=1
	v_cmp_nlt_f32_e64 s[6:7], |v75|, s40
                                        ; implicit-def: $vgpr76
	s_and_saveexec_b64 s[8:9], s[6:7]
	s_xor_b64 s[16:17], exec, s[8:9]
	s_cbranch_execz .LBB10_174
; %bb.173:                              ;   in Loop: Header=BB10_161 Depth=1
	v_cmp_lt_f32_e64 s[6:7], |v75|, s41
	v_cndmask_b32_e64 v76, 1.0, v66, s[6:7]
	v_mul_f32_e64 v76, |v75|, v76
	v_log_f32_e32 v76, v76
	v_mul_f32_e32 v78, 0x3f317217, v76
	v_fma_f32 v79, v76, s42, -v78
	v_fmac_f32_e32 v79, 0x3377d1cf, v76
	v_add_f32_e32 v78, v78, v79
	v_cmp_lt_f32_e64 s[8:9], |v76|, s43
	v_cndmask_b32_e64 v76, v76, v78, s[8:9]
	v_cndmask_b32_e64 v78, 0, v67, s[6:7]
	v_sub_f32_e32 v76, v76, v78
	v_fma_f32 v76, |v75|, v76, -|v75|
.LBB10_174:                             ;   in Loop: Header=BB10_161 Depth=1
	s_andn2_saveexec_b64 s[16:17], s[16:17]
	s_cbranch_execz .LBB10_176
; %bb.175:                              ;   in Loop: Header=BB10_161 Depth=1
	v_rcp_f32_e64 v76, |v75|
	v_cmp_lt_f32_e64 s[6:7], |v75|, s41
	v_cndmask_b32_e64 v79, 1.0, v66, s[6:7]
	v_mov_b32_e32 v78, 0x3a5b3dd2
	v_mul_f32_e32 v80, v76, v76
	v_mul_f32_e64 v79, |v75|, v79
	v_fmac_f32_e32 v78, 0xbad5c4e8, v80
	v_log_f32_e32 v79, v79
	v_fma_f32 v78, v80, v78, v23
	v_fma_f32 v78, v80, v78, v24
	;; [unrolled: 1-line block ×4, first 2 shown]
	v_mul_f32_e32 v80, 0x3f317217, v79
	v_fma_f32 v81, v79, s42, -v80
	v_fmac_f32_e32 v81, 0x3377d1cf, v79
	v_add_f32_e32 v80, v80, v81
	v_cmp_lt_f32_e64 s[8:9], |v79|, s43
	v_cndmask_b32_e64 v79, v79, v80, s[8:9]
	v_cndmask_b32_e64 v80, 0, v67, s[6:7]
	v_sub_f32_e32 v79, v79, v80
	v_fma_f32 v76, v76, v78, v27
	v_add_f32_e64 v78, |v75|, -0.5
	v_add_f32_e32 v79, -1.0, v79
	v_fmac_f32_e32 v76, v78, v79
.LBB10_176:                             ;   in Loop: Header=BB10_161 Depth=1
	s_or_b64 exec, exec, s[16:17]
.LBB10_177:                             ;   in Loop: Header=BB10_161 Depth=1
	s_andn2_saveexec_b64 s[14:15], s[14:15]
	s_cbranch_execz .LBB10_179
; %bb.178:                              ;   in Loop: Header=BB10_161 Depth=1
	v_cvt_i32_f32_e32 v80, v77
	v_mov_b32_e32 v78, 0x3af135b4
	v_mov_b32_e32 v79, 0x3a4beed6
	v_cvt_f32_i32_e32 v76, v80
	v_cmp_lt_i32_e64 s[6:7], 3, v80
	v_sub_f32_e64 v76, |v75|, v76
	v_fmac_f32_e32 v78, 0x3805ff67, v76
	v_fmac_f32_e32 v79, 0x36f5d7bd, v76
	v_fma_f32 v78, v76, v78, v28
	v_fma_f32 v79, v76, v79, v33
	;; [unrolled: 1-line block ×9, first 2 shown]
	v_fma_f32 v78, v76, v78, 1.0
	v_rcp_f32_e32 v82, v78
	v_pk_add_f32 v[78:79], v[76:77], s[26:27] op_sel_hi:[0,1]
	v_cndmask_b32_e64 v79, 1.0, v79, s[6:7]
	v_cmp_lt_i32_e64 s[6:7], 2, v80
	v_add_f32_e32 v83, 4.0, v76
	v_cndmask_b32_e64 v78, 1.0, v78, s[6:7]
	v_cmp_lt_i32_e64 s[6:7], 4, v80
	v_add_f32_e32 v84, 0x40a00000, v76
	v_mul_f32_e32 v78, v78, v79
	v_cndmask_b32_e64 v79, 1.0, v83, s[6:7]
	v_cmp_lt_i32_e64 s[6:7], 5, v80
	v_add_f32_e32 v85, 0x40c00000, v76
	v_mul_f32_e32 v78, v79, v78
	v_cndmask_b32_e64 v79, 1.0, v84, s[6:7]
	v_cmp_lt_i32_e64 s[6:7], 6, v80
	v_mul_f32_e32 v78, v79, v78
	v_cndmask_b32_e64 v79, 1.0, v85, s[6:7]
	v_mul_f32_e32 v78, v79, v78
	v_cmp_gt_f32_e64 s[6:7], s41, v78
	v_cndmask_b32_e64 v79, 1.0, v66, s[6:7]
	v_mul_f32_e32 v78, v78, v79
	v_log_f32_e32 v78, v78
	v_mul_f32_e32 v79, v76, v81
	v_mul_f32_e32 v79, v79, v82
	v_fmac_f32_e32 v79, 0.5, v76
	v_mul_f32_e32 v76, 0x3f317217, v78
	v_fma_f32 v80, v78, s42, -v76
	v_fmac_f32_e32 v80, 0x3377d1cf, v78
	v_add_f32_e32 v76, v76, v80
	v_cmp_lt_f32_e64 s[8:9], |v78|, s43
	v_cndmask_b32_e64 v76, v78, v76, s[8:9]
	v_cndmask_b32_e64 v78, 0, v67, s[6:7]
	v_sub_f32_e32 v76, v76, v78
	v_add_f32_e32 v76, v76, v79
.LBB10_179:                             ;   in Loop: Header=BB10_161 Depth=1
	s_or_b64 exec, exec, s[14:15]
.LBB10_180:                             ;   in Loop: Header=BB10_161 Depth=1
	s_andn2_saveexec_b64 s[8:9], s[12:13]
	s_cbranch_execz .LBB10_198
; %bb.181:                              ;   in Loop: Header=BB10_161 Depth=1
	v_cmp_le_f32_e64 s[6:7], |v75|, s44
                                        ; implicit-def: $vgpr76
                                        ; implicit-def: $vgpr79
                                        ; implicit-def: $vgpr78
	s_and_saveexec_b64 s[12:13], s[6:7]
	s_xor_b64 s[12:13], exec, s[12:13]
	s_cbranch_execz .LBB10_183
; %bb.182:                              ;   in Loop: Header=BB10_161 Depth=1
	v_cmp_lt_f32_e64 s[6:7], |v75|, s41
	v_cndmask_b32_e64 v76, 1.0, v66, s[6:7]
	v_mul_f32_e64 v76, |v75|, v76
	v_log_f32_e32 v76, v76
	v_cndmask_b32_e64 v78, 0, v67, s[6:7]
	v_mul_f32_e32 v79, 0x3f317217, v76
	v_fma_f32 v80, v76, s42, -v79
	v_fmac_f32_e32 v80, 0x3377d1cf, v76
	v_add_f32_e32 v79, v79, v80
	v_cmp_lt_f32_e64 s[6:7], |v76|, s43
	v_cndmask_b32_e64 v76, v76, v79, s[6:7]
	v_sub_f32_e32 v76, v76, v78
	v_sub_f32_e64 v78, 1.0, |v75|
	v_add_f32_e64 v79, |v75|, s46
	v_cmp_lt_f32_e64 s[6:7], |v75|, s45
	v_cndmask_b32_e64 v78, v78, v79, s[6:7]
	v_cndmask_b32_e64 v79, 0, 1, s[6:7]
	v_cmp_lt_f32_e64 s[6:7], |v75|, s47
	v_xor_b32_e32 v76, 0x80000000, v76
	v_cndmask_b32_e64 v78, v78, |v75|, s[6:7]
	v_cndmask_b32_e64 v79, v79, 2, s[6:7]
.LBB10_183:                             ;   in Loop: Header=BB10_161 Depth=1
	s_andn2_saveexec_b64 s[12:13], s[12:13]
; %bb.184:                              ;   in Loop: Header=BB10_161 Depth=1
	v_sub_f32_e64 v76, 2.0, |v75|
	v_add_f32_e64 v78, |v75|, s49
	v_cmp_lt_f32_e64 s[6:7], |v75|, s48
	v_cndmask_b32_e64 v78, v76, v78, s[6:7]
	v_cndmask_b32_e64 v76, v76, 1.0, s[6:7]
	v_cvt_i32_f32_e32 v76, v76
	v_add_f32_e64 v79, |v75|, -1.0
	v_cmp_lt_f32_e64 s[6:7], |v75|, s50
	v_cndmask_b32_e64 v78, v78, v79, s[6:7]
	v_cndmask_b32_e64 v79, v76, 2, s[6:7]
	v_mov_b32_e32 v76, 0
; %bb.185:                              ;   in Loop: Header=BB10_161 Depth=1
	s_or_b64 exec, exec, s[12:13]
	v_cmp_lt_i32_e64 s[6:7], 0, v79
	s_and_saveexec_b64 s[12:13], s[6:7]
	s_xor_b64 s[12:13], exec, s[12:13]
	s_cbranch_execz .LBB10_193
; %bb.186:                              ;   in Loop: Header=BB10_161 Depth=1
	v_cmp_lt_i32_e64 s[6:7], 1, v79
	s_and_saveexec_b64 s[14:15], s[6:7]
	s_xor_b64 s[14:15], exec, s[14:15]
	s_cbranch_execz .LBB10_190
; %bb.187:                              ;   in Loop: Header=BB10_161 Depth=1
	v_cmp_eq_u32_e64 s[6:7], 2, v79
	s_and_saveexec_b64 s[16:17], s[6:7]
	s_cbranch_execz .LBB10_189
; %bb.188:                              ;   in Loop: Header=BB10_161 Depth=1
	v_mov_b32_e32 v80, 0x3dd572af
	v_fmac_f32_e32 v80, 0x3b52d5db, v78
	v_fma_f32 v80, v78, v80, v40
	v_mov_b32_e32 v79, 0x3e6a7578
	v_fma_f32 v80, v78, v80, v41
	v_fmac_f32_e32 v79, 0x3c5b3c5e, v78
	v_fma_f32 v80, v78, v80, v42
	v_fma_f32 v79, v78, v79, v37
	v_fma_f32 v80, v78, v80, 1.0
	v_fma_f32 v79, v78, v79, v38
	v_rcp_f32_e32 v80, v80
	v_fma_f32 v79, v78, v79, v39
	v_fma_f32 v79, v78, v79, v32
	v_mul_f32_e32 v79, v78, v79
	v_mul_f32_e32 v79, v79, v80
	v_fmac_f32_e32 v79, -0.5, v78
	v_add_f32_e32 v76, v76, v79
.LBB10_189:                             ;   in Loop: Header=BB10_161 Depth=1
	s_or_b64 exec, exec, s[16:17]
                                        ; implicit-def: $vgpr78
.LBB10_190:                             ;   in Loop: Header=BB10_161 Depth=1
	s_andn2_saveexec_b64 s[6:7], s[14:15]
	s_cbranch_execz .LBB10_192
; %bb.191:                              ;   in Loop: Header=BB10_161 Depth=1
	v_mul_f32_e32 v79, v78, v78
	v_mul_f32_e32 v80, v78, v79
	v_mov_b32_e32 v82, 0x3a66f867
	v_mov_b32_e32 v83, 0xba0d3085
	v_fmac_f32_e32 v82, 0xb9a3f927, v80
	v_fmac_f32_e32 v83, 0x39afe9f7, v80
	v_mov_b32_e32 v81, 0xbab7f476
	v_fma_f32 v82, v80, v82, v46
	v_fma_f32 v83, v80, v83, v49
	v_fmac_f32_e32 v81, 0x39a57b6b, v80
	v_fma_f32 v82, v80, v82, v47
	v_fma_f32 v83, v80, v83, v50
	;; [unrolled: 1-line block ×6, first 2 shown]
	v_fmac_f32_e32 v82, v78, v83
	v_fma_f32 v81, v80, v81, v45
	v_fma_f32 v78, v80, -v82, s51
	v_fma_f32 v78, v79, v81, -v78
	v_add_f32_e32 v78, 0xbdf8cdce, v78
	v_add_f32_e32 v76, v76, v78
.LBB10_192:                             ;   in Loop: Header=BB10_161 Depth=1
	s_or_b64 exec, exec, s[6:7]
                                        ; implicit-def: $vgpr79
                                        ; implicit-def: $vgpr78
.LBB10_193:                             ;   in Loop: Header=BB10_161 Depth=1
	s_andn2_saveexec_b64 s[12:13], s[12:13]
	s_cbranch_execz .LBB10_197
; %bb.194:                              ;   in Loop: Header=BB10_161 Depth=1
	v_cmp_eq_u32_e64 s[6:7], 0, v79
	s_and_saveexec_b64 s[14:15], s[6:7]
	s_cbranch_execz .LBB10_196
; %bb.195:                              ;   in Loop: Header=BB10_161 Depth=1
	v_mul_f32_e32 v79, v78, v78
	v_mov_b32_e32 v81, 0x38e28445
	v_mov_b32_e32 v80, 0x39679767
	v_fmac_f32_e32 v81, 0x383c2c75, v79
	v_fmac_f32_e32 v80, 0x37d383a2, v79
	v_fma_f32 v81, v79, v81, v56
	v_fma_f32 v80, v79, v80, v52
	;; [unrolled: 1-line block ×8, first 2 shown]
	v_mul_f32_e32 v79, v79, v81
	v_fmac_f32_e32 v79, v78, v80
	v_fmac_f32_e32 v79, -0.5, v78
	v_add_f32_e32 v76, v76, v79
.LBB10_196:                             ;   in Loop: Header=BB10_161 Depth=1
	s_or_b64 exec, exec, s[14:15]
.LBB10_197:                             ;   in Loop: Header=BB10_161 Depth=1
	s_or_b64 exec, exec, s[12:13]
.LBB10_198:                             ;   in Loop: Header=BB10_161 Depth=1
	s_or_b64 exec, exec, s[8:9]
.LBB10_199:                             ;   in Loop: Header=BB10_161 Depth=1
	s_andn2_saveexec_b64 s[10:11], s[10:11]
	s_cbranch_execz .LBB10_201
; %bb.200:                              ;   in Loop: Header=BB10_161 Depth=1
	v_cmp_lt_f32_e64 s[6:7], |v75|, s41
	v_cndmask_b32_e64 v76, 1.0, v66, s[6:7]
	v_mul_f32_e64 v76, |v75|, v76
	v_log_f32_e32 v76, v76
	v_fma_f32 v78, |v75|, s52, v68
	v_fma_f32 v78, |v75|, v78, s53
	;; [unrolled: 1-line block ×3, first 2 shown]
	v_mul_f32_e32 v79, 0x3f317217, v76
	v_fma_f32 v80, v76, s42, -v79
	v_fmac_f32_e32 v80, 0x3377d1cf, v76
	v_add_f32_e32 v79, v79, v80
	v_cmp_lt_f32_e64 s[8:9], |v76|, s43
	v_cndmask_b32_e64 v76, v76, v79, s[8:9]
	v_cndmask_b32_e64 v79, 0, v67, s[6:7]
	v_sub_f32_e32 v76, v76, v79
	v_fma_f32 v76, |v75|, v78, -v76
.LBB10_201:                             ;   in Loop: Header=BB10_161 Depth=1
	s_or_b64 exec, exec, s[10:11]
	v_cmp_le_f16_e64 s[6:7], 0, v74
	v_cmp_nle_f16_e64 s[8:9], 0, v74
	s_and_saveexec_b64 s[10:11], s[8:9]
	s_xor_b64 s[12:13], exec, s[10:11]
	s_cbranch_execz .LBB10_205
; %bb.202:                              ;   in Loop: Header=BB10_161 Depth=1
	v_cmp_lt_f32_e64 s[8:9], |v75|, s55
	v_cmp_gt_f32_e64 s[10:11], |v75|, s56
	s_and_b64 s[8:9], s[8:9], s[10:11]
	s_and_saveexec_b64 s[14:15], s[8:9]
	s_cbranch_execz .LBB10_204
; %bb.203:                              ;   in Loop: Header=BB10_161 Depth=1
	v_mul_f32_e64 v78, |v75|, 0.5
	v_floor_f32_e32 v79, v78
	v_sub_f32_e32 v79, v78, v79
	v_min_f32_e32 v79, 0x3f7fffff, v79
	v_add_f32_e32 v79, v79, v79
	v_cmp_neq_f32_e64 s[8:9], s43, v78
	v_cndmask_b32_e64 v78, 0, v79, s[8:9]
	v_cmp_gt_f32_e64 s[8:9], |v75|, 1.0
	v_cndmask_b32_e64 v78, |v75|, v78, s[8:9]
	v_add_f32_e32 v79, v78, v78
	v_rndne_f32_e32 v79, v79
	v_fmac_f32_e32 v78, -0.5, v79
	v_mul_f32_e32 v80, v78, v78
	v_mov_b32_e32 v81, 0xbf1f24be
	v_fmac_f32_e32 v81, 0x3e75aa41, v80
	v_fma_f32 v81, v80, v81, v60
	v_fma_f32 v81, v80, v81, v61
	v_mul_f32_e32 v82, v78, v80
	v_mul_f32_e32 v81, v82, v81
	v_fmac_f32_e32 v81, 0x40490fdb, v78
	v_mov_b32_e32 v78, 0x3e642e9d
	v_cvt_i32_f32_e32 v79, v79
	v_fmac_f32_e32 v78, 0x3d4be544, v80
	v_fma_f32 v78, v80, v78, v62
	v_fma_f32 v78, v80, v78, v63
	;; [unrolled: 1-line block ×3, first 2 shown]
	v_fma_f32 v78, v80, v78, 1.0
	v_and_b32_e32 v80, 1, v79
	v_lshlrev_b32_e32 v79, 30, v79
	v_cmp_eq_u32_e64 s[8:9], 0, v80
	v_and_b32_e32 v79, 0x80000000, v79
	v_xor_b32_e32 v77, v77, v75
	v_cndmask_b32_e64 v78, v78, v81, s[8:9]
	v_xor_b32_e32 v77, v77, v79
	v_xor_b32_e32 v77, v77, v78
	v_mul_f32_e32 v77, v75, v77
	v_frexp_mant_f32_e64 v78, |v77|
	v_rcp_f32_e32 v78, v78
	v_frexp_exp_i32_f32_e32 v77, v77
	v_sub_u32_e32 v77, 2, v77
	v_mul_f32_e32 v78, 0x3f490fdb, v78
	v_ldexp_f32 v77, v78, v77
	v_cmp_gt_f32_e64 s[8:9], s41, v77
	v_cndmask_b32_e64 v78, 1.0, v66, s[8:9]
	v_mul_f32_e32 v77, v77, v78
	v_log_f32_e32 v77, v77
	v_mul_f32_e32 v78, 0x3f317217, v77
	v_fma_f32 v79, v77, s42, -v78
	v_fmac_f32_e32 v79, 0x3377d1cf, v77
	v_add_f32_e32 v78, v78, v79
	v_cmp_lt_f32_e64 s[10:11], |v77|, s43
	v_cndmask_b32_e64 v77, v77, v78, s[10:11]
	v_cndmask_b32_e64 v78, 0, v67, s[8:9]
	v_sub_f32_e32 v77, v77, v78
	v_sub_f32_e32 v76, v77, v76
	v_floor_f32_e32 v77, v75
	v_sub_f32_e32 v77, v75, v77
	v_min_f32_e32 v77, 0x3f7fffff, v77
	v_cmp_neq_f32_e64 s[8:9], 0, v77
	v_cndmask_b32_e64 v76, v69, v76, s[8:9]
.LBB10_204:                             ;   in Loop: Header=BB10_161 Depth=1
	s_or_b64 exec, exec, s[14:15]
.LBB10_205:                             ;   in Loop: Header=BB10_161 Depth=1
	s_andn2_saveexec_b64 s[12:13], s[12:13]
; %bb.206:                              ;   in Loop: Header=BB10_161 Depth=1
	v_cmp_eq_f16_e64 s[8:9], 1.0, v74
	v_cmp_eq_f16_e64 s[10:11], 2.0, v74
	s_or_b64 s[8:9], s[8:9], s[10:11]
	v_cndmask_b32_e64 v76, v76, 0, s[8:9]
; %bb.207:                              ;   in Loop: Header=BB10_161 Depth=1
	s_or_b64 exec, exec, s[12:13]
	v_cvt_f32_f16_e32 v77, v73
                                        ; implicit-def: $vgpr78
	v_and_b32_e32 v79, 0x7fffffff, v77
	v_cmp_nlt_f32_e64 s[8:9], |v77|, s38
	s_and_saveexec_b64 s[10:11], s[8:9]
	s_xor_b64 s[12:13], exec, s[10:11]
	s_cbranch_execz .LBB10_237
; %bb.208:                              ;   in Loop: Header=BB10_161 Depth=1
	v_cmp_nlt_f32_e64 s[8:9], |v77|, 2.0
                                        ; implicit-def: $vgpr78
	s_and_saveexec_b64 s[10:11], s[8:9]
	s_xor_b64 s[14:15], exec, s[10:11]
	s_cbranch_execz .LBB10_218
; %bb.209:                              ;   in Loop: Header=BB10_161 Depth=1
	v_cmp_nlt_f32_e64 s[8:9], |v77|, s39
                                        ; implicit-def: $vgpr78
	s_and_saveexec_b64 s[10:11], s[8:9]
	s_xor_b64 s[16:17], exec, s[10:11]
	s_cbranch_execz .LBB10_215
; %bb.210:                              ;   in Loop: Header=BB10_161 Depth=1
	v_cmp_nlt_f32_e64 s[8:9], |v77|, s40
                                        ; implicit-def: $vgpr78
	s_and_saveexec_b64 s[10:11], s[8:9]
	s_xor_b64 s[28:29], exec, s[10:11]
	s_cbranch_execz .LBB10_212
; %bb.211:                              ;   in Loop: Header=BB10_161 Depth=1
	v_cmp_lt_f32_e64 s[8:9], |v77|, s41
	v_cndmask_b32_e64 v78, 1.0, v66, s[8:9]
	v_mul_f32_e64 v78, |v77|, v78
	v_log_f32_e32 v78, v78
	v_mul_f32_e32 v80, 0x3f317217, v78
	v_fma_f32 v81, v78, s42, -v80
	v_fmac_f32_e32 v81, 0x3377d1cf, v78
	v_add_f32_e32 v80, v80, v81
	v_cmp_lt_f32_e64 s[10:11], |v78|, s43
	v_cndmask_b32_e64 v78, v78, v80, s[10:11]
	v_cndmask_b32_e64 v80, 0, v67, s[8:9]
	v_sub_f32_e32 v78, v78, v80
	v_fma_f32 v78, |v77|, v78, -|v77|
.LBB10_212:                             ;   in Loop: Header=BB10_161 Depth=1
	s_andn2_saveexec_b64 s[28:29], s[28:29]
	s_cbranch_execz .LBB10_214
; %bb.213:                              ;   in Loop: Header=BB10_161 Depth=1
	v_rcp_f32_e64 v78, |v77|
	v_cmp_lt_f32_e64 s[8:9], |v77|, s41
	v_cndmask_b32_e64 v81, 1.0, v66, s[8:9]
	v_mov_b32_e32 v80, 0x3a5b3dd2
	v_mul_f32_e32 v82, v78, v78
	v_mul_f32_e64 v81, |v77|, v81
	v_fmac_f32_e32 v80, 0xbad5c4e8, v82
	v_log_f32_e32 v81, v81
	v_fma_f32 v80, v82, v80, v23
	v_fma_f32 v80, v82, v80, v24
	;; [unrolled: 1-line block ×4, first 2 shown]
	v_mul_f32_e32 v82, 0x3f317217, v81
	v_fma_f32 v83, v81, s42, -v82
	v_fmac_f32_e32 v83, 0x3377d1cf, v81
	v_add_f32_e32 v82, v82, v83
	v_cmp_lt_f32_e64 s[10:11], |v81|, s43
	v_cndmask_b32_e64 v81, v81, v82, s[10:11]
	v_cndmask_b32_e64 v82, 0, v67, s[8:9]
	v_sub_f32_e32 v81, v81, v82
	v_fma_f32 v78, v78, v80, v27
	v_add_f32_e64 v80, |v77|, -0.5
	v_add_f32_e32 v81, -1.0, v81
	v_fmac_f32_e32 v78, v80, v81
.LBB10_214:                             ;   in Loop: Header=BB10_161 Depth=1
	s_or_b64 exec, exec, s[28:29]
.LBB10_215:                             ;   in Loop: Header=BB10_161 Depth=1
	s_andn2_saveexec_b64 s[16:17], s[16:17]
	s_cbranch_execz .LBB10_217
; %bb.216:                              ;   in Loop: Header=BB10_161 Depth=1
	v_cvt_i32_f32_e32 v82, v79
	v_mov_b32_e32 v80, 0x3af135b4
	v_mov_b32_e32 v81, 0x3a4beed6
	v_cvt_f32_i32_e32 v78, v82
	v_cmp_lt_i32_e64 s[8:9], 3, v82
	v_sub_f32_e64 v78, |v77|, v78
	v_fmac_f32_e32 v80, 0x3805ff67, v78
	v_fmac_f32_e32 v81, 0x36f5d7bd, v78
	v_fma_f32 v80, v78, v80, v28
	v_fma_f32 v81, v78, v81, v33
	;; [unrolled: 1-line block ×9, first 2 shown]
	v_fma_f32 v80, v78, v80, 1.0
	v_rcp_f32_e32 v84, v80
	v_pk_add_f32 v[80:81], v[78:79], s[26:27] op_sel_hi:[0,1]
	v_cndmask_b32_e64 v81, 1.0, v81, s[8:9]
	v_cmp_lt_i32_e64 s[8:9], 2, v82
	v_add_f32_e32 v85, 4.0, v78
	v_cndmask_b32_e64 v80, 1.0, v80, s[8:9]
	v_cmp_lt_i32_e64 s[8:9], 4, v82
	v_add_f32_e32 v86, 0x40a00000, v78
	v_mul_f32_e32 v80, v80, v81
	v_cndmask_b32_e64 v81, 1.0, v85, s[8:9]
	v_cmp_lt_i32_e64 s[8:9], 5, v82
	v_add_f32_e32 v87, 0x40c00000, v78
	v_mul_f32_e32 v80, v81, v80
	v_cndmask_b32_e64 v81, 1.0, v86, s[8:9]
	v_cmp_lt_i32_e64 s[8:9], 6, v82
	v_mul_f32_e32 v80, v81, v80
	v_cndmask_b32_e64 v81, 1.0, v87, s[8:9]
	v_mul_f32_e32 v80, v81, v80
	v_cmp_gt_f32_e64 s[8:9], s41, v80
	v_cndmask_b32_e64 v81, 1.0, v66, s[8:9]
	v_mul_f32_e32 v80, v80, v81
	v_log_f32_e32 v80, v80
	v_mul_f32_e32 v81, v78, v83
	v_mul_f32_e32 v81, v81, v84
	v_fmac_f32_e32 v81, 0.5, v78
	v_mul_f32_e32 v78, 0x3f317217, v80
	v_fma_f32 v82, v80, s42, -v78
	v_fmac_f32_e32 v82, 0x3377d1cf, v80
	v_add_f32_e32 v78, v78, v82
	v_cmp_lt_f32_e64 s[10:11], |v80|, s43
	v_cndmask_b32_e64 v78, v80, v78, s[10:11]
	v_cndmask_b32_e64 v80, 0, v67, s[8:9]
	v_sub_f32_e32 v78, v78, v80
	v_add_f32_e32 v78, v78, v81
.LBB10_217:                             ;   in Loop: Header=BB10_161 Depth=1
	s_or_b64 exec, exec, s[16:17]
.LBB10_218:                             ;   in Loop: Header=BB10_161 Depth=1
	s_andn2_saveexec_b64 s[10:11], s[14:15]
	s_cbranch_execz .LBB10_236
; %bb.219:                              ;   in Loop: Header=BB10_161 Depth=1
	v_cmp_le_f32_e64 s[8:9], |v77|, s44
                                        ; implicit-def: $vgpr78
                                        ; implicit-def: $vgpr81
                                        ; implicit-def: $vgpr80
	s_and_saveexec_b64 s[14:15], s[8:9]
	s_xor_b64 s[14:15], exec, s[14:15]
	s_cbranch_execz .LBB10_221
; %bb.220:                              ;   in Loop: Header=BB10_161 Depth=1
	v_cmp_lt_f32_e64 s[8:9], |v77|, s41
	v_cndmask_b32_e64 v78, 1.0, v66, s[8:9]
	v_mul_f32_e64 v78, |v77|, v78
	v_log_f32_e32 v78, v78
	v_cndmask_b32_e64 v80, 0, v67, s[8:9]
	v_mul_f32_e32 v81, 0x3f317217, v78
	v_fma_f32 v82, v78, s42, -v81
	v_fmac_f32_e32 v82, 0x3377d1cf, v78
	v_add_f32_e32 v81, v81, v82
	v_cmp_lt_f32_e64 s[8:9], |v78|, s43
	v_cndmask_b32_e64 v78, v78, v81, s[8:9]
	v_sub_f32_e32 v78, v78, v80
	v_sub_f32_e64 v80, 1.0, |v77|
	v_add_f32_e64 v81, |v77|, s46
	v_cmp_lt_f32_e64 s[8:9], |v77|, s45
	v_cndmask_b32_e64 v80, v80, v81, s[8:9]
	v_cndmask_b32_e64 v81, 0, 1, s[8:9]
	v_cmp_lt_f32_e64 s[8:9], |v77|, s47
	v_xor_b32_e32 v78, 0x80000000, v78
	v_cndmask_b32_e64 v80, v80, |v77|, s[8:9]
	v_cndmask_b32_e64 v81, v81, 2, s[8:9]
.LBB10_221:                             ;   in Loop: Header=BB10_161 Depth=1
	s_andn2_saveexec_b64 s[14:15], s[14:15]
; %bb.222:                              ;   in Loop: Header=BB10_161 Depth=1
	v_sub_f32_e64 v78, 2.0, |v77|
	v_add_f32_e64 v80, |v77|, s49
	v_cmp_lt_f32_e64 s[8:9], |v77|, s48
	v_cndmask_b32_e64 v80, v78, v80, s[8:9]
	v_cndmask_b32_e64 v78, v78, 1.0, s[8:9]
	v_cvt_i32_f32_e32 v78, v78
	v_add_f32_e64 v81, |v77|, -1.0
	v_cmp_lt_f32_e64 s[8:9], |v77|, s50
	v_cndmask_b32_e64 v80, v80, v81, s[8:9]
	v_cndmask_b32_e64 v81, v78, 2, s[8:9]
	v_mov_b32_e32 v78, 0
; %bb.223:                              ;   in Loop: Header=BB10_161 Depth=1
	s_or_b64 exec, exec, s[14:15]
	v_cmp_lt_i32_e64 s[8:9], 0, v81
	s_and_saveexec_b64 s[14:15], s[8:9]
	s_xor_b64 s[14:15], exec, s[14:15]
	s_cbranch_execz .LBB10_231
; %bb.224:                              ;   in Loop: Header=BB10_161 Depth=1
	v_cmp_lt_i32_e64 s[8:9], 1, v81
	s_and_saveexec_b64 s[16:17], s[8:9]
	s_xor_b64 s[16:17], exec, s[16:17]
	s_cbranch_execz .LBB10_228
; %bb.225:                              ;   in Loop: Header=BB10_161 Depth=1
	v_cmp_eq_u32_e64 s[8:9], 2, v81
	s_and_saveexec_b64 s[28:29], s[8:9]
	s_cbranch_execz .LBB10_227
; %bb.226:                              ;   in Loop: Header=BB10_161 Depth=1
	v_mov_b32_e32 v82, 0x3dd572af
	v_fmac_f32_e32 v82, 0x3b52d5db, v80
	v_fma_f32 v82, v80, v82, v40
	v_mov_b32_e32 v81, 0x3e6a7578
	v_fma_f32 v82, v80, v82, v41
	v_fmac_f32_e32 v81, 0x3c5b3c5e, v80
	v_fma_f32 v82, v80, v82, v42
	v_fma_f32 v81, v80, v81, v37
	v_fma_f32 v82, v80, v82, 1.0
	v_fma_f32 v81, v80, v81, v38
	v_rcp_f32_e32 v82, v82
	v_fma_f32 v81, v80, v81, v39
	v_fma_f32 v81, v80, v81, v32
	v_mul_f32_e32 v81, v80, v81
	v_mul_f32_e32 v81, v81, v82
	v_fmac_f32_e32 v81, -0.5, v80
	v_add_f32_e32 v78, v78, v81
.LBB10_227:                             ;   in Loop: Header=BB10_161 Depth=1
	s_or_b64 exec, exec, s[28:29]
                                        ; implicit-def: $vgpr80
.LBB10_228:                             ;   in Loop: Header=BB10_161 Depth=1
	s_andn2_saveexec_b64 s[8:9], s[16:17]
	s_cbranch_execz .LBB10_230
; %bb.229:                              ;   in Loop: Header=BB10_161 Depth=1
	v_mul_f32_e32 v81, v80, v80
	v_mul_f32_e32 v82, v80, v81
	v_mov_b32_e32 v84, 0x3a66f867
	v_mov_b32_e32 v85, 0xba0d3085
	v_fmac_f32_e32 v84, 0xb9a3f927, v82
	v_fmac_f32_e32 v85, 0x39afe9f7, v82
	v_mov_b32_e32 v83, 0xbab7f476
	v_fma_f32 v84, v82, v84, v46
	v_fma_f32 v85, v82, v85, v49
	v_fmac_f32_e32 v83, 0x39a57b6b, v82
	v_fma_f32 v84, v82, v84, v47
	v_fma_f32 v85, v82, v85, v50
	;; [unrolled: 1-line block ×6, first 2 shown]
	v_fmac_f32_e32 v84, v80, v85
	v_fma_f32 v83, v82, v83, v45
	v_fma_f32 v80, v82, -v84, s51
	v_fma_f32 v80, v81, v83, -v80
	v_add_f32_e32 v80, 0xbdf8cdce, v80
	v_add_f32_e32 v78, v78, v80
.LBB10_230:                             ;   in Loop: Header=BB10_161 Depth=1
	s_or_b64 exec, exec, s[8:9]
                                        ; implicit-def: $vgpr81
                                        ; implicit-def: $vgpr80
.LBB10_231:                             ;   in Loop: Header=BB10_161 Depth=1
	s_andn2_saveexec_b64 s[14:15], s[14:15]
	s_cbranch_execz .LBB10_235
; %bb.232:                              ;   in Loop: Header=BB10_161 Depth=1
	v_cmp_eq_u32_e64 s[8:9], 0, v81
	s_and_saveexec_b64 s[16:17], s[8:9]
	s_cbranch_execz .LBB10_234
; %bb.233:                              ;   in Loop: Header=BB10_161 Depth=1
	v_mul_f32_e32 v81, v80, v80
	v_mov_b32_e32 v83, 0x38e28445
	v_mov_b32_e32 v82, 0x39679767
	v_fmac_f32_e32 v83, 0x383c2c75, v81
	v_fmac_f32_e32 v82, 0x37d383a2, v81
	v_fma_f32 v83, v81, v83, v56
	v_fma_f32 v82, v81, v82, v52
	;; [unrolled: 1-line block ×8, first 2 shown]
	v_mul_f32_e32 v81, v81, v83
	v_fmac_f32_e32 v81, v80, v82
	v_fmac_f32_e32 v81, -0.5, v80
	v_add_f32_e32 v78, v78, v81
.LBB10_234:                             ;   in Loop: Header=BB10_161 Depth=1
	s_or_b64 exec, exec, s[16:17]
.LBB10_235:                             ;   in Loop: Header=BB10_161 Depth=1
	s_or_b64 exec, exec, s[14:15]
.LBB10_236:                             ;   in Loop: Header=BB10_161 Depth=1
	s_or_b64 exec, exec, s[10:11]
.LBB10_237:                             ;   in Loop: Header=BB10_161 Depth=1
	s_andn2_saveexec_b64 s[12:13], s[12:13]
	s_cbranch_execz .LBB10_239
; %bb.238:                              ;   in Loop: Header=BB10_161 Depth=1
	v_cmp_lt_f32_e64 s[8:9], |v77|, s41
	v_cndmask_b32_e64 v78, 1.0, v66, s[8:9]
	v_mul_f32_e64 v78, |v77|, v78
	v_log_f32_e32 v78, v78
	v_fma_f32 v80, |v77|, s52, v68
	v_fma_f32 v80, |v77|, v80, s53
	;; [unrolled: 1-line block ×3, first 2 shown]
	v_mul_f32_e32 v81, 0x3f317217, v78
	v_fma_f32 v82, v78, s42, -v81
	v_fmac_f32_e32 v82, 0x3377d1cf, v78
	v_add_f32_e32 v81, v81, v82
	v_cmp_lt_f32_e64 s[10:11], |v78|, s43
	v_cndmask_b32_e64 v78, v78, v81, s[10:11]
	v_cndmask_b32_e64 v81, 0, v67, s[8:9]
	v_sub_f32_e32 v78, v78, v81
	v_fma_f32 v78, |v77|, v80, -v78
.LBB10_239:                             ;   in Loop: Header=BB10_161 Depth=1
	s_or_b64 exec, exec, s[12:13]
	v_cmp_le_f16_e64 s[8:9], 0, v73
	v_cmp_nle_f16_e64 s[10:11], 0, v73
	s_and_saveexec_b64 s[12:13], s[10:11]
	s_xor_b64 s[14:15], exec, s[12:13]
	s_cbranch_execz .LBB10_243
; %bb.240:                              ;   in Loop: Header=BB10_161 Depth=1
	v_cmp_lt_f32_e64 s[10:11], |v77|, s55
	v_cmp_gt_f32_e64 s[12:13], |v77|, s56
	s_and_b64 s[10:11], s[10:11], s[12:13]
	s_and_saveexec_b64 s[16:17], s[10:11]
	s_cbranch_execz .LBB10_242
; %bb.241:                              ;   in Loop: Header=BB10_161 Depth=1
	v_mul_f32_e64 v80, |v77|, 0.5
	v_floor_f32_e32 v81, v80
	v_sub_f32_e32 v81, v80, v81
	v_min_f32_e32 v81, 0x3f7fffff, v81
	v_add_f32_e32 v81, v81, v81
	v_cmp_neq_f32_e64 s[10:11], s43, v80
	v_cndmask_b32_e64 v80, 0, v81, s[10:11]
	v_cmp_gt_f32_e64 s[10:11], |v77|, 1.0
	v_cndmask_b32_e64 v80, |v77|, v80, s[10:11]
	v_add_f32_e32 v81, v80, v80
	v_rndne_f32_e32 v81, v81
	v_fmac_f32_e32 v80, -0.5, v81
	v_mul_f32_e32 v82, v80, v80
	v_mov_b32_e32 v83, 0xbf1f24be
	v_fmac_f32_e32 v83, 0x3e75aa41, v82
	v_fma_f32 v83, v82, v83, v60
	v_fma_f32 v83, v82, v83, v61
	v_mul_f32_e32 v84, v80, v82
	v_mul_f32_e32 v83, v84, v83
	v_fmac_f32_e32 v83, 0x40490fdb, v80
	v_mov_b32_e32 v80, 0x3e642e9d
	v_cvt_i32_f32_e32 v81, v81
	v_fmac_f32_e32 v80, 0x3d4be544, v82
	v_fma_f32 v80, v82, v80, v62
	v_fma_f32 v80, v82, v80, v63
	;; [unrolled: 1-line block ×3, first 2 shown]
	v_fma_f32 v80, v82, v80, 1.0
	v_and_b32_e32 v82, 1, v81
	v_lshlrev_b32_e32 v81, 30, v81
	v_cmp_eq_u32_e64 s[10:11], 0, v82
	v_and_b32_e32 v81, 0x80000000, v81
	v_xor_b32_e32 v79, v79, v77
	v_cndmask_b32_e64 v80, v80, v83, s[10:11]
	v_xor_b32_e32 v79, v79, v81
	v_xor_b32_e32 v79, v79, v80
	v_mul_f32_e32 v79, v77, v79
	v_frexp_mant_f32_e64 v80, |v79|
	v_rcp_f32_e32 v80, v80
	v_frexp_exp_i32_f32_e32 v79, v79
	v_sub_u32_e32 v79, 2, v79
	v_mul_f32_e32 v80, 0x3f490fdb, v80
	v_ldexp_f32 v79, v80, v79
	v_cmp_gt_f32_e64 s[10:11], s41, v79
	v_cndmask_b32_e64 v80, 1.0, v66, s[10:11]
	v_mul_f32_e32 v79, v79, v80
	v_log_f32_e32 v79, v79
	v_mul_f32_e32 v80, 0x3f317217, v79
	v_fma_f32 v81, v79, s42, -v80
	v_fmac_f32_e32 v81, 0x3377d1cf, v79
	v_add_f32_e32 v80, v80, v81
	v_cmp_lt_f32_e64 s[12:13], |v79|, s43
	v_cndmask_b32_e64 v79, v79, v80, s[12:13]
	v_cndmask_b32_e64 v80, 0, v67, s[10:11]
	v_sub_f32_e32 v79, v79, v80
	v_sub_f32_e32 v78, v79, v78
	v_floor_f32_e32 v79, v77
	v_sub_f32_e32 v79, v77, v79
	v_min_f32_e32 v79, 0x3f7fffff, v79
	v_cmp_neq_f32_e64 s[10:11], 0, v79
	v_cndmask_b32_e64 v78, v69, v78, s[10:11]
.LBB10_242:                             ;   in Loop: Header=BB10_161 Depth=1
	s_or_b64 exec, exec, s[16:17]
.LBB10_243:                             ;   in Loop: Header=BB10_161 Depth=1
	s_andn2_saveexec_b64 s[14:15], s[14:15]
; %bb.244:                              ;   in Loop: Header=BB10_161 Depth=1
	v_cmp_eq_f16_e64 s[10:11], 1.0, v73
	v_cmp_eq_f16_e64 s[12:13], 2.0, v73
	s_or_b64 s[10:11], s[10:11], s[12:13]
	v_cndmask_b32_e64 v78, v78, 0, s[10:11]
; %bb.245:                              ;   in Loop: Header=BB10_161 Depth=1
	s_or_b64 exec, exec, s[14:15]
	v_cvt_f32_f16_e32 v79, v72
                                        ; implicit-def: $vgpr80
	v_and_b32_e32 v81, 0x7fffffff, v79
	v_cmp_nlt_f32_e64 s[10:11], |v79|, s38
	s_and_saveexec_b64 s[12:13], s[10:11]
	s_xor_b64 s[14:15], exec, s[12:13]
	s_cbranch_execz .LBB10_275
; %bb.246:                              ;   in Loop: Header=BB10_161 Depth=1
	v_cmp_nlt_f32_e64 s[10:11], |v79|, 2.0
                                        ; implicit-def: $vgpr80
	s_and_saveexec_b64 s[12:13], s[10:11]
	s_xor_b64 s[16:17], exec, s[12:13]
	s_cbranch_execz .LBB10_256
; %bb.247:                              ;   in Loop: Header=BB10_161 Depth=1
	v_cmp_nlt_f32_e64 s[10:11], |v79|, s39
                                        ; implicit-def: $vgpr80
	s_and_saveexec_b64 s[12:13], s[10:11]
	s_xor_b64 s[28:29], exec, s[12:13]
	s_cbranch_execz .LBB10_253
; %bb.248:                              ;   in Loop: Header=BB10_161 Depth=1
	v_cmp_nlt_f32_e64 s[10:11], |v79|, s40
                                        ; implicit-def: $vgpr80
	s_and_saveexec_b64 s[12:13], s[10:11]
	s_xor_b64 s[30:31], exec, s[12:13]
	s_cbranch_execz .LBB10_250
; %bb.249:                              ;   in Loop: Header=BB10_161 Depth=1
	v_cmp_lt_f32_e64 s[10:11], |v79|, s41
	v_cndmask_b32_e64 v80, 1.0, v66, s[10:11]
	v_mul_f32_e64 v80, |v79|, v80
	v_log_f32_e32 v80, v80
	v_mul_f32_e32 v82, 0x3f317217, v80
	v_fma_f32 v83, v80, s42, -v82
	v_fmac_f32_e32 v83, 0x3377d1cf, v80
	v_add_f32_e32 v82, v82, v83
	v_cmp_lt_f32_e64 s[12:13], |v80|, s43
	v_cndmask_b32_e64 v80, v80, v82, s[12:13]
	v_cndmask_b32_e64 v82, 0, v67, s[10:11]
	v_sub_f32_e32 v80, v80, v82
	v_fma_f32 v80, |v79|, v80, -|v79|
.LBB10_250:                             ;   in Loop: Header=BB10_161 Depth=1
	s_andn2_saveexec_b64 s[30:31], s[30:31]
	s_cbranch_execz .LBB10_252
; %bb.251:                              ;   in Loop: Header=BB10_161 Depth=1
	v_rcp_f32_e64 v80, |v79|
	v_cmp_lt_f32_e64 s[10:11], |v79|, s41
	v_cndmask_b32_e64 v83, 1.0, v66, s[10:11]
	v_mov_b32_e32 v82, 0x3a5b3dd2
	v_mul_f32_e32 v84, v80, v80
	v_mul_f32_e64 v83, |v79|, v83
	v_fmac_f32_e32 v82, 0xbad5c4e8, v84
	v_log_f32_e32 v83, v83
	v_fma_f32 v82, v84, v82, v23
	v_fma_f32 v82, v84, v82, v24
	;; [unrolled: 1-line block ×4, first 2 shown]
	v_mul_f32_e32 v84, 0x3f317217, v83
	v_fma_f32 v85, v83, s42, -v84
	v_fmac_f32_e32 v85, 0x3377d1cf, v83
	v_add_f32_e32 v84, v84, v85
	v_cmp_lt_f32_e64 s[12:13], |v83|, s43
	v_cndmask_b32_e64 v83, v83, v84, s[12:13]
	v_cndmask_b32_e64 v84, 0, v67, s[10:11]
	v_sub_f32_e32 v83, v83, v84
	v_fma_f32 v80, v80, v82, v27
	v_add_f32_e64 v82, |v79|, -0.5
	v_add_f32_e32 v83, -1.0, v83
	v_fmac_f32_e32 v80, v82, v83
.LBB10_252:                             ;   in Loop: Header=BB10_161 Depth=1
	s_or_b64 exec, exec, s[30:31]
.LBB10_253:                             ;   in Loop: Header=BB10_161 Depth=1
	s_andn2_saveexec_b64 s[28:29], s[28:29]
	s_cbranch_execz .LBB10_255
; %bb.254:                              ;   in Loop: Header=BB10_161 Depth=1
	v_cvt_i32_f32_e32 v84, v81
	v_mov_b32_e32 v82, 0x3af135b4
	v_mov_b32_e32 v83, 0x3a4beed6
	v_cvt_f32_i32_e32 v80, v84
	v_cmp_lt_i32_e64 s[10:11], 3, v84
	v_sub_f32_e64 v80, |v79|, v80
	v_fmac_f32_e32 v82, 0x3805ff67, v80
	v_fmac_f32_e32 v83, 0x36f5d7bd, v80
	v_fma_f32 v82, v80, v82, v28
	v_fma_f32 v83, v80, v83, v33
	;; [unrolled: 1-line block ×9, first 2 shown]
	v_fma_f32 v82, v80, v82, 1.0
	v_rcp_f32_e32 v86, v82
	v_pk_add_f32 v[82:83], v[80:81], s[26:27] op_sel_hi:[0,1]
	v_cndmask_b32_e64 v83, 1.0, v83, s[10:11]
	v_cmp_lt_i32_e64 s[10:11], 2, v84
	v_add_f32_e32 v87, 4.0, v80
	v_cndmask_b32_e64 v82, 1.0, v82, s[10:11]
	v_cmp_lt_i32_e64 s[10:11], 4, v84
	v_add_f32_e32 v88, 0x40a00000, v80
	v_mul_f32_e32 v82, v82, v83
	v_cndmask_b32_e64 v83, 1.0, v87, s[10:11]
	v_cmp_lt_i32_e64 s[10:11], 5, v84
	v_add_f32_e32 v89, 0x40c00000, v80
	v_mul_f32_e32 v82, v83, v82
	v_cndmask_b32_e64 v83, 1.0, v88, s[10:11]
	v_cmp_lt_i32_e64 s[10:11], 6, v84
	v_mul_f32_e32 v82, v83, v82
	v_cndmask_b32_e64 v83, 1.0, v89, s[10:11]
	v_mul_f32_e32 v82, v83, v82
	v_cmp_gt_f32_e64 s[10:11], s41, v82
	v_cndmask_b32_e64 v83, 1.0, v66, s[10:11]
	v_mul_f32_e32 v82, v82, v83
	v_log_f32_e32 v82, v82
	v_mul_f32_e32 v83, v80, v85
	v_mul_f32_e32 v83, v83, v86
	v_fmac_f32_e32 v83, 0.5, v80
	v_mul_f32_e32 v80, 0x3f317217, v82
	v_fma_f32 v84, v82, s42, -v80
	v_fmac_f32_e32 v84, 0x3377d1cf, v82
	v_add_f32_e32 v80, v80, v84
	v_cmp_lt_f32_e64 s[12:13], |v82|, s43
	v_cndmask_b32_e64 v80, v82, v80, s[12:13]
	v_cndmask_b32_e64 v82, 0, v67, s[10:11]
	v_sub_f32_e32 v80, v80, v82
	v_add_f32_e32 v80, v80, v83
.LBB10_255:                             ;   in Loop: Header=BB10_161 Depth=1
	s_or_b64 exec, exec, s[28:29]
.LBB10_256:                             ;   in Loop: Header=BB10_161 Depth=1
	s_andn2_saveexec_b64 s[12:13], s[16:17]
	s_cbranch_execz .LBB10_274
; %bb.257:                              ;   in Loop: Header=BB10_161 Depth=1
	v_cmp_le_f32_e64 s[10:11], |v79|, s44
                                        ; implicit-def: $vgpr80
                                        ; implicit-def: $vgpr83
                                        ; implicit-def: $vgpr82
	s_and_saveexec_b64 s[16:17], s[10:11]
	s_xor_b64 s[16:17], exec, s[16:17]
	s_cbranch_execz .LBB10_259
; %bb.258:                              ;   in Loop: Header=BB10_161 Depth=1
	v_cmp_lt_f32_e64 s[10:11], |v79|, s41
	v_cndmask_b32_e64 v80, 1.0, v66, s[10:11]
	v_mul_f32_e64 v80, |v79|, v80
	v_log_f32_e32 v80, v80
	v_cndmask_b32_e64 v82, 0, v67, s[10:11]
	v_mul_f32_e32 v83, 0x3f317217, v80
	v_fma_f32 v84, v80, s42, -v83
	v_fmac_f32_e32 v84, 0x3377d1cf, v80
	v_add_f32_e32 v83, v83, v84
	v_cmp_lt_f32_e64 s[10:11], |v80|, s43
	v_cndmask_b32_e64 v80, v80, v83, s[10:11]
	v_sub_f32_e32 v80, v80, v82
	v_sub_f32_e64 v82, 1.0, |v79|
	v_add_f32_e64 v83, |v79|, s46
	v_cmp_lt_f32_e64 s[10:11], |v79|, s45
	v_cndmask_b32_e64 v82, v82, v83, s[10:11]
	v_cndmask_b32_e64 v83, 0, 1, s[10:11]
	v_cmp_lt_f32_e64 s[10:11], |v79|, s47
	v_xor_b32_e32 v80, 0x80000000, v80
	v_cndmask_b32_e64 v82, v82, |v79|, s[10:11]
	v_cndmask_b32_e64 v83, v83, 2, s[10:11]
.LBB10_259:                             ;   in Loop: Header=BB10_161 Depth=1
	s_andn2_saveexec_b64 s[16:17], s[16:17]
; %bb.260:                              ;   in Loop: Header=BB10_161 Depth=1
	v_sub_f32_e64 v80, 2.0, |v79|
	v_add_f32_e64 v82, |v79|, s49
	v_cmp_lt_f32_e64 s[10:11], |v79|, s48
	v_cndmask_b32_e64 v82, v80, v82, s[10:11]
	v_cndmask_b32_e64 v80, v80, 1.0, s[10:11]
	v_cvt_i32_f32_e32 v80, v80
	v_add_f32_e64 v83, |v79|, -1.0
	v_cmp_lt_f32_e64 s[10:11], |v79|, s50
	v_cndmask_b32_e64 v82, v82, v83, s[10:11]
	v_cndmask_b32_e64 v83, v80, 2, s[10:11]
	v_mov_b32_e32 v80, 0
; %bb.261:                              ;   in Loop: Header=BB10_161 Depth=1
	s_or_b64 exec, exec, s[16:17]
	v_cmp_lt_i32_e64 s[10:11], 0, v83
	s_and_saveexec_b64 s[16:17], s[10:11]
	s_xor_b64 s[16:17], exec, s[16:17]
	s_cbranch_execz .LBB10_269
; %bb.262:                              ;   in Loop: Header=BB10_161 Depth=1
	v_cmp_lt_i32_e64 s[10:11], 1, v83
	s_and_saveexec_b64 s[28:29], s[10:11]
	s_xor_b64 s[28:29], exec, s[28:29]
	s_cbranch_execz .LBB10_266
; %bb.263:                              ;   in Loop: Header=BB10_161 Depth=1
	v_cmp_eq_u32_e64 s[10:11], 2, v83
	s_and_saveexec_b64 s[30:31], s[10:11]
	s_cbranch_execz .LBB10_265
; %bb.264:                              ;   in Loop: Header=BB10_161 Depth=1
	v_mov_b32_e32 v84, 0x3dd572af
	v_fmac_f32_e32 v84, 0x3b52d5db, v82
	v_fma_f32 v84, v82, v84, v40
	v_mov_b32_e32 v83, 0x3e6a7578
	v_fma_f32 v84, v82, v84, v41
	v_fmac_f32_e32 v83, 0x3c5b3c5e, v82
	v_fma_f32 v84, v82, v84, v42
	v_fma_f32 v83, v82, v83, v37
	v_fma_f32 v84, v82, v84, 1.0
	v_fma_f32 v83, v82, v83, v38
	v_rcp_f32_e32 v84, v84
	v_fma_f32 v83, v82, v83, v39
	v_fma_f32 v83, v82, v83, v32
	v_mul_f32_e32 v83, v82, v83
	v_mul_f32_e32 v83, v83, v84
	v_fmac_f32_e32 v83, -0.5, v82
	v_add_f32_e32 v80, v80, v83
.LBB10_265:                             ;   in Loop: Header=BB10_161 Depth=1
	s_or_b64 exec, exec, s[30:31]
                                        ; implicit-def: $vgpr82
.LBB10_266:                             ;   in Loop: Header=BB10_161 Depth=1
	s_andn2_saveexec_b64 s[10:11], s[28:29]
	s_cbranch_execz .LBB10_268
; %bb.267:                              ;   in Loop: Header=BB10_161 Depth=1
	v_mul_f32_e32 v83, v82, v82
	v_mul_f32_e32 v84, v82, v83
	v_mov_b32_e32 v86, 0x3a66f867
	v_mov_b32_e32 v87, 0xba0d3085
	v_fmac_f32_e32 v86, 0xb9a3f927, v84
	v_fmac_f32_e32 v87, 0x39afe9f7, v84
	v_mov_b32_e32 v85, 0xbab7f476
	v_fma_f32 v86, v84, v86, v46
	v_fma_f32 v87, v84, v87, v49
	v_fmac_f32_e32 v85, 0x39a57b6b, v84
	v_fma_f32 v86, v84, v86, v47
	v_fma_f32 v87, v84, v87, v50
	;; [unrolled: 1-line block ×6, first 2 shown]
	v_fmac_f32_e32 v86, v82, v87
	v_fma_f32 v85, v84, v85, v45
	v_fma_f32 v82, v84, -v86, s51
	v_fma_f32 v82, v83, v85, -v82
	v_add_f32_e32 v82, 0xbdf8cdce, v82
	v_add_f32_e32 v80, v80, v82
.LBB10_268:                             ;   in Loop: Header=BB10_161 Depth=1
	s_or_b64 exec, exec, s[10:11]
                                        ; implicit-def: $vgpr83
                                        ; implicit-def: $vgpr82
.LBB10_269:                             ;   in Loop: Header=BB10_161 Depth=1
	s_andn2_saveexec_b64 s[16:17], s[16:17]
	s_cbranch_execz .LBB10_273
; %bb.270:                              ;   in Loop: Header=BB10_161 Depth=1
	v_cmp_eq_u32_e64 s[10:11], 0, v83
	s_and_saveexec_b64 s[28:29], s[10:11]
	s_cbranch_execz .LBB10_272
; %bb.271:                              ;   in Loop: Header=BB10_161 Depth=1
	v_mul_f32_e32 v83, v82, v82
	v_mov_b32_e32 v85, 0x38e28445
	v_mov_b32_e32 v84, 0x39679767
	v_fmac_f32_e32 v85, 0x383c2c75, v83
	v_fmac_f32_e32 v84, 0x37d383a2, v83
	v_fma_f32 v85, v83, v85, v56
	v_fma_f32 v84, v83, v84, v52
	;; [unrolled: 1-line block ×8, first 2 shown]
	v_mul_f32_e32 v83, v83, v85
	v_fmac_f32_e32 v83, v82, v84
	v_fmac_f32_e32 v83, -0.5, v82
	v_add_f32_e32 v80, v80, v83
.LBB10_272:                             ;   in Loop: Header=BB10_161 Depth=1
	s_or_b64 exec, exec, s[28:29]
.LBB10_273:                             ;   in Loop: Header=BB10_161 Depth=1
	s_or_b64 exec, exec, s[16:17]
.LBB10_274:                             ;   in Loop: Header=BB10_161 Depth=1
	s_or_b64 exec, exec, s[12:13]
.LBB10_275:                             ;   in Loop: Header=BB10_161 Depth=1
	s_andn2_saveexec_b64 s[14:15], s[14:15]
	s_cbranch_execz .LBB10_277
; %bb.276:                              ;   in Loop: Header=BB10_161 Depth=1
	v_cmp_lt_f32_e64 s[10:11], |v79|, s41
	v_cndmask_b32_e64 v80, 1.0, v66, s[10:11]
	v_mul_f32_e64 v80, |v79|, v80
	v_log_f32_e32 v80, v80
	v_fma_f32 v82, |v79|, s52, v68
	v_fma_f32 v82, |v79|, v82, s53
	;; [unrolled: 1-line block ×3, first 2 shown]
	v_mul_f32_e32 v83, 0x3f317217, v80
	v_fma_f32 v84, v80, s42, -v83
	v_fmac_f32_e32 v84, 0x3377d1cf, v80
	v_add_f32_e32 v83, v83, v84
	v_cmp_lt_f32_e64 s[12:13], |v80|, s43
	v_cndmask_b32_e64 v80, v80, v83, s[12:13]
	v_cndmask_b32_e64 v83, 0, v67, s[10:11]
	v_sub_f32_e32 v80, v80, v83
	v_fma_f32 v80, |v79|, v82, -v80
.LBB10_277:                             ;   in Loop: Header=BB10_161 Depth=1
	s_or_b64 exec, exec, s[14:15]
	v_cmp_le_f16_e64 s[10:11], 0, v72
	v_cmp_nle_f16_e64 s[12:13], 0, v72
	s_and_saveexec_b64 s[14:15], s[12:13]
	s_xor_b64 s[16:17], exec, s[14:15]
	s_cbranch_execz .LBB10_281
; %bb.278:                              ;   in Loop: Header=BB10_161 Depth=1
	v_cmp_lt_f32_e64 s[12:13], |v79|, s55
	v_cmp_gt_f32_e64 s[14:15], |v79|, s56
	s_and_b64 s[12:13], s[12:13], s[14:15]
	s_and_saveexec_b64 s[28:29], s[12:13]
	s_cbranch_execz .LBB10_280
; %bb.279:                              ;   in Loop: Header=BB10_161 Depth=1
	v_mul_f32_e64 v82, |v79|, 0.5
	v_floor_f32_e32 v83, v82
	v_sub_f32_e32 v83, v82, v83
	v_min_f32_e32 v83, 0x3f7fffff, v83
	v_add_f32_e32 v83, v83, v83
	v_cmp_neq_f32_e64 s[12:13], s43, v82
	v_cndmask_b32_e64 v82, 0, v83, s[12:13]
	v_cmp_gt_f32_e64 s[12:13], |v79|, 1.0
	v_cndmask_b32_e64 v82, |v79|, v82, s[12:13]
	v_add_f32_e32 v83, v82, v82
	v_rndne_f32_e32 v83, v83
	v_fmac_f32_e32 v82, -0.5, v83
	v_mul_f32_e32 v84, v82, v82
	v_mov_b32_e32 v85, 0xbf1f24be
	v_fmac_f32_e32 v85, 0x3e75aa41, v84
	v_fma_f32 v85, v84, v85, v60
	v_fma_f32 v85, v84, v85, v61
	v_mul_f32_e32 v86, v82, v84
	v_mul_f32_e32 v85, v86, v85
	v_fmac_f32_e32 v85, 0x40490fdb, v82
	v_mov_b32_e32 v82, 0x3e642e9d
	v_cvt_i32_f32_e32 v83, v83
	v_fmac_f32_e32 v82, 0x3d4be544, v84
	v_fma_f32 v82, v84, v82, v62
	v_fma_f32 v82, v84, v82, v63
	;; [unrolled: 1-line block ×3, first 2 shown]
	v_fma_f32 v82, v84, v82, 1.0
	v_and_b32_e32 v84, 1, v83
	v_lshlrev_b32_e32 v83, 30, v83
	v_cmp_eq_u32_e64 s[12:13], 0, v84
	v_and_b32_e32 v83, 0x80000000, v83
	v_xor_b32_e32 v81, v81, v79
	v_cndmask_b32_e64 v82, v82, v85, s[12:13]
	v_xor_b32_e32 v81, v81, v83
	v_xor_b32_e32 v81, v81, v82
	v_mul_f32_e32 v81, v79, v81
	v_frexp_mant_f32_e64 v82, |v81|
	v_rcp_f32_e32 v82, v82
	v_frexp_exp_i32_f32_e32 v81, v81
	v_sub_u32_e32 v81, 2, v81
	v_mul_f32_e32 v82, 0x3f490fdb, v82
	v_ldexp_f32 v81, v82, v81
	v_cmp_gt_f32_e64 s[12:13], s41, v81
	v_cndmask_b32_e64 v82, 1.0, v66, s[12:13]
	v_mul_f32_e32 v81, v81, v82
	v_log_f32_e32 v81, v81
	v_mul_f32_e32 v82, 0x3f317217, v81
	v_fma_f32 v83, v81, s42, -v82
	v_fmac_f32_e32 v83, 0x3377d1cf, v81
	v_add_f32_e32 v82, v82, v83
	v_cmp_lt_f32_e64 s[14:15], |v81|, s43
	v_cndmask_b32_e64 v81, v81, v82, s[14:15]
	v_cndmask_b32_e64 v82, 0, v67, s[12:13]
	v_sub_f32_e32 v81, v81, v82
	v_sub_f32_e32 v80, v81, v80
	v_floor_f32_e32 v81, v79
	v_sub_f32_e32 v81, v79, v81
	v_min_f32_e32 v81, 0x3f7fffff, v81
	v_cmp_neq_f32_e64 s[12:13], 0, v81
	v_cndmask_b32_e64 v80, v69, v80, s[12:13]
.LBB10_280:                             ;   in Loop: Header=BB10_161 Depth=1
	s_or_b64 exec, exec, s[28:29]
.LBB10_281:                             ;   in Loop: Header=BB10_161 Depth=1
	s_andn2_saveexec_b64 s[16:17], s[16:17]
; %bb.282:                              ;   in Loop: Header=BB10_161 Depth=1
	v_cmp_eq_f16_e64 s[12:13], 1.0, v72
	v_cmp_eq_f16_e64 s[14:15], 2.0, v72
	s_or_b64 s[12:13], s[12:13], s[14:15]
	v_cndmask_b32_e64 v80, v80, 0, s[12:13]
; %bb.283:                              ;   in Loop: Header=BB10_161 Depth=1
	s_or_b64 exec, exec, s[16:17]
	v_cvt_f32_f16_e32 v81, v71
                                        ; implicit-def: $vgpr83
	v_and_b32_e32 v82, 0x7fffffff, v81
	v_cmp_nlt_f32_e64 s[12:13], |v81|, s38
	s_and_saveexec_b64 s[14:15], s[12:13]
	s_xor_b64 s[16:17], exec, s[14:15]
	s_cbranch_execz .LBB10_313
; %bb.284:                              ;   in Loop: Header=BB10_161 Depth=1
	v_cmp_nlt_f32_e64 s[12:13], |v81|, 2.0
                                        ; implicit-def: $vgpr83
	s_and_saveexec_b64 s[14:15], s[12:13]
	s_xor_b64 s[28:29], exec, s[14:15]
	s_cbranch_execz .LBB10_294
; %bb.285:                              ;   in Loop: Header=BB10_161 Depth=1
	v_cmp_nlt_f32_e64 s[12:13], |v81|, s39
                                        ; implicit-def: $vgpr83
	s_and_saveexec_b64 s[14:15], s[12:13]
	s_xor_b64 s[30:31], exec, s[14:15]
	s_cbranch_execz .LBB10_291
; %bb.286:                              ;   in Loop: Header=BB10_161 Depth=1
	v_cmp_nlt_f32_e64 s[12:13], |v81|, s40
                                        ; implicit-def: $vgpr83
	s_and_saveexec_b64 s[14:15], s[12:13]
	s_xor_b64 s[34:35], exec, s[14:15]
	s_cbranch_execz .LBB10_288
; %bb.287:                              ;   in Loop: Header=BB10_161 Depth=1
	v_cmp_lt_f32_e64 s[12:13], |v81|, s41
	v_cndmask_b32_e64 v83, 1.0, v66, s[12:13]
	v_mul_f32_e64 v83, |v81|, v83
	v_log_f32_e32 v83, v83
	v_mul_f32_e32 v84, 0x3f317217, v83
	v_fma_f32 v85, v83, s42, -v84
	v_fmac_f32_e32 v85, 0x3377d1cf, v83
	v_add_f32_e32 v84, v84, v85
	v_cmp_lt_f32_e64 s[14:15], |v83|, s43
	v_cndmask_b32_e64 v83, v83, v84, s[14:15]
	v_cndmask_b32_e64 v84, 0, v67, s[12:13]
	v_sub_f32_e32 v83, v83, v84
	v_fma_f32 v83, |v81|, v83, -|v81|
.LBB10_288:                             ;   in Loop: Header=BB10_161 Depth=1
	s_andn2_saveexec_b64 s[34:35], s[34:35]
	s_cbranch_execz .LBB10_290
; %bb.289:                              ;   in Loop: Header=BB10_161 Depth=1
	v_rcp_f32_e64 v83, |v81|
	v_cmp_lt_f32_e64 s[12:13], |v81|, s41
	v_cndmask_b32_e64 v85, 1.0, v66, s[12:13]
	v_mov_b32_e32 v84, 0x3a5b3dd2
	v_mul_f32_e32 v86, v83, v83
	v_mul_f32_e64 v85, |v81|, v85
	v_fmac_f32_e32 v84, 0xbad5c4e8, v86
	v_log_f32_e32 v85, v85
	v_fma_f32 v84, v86, v84, v23
	v_fma_f32 v84, v86, v84, v24
	;; [unrolled: 1-line block ×4, first 2 shown]
	v_mul_f32_e32 v86, 0x3f317217, v85
	v_fma_f32 v87, v85, s42, -v86
	v_fmac_f32_e32 v87, 0x3377d1cf, v85
	v_add_f32_e32 v86, v86, v87
	v_cmp_lt_f32_e64 s[14:15], |v85|, s43
	v_cndmask_b32_e64 v85, v85, v86, s[14:15]
	v_cndmask_b32_e64 v86, 0, v67, s[12:13]
	v_sub_f32_e32 v85, v85, v86
	v_fma_f32 v83, v83, v84, v27
	v_add_f32_e64 v84, |v81|, -0.5
	v_add_f32_e32 v85, -1.0, v85
	v_fmac_f32_e32 v83, v84, v85
.LBB10_290:                             ;   in Loop: Header=BB10_161 Depth=1
	s_or_b64 exec, exec, s[34:35]
.LBB10_291:                             ;   in Loop: Header=BB10_161 Depth=1
	s_andn2_saveexec_b64 s[30:31], s[30:31]
	s_cbranch_execz .LBB10_293
; %bb.292:                              ;   in Loop: Header=BB10_161 Depth=1
	v_cvt_i32_f32_e32 v83, v82
	v_mov_b32_e32 v85, 0x3af135b4
	v_mov_b32_e32 v86, 0x3a4beed6
	v_cvt_f32_i32_e32 v84, v83
	v_cmp_lt_i32_e64 s[12:13], 3, v83
	v_sub_f32_e64 v84, |v81|, v84
	v_fmac_f32_e32 v85, 0x3805ff67, v84
	v_fmac_f32_e32 v86, 0x36f5d7bd, v84
	v_fma_f32 v85, v84, v85, v28
	v_fma_f32 v86, v84, v86, v33
	;; [unrolled: 1-line block ×9, first 2 shown]
	v_fma_f32 v86, v84, v86, 1.0
	v_rcp_f32_e32 v88, v86
	v_pk_add_f32 v[86:87], v[84:85], s[26:27] op_sel_hi:[0,1]
	v_cndmask_b32_e64 v87, 1.0, v87, s[12:13]
	v_cmp_lt_i32_e64 s[12:13], 2, v83
	v_add_f32_e32 v89, 4.0, v84
	v_cndmask_b32_e64 v86, 1.0, v86, s[12:13]
	v_cmp_lt_i32_e64 s[12:13], 4, v83
	v_add_f32_e32 v90, 0x40a00000, v84
	v_mul_f32_e32 v86, v86, v87
	v_cndmask_b32_e64 v87, 1.0, v89, s[12:13]
	v_cmp_lt_i32_e64 s[12:13], 5, v83
	v_add_f32_e32 v91, 0x40c00000, v84
	v_mul_f32_e32 v86, v87, v86
	v_cndmask_b32_e64 v87, 1.0, v90, s[12:13]
	v_cmp_lt_i32_e64 s[12:13], 6, v83
	v_mul_f32_e32 v86, v87, v86
	v_cndmask_b32_e64 v83, 1.0, v91, s[12:13]
	v_mul_f32_e32 v83, v83, v86
	v_cmp_gt_f32_e64 s[12:13], s41, v83
	v_cndmask_b32_e64 v86, 1.0, v66, s[12:13]
	v_mul_f32_e32 v83, v83, v86
	v_log_f32_e32 v83, v83
	v_mul_f32_e32 v85, v84, v85
	v_mul_f32_e32 v85, v85, v88
	v_fmac_f32_e32 v85, 0.5, v84
	v_mul_f32_e32 v84, 0x3f317217, v83
	v_fma_f32 v86, v83, s42, -v84
	v_fmac_f32_e32 v86, 0x3377d1cf, v83
	v_add_f32_e32 v84, v84, v86
	v_cmp_lt_f32_e64 s[14:15], |v83|, s43
	v_cndmask_b32_e64 v83, v83, v84, s[14:15]
	v_cndmask_b32_e64 v84, 0, v67, s[12:13]
	v_sub_f32_e32 v83, v83, v84
	v_add_f32_e32 v83, v83, v85
.LBB10_293:                             ;   in Loop: Header=BB10_161 Depth=1
	s_or_b64 exec, exec, s[30:31]
.LBB10_294:                             ;   in Loop: Header=BB10_161 Depth=1
	s_andn2_saveexec_b64 s[14:15], s[28:29]
	s_cbranch_execz .LBB10_312
; %bb.295:                              ;   in Loop: Header=BB10_161 Depth=1
	v_cmp_le_f32_e64 s[12:13], |v81|, s44
                                        ; implicit-def: $vgpr83
                                        ; implicit-def: $vgpr85
                                        ; implicit-def: $vgpr84
	s_and_saveexec_b64 s[28:29], s[12:13]
	s_xor_b64 s[28:29], exec, s[28:29]
	s_cbranch_execz .LBB10_297
; %bb.296:                              ;   in Loop: Header=BB10_161 Depth=1
	v_cmp_lt_f32_e64 s[12:13], |v81|, s41
	v_cndmask_b32_e64 v83, 1.0, v66, s[12:13]
	v_mul_f32_e64 v83, |v81|, v83
	v_log_f32_e32 v83, v83
	v_cndmask_b32_e64 v84, 0, v67, s[12:13]
	v_mul_f32_e32 v85, 0x3f317217, v83
	v_fma_f32 v86, v83, s42, -v85
	v_fmac_f32_e32 v86, 0x3377d1cf, v83
	v_add_f32_e32 v85, v85, v86
	v_cmp_lt_f32_e64 s[12:13], |v83|, s43
	v_cndmask_b32_e64 v83, v83, v85, s[12:13]
	v_sub_f32_e32 v83, v83, v84
	v_sub_f32_e64 v84, 1.0, |v81|
	v_add_f32_e64 v85, |v81|, s46
	v_cmp_lt_f32_e64 s[12:13], |v81|, s45
	v_cndmask_b32_e64 v84, v84, v85, s[12:13]
	v_cndmask_b32_e64 v85, 0, 1, s[12:13]
	v_cmp_lt_f32_e64 s[12:13], |v81|, s47
	v_xor_b32_e32 v83, 0x80000000, v83
	v_cndmask_b32_e64 v84, v84, |v81|, s[12:13]
	v_cndmask_b32_e64 v85, v85, 2, s[12:13]
.LBB10_297:                             ;   in Loop: Header=BB10_161 Depth=1
	s_andn2_saveexec_b64 s[28:29], s[28:29]
; %bb.298:                              ;   in Loop: Header=BB10_161 Depth=1
	v_sub_f32_e64 v83, 2.0, |v81|
	v_add_f32_e64 v84, |v81|, s49
	v_cmp_lt_f32_e64 s[12:13], |v81|, s48
	v_cndmask_b32_e64 v84, v83, v84, s[12:13]
	v_cndmask_b32_e64 v83, v83, 1.0, s[12:13]
	v_cvt_i32_f32_e32 v83, v83
	v_add_f32_e64 v85, |v81|, -1.0
	v_cmp_lt_f32_e64 s[12:13], |v81|, s50
	v_cndmask_b32_e64 v84, v84, v85, s[12:13]
	v_cndmask_b32_e64 v85, v83, 2, s[12:13]
	v_mov_b32_e32 v83, 0
; %bb.299:                              ;   in Loop: Header=BB10_161 Depth=1
	s_or_b64 exec, exec, s[28:29]
	v_cmp_lt_i32_e64 s[12:13], 0, v85
	s_and_saveexec_b64 s[28:29], s[12:13]
	s_xor_b64 s[28:29], exec, s[28:29]
	s_cbranch_execz .LBB10_307
; %bb.300:                              ;   in Loop: Header=BB10_161 Depth=1
	v_cmp_lt_i32_e64 s[12:13], 1, v85
	s_and_saveexec_b64 s[30:31], s[12:13]
	s_xor_b64 s[30:31], exec, s[30:31]
	s_cbranch_execz .LBB10_304
; %bb.301:                              ;   in Loop: Header=BB10_161 Depth=1
	v_cmp_eq_u32_e64 s[12:13], 2, v85
	s_and_saveexec_b64 s[34:35], s[12:13]
	s_cbranch_execz .LBB10_303
; %bb.302:                              ;   in Loop: Header=BB10_161 Depth=1
	v_mov_b32_e32 v86, 0x3dd572af
	v_fmac_f32_e32 v86, 0x3b52d5db, v84
	v_fma_f32 v86, v84, v86, v40
	v_mov_b32_e32 v85, 0x3e6a7578
	v_fma_f32 v86, v84, v86, v41
	v_fmac_f32_e32 v85, 0x3c5b3c5e, v84
	v_fma_f32 v86, v84, v86, v42
	v_fma_f32 v85, v84, v85, v37
	v_fma_f32 v86, v84, v86, 1.0
	v_fma_f32 v85, v84, v85, v38
	v_rcp_f32_e32 v86, v86
	v_fma_f32 v85, v84, v85, v39
	v_fma_f32 v85, v84, v85, v32
	v_mul_f32_e32 v85, v84, v85
	v_mul_f32_e32 v85, v85, v86
	v_fmac_f32_e32 v85, -0.5, v84
	v_add_f32_e32 v83, v83, v85
.LBB10_303:                             ;   in Loop: Header=BB10_161 Depth=1
	s_or_b64 exec, exec, s[34:35]
                                        ; implicit-def: $vgpr84
.LBB10_304:                             ;   in Loop: Header=BB10_161 Depth=1
	s_andn2_saveexec_b64 s[12:13], s[30:31]
	s_cbranch_execz .LBB10_306
; %bb.305:                              ;   in Loop: Header=BB10_161 Depth=1
	v_mul_f32_e32 v85, v84, v84
	v_mul_f32_e32 v86, v84, v85
	v_mov_b32_e32 v88, 0x3a66f867
	v_mov_b32_e32 v89, 0xba0d3085
	v_fmac_f32_e32 v88, 0xb9a3f927, v86
	v_fmac_f32_e32 v89, 0x39afe9f7, v86
	v_mov_b32_e32 v87, 0xbab7f476
	v_fma_f32 v88, v86, v88, v46
	v_fma_f32 v89, v86, v89, v49
	v_fmac_f32_e32 v87, 0x39a57b6b, v86
	v_fma_f32 v88, v86, v88, v47
	v_fma_f32 v89, v86, v89, v50
	;; [unrolled: 1-line block ×6, first 2 shown]
	v_fmac_f32_e32 v88, v84, v89
	v_fma_f32 v87, v86, v87, v45
	v_fma_f32 v84, v86, -v88, s51
	v_fma_f32 v84, v85, v87, -v84
	v_add_f32_e32 v84, 0xbdf8cdce, v84
	v_add_f32_e32 v83, v83, v84
.LBB10_306:                             ;   in Loop: Header=BB10_161 Depth=1
	s_or_b64 exec, exec, s[12:13]
                                        ; implicit-def: $vgpr85
                                        ; implicit-def: $vgpr84
.LBB10_307:                             ;   in Loop: Header=BB10_161 Depth=1
	s_andn2_saveexec_b64 s[28:29], s[28:29]
	s_cbranch_execz .LBB10_311
; %bb.308:                              ;   in Loop: Header=BB10_161 Depth=1
	v_cmp_eq_u32_e64 s[12:13], 0, v85
	s_and_saveexec_b64 s[30:31], s[12:13]
	s_cbranch_execz .LBB10_310
; %bb.309:                              ;   in Loop: Header=BB10_161 Depth=1
	v_mul_f32_e32 v85, v84, v84
	v_mov_b32_e32 v87, 0x38e28445
	v_mov_b32_e32 v86, 0x39679767
	v_fmac_f32_e32 v87, 0x383c2c75, v85
	v_fmac_f32_e32 v86, 0x37d383a2, v85
	v_fma_f32 v87, v85, v87, v56
	v_fma_f32 v86, v85, v86, v52
	;; [unrolled: 1-line block ×8, first 2 shown]
	v_mul_f32_e32 v85, v85, v87
	v_fmac_f32_e32 v85, v84, v86
	v_fmac_f32_e32 v85, -0.5, v84
	v_add_f32_e32 v83, v83, v85
.LBB10_310:                             ;   in Loop: Header=BB10_161 Depth=1
	s_or_b64 exec, exec, s[30:31]
.LBB10_311:                             ;   in Loop: Header=BB10_161 Depth=1
	s_or_b64 exec, exec, s[28:29]
.LBB10_312:                             ;   in Loop: Header=BB10_161 Depth=1
	s_or_b64 exec, exec, s[14:15]
.LBB10_313:                             ;   in Loop: Header=BB10_161 Depth=1
	s_andn2_saveexec_b64 s[16:17], s[16:17]
	s_cbranch_execz .LBB10_315
; %bb.314:                              ;   in Loop: Header=BB10_161 Depth=1
	v_cmp_lt_f32_e64 s[12:13], |v81|, s41
	v_cndmask_b32_e64 v83, 1.0, v66, s[12:13]
	v_mul_f32_e64 v83, |v81|, v83
	v_log_f32_e32 v83, v83
	v_fma_f32 v84, |v81|, s52, v68
	v_fma_f32 v84, |v81|, v84, s53
	;; [unrolled: 1-line block ×3, first 2 shown]
	v_mul_f32_e32 v85, 0x3f317217, v83
	v_fma_f32 v86, v83, s42, -v85
	v_fmac_f32_e32 v86, 0x3377d1cf, v83
	v_add_f32_e32 v85, v85, v86
	v_cmp_lt_f32_e64 s[14:15], |v83|, s43
	v_cndmask_b32_e64 v83, v83, v85, s[14:15]
	v_cndmask_b32_e64 v85, 0, v67, s[12:13]
	v_sub_f32_e32 v83, v83, v85
	v_fma_f32 v83, |v81|, v84, -v83
.LBB10_315:                             ;   in Loop: Header=BB10_161 Depth=1
	s_or_b64 exec, exec, s[16:17]
	v_cmp_le_f16_e64 s[12:13], 0, v71
	v_cmp_nle_f16_e64 s[14:15], 0, v71
	s_and_saveexec_b64 s[16:17], s[14:15]
	s_xor_b64 s[28:29], exec, s[16:17]
	s_cbranch_execnz .LBB10_321
; %bb.316:                              ;   in Loop: Header=BB10_161 Depth=1
	s_andn2_saveexec_b64 s[28:29], s[28:29]
	s_cbranch_execnz .LBB10_324
.LBB10_317:                             ;   in Loop: Header=BB10_161 Depth=1
	s_or_b64 exec, exec, s[28:29]
	s_and_saveexec_b64 s[14:15], s[4:5]
	s_xor_b64 s[14:15], exec, s[14:15]
	s_cbranch_execnz .LBB10_325
.LBB10_318:                             ;   in Loop: Header=BB10_161 Depth=1
	s_or_b64 exec, exec, s[14:15]
	s_and_saveexec_b64 s[4:5], s[2:3]
	s_cbranch_execnz .LBB10_326
.LBB10_319:                             ;   in Loop: Header=BB10_161 Depth=1
	s_or_b64 exec, exec, s[4:5]
	s_and_saveexec_b64 s[2:3], s[0:1]
	s_cbranch_execnz .LBB10_327
.LBB10_320:                             ;   in Loop: Header=BB10_161 Depth=1
	s_or_b64 exec, exec, s[2:3]
	s_and_saveexec_b64 s[0:1], vcc
	s_cbranch_execz .LBB10_160
	s_branch .LBB10_328
.LBB10_321:                             ;   in Loop: Header=BB10_161 Depth=1
	v_cmp_lt_f32_e64 s[14:15], |v81|, s55
	v_cmp_gt_f32_e64 s[16:17], |v81|, s56
	s_and_b64 s[14:15], s[14:15], s[16:17]
	s_and_saveexec_b64 s[30:31], s[14:15]
	s_cbranch_execz .LBB10_323
; %bb.322:                              ;   in Loop: Header=BB10_161 Depth=1
	v_mul_f32_e64 v84, |v81|, 0.5
	v_floor_f32_e32 v85, v84
	v_sub_f32_e32 v85, v84, v85
	v_min_f32_e32 v85, 0x3f7fffff, v85
	v_add_f32_e32 v85, v85, v85
	v_cmp_neq_f32_e64 s[14:15], s43, v84
	v_cndmask_b32_e64 v84, 0, v85, s[14:15]
	v_cmp_gt_f32_e64 s[14:15], |v81|, 1.0
	v_cndmask_b32_e64 v84, |v81|, v84, s[14:15]
	v_add_f32_e32 v85, v84, v84
	v_rndne_f32_e32 v85, v85
	v_fmac_f32_e32 v84, -0.5, v85
	v_mul_f32_e32 v86, v84, v84
	v_mov_b32_e32 v87, 0xbf1f24be
	v_fmac_f32_e32 v87, 0x3e75aa41, v86
	v_fma_f32 v87, v86, v87, v60
	v_fma_f32 v87, v86, v87, v61
	v_mul_f32_e32 v88, v84, v86
	v_mul_f32_e32 v87, v88, v87
	v_fmac_f32_e32 v87, 0x40490fdb, v84
	v_mov_b32_e32 v84, 0x3e642e9d
	v_cvt_i32_f32_e32 v85, v85
	v_fmac_f32_e32 v84, 0x3d4be544, v86
	v_fma_f32 v84, v86, v84, v62
	v_fma_f32 v84, v86, v84, v63
	;; [unrolled: 1-line block ×3, first 2 shown]
	v_fma_f32 v84, v86, v84, 1.0
	v_and_b32_e32 v86, 1, v85
	v_lshlrev_b32_e32 v85, 30, v85
	v_cmp_eq_u32_e64 s[14:15], 0, v86
	v_and_b32_e32 v85, 0x80000000, v85
	v_xor_b32_e32 v82, v82, v81
	v_cndmask_b32_e64 v84, v84, v87, s[14:15]
	v_xor_b32_e32 v82, v82, v85
	v_xor_b32_e32 v82, v82, v84
	v_mul_f32_e32 v82, v81, v82
	v_frexp_mant_f32_e64 v84, |v82|
	v_rcp_f32_e32 v84, v84
	v_frexp_exp_i32_f32_e32 v82, v82
	v_sub_u32_e32 v82, 2, v82
	v_mul_f32_e32 v84, 0x3f490fdb, v84
	v_ldexp_f32 v82, v84, v82
	v_cmp_gt_f32_e64 s[14:15], s41, v82
	v_cndmask_b32_e64 v84, 1.0, v66, s[14:15]
	v_mul_f32_e32 v82, v82, v84
	v_log_f32_e32 v82, v82
	v_mul_f32_e32 v84, 0x3f317217, v82
	v_fma_f32 v85, v82, s42, -v84
	v_fmac_f32_e32 v85, 0x3377d1cf, v82
	v_add_f32_e32 v84, v84, v85
	v_cmp_lt_f32_e64 s[16:17], |v82|, s43
	v_cndmask_b32_e64 v82, v82, v84, s[16:17]
	v_cndmask_b32_e64 v84, 0, v67, s[14:15]
	v_sub_f32_e32 v82, v82, v84
	v_sub_f32_e32 v82, v82, v83
	v_floor_f32_e32 v83, v81
	v_sub_f32_e32 v83, v81, v83
	v_min_f32_e32 v83, 0x3f7fffff, v83
	v_cmp_neq_f32_e64 s[14:15], 0, v83
	v_cndmask_b32_e64 v83, v69, v82, s[14:15]
.LBB10_323:                             ;   in Loop: Header=BB10_161 Depth=1
	s_or_b64 exec, exec, s[30:31]
	s_andn2_saveexec_b64 s[28:29], s[28:29]
	s_cbranch_execz .LBB10_317
.LBB10_324:                             ;   in Loop: Header=BB10_161 Depth=1
	v_cmp_eq_f16_e64 s[14:15], 1.0, v71
	v_cmp_eq_f16_e64 s[16:17], 2.0, v71
	s_or_b64 s[14:15], s[14:15], s[16:17]
	v_cndmask_b32_e64 v83, v83, 0, s[14:15]
	s_or_b64 exec, exec, s[28:29]
	s_and_saveexec_b64 s[14:15], s[4:5]
	s_xor_b64 s[14:15], exec, s[14:15]
	s_cbranch_execz .LBB10_318
.LBB10_325:                             ;   in Loop: Header=BB10_161 Depth=1
	v_cvt_f16_f32_e32 v76, v76
	v_cmp_lt_f32_e64 s[16:17], |v75|, s55
	s_or_b64 s[6:7], s[6:7], s[16:17]
	v_cmp_class_f32_e64 s[4:5], v75, v65
	v_cndmask_b32_e64 v75, v70, v76, s[6:7]
	v_cndmask_b32_e64 v75, v75, v70, s[4:5]
	v_cmp_u_f16_e64 s[4:5], v74, v74
	v_cndmask_b32_e64 v76, v75, v74, s[4:5]
	v_mov_b32_e32 v75, s19
	v_add_co_u32_e64 v74, s[4:5], s18, v4
	v_addc_co_u32_e64 v75, s[4:5], v3, v75, s[4:5]
	global_store_short v[74:75], v76, off
	s_or_b64 exec, exec, s[14:15]
	s_and_saveexec_b64 s[4:5], s[2:3]
	s_cbranch_execz .LBB10_319
.LBB10_326:                             ;   in Loop: Header=BB10_161 Depth=1
	v_cvt_f16_f32_e32 v74, v78
	v_cmp_lt_f32_e64 s[2:3], |v77|, s55
	s_or_b64 s[2:3], s[8:9], s[2:3]
	v_mov_b32_e32 v75, s19
	v_cndmask_b32_e64 v74, v70, v74, s[2:3]
	v_cmp_class_f32_e64 s[2:3], v77, v65
	v_cndmask_b32_e64 v74, v74, v70, s[2:3]
	v_cmp_u_f16_e64 s[2:3], v73, v73
	v_cndmask_b32_e64 v73, v74, v73, s[2:3]
	v_add_co_u32_e64 v74, s[2:3], s18, v16
	v_addc_co_u32_e64 v75, s[2:3], v15, v75, s[2:3]
	global_store_short v[74:75], v73, off
	s_or_b64 exec, exec, s[4:5]
	s_and_saveexec_b64 s[2:3], s[0:1]
	s_cbranch_execz .LBB10_320
.LBB10_327:                             ;   in Loop: Header=BB10_161 Depth=1
	v_cvt_f16_f32_e32 v73, v80
	v_cmp_lt_f32_e64 s[0:1], |v79|, s55
	s_or_b64 s[0:1], s[10:11], s[0:1]
	v_cndmask_b32_e64 v73, v70, v73, s[0:1]
	v_cmp_class_f32_e64 s[0:1], v79, v65
	v_cndmask_b32_e64 v73, v73, v70, s[0:1]
	v_cmp_u_f16_e64 s[0:1], v72, v72
	v_cndmask_b32_e64 v74, v73, v72, s[0:1]
	v_mov_b32_e32 v73, s19
	v_add_co_u32_e64 v72, s[0:1], s18, v12
	v_addc_co_u32_e64 v73, s[0:1], v11, v73, s[0:1]
	global_store_short v[72:73], v74, off
	s_or_b64 exec, exec, s[2:3]
	s_and_saveexec_b64 s[0:1], vcc
	s_cbranch_execz .LBB10_160
.LBB10_328:                             ;   in Loop: Header=BB10_161 Depth=1
	v_cvt_f16_f32_e32 v72, v83
	v_cmp_lt_f32_e64 s[2:3], |v81|, s55
	s_or_b64 vcc, s[12:13], s[2:3]
	v_mov_b32_e32 v73, s19
	v_cndmask_b32_e32 v72, v70, v72, vcc
	v_cmp_class_f32_e32 vcc, v81, v65
	v_cndmask_b32_e32 v72, v72, v70, vcc
	v_cmp_u_f16_e32 vcc, v71, v71
	v_cndmask_b32_e32 v71, v72, v71, vcc
	v_add_co_u32_e32 v72, vcc, s18, v8
	v_addc_co_u32_e32 v73, vcc, v7, v73, vcc
	global_store_short v[72:73], v71, off
	s_branch .LBB10_160
.LBB10_329:
	s_endpgm
	.section	.rodata,"a",@progbits
	.p2align	6, 0x0
	.amdhsa_kernel _ZN2at6native12_GLOBAL__N_125multi_tensor_apply_kernelINS1_18TensorListMetadataILi2EEENS1_14UnaryOpFunctorIN3c104HalfELi2ELi1ELi1EEEJNS0_6LgammaIfEEEEEvT_T0_DpT1_
		.amdhsa_group_segment_fixed_size 0
		.amdhsa_private_segment_fixed_size 0
		.amdhsa_kernarg_size 3408
		.amdhsa_user_sgpr_count 6
		.amdhsa_user_sgpr_private_segment_buffer 1
		.amdhsa_user_sgpr_dispatch_ptr 0
		.amdhsa_user_sgpr_queue_ptr 0
		.amdhsa_user_sgpr_kernarg_segment_ptr 1
		.amdhsa_user_sgpr_dispatch_id 0
		.amdhsa_user_sgpr_flat_scratch_init 0
		.amdhsa_user_sgpr_kernarg_preload_length 0
		.amdhsa_user_sgpr_kernarg_preload_offset 0
		.amdhsa_user_sgpr_private_segment_size 0
		.amdhsa_uses_dynamic_stack 0
		.amdhsa_system_sgpr_private_segment_wavefront_offset 0
		.amdhsa_system_sgpr_workgroup_id_x 1
		.amdhsa_system_sgpr_workgroup_id_y 0
		.amdhsa_system_sgpr_workgroup_id_z 0
		.amdhsa_system_sgpr_workgroup_info 0
		.amdhsa_system_vgpr_workitem_id 0
		.amdhsa_next_free_vgpr 92
		.amdhsa_next_free_sgpr 62
		.amdhsa_accum_offset 92
		.amdhsa_reserve_vcc 1
		.amdhsa_reserve_flat_scratch 0
		.amdhsa_float_round_mode_32 0
		.amdhsa_float_round_mode_16_64 0
		.amdhsa_float_denorm_mode_32 3
		.amdhsa_float_denorm_mode_16_64 3
		.amdhsa_dx10_clamp 1
		.amdhsa_ieee_mode 1
		.amdhsa_fp16_overflow 0
		.amdhsa_tg_split 0
		.amdhsa_exception_fp_ieee_invalid_op 0
		.amdhsa_exception_fp_denorm_src 0
		.amdhsa_exception_fp_ieee_div_zero 0
		.amdhsa_exception_fp_ieee_overflow 0
		.amdhsa_exception_fp_ieee_underflow 0
		.amdhsa_exception_fp_ieee_inexact 0
		.amdhsa_exception_int_div_zero 0
	.end_amdhsa_kernel
	.section	.text._ZN2at6native12_GLOBAL__N_125multi_tensor_apply_kernelINS1_18TensorListMetadataILi2EEENS1_14UnaryOpFunctorIN3c104HalfELi2ELi1ELi1EEEJNS0_6LgammaIfEEEEEvT_T0_DpT1_,"axG",@progbits,_ZN2at6native12_GLOBAL__N_125multi_tensor_apply_kernelINS1_18TensorListMetadataILi2EEENS1_14UnaryOpFunctorIN3c104HalfELi2ELi1ELi1EEEJNS0_6LgammaIfEEEEEvT_T0_DpT1_,comdat
.Lfunc_end10:
	.size	_ZN2at6native12_GLOBAL__N_125multi_tensor_apply_kernelINS1_18TensorListMetadataILi2EEENS1_14UnaryOpFunctorIN3c104HalfELi2ELi1ELi1EEEJNS0_6LgammaIfEEEEEvT_T0_DpT1_, .Lfunc_end10-_ZN2at6native12_GLOBAL__N_125multi_tensor_apply_kernelINS1_18TensorListMetadataILi2EEENS1_14UnaryOpFunctorIN3c104HalfELi2ELi1ELi1EEEJNS0_6LgammaIfEEEEEvT_T0_DpT1_
                                        ; -- End function
	.section	.AMDGPU.csdata,"",@progbits
; Kernel info:
; codeLenInByte = 19388
; NumSgprs: 66
; NumVgprs: 92
; NumAgprs: 0
; TotalNumVgprs: 92
; ScratchSize: 0
; MemoryBound: 0
; FloatMode: 240
; IeeeMode: 1
; LDSByteSize: 0 bytes/workgroup (compile time only)
; SGPRBlocks: 8
; VGPRBlocks: 11
; NumSGPRsForWavesPerEU: 66
; NumVGPRsForWavesPerEU: 92
; AccumOffset: 92
; Occupancy: 5
; WaveLimiterHint : 0
; COMPUTE_PGM_RSRC2:SCRATCH_EN: 0
; COMPUTE_PGM_RSRC2:USER_SGPR: 6
; COMPUTE_PGM_RSRC2:TRAP_HANDLER: 0
; COMPUTE_PGM_RSRC2:TGID_X_EN: 1
; COMPUTE_PGM_RSRC2:TGID_Y_EN: 0
; COMPUTE_PGM_RSRC2:TGID_Z_EN: 0
; COMPUTE_PGM_RSRC2:TIDIG_COMP_CNT: 0
; COMPUTE_PGM_RSRC3_GFX90A:ACCUM_OFFSET: 22
; COMPUTE_PGM_RSRC3_GFX90A:TG_SPLIT: 0
	.section	.text._ZN2at6native12_GLOBAL__N_125multi_tensor_apply_kernelINS1_18TensorListMetadataILi2EEENS1_14UnaryOpFunctorIN3c108BFloat16ELi2ELi1ELi1EEEJNS0_6LgammaIfEEEEEvT_T0_DpT1_,"axG",@progbits,_ZN2at6native12_GLOBAL__N_125multi_tensor_apply_kernelINS1_18TensorListMetadataILi2EEENS1_14UnaryOpFunctorIN3c108BFloat16ELi2ELi1ELi1EEEJNS0_6LgammaIfEEEEEvT_T0_DpT1_,comdat
	.globl	_ZN2at6native12_GLOBAL__N_125multi_tensor_apply_kernelINS1_18TensorListMetadataILi2EEENS1_14UnaryOpFunctorIN3c108BFloat16ELi2ELi1ELi1EEEJNS0_6LgammaIfEEEEEvT_T0_DpT1_ ; -- Begin function _ZN2at6native12_GLOBAL__N_125multi_tensor_apply_kernelINS1_18TensorListMetadataILi2EEENS1_14UnaryOpFunctorIN3c108BFloat16ELi2ELi1ELi1EEEJNS0_6LgammaIfEEEEEvT_T0_DpT1_
	.p2align	8
	.type	_ZN2at6native12_GLOBAL__N_125multi_tensor_apply_kernelINS1_18TensorListMetadataILi2EEENS1_14UnaryOpFunctorIN3c108BFloat16ELi2ELi1ELi1EEEJNS0_6LgammaIfEEEEEvT_T0_DpT1_,@function
_ZN2at6native12_GLOBAL__N_125multi_tensor_apply_kernelINS1_18TensorListMetadataILi2EEENS1_14UnaryOpFunctorIN3c108BFloat16ELi2ELi1ELi1EEEJNS0_6LgammaIfEEEEEvT_T0_DpT1_: ; @_ZN2at6native12_GLOBAL__N_125multi_tensor_apply_kernelINS1_18TensorListMetadataILi2EEENS1_14UnaryOpFunctorIN3c108BFloat16ELi2ELi1ELi1EEEJNS0_6LgammaIfEEEEEvT_T0_DpT1_
; %bb.0:
	v_mov_b32_e32 v1, s6
	global_load_ubyte v1, v1, s[4:5] offset:1536
	s_add_u32 s0, s4, s6
	s_mul_hi_u32 s3, s6, 3
	s_mul_i32 s6, s6, 3
	s_addc_u32 s7, s5, 0
	s_add_u32 s2, s0, s6
	s_addc_u32 s3, s7, s3
	s_mov_b32 s17, 0
	s_mov_b32 s1, s17
	s_waitcnt vmcnt(0)
	v_readfirstlane_b32 s0, v1
	s_lshl_b32 s0, s0, 3
	s_load_dword s6, s[2:3], 0x740
	s_load_dwordx2 s[14:15], s[4:5], s0 offset:0x0
	s_load_dwordx2 s[8:9], s[4:5], s0 offset:0x400
	;; [unrolled: 1-line block ×3, first 2 shown]
	s_mov_b32 s3, s17
	s_waitcnt lgkmcnt(0)
	s_ashr_i32 s7, s6, 31
	s_and_b32 s16, s14, 7
	s_and_b32 s2, s8, 3
	;; [unrolled: 1-line block ×3, first 2 shown]
	s_or_b64 s[2:3], s[16:17], s[2:3]
	s_lshl_b64 s[18:19], s[6:7], 17
	s_or_b64 s[0:1], s[0:1], s[2:3]
	s_lshl_b64 s[2:3], s[6:7], 16
	s_sub_u32 s20, s8, s2
	s_subb_u32 s21, s9, s3
	s_cmp_eq_u64 s[0:1], 0
	s_mov_b64 s[0:1], -1
	s_cbranch_scc0 .LBB11_157
; %bb.1:
	v_mov_b32_e32 v3, 0
	v_lshlrev_b32_e32 v2, 2, v0
	v_cmp_gt_i64_e32 vcc, s[20:21], v[2:3]
	s_and_saveexec_b64 s[22:23], vcc
	s_cbranch_execz .LBB11_156
; %bb.2:
	s_load_dword s0, s[4:5], 0xc5c
	v_lshlrev_b32_e32 v1, 3, v0
	v_mov_b32_e32 v2, s19
	v_add_co_u32_e32 v4, vcc, s18, v1
	s_waitcnt lgkmcnt(0)
	s_and_b32 s0, s0, 0xffff
	s_mov_b32 s26, 2.0
	v_addc_co_u32_e32 v1, vcc, 0, v2, vcc
	s_lshl_b32 s16, s0, 3
	v_add_lshl_u32 v2, v0, s0, 2
	s_lshl_b32 s33, s0, 2
	s_mov_b32 s38, s17
	s_mov_b64 s[24:25], 0
	v_mov_b32_e32 v5, s15
	s_mov_b32 s39, 0x3c800000
	s_mov_b32 s27, 0x40400000
	;; [unrolled: 1-line block ×7, first 2 shown]
	v_mov_b32_e32 v8, 0xba1c065c
	v_mov_b32_e32 v9, 0x3a500cfd
	;; [unrolled: 1-line block ×14, first 2 shown]
	s_mov_b32 s45, 0x3f666666
	s_brev_b32 s46, 1
	s_mov_b32 s47, 0x3f3b4a23
	s_mov_b32 s48, 0xbeec5b0c
	;; [unrolled: 1-line block ×6, first 2 shown]
	v_mov_b32_e32 v22, 0x3f7a4bb2
	v_mov_b32_e32 v23, 0x3fba3ae7
	;; [unrolled: 1-line block ×15, first 2 shown]
	s_mov_b32 s53, 0xa2863e55
	v_mov_b32_e32 v37, 0x3a9c54a1
	v_mov_b32_e32 v38, 0x3bf2027e
	;; [unrolled: 1-line block ×8, first 2 shown]
	s_mov_b32 s54, 0x3e8a8991
	s_mov_b32 s55, 0x3f528d33
	;; [unrolled: 1-line block ×5, first 2 shown]
	v_mov_b32_e32 v45, 0x40234736
	v_mov_b32_e32 v46, 0xc0a55e0e
	;; [unrolled: 1-line block ×6, first 2 shown]
	s_movk_i32 s59, 0x7fff
	s_mov_b64 s[28:29], 0xffff
	v_mov_b32_e32 v51, 0x4f800000
	v_mov_b32_e32 v52, 0x41b17218
	v_mov_b32_e32 v53, 0xbecd26ab
	v_mov_b32_e32 v54, 0x7f800000
	v_mov_b32_e32 v55, 0x7fc00000
	v_mov_b32_e32 v56, 0x7fc0
	s_branch .LBB11_4
.LBB11_3:                               ;   in Loop: Header=BB11_4 Depth=1
	s_or_b64 exec, exec, s[30:31]
	v_cmp_lt_f32_e64 s[8:9], |v6|, s57
	s_or_b64 s[2:3], s[2:3], s[8:9]
	v_cndmask_b32_e64 v61, v54, v61, s[2:3]
	v_cmp_class_f32_e64 s[2:3], v6, v50
	v_cndmask_b32_e64 v61, v61, v54, s[2:3]
	v_cmp_u_f32_e64 s[2:3], v6, v6
	v_cndmask_b32_e64 v61, v61, v6, s[2:3]
	v_bfe_u32 v6, v61, 16, 1
	v_cmp_lt_f32_e64 s[2:3], |v59|, s57
	v_add3_u32 v6, v61, v6, s59
	s_or_b64 s[0:1], s[0:1], s[2:3]
	v_lshrrev_b32_e32 v62, 16, v6
	v_cndmask_b32_e64 v6, v54, v60, s[0:1]
	v_cmp_class_f32_e64 s[0:1], v59, v50
	v_cndmask_b32_e64 v6, v6, v54, s[0:1]
	v_cmp_u_f32_e64 s[0:1], v59, v59
	v_cndmask_b32_e64 v59, v6, v59, s[0:1]
	v_bfe_u32 v6, v59, 16, 1
	v_cmp_lt_f32_e64 s[0:1], |v57|, s57
	v_add3_u32 v6, v59, v6, s59
	s_or_b64 vcc, vcc, s[0:1]
	v_and_b32_e32 v60, 0xffff0000, v6
	v_cndmask_b32_e32 v6, v54, v58, vcc
	v_cmp_class_f32_e32 vcc, v57, v50
	v_cndmask_b32_e32 v6, v6, v54, vcc
	v_cmp_u_f32_e32 vcc, v57, v57
	v_cndmask_b32_e32 v57, v6, v57, vcc
	v_bfe_u32 v6, v57, 16, 1
	v_cmp_lt_f32_e64 s[0:1], |v7|, s57
	v_add3_u32 v6, v57, v6, s59
	s_or_b64 vcc, s[6:7], s[0:1]
	v_lshrrev_b32_e32 v58, 16, v6
	v_cndmask_b32_e32 v6, v54, v63, vcc
	v_cmp_class_f32_e32 vcc, v7, v50
	v_cndmask_b32_e32 v6, v6, v54, vcc
	v_cmp_u_f32_e32 vcc, v7, v7
	v_cndmask_b32_e32 v63, v6, v7, vcc
	v_bfe_u32 v6, v63, 16, 1
	v_add3_u32 v64, v63, v6, s59
	v_mov_b32_e32 v7, s13
	v_add_co_u32_e32 v6, vcc, s12, v4
	v_addc_co_u32_e32 v7, vcc, v7, v1, vcc
	v_and_b32_e32 v64, 0xffff0000, v64
	v_cmp_o_f32_e32 vcc, v63, v63
	v_cndmask_b32_e32 v63, v55, v64, vcc
	v_cmp_o_f32_e32 vcc, v61, v61
	v_cndmask_b32_e32 v61, v56, v62, vcc
	;; [unrolled: 2-line block ×4, first 2 shown]
	v_or_b32_e32 v57, v59, v57
	v_or3_b32 v59, 0, v61, v63
	v_or3_b32 v58, v57, 0, 0
	v_cmp_le_i64_e32 vcc, s[20:21], v[2:3]
	v_cmp_lt_u64_e64 s[0:1], s[28:29], v[2:3]
	global_store_dwordx2 v[6:7], v[58:59], off
	s_or_b64 s[0:1], vcc, s[0:1]
	v_mov_b32_e32 v6, s17
	v_add_co_u32_e32 v4, vcc, s16, v4
	v_addc_co_u32_e32 v1, vcc, v1, v6, vcc
	v_mov_b32_e32 v6, s38
	s_and_b64 s[0:1], exec, s[0:1]
	v_add_co_u32_e32 v2, vcc, s33, v2
	s_or_b64 s[24:25], s[0:1], s[24:25]
	v_addc_co_u32_e32 v3, vcc, v3, v6, vcc
	s_andn2_b64 exec, exec, s[24:25]
	s_cbranch_execz .LBB11_156
.LBB11_4:                               ; =>This Inner Loop Header: Depth=1
	v_add_co_u32_e32 v6, vcc, s14, v4
	v_addc_co_u32_e32 v7, vcc, v5, v1, vcc
	global_load_dwordx2 v[6:7], v[6:7], off
                                        ; implicit-def: $vgpr58
	s_waitcnt vmcnt(0)
	v_lshlrev_b32_e32 v57, 16, v6
	v_and_b32_e32 v59, 0x7fffffff, v57
	v_cmp_nlt_f32_e64 s[0:1], |v57|, s39
	s_and_saveexec_b64 s[2:3], s[0:1]
	s_xor_b64 s[2:3], exec, s[2:3]
	s_cbranch_execz .LBB11_34
; %bb.5:                                ;   in Loop: Header=BB11_4 Depth=1
	v_cmp_nlt_f32_e64 s[0:1], |v57|, 2.0
                                        ; implicit-def: $vgpr58
	s_and_saveexec_b64 s[6:7], s[0:1]
	s_xor_b64 s[6:7], exec, s[6:7]
	s_cbranch_execz .LBB11_15
; %bb.6:                                ;   in Loop: Header=BB11_4 Depth=1
	v_cmp_nlt_f32_e64 s[0:1], |v57|, s40
                                        ; implicit-def: $vgpr58
	s_and_saveexec_b64 s[8:9], s[0:1]
	s_xor_b64 s[8:9], exec, s[8:9]
	s_cbranch_execz .LBB11_12
; %bb.7:                                ;   in Loop: Header=BB11_4 Depth=1
	v_cmp_nlt_f32_e64 s[0:1], |v57|, s41
                                        ; implicit-def: $vgpr58
	s_and_saveexec_b64 s[10:11], s[0:1]
	s_xor_b64 s[10:11], exec, s[10:11]
	s_cbranch_execz .LBB11_9
; %bb.8:                                ;   in Loop: Header=BB11_4 Depth=1
	v_cmp_lt_f32_e64 vcc, |v57|, s42
	v_cndmask_b32_e32 v58, 1.0, v51, vcc
	v_mul_f32_e64 v58, |v57|, v58
	v_log_f32_e32 v58, v58
	v_mul_f32_e32 v60, 0x3f317217, v58
	v_fma_f32 v61, v58, s43, -v60
	v_fmac_f32_e32 v61, 0x3377d1cf, v58
	v_add_f32_e32 v60, v60, v61
	v_cmp_lt_f32_e64 s[0:1], |v58|, s44
	v_cndmask_b32_e64 v58, v58, v60, s[0:1]
	v_cndmask_b32_e32 v60, 0, v52, vcc
	v_sub_f32_e32 v58, v58, v60
	v_fma_f32 v58, |v57|, v58, -|v57|
.LBB11_9:                               ;   in Loop: Header=BB11_4 Depth=1
	s_andn2_saveexec_b64 s[10:11], s[10:11]
	s_cbranch_execz .LBB11_11
; %bb.10:                               ;   in Loop: Header=BB11_4 Depth=1
	v_rcp_f32_e64 v58, |v57|
	v_cmp_lt_f32_e64 vcc, |v57|, s42
	v_cndmask_b32_e32 v61, 1.0, v51, vcc
	v_mov_b32_e32 v60, 0x3a5b3dd2
	v_mul_f32_e32 v62, v58, v58
	v_mul_f32_e64 v61, |v57|, v61
	v_fmac_f32_e32 v60, 0xbad5c4e8, v62
	v_log_f32_e32 v61, v61
	v_fma_f32 v60, v62, v60, v8
	v_fma_f32 v60, v62, v60, v9
	;; [unrolled: 1-line block ×4, first 2 shown]
	v_mul_f32_e32 v62, 0x3f317217, v61
	v_fma_f32 v63, v61, s43, -v62
	v_fmac_f32_e32 v63, 0x3377d1cf, v61
	v_add_f32_e32 v62, v62, v63
	v_cmp_lt_f32_e64 s[0:1], |v61|, s44
	v_cndmask_b32_e64 v61, v61, v62, s[0:1]
	v_cndmask_b32_e32 v62, 0, v52, vcc
	v_sub_f32_e32 v61, v61, v62
	v_fma_f32 v58, v58, v60, v12
	v_add_f32_e64 v60, |v57|, -0.5
	v_add_f32_e32 v61, -1.0, v61
	v_fmac_f32_e32 v58, v60, v61
.LBB11_11:                              ;   in Loop: Header=BB11_4 Depth=1
	s_or_b64 exec, exec, s[10:11]
.LBB11_12:                              ;   in Loop: Header=BB11_4 Depth=1
	s_andn2_saveexec_b64 s[8:9], s[8:9]
	s_cbranch_execz .LBB11_14
; %bb.13:                               ;   in Loop: Header=BB11_4 Depth=1
	v_cvt_i32_f32_e32 v62, v59
	v_mov_b32_e32 v60, 0x3af135b4
	v_mov_b32_e32 v61, 0x3a4beed6
	v_cvt_f32_i32_e32 v58, v62
	v_cmp_lt_i32_e32 vcc, 3, v62
	v_sub_f32_e64 v58, |v57|, v58
	v_fmac_f32_e32 v60, 0x3805ff67, v58
	v_fmac_f32_e32 v61, 0x36f5d7bd, v58
	v_fma_f32 v60, v58, v60, v13
	v_fma_f32 v61, v58, v61, v18
	;; [unrolled: 1-line block ×9, first 2 shown]
	v_fma_f32 v60, v58, v60, 1.0
	v_rcp_f32_e32 v64, v60
	v_pk_add_f32 v[60:61], v[58:59], s[26:27] op_sel_hi:[0,1]
	v_cndmask_b32_e32 v61, 1.0, v61, vcc
	v_cmp_lt_i32_e32 vcc, 2, v62
	v_add_f32_e32 v65, 4.0, v58
	v_cndmask_b32_e32 v60, 1.0, v60, vcc
	v_cmp_lt_i32_e32 vcc, 4, v62
	v_add_f32_e32 v66, 0x40a00000, v58
	v_mul_f32_e32 v60, v60, v61
	v_cndmask_b32_e32 v61, 1.0, v65, vcc
	v_cmp_lt_i32_e32 vcc, 5, v62
	v_add_f32_e32 v67, 0x40c00000, v58
	v_mul_f32_e32 v60, v61, v60
	v_cndmask_b32_e32 v61, 1.0, v66, vcc
	v_cmp_lt_i32_e32 vcc, 6, v62
	v_mul_f32_e32 v60, v61, v60
	v_cndmask_b32_e32 v61, 1.0, v67, vcc
	v_mul_f32_e32 v60, v61, v60
	v_cmp_gt_f32_e32 vcc, s42, v60
	v_cndmask_b32_e32 v61, 1.0, v51, vcc
	v_mul_f32_e32 v60, v60, v61
	v_log_f32_e32 v60, v60
	v_mul_f32_e32 v61, v58, v63
	v_mul_f32_e32 v61, v61, v64
	v_fmac_f32_e32 v61, 0.5, v58
	v_mul_f32_e32 v58, 0x3f317217, v60
	v_fma_f32 v62, v60, s43, -v58
	v_fmac_f32_e32 v62, 0x3377d1cf, v60
	v_add_f32_e32 v58, v58, v62
	v_cmp_lt_f32_e64 s[0:1], |v60|, s44
	v_cndmask_b32_e64 v58, v60, v58, s[0:1]
	v_cndmask_b32_e32 v60, 0, v52, vcc
	v_sub_f32_e32 v58, v58, v60
	v_add_f32_e32 v58, v58, v61
.LBB11_14:                              ;   in Loop: Header=BB11_4 Depth=1
	s_or_b64 exec, exec, s[8:9]
.LBB11_15:                              ;   in Loop: Header=BB11_4 Depth=1
	s_andn2_saveexec_b64 s[0:1], s[6:7]
	s_cbranch_execz .LBB11_33
; %bb.16:                               ;   in Loop: Header=BB11_4 Depth=1
	v_cmp_le_f32_e64 s[6:7], |v57|, s45
                                        ; implicit-def: $vgpr58
                                        ; implicit-def: $vgpr61
                                        ; implicit-def: $vgpr60
	s_and_saveexec_b64 s[8:9], s[6:7]
	s_xor_b64 s[6:7], exec, s[8:9]
	s_cbranch_execz .LBB11_18
; %bb.17:                               ;   in Loop: Header=BB11_4 Depth=1
	v_cmp_lt_f32_e64 vcc, |v57|, s42
	v_cndmask_b32_e32 v58, 1.0, v51, vcc
	v_mul_f32_e64 v58, |v57|, v58
	v_log_f32_e32 v58, v58
	v_cndmask_b32_e32 v60, 0, v52, vcc
	v_cmp_lt_f32_e64 s[8:9], |v57|, s49
	v_mul_f32_e32 v61, 0x3f317217, v58
	v_fma_f32 v62, v58, s43, -v61
	v_fmac_f32_e32 v62, 0x3377d1cf, v58
	v_add_f32_e32 v61, v61, v62
	v_cmp_lt_f32_e64 vcc, |v58|, s44
	v_cndmask_b32_e32 v58, v58, v61, vcc
	v_sub_f32_e32 v58, v58, v60
	v_sub_f32_e64 v60, 1.0, |v57|
	v_add_f32_e64 v61, |v57|, s48
	v_cmp_lt_f32_e64 vcc, |v57|, s47
	v_cndmask_b32_e32 v60, v60, v61, vcc
	v_cndmask_b32_e64 v61, 0, 1, vcc
	v_xor_b32_e32 v58, 0x80000000, v58
	v_cndmask_b32_e64 v60, v60, |v57|, s[8:9]
	v_cndmask_b32_e64 v61, v61, 2, s[8:9]
.LBB11_18:                              ;   in Loop: Header=BB11_4 Depth=1
	s_andn2_saveexec_b64 s[6:7], s[6:7]
; %bb.19:                               ;   in Loop: Header=BB11_4 Depth=1
	v_sub_f32_e64 v58, 2.0, |v57|
	v_add_f32_e64 v60, |v57|, s51
	v_cmp_lt_f32_e64 vcc, |v57|, s50
	v_cndmask_b32_e32 v60, v58, v60, vcc
	v_cndmask_b32_e64 v58, v58, 1.0, vcc
	v_cvt_i32_f32_e32 v58, v58
	v_add_f32_e64 v61, |v57|, -1.0
	v_cmp_lt_f32_e64 vcc, |v57|, s52
	v_cndmask_b32_e32 v60, v60, v61, vcc
	v_cndmask_b32_e64 v61, v58, 2, vcc
	v_mov_b32_e32 v58, 0
; %bb.20:                               ;   in Loop: Header=BB11_4 Depth=1
	s_or_b64 exec, exec, s[6:7]
	v_cmp_lt_i32_e32 vcc, 0, v61
	s_and_saveexec_b64 s[6:7], vcc
	s_xor_b64 s[6:7], exec, s[6:7]
	s_cbranch_execz .LBB11_28
; %bb.21:                               ;   in Loop: Header=BB11_4 Depth=1
	v_cmp_lt_i32_e32 vcc, 1, v61
	s_and_saveexec_b64 s[8:9], vcc
	s_xor_b64 s[8:9], exec, s[8:9]
	s_cbranch_execz .LBB11_25
; %bb.22:                               ;   in Loop: Header=BB11_4 Depth=1
	v_cmp_eq_u32_e32 vcc, 2, v61
	s_and_saveexec_b64 s[10:11], vcc
	s_cbranch_execz .LBB11_24
; %bb.23:                               ;   in Loop: Header=BB11_4 Depth=1
	v_mov_b32_e32 v62, 0x3dd572af
	v_fmac_f32_e32 v62, 0x3b52d5db, v60
	v_fma_f32 v62, v60, v62, v25
	v_mov_b32_e32 v61, 0x3e6a7578
	v_fma_f32 v62, v60, v62, v26
	v_fmac_f32_e32 v61, 0x3c5b3c5e, v60
	v_fma_f32 v62, v60, v62, v27
	v_fma_f32 v61, v60, v61, v22
	v_fma_f32 v62, v60, v62, 1.0
	v_fma_f32 v61, v60, v61, v23
	v_rcp_f32_e32 v62, v62
	v_fma_f32 v61, v60, v61, v24
	v_fma_f32 v61, v60, v61, v17
	v_mul_f32_e32 v61, v60, v61
	v_mul_f32_e32 v61, v61, v62
	v_fmac_f32_e32 v61, -0.5, v60
	v_add_f32_e32 v58, v58, v61
.LBB11_24:                              ;   in Loop: Header=BB11_4 Depth=1
	s_or_b64 exec, exec, s[10:11]
                                        ; implicit-def: $vgpr60
.LBB11_25:                              ;   in Loop: Header=BB11_4 Depth=1
	s_andn2_saveexec_b64 s[8:9], s[8:9]
	s_cbranch_execz .LBB11_27
; %bb.26:                               ;   in Loop: Header=BB11_4 Depth=1
	v_mul_f32_e32 v61, v60, v60
	v_mul_f32_e32 v62, v60, v61
	v_mov_b32_e32 v64, 0x3a66f867
	v_mov_b32_e32 v65, 0xba0d3085
	v_fmac_f32_e32 v64, 0xb9a3f927, v62
	v_fmac_f32_e32 v65, 0x39afe9f7, v62
	v_mov_b32_e32 v63, 0xbab7f476
	v_fma_f32 v64, v62, v64, v31
	v_fma_f32 v65, v62, v65, v34
	v_fmac_f32_e32 v63, 0x39a57b6b, v62
	v_fma_f32 v64, v62, v64, v32
	v_fma_f32 v65, v62, v65, v35
	;; [unrolled: 1-line block ×6, first 2 shown]
	v_fmac_f32_e32 v64, v60, v65
	v_fma_f32 v63, v62, v63, v30
	v_fma_f32 v60, v62, -v64, s53
	v_fma_f32 v60, v61, v63, -v60
	v_add_f32_e32 v60, 0xbdf8cdce, v60
	v_add_f32_e32 v58, v58, v60
.LBB11_27:                              ;   in Loop: Header=BB11_4 Depth=1
	s_or_b64 exec, exec, s[8:9]
                                        ; implicit-def: $vgpr61
                                        ; implicit-def: $vgpr60
.LBB11_28:                              ;   in Loop: Header=BB11_4 Depth=1
	s_andn2_saveexec_b64 s[6:7], s[6:7]
	s_cbranch_execz .LBB11_32
; %bb.29:                               ;   in Loop: Header=BB11_4 Depth=1
	v_cmp_eq_u32_e32 vcc, 0, v61
	s_and_saveexec_b64 s[8:9], vcc
	s_cbranch_execz .LBB11_31
; %bb.30:                               ;   in Loop: Header=BB11_4 Depth=1
	v_mul_f32_e32 v61, v60, v60
	v_mov_b32_e32 v63, 0x38e28445
	v_mov_b32_e32 v62, 0x39679767
	v_fmac_f32_e32 v63, 0x383c2c75, v61
	v_fmac_f32_e32 v62, 0x37d383a2, v61
	v_fma_f32 v63, v61, v63, v41
	v_fma_f32 v62, v61, v62, v37
	;; [unrolled: 1-line block ×8, first 2 shown]
	v_mul_f32_e32 v61, v61, v63
	v_fmac_f32_e32 v61, v60, v62
	v_fmac_f32_e32 v61, -0.5, v60
	v_add_f32_e32 v58, v58, v61
.LBB11_31:                              ;   in Loop: Header=BB11_4 Depth=1
	s_or_b64 exec, exec, s[8:9]
.LBB11_32:                              ;   in Loop: Header=BB11_4 Depth=1
	s_or_b64 exec, exec, s[6:7]
.LBB11_33:                              ;   in Loop: Header=BB11_4 Depth=1
	s_or_b64 exec, exec, s[0:1]
.LBB11_34:                              ;   in Loop: Header=BB11_4 Depth=1
	s_andn2_saveexec_b64 s[2:3], s[2:3]
	s_cbranch_execz .LBB11_36
; %bb.35:                               ;   in Loop: Header=BB11_4 Depth=1
	v_cmp_lt_f32_e64 vcc, |v57|, s42
	v_cndmask_b32_e32 v58, 1.0, v51, vcc
	v_mul_f32_e64 v58, |v57|, v58
	v_log_f32_e32 v58, v58
	v_fma_f32 v60, |v57|, s54, v53
	v_fma_f32 v60, |v57|, v60, s55
	;; [unrolled: 1-line block ×3, first 2 shown]
	v_mul_f32_e32 v61, 0x3f317217, v58
	v_fma_f32 v62, v58, s43, -v61
	v_fmac_f32_e32 v62, 0x3377d1cf, v58
	v_add_f32_e32 v61, v61, v62
	v_cmp_lt_f32_e64 s[0:1], |v58|, s44
	v_cndmask_b32_e64 v58, v58, v61, s[0:1]
	v_cndmask_b32_e32 v61, 0, v52, vcc
	v_sub_f32_e32 v58, v58, v61
	v_fma_f32 v58, |v57|, v60, -v58
.LBB11_36:                              ;   in Loop: Header=BB11_4 Depth=1
	s_or_b64 exec, exec, s[2:3]
	v_cmp_le_f32_e32 vcc, 0, v57
	v_cmp_nle_f32_e64 s[0:1], 0, v57
	s_and_saveexec_b64 s[2:3], s[0:1]
	s_xor_b64 s[6:7], exec, s[2:3]
	s_cbranch_execz .LBB11_40
; %bb.37:                               ;   in Loop: Header=BB11_4 Depth=1
	v_cmp_lt_f32_e64 s[0:1], |v57|, s57
	v_cmp_gt_f32_e64 s[2:3], |v57|, s58
	s_and_b64 s[0:1], s[0:1], s[2:3]
	s_and_saveexec_b64 s[8:9], s[0:1]
	s_cbranch_execz .LBB11_39
; %bb.38:                               ;   in Loop: Header=BB11_4 Depth=1
	v_mul_f32_e64 v60, |v57|, 0.5
	v_floor_f32_e32 v61, v60
	v_sub_f32_e32 v61, v60, v61
	v_min_f32_e32 v61, 0x3f7fffff, v61
	v_add_f32_e32 v61, v61, v61
	v_cmp_neq_f32_e64 s[0:1], s44, v60
	v_cndmask_b32_e64 v60, 0, v61, s[0:1]
	v_cmp_gt_f32_e64 s[0:1], |v57|, 1.0
	v_cndmask_b32_e64 v60, |v57|, v60, s[0:1]
	v_add_f32_e32 v61, v60, v60
	v_rndne_f32_e32 v61, v61
	v_fmac_f32_e32 v60, -0.5, v61
	v_mul_f32_e32 v62, v60, v60
	v_mov_b32_e32 v63, 0xbf1f24be
	v_fmac_f32_e32 v63, 0x3e75aa41, v62
	v_fma_f32 v63, v62, v63, v45
	v_fma_f32 v63, v62, v63, v46
	v_mul_f32_e32 v64, v60, v62
	v_mul_f32_e32 v63, v64, v63
	v_fmac_f32_e32 v63, 0x40490fdb, v60
	v_mov_b32_e32 v60, 0x3e642e9d
	v_cvt_i32_f32_e32 v61, v61
	v_fmac_f32_e32 v60, 0x3d4be544, v62
	v_fma_f32 v60, v62, v60, v47
	v_fma_f32 v60, v62, v60, v48
	;; [unrolled: 1-line block ×3, first 2 shown]
	v_fma_f32 v60, v62, v60, 1.0
	v_and_b32_e32 v62, 1, v61
	v_cmp_eq_u32_e64 s[0:1], 0, v62
	v_lshlrev_b32_e32 v61, 30, v61
	v_cndmask_b32_e64 v60, v60, v63, s[0:1]
	v_and_or_b32 v59, v61, s46, v59
	v_xor_b32_e32 v59, v59, v60
	v_xor_b32_e32 v59, v59, v57
	v_mul_f32_e32 v59, v57, v59
	v_frexp_mant_f32_e64 v60, |v59|
	v_rcp_f32_e32 v60, v60
	v_frexp_exp_i32_f32_e32 v59, v59
	v_sub_u32_e32 v59, 2, v59
	v_mul_f32_e32 v60, 0x3f490fdb, v60
	v_ldexp_f32 v59, v60, v59
	v_cmp_gt_f32_e64 s[0:1], s42, v59
	v_cndmask_b32_e64 v60, 1.0, v51, s[0:1]
	v_mul_f32_e32 v59, v59, v60
	v_log_f32_e32 v59, v59
	v_mul_f32_e32 v60, 0x3f317217, v59
	v_fma_f32 v61, v59, s43, -v60
	v_fmac_f32_e32 v61, 0x3377d1cf, v59
	v_add_f32_e32 v60, v60, v61
	v_cmp_lt_f32_e64 s[2:3], |v59|, s44
	v_cndmask_b32_e64 v59, v59, v60, s[2:3]
	v_cndmask_b32_e64 v60, 0, v52, s[0:1]
	v_sub_f32_e32 v59, v59, v60
	v_sub_f32_e32 v58, v59, v58
	v_floor_f32_e32 v59, v57
	v_sub_f32_e32 v59, v57, v59
	v_min_f32_e32 v59, 0x3f7fffff, v59
	v_cmp_neq_f32_e64 s[0:1], 0, v59
	v_cndmask_b32_e64 v58, v54, v58, s[0:1]
.LBB11_39:                              ;   in Loop: Header=BB11_4 Depth=1
	s_or_b64 exec, exec, s[8:9]
.LBB11_40:                              ;   in Loop: Header=BB11_4 Depth=1
	s_andn2_saveexec_b64 s[6:7], s[6:7]
; %bb.41:                               ;   in Loop: Header=BB11_4 Depth=1
	v_cmp_eq_f32_e64 s[0:1], 1.0, v57
	v_cmp_eq_f32_e64 s[2:3], 2.0, v57
	s_or_b64 s[0:1], s[0:1], s[2:3]
	v_cndmask_b32_e64 v58, v58, 0, s[0:1]
; %bb.42:                               ;   in Loop: Header=BB11_4 Depth=1
	s_or_b64 exec, exec, s[6:7]
	v_and_b32_e32 v59, 0xffff0000, v6
	v_and_b32_e32 v61, 0x7fffffff, v59
	v_cmp_nlt_f32_e64 s[0:1], |v59|, s39
                                        ; implicit-def: $vgpr60
	s_and_saveexec_b64 s[2:3], s[0:1]
	s_xor_b64 s[6:7], exec, s[2:3]
	s_cbranch_execz .LBB11_72
; %bb.43:                               ;   in Loop: Header=BB11_4 Depth=1
	v_cmp_nlt_f32_e64 s[0:1], |v59|, 2.0
                                        ; implicit-def: $vgpr60
	s_and_saveexec_b64 s[2:3], s[0:1]
	s_xor_b64 s[8:9], exec, s[2:3]
	s_cbranch_execz .LBB11_53
; %bb.44:                               ;   in Loop: Header=BB11_4 Depth=1
	v_cmp_nlt_f32_e64 s[0:1], |v59|, s40
                                        ; implicit-def: $vgpr60
	s_and_saveexec_b64 s[2:3], s[0:1]
	s_xor_b64 s[10:11], exec, s[2:3]
	s_cbranch_execz .LBB11_50
; %bb.45:                               ;   in Loop: Header=BB11_4 Depth=1
	v_cmp_nlt_f32_e64 s[0:1], |v59|, s41
                                        ; implicit-def: $vgpr60
	s_and_saveexec_b64 s[2:3], s[0:1]
	s_xor_b64 s[30:31], exec, s[2:3]
	s_cbranch_execz .LBB11_47
; %bb.46:                               ;   in Loop: Header=BB11_4 Depth=1
	v_cmp_lt_f32_e64 s[0:1], |v59|, s42
	v_cndmask_b32_e64 v60, 1.0, v51, s[0:1]
	v_mul_f32_e64 v60, |v59|, v60
	v_log_f32_e32 v60, v60
	v_mul_f32_e32 v62, 0x3f317217, v60
	v_fma_f32 v63, v60, s43, -v62
	v_fmac_f32_e32 v63, 0x3377d1cf, v60
	v_add_f32_e32 v62, v62, v63
	v_cmp_lt_f32_e64 s[2:3], |v60|, s44
	v_cndmask_b32_e64 v60, v60, v62, s[2:3]
	v_cndmask_b32_e64 v62, 0, v52, s[0:1]
	v_sub_f32_e32 v60, v60, v62
	v_fma_f32 v60, |v59|, v60, -|v59|
.LBB11_47:                              ;   in Loop: Header=BB11_4 Depth=1
	s_andn2_saveexec_b64 s[30:31], s[30:31]
	s_cbranch_execz .LBB11_49
; %bb.48:                               ;   in Loop: Header=BB11_4 Depth=1
	v_rcp_f32_e64 v60, |v59|
	v_cmp_lt_f32_e64 s[0:1], |v59|, s42
	v_cndmask_b32_e64 v63, 1.0, v51, s[0:1]
	v_mov_b32_e32 v62, 0x3a5b3dd2
	v_mul_f32_e32 v64, v60, v60
	v_mul_f32_e64 v63, |v59|, v63
	v_fmac_f32_e32 v62, 0xbad5c4e8, v64
	v_log_f32_e32 v63, v63
	v_fma_f32 v62, v64, v62, v8
	v_fma_f32 v62, v64, v62, v9
	;; [unrolled: 1-line block ×4, first 2 shown]
	v_mul_f32_e32 v64, 0x3f317217, v63
	v_fma_f32 v65, v63, s43, -v64
	v_fmac_f32_e32 v65, 0x3377d1cf, v63
	v_add_f32_e32 v64, v64, v65
	v_cmp_lt_f32_e64 s[2:3], |v63|, s44
	v_cndmask_b32_e64 v63, v63, v64, s[2:3]
	v_cndmask_b32_e64 v64, 0, v52, s[0:1]
	v_sub_f32_e32 v63, v63, v64
	v_fma_f32 v60, v60, v62, v12
	v_add_f32_e64 v62, |v59|, -0.5
	v_add_f32_e32 v63, -1.0, v63
	v_fmac_f32_e32 v60, v62, v63
.LBB11_49:                              ;   in Loop: Header=BB11_4 Depth=1
	s_or_b64 exec, exec, s[30:31]
.LBB11_50:                              ;   in Loop: Header=BB11_4 Depth=1
	s_andn2_saveexec_b64 s[10:11], s[10:11]
	s_cbranch_execz .LBB11_52
; %bb.51:                               ;   in Loop: Header=BB11_4 Depth=1
	v_cvt_i32_f32_e32 v64, v61
	v_mov_b32_e32 v62, 0x3af135b4
	v_mov_b32_e32 v63, 0x3a4beed6
	v_cvt_f32_i32_e32 v60, v64
	v_cmp_lt_i32_e64 s[0:1], 3, v64
	v_sub_f32_e64 v60, |v59|, v60
	v_fmac_f32_e32 v62, 0x3805ff67, v60
	v_fmac_f32_e32 v63, 0x36f5d7bd, v60
	v_fma_f32 v62, v60, v62, v13
	v_fma_f32 v63, v60, v63, v18
	;; [unrolled: 1-line block ×9, first 2 shown]
	v_fma_f32 v62, v60, v62, 1.0
	v_rcp_f32_e32 v66, v62
	v_pk_add_f32 v[62:63], v[60:61], s[26:27] op_sel_hi:[0,1]
	v_cndmask_b32_e64 v63, 1.0, v63, s[0:1]
	v_cmp_lt_i32_e64 s[0:1], 2, v64
	v_add_f32_e32 v67, 4.0, v60
	v_cndmask_b32_e64 v62, 1.0, v62, s[0:1]
	v_cmp_lt_i32_e64 s[0:1], 4, v64
	v_add_f32_e32 v68, 0x40a00000, v60
	v_mul_f32_e32 v62, v62, v63
	v_cndmask_b32_e64 v63, 1.0, v67, s[0:1]
	v_cmp_lt_i32_e64 s[0:1], 5, v64
	v_add_f32_e32 v69, 0x40c00000, v60
	v_mul_f32_e32 v62, v63, v62
	v_cndmask_b32_e64 v63, 1.0, v68, s[0:1]
	v_cmp_lt_i32_e64 s[0:1], 6, v64
	v_mul_f32_e32 v62, v63, v62
	v_cndmask_b32_e64 v63, 1.0, v69, s[0:1]
	v_mul_f32_e32 v62, v63, v62
	v_cmp_gt_f32_e64 s[0:1], s42, v62
	v_cndmask_b32_e64 v63, 1.0, v51, s[0:1]
	v_mul_f32_e32 v62, v62, v63
	v_log_f32_e32 v62, v62
	v_mul_f32_e32 v63, v60, v65
	v_mul_f32_e32 v63, v63, v66
	v_fmac_f32_e32 v63, 0.5, v60
	v_mul_f32_e32 v60, 0x3f317217, v62
	v_fma_f32 v64, v62, s43, -v60
	v_fmac_f32_e32 v64, 0x3377d1cf, v62
	v_add_f32_e32 v60, v60, v64
	v_cmp_lt_f32_e64 s[2:3], |v62|, s44
	v_cndmask_b32_e64 v60, v62, v60, s[2:3]
	v_cndmask_b32_e64 v62, 0, v52, s[0:1]
	v_sub_f32_e32 v60, v60, v62
	v_add_f32_e32 v60, v60, v63
.LBB11_52:                              ;   in Loop: Header=BB11_4 Depth=1
	s_or_b64 exec, exec, s[10:11]
.LBB11_53:                              ;   in Loop: Header=BB11_4 Depth=1
	s_andn2_saveexec_b64 s[2:3], s[8:9]
	s_cbranch_execz .LBB11_71
; %bb.54:                               ;   in Loop: Header=BB11_4 Depth=1
	v_cmp_le_f32_e64 s[0:1], |v59|, s45
                                        ; implicit-def: $vgpr60
                                        ; implicit-def: $vgpr63
                                        ; implicit-def: $vgpr62
	s_and_saveexec_b64 s[8:9], s[0:1]
	s_xor_b64 s[8:9], exec, s[8:9]
	s_cbranch_execz .LBB11_56
; %bb.55:                               ;   in Loop: Header=BB11_4 Depth=1
	v_cmp_lt_f32_e64 s[0:1], |v59|, s42
	v_cndmask_b32_e64 v60, 1.0, v51, s[0:1]
	v_mul_f32_e64 v60, |v59|, v60
	v_log_f32_e32 v60, v60
	v_cndmask_b32_e64 v62, 0, v52, s[0:1]
	v_mul_f32_e32 v63, 0x3f317217, v60
	v_fma_f32 v64, v60, s43, -v63
	v_fmac_f32_e32 v64, 0x3377d1cf, v60
	v_add_f32_e32 v63, v63, v64
	v_cmp_lt_f32_e64 s[0:1], |v60|, s44
	v_cndmask_b32_e64 v60, v60, v63, s[0:1]
	v_sub_f32_e32 v60, v60, v62
	v_sub_f32_e64 v62, 1.0, |v59|
	v_add_f32_e64 v63, |v59|, s48
	v_cmp_lt_f32_e64 s[0:1], |v59|, s47
	v_cndmask_b32_e64 v62, v62, v63, s[0:1]
	v_cndmask_b32_e64 v63, 0, 1, s[0:1]
	v_cmp_lt_f32_e64 s[0:1], |v59|, s49
	v_xor_b32_e32 v60, 0x80000000, v60
	v_cndmask_b32_e64 v62, v62, |v59|, s[0:1]
	v_cndmask_b32_e64 v63, v63, 2, s[0:1]
.LBB11_56:                              ;   in Loop: Header=BB11_4 Depth=1
	s_andn2_saveexec_b64 s[8:9], s[8:9]
; %bb.57:                               ;   in Loop: Header=BB11_4 Depth=1
	v_sub_f32_e64 v60, 2.0, |v59|
	v_add_f32_e64 v62, |v59|, s51
	v_cmp_lt_f32_e64 s[0:1], |v59|, s50
	v_cndmask_b32_e64 v62, v60, v62, s[0:1]
	v_cndmask_b32_e64 v60, v60, 1.0, s[0:1]
	v_cvt_i32_f32_e32 v60, v60
	v_add_f32_e64 v63, |v59|, -1.0
	v_cmp_lt_f32_e64 s[0:1], |v59|, s52
	v_cndmask_b32_e64 v62, v62, v63, s[0:1]
	v_cndmask_b32_e64 v63, v60, 2, s[0:1]
	v_mov_b32_e32 v60, 0
; %bb.58:                               ;   in Loop: Header=BB11_4 Depth=1
	s_or_b64 exec, exec, s[8:9]
	v_cmp_lt_i32_e64 s[0:1], 0, v63
	s_and_saveexec_b64 s[8:9], s[0:1]
	s_xor_b64 s[8:9], exec, s[8:9]
	s_cbranch_execz .LBB11_66
; %bb.59:                               ;   in Loop: Header=BB11_4 Depth=1
	v_cmp_lt_i32_e64 s[0:1], 1, v63
	s_and_saveexec_b64 s[10:11], s[0:1]
	s_xor_b64 s[10:11], exec, s[10:11]
	s_cbranch_execz .LBB11_63
; %bb.60:                               ;   in Loop: Header=BB11_4 Depth=1
	v_cmp_eq_u32_e64 s[0:1], 2, v63
	s_and_saveexec_b64 s[30:31], s[0:1]
	s_cbranch_execz .LBB11_62
; %bb.61:                               ;   in Loop: Header=BB11_4 Depth=1
	v_mov_b32_e32 v64, 0x3dd572af
	v_fmac_f32_e32 v64, 0x3b52d5db, v62
	v_fma_f32 v64, v62, v64, v25
	v_mov_b32_e32 v63, 0x3e6a7578
	v_fma_f32 v64, v62, v64, v26
	v_fmac_f32_e32 v63, 0x3c5b3c5e, v62
	v_fma_f32 v64, v62, v64, v27
	v_fma_f32 v63, v62, v63, v22
	v_fma_f32 v64, v62, v64, 1.0
	v_fma_f32 v63, v62, v63, v23
	v_rcp_f32_e32 v64, v64
	v_fma_f32 v63, v62, v63, v24
	v_fma_f32 v63, v62, v63, v17
	v_mul_f32_e32 v63, v62, v63
	v_mul_f32_e32 v63, v63, v64
	v_fmac_f32_e32 v63, -0.5, v62
	v_add_f32_e32 v60, v60, v63
.LBB11_62:                              ;   in Loop: Header=BB11_4 Depth=1
	s_or_b64 exec, exec, s[30:31]
                                        ; implicit-def: $vgpr62
.LBB11_63:                              ;   in Loop: Header=BB11_4 Depth=1
	s_andn2_saveexec_b64 s[0:1], s[10:11]
	s_cbranch_execz .LBB11_65
; %bb.64:                               ;   in Loop: Header=BB11_4 Depth=1
	v_mul_f32_e32 v63, v62, v62
	v_mul_f32_e32 v64, v62, v63
	v_mov_b32_e32 v66, 0x3a66f867
	v_mov_b32_e32 v67, 0xba0d3085
	v_fmac_f32_e32 v66, 0xb9a3f927, v64
	v_fmac_f32_e32 v67, 0x39afe9f7, v64
	v_mov_b32_e32 v65, 0xbab7f476
	v_fma_f32 v66, v64, v66, v31
	v_fma_f32 v67, v64, v67, v34
	v_fmac_f32_e32 v65, 0x39a57b6b, v64
	v_fma_f32 v66, v64, v66, v32
	v_fma_f32 v67, v64, v67, v35
	;; [unrolled: 1-line block ×6, first 2 shown]
	v_fmac_f32_e32 v66, v62, v67
	v_fma_f32 v65, v64, v65, v30
	v_fma_f32 v62, v64, -v66, s53
	v_fma_f32 v62, v63, v65, -v62
	v_add_f32_e32 v62, 0xbdf8cdce, v62
	v_add_f32_e32 v60, v60, v62
.LBB11_65:                              ;   in Loop: Header=BB11_4 Depth=1
	s_or_b64 exec, exec, s[0:1]
                                        ; implicit-def: $vgpr63
                                        ; implicit-def: $vgpr62
.LBB11_66:                              ;   in Loop: Header=BB11_4 Depth=1
	s_andn2_saveexec_b64 s[8:9], s[8:9]
	s_cbranch_execz .LBB11_70
; %bb.67:                               ;   in Loop: Header=BB11_4 Depth=1
	v_cmp_eq_u32_e64 s[0:1], 0, v63
	s_and_saveexec_b64 s[10:11], s[0:1]
	s_cbranch_execz .LBB11_69
; %bb.68:                               ;   in Loop: Header=BB11_4 Depth=1
	v_mul_f32_e32 v63, v62, v62
	v_mov_b32_e32 v65, 0x38e28445
	v_mov_b32_e32 v64, 0x39679767
	v_fmac_f32_e32 v65, 0x383c2c75, v63
	v_fmac_f32_e32 v64, 0x37d383a2, v63
	v_fma_f32 v65, v63, v65, v41
	v_fma_f32 v64, v63, v64, v37
	;; [unrolled: 1-line block ×8, first 2 shown]
	v_mul_f32_e32 v63, v63, v65
	v_fmac_f32_e32 v63, v62, v64
	v_fmac_f32_e32 v63, -0.5, v62
	v_add_f32_e32 v60, v60, v63
.LBB11_69:                              ;   in Loop: Header=BB11_4 Depth=1
	s_or_b64 exec, exec, s[10:11]
.LBB11_70:                              ;   in Loop: Header=BB11_4 Depth=1
	s_or_b64 exec, exec, s[8:9]
.LBB11_71:                              ;   in Loop: Header=BB11_4 Depth=1
	s_or_b64 exec, exec, s[2:3]
.LBB11_72:                              ;   in Loop: Header=BB11_4 Depth=1
	s_andn2_saveexec_b64 s[6:7], s[6:7]
	s_cbranch_execz .LBB11_74
; %bb.73:                               ;   in Loop: Header=BB11_4 Depth=1
	v_cmp_lt_f32_e64 s[0:1], |v59|, s42
	v_cndmask_b32_e64 v60, 1.0, v51, s[0:1]
	v_mul_f32_e64 v60, |v59|, v60
	v_log_f32_e32 v60, v60
	v_fma_f32 v62, |v59|, s54, v53
	v_fma_f32 v62, |v59|, v62, s55
	;; [unrolled: 1-line block ×3, first 2 shown]
	v_mul_f32_e32 v63, 0x3f317217, v60
	v_fma_f32 v64, v60, s43, -v63
	v_fmac_f32_e32 v64, 0x3377d1cf, v60
	v_add_f32_e32 v63, v63, v64
	v_cmp_lt_f32_e64 s[2:3], |v60|, s44
	v_cndmask_b32_e64 v60, v60, v63, s[2:3]
	v_cndmask_b32_e64 v63, 0, v52, s[0:1]
	v_sub_f32_e32 v60, v60, v63
	v_fma_f32 v60, |v59|, v62, -v60
.LBB11_74:                              ;   in Loop: Header=BB11_4 Depth=1
	s_or_b64 exec, exec, s[6:7]
	v_cmp_le_f32_e64 s[0:1], 0, v59
	v_cmp_nle_f32_e64 s[2:3], 0, v59
	s_and_saveexec_b64 s[6:7], s[2:3]
	s_xor_b64 s[8:9], exec, s[6:7]
	s_cbranch_execz .LBB11_78
; %bb.75:                               ;   in Loop: Header=BB11_4 Depth=1
	v_cmp_lt_f32_e64 s[2:3], |v59|, s57
	v_cmp_gt_f32_e64 s[6:7], |v59|, s58
	s_and_b64 s[2:3], s[2:3], s[6:7]
	s_and_saveexec_b64 s[10:11], s[2:3]
	s_cbranch_execz .LBB11_77
; %bb.76:                               ;   in Loop: Header=BB11_4 Depth=1
	v_mul_f32_e64 v62, |v59|, 0.5
	v_floor_f32_e32 v63, v62
	v_sub_f32_e32 v63, v62, v63
	v_min_f32_e32 v63, 0x3f7fffff, v63
	v_add_f32_e32 v63, v63, v63
	v_cmp_neq_f32_e64 s[2:3], s44, v62
	v_cndmask_b32_e64 v62, 0, v63, s[2:3]
	v_cmp_gt_f32_e64 s[2:3], |v59|, 1.0
	v_cndmask_b32_e64 v62, |v59|, v62, s[2:3]
	v_add_f32_e32 v63, v62, v62
	v_rndne_f32_e32 v63, v63
	v_fmac_f32_e32 v62, -0.5, v63
	v_mul_f32_e32 v64, v62, v62
	v_mov_b32_e32 v65, 0xbf1f24be
	v_fmac_f32_e32 v65, 0x3e75aa41, v64
	v_fma_f32 v65, v64, v65, v45
	v_fma_f32 v65, v64, v65, v46
	v_mul_f32_e32 v66, v62, v64
	v_mul_f32_e32 v65, v66, v65
	v_fmac_f32_e32 v65, 0x40490fdb, v62
	v_mov_b32_e32 v62, 0x3e642e9d
	v_cvt_i32_f32_e32 v63, v63
	v_fmac_f32_e32 v62, 0x3d4be544, v64
	v_fma_f32 v62, v64, v62, v47
	v_fma_f32 v62, v64, v62, v48
	;; [unrolled: 1-line block ×3, first 2 shown]
	v_fma_f32 v62, v64, v62, 1.0
	v_and_b32_e32 v64, 1, v63
	v_cmp_eq_u32_e64 s[2:3], 0, v64
	v_lshlrev_b32_e32 v63, 30, v63
	v_cndmask_b32_e64 v62, v62, v65, s[2:3]
	v_and_or_b32 v61, v63, s46, v61
	v_xor_b32_e32 v61, v61, v62
	v_xor_b32_e32 v61, v61, v59
	v_mul_f32_e32 v61, v59, v61
	v_frexp_mant_f32_e64 v62, |v61|
	v_rcp_f32_e32 v62, v62
	v_frexp_exp_i32_f32_e32 v61, v61
	v_sub_u32_e32 v61, 2, v61
	v_mul_f32_e32 v62, 0x3f490fdb, v62
	v_ldexp_f32 v61, v62, v61
	v_cmp_gt_f32_e64 s[2:3], s42, v61
	v_cndmask_b32_e64 v62, 1.0, v51, s[2:3]
	v_mul_f32_e32 v61, v61, v62
	v_log_f32_e32 v61, v61
	v_mul_f32_e32 v62, 0x3f317217, v61
	v_fma_f32 v63, v61, s43, -v62
	v_fmac_f32_e32 v63, 0x3377d1cf, v61
	v_add_f32_e32 v62, v62, v63
	v_cmp_lt_f32_e64 s[6:7], |v61|, s44
	v_cndmask_b32_e64 v61, v61, v62, s[6:7]
	v_cndmask_b32_e64 v62, 0, v52, s[2:3]
	v_sub_f32_e32 v61, v61, v62
	v_sub_f32_e32 v60, v61, v60
	v_floor_f32_e32 v61, v59
	v_sub_f32_e32 v61, v59, v61
	v_min_f32_e32 v61, 0x3f7fffff, v61
	v_cmp_neq_f32_e64 s[2:3], 0, v61
	v_cndmask_b32_e64 v60, v54, v60, s[2:3]
.LBB11_77:                              ;   in Loop: Header=BB11_4 Depth=1
	s_or_b64 exec, exec, s[10:11]
.LBB11_78:                              ;   in Loop: Header=BB11_4 Depth=1
	s_andn2_saveexec_b64 s[8:9], s[8:9]
; %bb.79:                               ;   in Loop: Header=BB11_4 Depth=1
	v_cmp_eq_f32_e64 s[2:3], 1.0, v59
	v_cmp_eq_f32_e64 s[6:7], 2.0, v59
	s_or_b64 s[2:3], s[2:3], s[6:7]
	v_cndmask_b32_e64 v60, v60, 0, s[2:3]
; %bb.80:                               ;   in Loop: Header=BB11_4 Depth=1
	s_or_b64 exec, exec, s[8:9]
	v_alignbit_b32 v6, v7, v6, 16
	v_and_b32_e32 v6, 0xffff0000, v6
	v_and_b32_e32 v62, 0x7fffffff, v6
	v_cmp_nlt_f32_e64 s[2:3], |v6|, s39
                                        ; implicit-def: $vgpr61
	s_and_saveexec_b64 s[6:7], s[2:3]
	s_xor_b64 s[8:9], exec, s[6:7]
	s_cbranch_execz .LBB11_110
; %bb.81:                               ;   in Loop: Header=BB11_4 Depth=1
	v_cmp_nlt_f32_e64 s[2:3], |v6|, 2.0
                                        ; implicit-def: $vgpr61
	s_and_saveexec_b64 s[6:7], s[2:3]
	s_xor_b64 s[10:11], exec, s[6:7]
	s_cbranch_execz .LBB11_91
; %bb.82:                               ;   in Loop: Header=BB11_4 Depth=1
	v_cmp_nlt_f32_e64 s[2:3], |v6|, s40
                                        ; implicit-def: $vgpr61
	s_and_saveexec_b64 s[6:7], s[2:3]
	s_xor_b64 s[30:31], exec, s[6:7]
	s_cbranch_execz .LBB11_88
; %bb.83:                               ;   in Loop: Header=BB11_4 Depth=1
	v_cmp_nlt_f32_e64 s[2:3], |v6|, s41
                                        ; implicit-def: $vgpr61
	s_and_saveexec_b64 s[6:7], s[2:3]
	s_xor_b64 s[34:35], exec, s[6:7]
	s_cbranch_execz .LBB11_85
; %bb.84:                               ;   in Loop: Header=BB11_4 Depth=1
	v_cmp_lt_f32_e64 s[2:3], |v6|, s42
	v_cndmask_b32_e64 v61, 1.0, v51, s[2:3]
	v_mul_f32_e64 v61, |v6|, v61
	v_log_f32_e32 v61, v61
	v_mul_f32_e32 v63, 0x3f317217, v61
	v_fma_f32 v64, v61, s43, -v63
	v_fmac_f32_e32 v64, 0x3377d1cf, v61
	v_add_f32_e32 v63, v63, v64
	v_cmp_lt_f32_e64 s[6:7], |v61|, s44
	v_cndmask_b32_e64 v61, v61, v63, s[6:7]
	v_cndmask_b32_e64 v63, 0, v52, s[2:3]
	v_sub_f32_e32 v61, v61, v63
	v_fma_f32 v61, |v6|, v61, -|v6|
.LBB11_85:                              ;   in Loop: Header=BB11_4 Depth=1
	s_andn2_saveexec_b64 s[34:35], s[34:35]
	s_cbranch_execz .LBB11_87
; %bb.86:                               ;   in Loop: Header=BB11_4 Depth=1
	v_rcp_f32_e64 v61, |v6|
	v_cmp_lt_f32_e64 s[2:3], |v6|, s42
	v_cndmask_b32_e64 v64, 1.0, v51, s[2:3]
	v_mov_b32_e32 v63, 0x3a5b3dd2
	v_mul_f32_e32 v65, v61, v61
	v_mul_f32_e64 v64, |v6|, v64
	v_fmac_f32_e32 v63, 0xbad5c4e8, v65
	v_log_f32_e32 v64, v64
	v_fma_f32 v63, v65, v63, v8
	v_fma_f32 v63, v65, v63, v9
	;; [unrolled: 1-line block ×4, first 2 shown]
	v_mul_f32_e32 v65, 0x3f317217, v64
	v_fma_f32 v66, v64, s43, -v65
	v_fmac_f32_e32 v66, 0x3377d1cf, v64
	v_add_f32_e32 v65, v65, v66
	v_cmp_lt_f32_e64 s[6:7], |v64|, s44
	v_cndmask_b32_e64 v64, v64, v65, s[6:7]
	v_cndmask_b32_e64 v65, 0, v52, s[2:3]
	v_sub_f32_e32 v64, v64, v65
	v_fma_f32 v61, v61, v63, v12
	v_add_f32_e64 v63, |v6|, -0.5
	v_add_f32_e32 v64, -1.0, v64
	v_fmac_f32_e32 v61, v63, v64
.LBB11_87:                              ;   in Loop: Header=BB11_4 Depth=1
	s_or_b64 exec, exec, s[34:35]
.LBB11_88:                              ;   in Loop: Header=BB11_4 Depth=1
	s_andn2_saveexec_b64 s[30:31], s[30:31]
	s_cbranch_execz .LBB11_90
; %bb.89:                               ;   in Loop: Header=BB11_4 Depth=1
	v_cvt_i32_f32_e32 v61, v62
	v_mov_b32_e32 v65, 0x3af135b4
	v_mov_b32_e32 v66, 0x3a4beed6
	v_cvt_f32_i32_e32 v63, v61
	v_cmp_lt_i32_e64 s[2:3], 3, v61
	v_sub_f32_e64 v64, |v6|, v63
	v_fmac_f32_e32 v65, 0x3805ff67, v64
	v_fmac_f32_e32 v66, 0x36f5d7bd, v64
	v_fma_f32 v63, v64, v65, v13
	v_fma_f32 v65, v64, v66, v18
	;; [unrolled: 1-line block ×5, first 2 shown]
	v_fma_f32 v65, v64, v65, 1.0
	v_rcp_f32_e32 v65, v65
	v_add_f32_e32 v68, 4.0, v64
	v_add_f32_e32 v69, 0x40a00000, v64
	v_add_f32_e32 v70, 0x40c00000, v64
	v_pk_add_f32 v[66:67], v[64:65], s[26:27] op_sel_hi:[0,1]
	v_cndmask_b32_e64 v67, 1.0, v67, s[2:3]
	v_cmp_lt_i32_e64 s[2:3], 2, v61
	v_cndmask_b32_e64 v66, 1.0, v66, s[2:3]
	v_cmp_lt_i32_e64 s[2:3], 4, v61
	v_mul_f32_e32 v66, v66, v67
	v_cndmask_b32_e64 v67, 1.0, v68, s[2:3]
	v_cmp_lt_i32_e64 s[2:3], 5, v61
	v_mul_f32_e32 v66, v67, v66
	;; [unrolled: 3-line block ×3, first 2 shown]
	v_cndmask_b32_e64 v61, 1.0, v70, s[2:3]
	v_mul_f32_e32 v61, v61, v66
	v_cmp_gt_f32_e64 s[2:3], s42, v61
	v_fma_f32 v63, v64, v63, v14
	v_cndmask_b32_e64 v66, 1.0, v51, s[2:3]
	v_fma_f32 v63, v64, v63, v15
	v_mul_f32_e32 v61, v61, v66
	v_fma_f32 v63, v64, v63, v16
	v_log_f32_e32 v61, v61
	v_fma_f32 v63, v64, v63, v17
	v_mul_f32_e32 v63, v64, v63
	v_mul_f32_e32 v63, v63, v65
	v_fmac_f32_e32 v63, 0.5, v64
	v_mul_f32_e32 v64, 0x3f317217, v61
	v_fma_f32 v65, v61, s43, -v64
	v_fmac_f32_e32 v65, 0x3377d1cf, v61
	v_add_f32_e32 v64, v64, v65
	v_cmp_lt_f32_e64 s[6:7], |v61|, s44
	v_cndmask_b32_e64 v61, v61, v64, s[6:7]
	v_cndmask_b32_e64 v64, 0, v52, s[2:3]
	v_sub_f32_e32 v61, v61, v64
	v_add_f32_e32 v61, v61, v63
.LBB11_90:                              ;   in Loop: Header=BB11_4 Depth=1
	s_or_b64 exec, exec, s[30:31]
.LBB11_91:                              ;   in Loop: Header=BB11_4 Depth=1
	s_andn2_saveexec_b64 s[6:7], s[10:11]
	s_cbranch_execz .LBB11_109
; %bb.92:                               ;   in Loop: Header=BB11_4 Depth=1
	v_cmp_le_f32_e64 s[2:3], |v6|, s45
                                        ; implicit-def: $vgpr61
                                        ; implicit-def: $vgpr64
                                        ; implicit-def: $vgpr63
	s_and_saveexec_b64 s[10:11], s[2:3]
	s_xor_b64 s[10:11], exec, s[10:11]
	s_cbranch_execz .LBB11_94
; %bb.93:                               ;   in Loop: Header=BB11_4 Depth=1
	v_cmp_lt_f32_e64 s[2:3], |v6|, s42
	v_cndmask_b32_e64 v61, 1.0, v51, s[2:3]
	v_mul_f32_e64 v61, |v6|, v61
	v_log_f32_e32 v61, v61
	v_cndmask_b32_e64 v63, 0, v52, s[2:3]
	v_mul_f32_e32 v64, 0x3f317217, v61
	v_fma_f32 v65, v61, s43, -v64
	v_fmac_f32_e32 v65, 0x3377d1cf, v61
	v_add_f32_e32 v64, v64, v65
	v_cmp_lt_f32_e64 s[2:3], |v61|, s44
	v_cndmask_b32_e64 v61, v61, v64, s[2:3]
	v_sub_f32_e32 v61, v61, v63
	v_sub_f32_e64 v63, 1.0, |v6|
	v_add_f32_e64 v64, |v6|, s48
	v_cmp_lt_f32_e64 s[2:3], |v6|, s47
	v_cndmask_b32_e64 v63, v63, v64, s[2:3]
	v_cndmask_b32_e64 v64, 0, 1, s[2:3]
	v_cmp_lt_f32_e64 s[2:3], |v6|, s49
	v_xor_b32_e32 v61, 0x80000000, v61
	v_cndmask_b32_e64 v63, v63, |v6|, s[2:3]
	v_cndmask_b32_e64 v64, v64, 2, s[2:3]
.LBB11_94:                              ;   in Loop: Header=BB11_4 Depth=1
	s_andn2_saveexec_b64 s[10:11], s[10:11]
; %bb.95:                               ;   in Loop: Header=BB11_4 Depth=1
	v_sub_f32_e64 v61, 2.0, |v6|
	v_add_f32_e64 v63, |v6|, s51
	v_cmp_lt_f32_e64 s[2:3], |v6|, s50
	v_cndmask_b32_e64 v63, v61, v63, s[2:3]
	v_cndmask_b32_e64 v61, v61, 1.0, s[2:3]
	v_cvt_i32_f32_e32 v61, v61
	v_add_f32_e64 v64, |v6|, -1.0
	v_cmp_lt_f32_e64 s[2:3], |v6|, s52
	v_cndmask_b32_e64 v63, v63, v64, s[2:3]
	v_cndmask_b32_e64 v64, v61, 2, s[2:3]
	v_mov_b32_e32 v61, 0
; %bb.96:                               ;   in Loop: Header=BB11_4 Depth=1
	s_or_b64 exec, exec, s[10:11]
	v_cmp_lt_i32_e64 s[2:3], 0, v64
	s_and_saveexec_b64 s[10:11], s[2:3]
	s_xor_b64 s[10:11], exec, s[10:11]
	s_cbranch_execz .LBB11_104
; %bb.97:                               ;   in Loop: Header=BB11_4 Depth=1
	v_cmp_lt_i32_e64 s[2:3], 1, v64
	s_and_saveexec_b64 s[30:31], s[2:3]
	s_xor_b64 s[30:31], exec, s[30:31]
	s_cbranch_execz .LBB11_101
; %bb.98:                               ;   in Loop: Header=BB11_4 Depth=1
	v_cmp_eq_u32_e64 s[2:3], 2, v64
	s_and_saveexec_b64 s[34:35], s[2:3]
	s_cbranch_execz .LBB11_100
; %bb.99:                               ;   in Loop: Header=BB11_4 Depth=1
	v_mov_b32_e32 v65, 0x3dd572af
	v_fmac_f32_e32 v65, 0x3b52d5db, v63
	v_fma_f32 v65, v63, v65, v25
	v_mov_b32_e32 v64, 0x3e6a7578
	v_fma_f32 v65, v63, v65, v26
	v_fmac_f32_e32 v64, 0x3c5b3c5e, v63
	v_fma_f32 v65, v63, v65, v27
	v_fma_f32 v64, v63, v64, v22
	v_fma_f32 v65, v63, v65, 1.0
	v_fma_f32 v64, v63, v64, v23
	v_rcp_f32_e32 v65, v65
	v_fma_f32 v64, v63, v64, v24
	v_fma_f32 v64, v63, v64, v17
	v_mul_f32_e32 v64, v63, v64
	v_mul_f32_e32 v64, v64, v65
	v_fmac_f32_e32 v64, -0.5, v63
	v_add_f32_e32 v61, v61, v64
.LBB11_100:                             ;   in Loop: Header=BB11_4 Depth=1
	s_or_b64 exec, exec, s[34:35]
                                        ; implicit-def: $vgpr63
.LBB11_101:                             ;   in Loop: Header=BB11_4 Depth=1
	s_andn2_saveexec_b64 s[2:3], s[30:31]
	s_cbranch_execz .LBB11_103
; %bb.102:                              ;   in Loop: Header=BB11_4 Depth=1
	v_mul_f32_e32 v64, v63, v63
	v_mul_f32_e32 v65, v63, v64
	v_mov_b32_e32 v67, 0x3a66f867
	v_mov_b32_e32 v68, 0xba0d3085
	v_fmac_f32_e32 v67, 0xb9a3f927, v65
	v_fmac_f32_e32 v68, 0x39afe9f7, v65
	v_mov_b32_e32 v66, 0xbab7f476
	v_fma_f32 v67, v65, v67, v31
	v_fma_f32 v68, v65, v68, v34
	v_fmac_f32_e32 v66, 0x39a57b6b, v65
	v_fma_f32 v67, v65, v67, v32
	v_fma_f32 v68, v65, v68, v35
	;; [unrolled: 1-line block ×6, first 2 shown]
	v_fmac_f32_e32 v67, v63, v68
	v_fma_f32 v66, v65, v66, v30
	v_fma_f32 v63, v65, -v67, s53
	v_fma_f32 v63, v64, v66, -v63
	v_add_f32_e32 v63, 0xbdf8cdce, v63
	v_add_f32_e32 v61, v61, v63
.LBB11_103:                             ;   in Loop: Header=BB11_4 Depth=1
	s_or_b64 exec, exec, s[2:3]
                                        ; implicit-def: $vgpr64
                                        ; implicit-def: $vgpr63
.LBB11_104:                             ;   in Loop: Header=BB11_4 Depth=1
	s_andn2_saveexec_b64 s[10:11], s[10:11]
	s_cbranch_execz .LBB11_108
; %bb.105:                              ;   in Loop: Header=BB11_4 Depth=1
	v_cmp_eq_u32_e64 s[2:3], 0, v64
	s_and_saveexec_b64 s[30:31], s[2:3]
	s_cbranch_execz .LBB11_107
; %bb.106:                              ;   in Loop: Header=BB11_4 Depth=1
	v_mul_f32_e32 v64, v63, v63
	v_mov_b32_e32 v66, 0x38e28445
	v_mov_b32_e32 v65, 0x39679767
	v_fmac_f32_e32 v66, 0x383c2c75, v64
	v_fmac_f32_e32 v65, 0x37d383a2, v64
	v_fma_f32 v66, v64, v66, v41
	v_fma_f32 v65, v64, v65, v37
	;; [unrolled: 1-line block ×8, first 2 shown]
	v_mul_f32_e32 v64, v64, v66
	v_fmac_f32_e32 v64, v63, v65
	v_fmac_f32_e32 v64, -0.5, v63
	v_add_f32_e32 v61, v61, v64
.LBB11_107:                             ;   in Loop: Header=BB11_4 Depth=1
	s_or_b64 exec, exec, s[30:31]
.LBB11_108:                             ;   in Loop: Header=BB11_4 Depth=1
	s_or_b64 exec, exec, s[10:11]
.LBB11_109:                             ;   in Loop: Header=BB11_4 Depth=1
	s_or_b64 exec, exec, s[6:7]
.LBB11_110:                             ;   in Loop: Header=BB11_4 Depth=1
	s_andn2_saveexec_b64 s[8:9], s[8:9]
	s_cbranch_execz .LBB11_112
; %bb.111:                              ;   in Loop: Header=BB11_4 Depth=1
	v_cmp_lt_f32_e64 s[2:3], |v6|, s42
	v_cndmask_b32_e64 v61, 1.0, v51, s[2:3]
	v_mul_f32_e64 v61, |v6|, v61
	v_log_f32_e32 v61, v61
	v_fma_f32 v63, |v6|, s54, v53
	v_fma_f32 v63, |v6|, v63, s55
	;; [unrolled: 1-line block ×3, first 2 shown]
	v_mul_f32_e32 v64, 0x3f317217, v61
	v_fma_f32 v65, v61, s43, -v64
	v_fmac_f32_e32 v65, 0x3377d1cf, v61
	v_add_f32_e32 v64, v64, v65
	v_cmp_lt_f32_e64 s[6:7], |v61|, s44
	v_cndmask_b32_e64 v61, v61, v64, s[6:7]
	v_cndmask_b32_e64 v64, 0, v52, s[2:3]
	v_sub_f32_e32 v61, v61, v64
	v_fma_f32 v61, |v6|, v63, -v61
.LBB11_112:                             ;   in Loop: Header=BB11_4 Depth=1
	s_or_b64 exec, exec, s[8:9]
	v_cmp_le_f32_e64 s[2:3], 0, v6
	v_cmp_nle_f32_e64 s[6:7], 0, v6
	s_and_saveexec_b64 s[8:9], s[6:7]
	s_xor_b64 s[10:11], exec, s[8:9]
	s_cbranch_execz .LBB11_116
; %bb.113:                              ;   in Loop: Header=BB11_4 Depth=1
	v_cmp_lt_f32_e64 s[6:7], |v6|, s57
	v_cmp_gt_f32_e64 s[8:9], |v6|, s58
	s_and_b64 s[6:7], s[6:7], s[8:9]
	s_and_saveexec_b64 s[30:31], s[6:7]
	s_cbranch_execz .LBB11_115
; %bb.114:                              ;   in Loop: Header=BB11_4 Depth=1
	v_mul_f32_e64 v63, |v6|, 0.5
	v_floor_f32_e32 v64, v63
	v_sub_f32_e32 v64, v63, v64
	v_min_f32_e32 v64, 0x3f7fffff, v64
	v_add_f32_e32 v64, v64, v64
	v_cmp_neq_f32_e64 s[6:7], s44, v63
	v_cndmask_b32_e64 v63, 0, v64, s[6:7]
	v_cmp_gt_f32_e64 s[6:7], |v6|, 1.0
	v_cndmask_b32_e64 v63, |v6|, v63, s[6:7]
	v_add_f32_e32 v64, v63, v63
	v_rndne_f32_e32 v64, v64
	v_fmac_f32_e32 v63, -0.5, v64
	v_mul_f32_e32 v65, v63, v63
	v_mov_b32_e32 v66, 0xbf1f24be
	v_fmac_f32_e32 v66, 0x3e75aa41, v65
	v_fma_f32 v66, v65, v66, v45
	v_fma_f32 v66, v65, v66, v46
	v_mul_f32_e32 v67, v63, v65
	v_mul_f32_e32 v66, v67, v66
	v_fmac_f32_e32 v66, 0x40490fdb, v63
	v_mov_b32_e32 v63, 0x3e642e9d
	v_cvt_i32_f32_e32 v64, v64
	v_fmac_f32_e32 v63, 0x3d4be544, v65
	v_fma_f32 v63, v65, v63, v47
	v_fma_f32 v63, v65, v63, v48
	;; [unrolled: 1-line block ×3, first 2 shown]
	v_fma_f32 v63, v65, v63, 1.0
	v_and_b32_e32 v65, 1, v64
	v_cmp_eq_u32_e64 s[6:7], 0, v65
	v_lshlrev_b32_e32 v64, 30, v64
	v_cndmask_b32_e64 v63, v63, v66, s[6:7]
	v_and_or_b32 v62, v64, s46, v62
	v_xor_b32_e32 v62, v62, v63
	v_xor_b32_e32 v62, v62, v6
	v_mul_f32_e32 v62, v6, v62
	v_frexp_mant_f32_e64 v63, |v62|
	v_rcp_f32_e32 v63, v63
	v_frexp_exp_i32_f32_e32 v62, v62
	v_sub_u32_e32 v62, 2, v62
	v_mul_f32_e32 v63, 0x3f490fdb, v63
	v_ldexp_f32 v62, v63, v62
	v_cmp_gt_f32_e64 s[6:7], s42, v62
	v_cndmask_b32_e64 v63, 1.0, v51, s[6:7]
	v_mul_f32_e32 v62, v62, v63
	v_log_f32_e32 v62, v62
	v_mul_f32_e32 v63, 0x3f317217, v62
	v_fma_f32 v64, v62, s43, -v63
	v_fmac_f32_e32 v64, 0x3377d1cf, v62
	v_add_f32_e32 v63, v63, v64
	v_cmp_lt_f32_e64 s[8:9], |v62|, s44
	v_cndmask_b32_e64 v62, v62, v63, s[8:9]
	v_cndmask_b32_e64 v63, 0, v52, s[6:7]
	v_sub_f32_e32 v62, v62, v63
	v_sub_f32_e32 v61, v62, v61
	v_floor_f32_e32 v62, v6
	v_sub_f32_e32 v62, v6, v62
	v_min_f32_e32 v62, 0x3f7fffff, v62
	v_cmp_neq_f32_e64 s[6:7], 0, v62
	v_cndmask_b32_e64 v61, v54, v61, s[6:7]
.LBB11_115:                             ;   in Loop: Header=BB11_4 Depth=1
	s_or_b64 exec, exec, s[30:31]
.LBB11_116:                             ;   in Loop: Header=BB11_4 Depth=1
	s_andn2_saveexec_b64 s[10:11], s[10:11]
; %bb.117:                              ;   in Loop: Header=BB11_4 Depth=1
	v_cmp_eq_f32_e64 s[6:7], 1.0, v6
	v_cmp_eq_f32_e64 s[8:9], 2.0, v6
	s_or_b64 s[6:7], s[6:7], s[8:9]
	v_cndmask_b32_e64 v61, v61, 0, s[6:7]
; %bb.118:                              ;   in Loop: Header=BB11_4 Depth=1
	s_or_b64 exec, exec, s[10:11]
	v_and_b32_e32 v7, 0xffff0000, v7
	v_and_b32_e32 v62, 0x7fffffff, v7
	v_cmp_nlt_f32_e64 s[6:7], |v7|, s39
                                        ; implicit-def: $vgpr63
	s_and_saveexec_b64 s[8:9], s[6:7]
	s_xor_b64 s[10:11], exec, s[8:9]
	s_cbranch_execz .LBB11_148
; %bb.119:                              ;   in Loop: Header=BB11_4 Depth=1
	v_cmp_nlt_f32_e64 s[6:7], |v7|, 2.0
                                        ; implicit-def: $vgpr63
	s_and_saveexec_b64 s[8:9], s[6:7]
	s_xor_b64 s[30:31], exec, s[8:9]
	s_cbranch_execz .LBB11_129
; %bb.120:                              ;   in Loop: Header=BB11_4 Depth=1
	v_cmp_nlt_f32_e64 s[6:7], |v7|, s40
                                        ; implicit-def: $vgpr63
	s_and_saveexec_b64 s[8:9], s[6:7]
	s_xor_b64 s[34:35], exec, s[8:9]
	s_cbranch_execz .LBB11_126
; %bb.121:                              ;   in Loop: Header=BB11_4 Depth=1
	v_cmp_nlt_f32_e64 s[6:7], |v7|, s41
                                        ; implicit-def: $vgpr63
	s_and_saveexec_b64 s[8:9], s[6:7]
	s_xor_b64 s[36:37], exec, s[8:9]
	s_cbranch_execz .LBB11_123
; %bb.122:                              ;   in Loop: Header=BB11_4 Depth=1
	v_cmp_lt_f32_e64 s[6:7], |v7|, s42
	v_cndmask_b32_e64 v63, 1.0, v51, s[6:7]
	v_mul_f32_e64 v63, |v7|, v63
	v_log_f32_e32 v63, v63
	v_mul_f32_e32 v64, 0x3f317217, v63
	v_fma_f32 v65, v63, s43, -v64
	v_fmac_f32_e32 v65, 0x3377d1cf, v63
	v_add_f32_e32 v64, v64, v65
	v_cmp_lt_f32_e64 s[8:9], |v63|, s44
	v_cndmask_b32_e64 v63, v63, v64, s[8:9]
	v_cndmask_b32_e64 v64, 0, v52, s[6:7]
	v_sub_f32_e32 v63, v63, v64
	v_fma_f32 v63, |v7|, v63, -|v7|
.LBB11_123:                             ;   in Loop: Header=BB11_4 Depth=1
	s_andn2_saveexec_b64 s[36:37], s[36:37]
	s_cbranch_execz .LBB11_125
; %bb.124:                              ;   in Loop: Header=BB11_4 Depth=1
	v_rcp_f32_e64 v63, |v7|
	v_cmp_lt_f32_e64 s[6:7], |v7|, s42
	v_cndmask_b32_e64 v65, 1.0, v51, s[6:7]
	v_mov_b32_e32 v64, 0x3a5b3dd2
	v_mul_f32_e32 v66, v63, v63
	v_mul_f32_e64 v65, |v7|, v65
	v_fmac_f32_e32 v64, 0xbad5c4e8, v66
	v_log_f32_e32 v65, v65
	v_fma_f32 v64, v66, v64, v8
	v_fma_f32 v64, v66, v64, v9
	;; [unrolled: 1-line block ×4, first 2 shown]
	v_mul_f32_e32 v66, 0x3f317217, v65
	v_fma_f32 v67, v65, s43, -v66
	v_fmac_f32_e32 v67, 0x3377d1cf, v65
	v_add_f32_e32 v66, v66, v67
	v_cmp_lt_f32_e64 s[8:9], |v65|, s44
	v_cndmask_b32_e64 v65, v65, v66, s[8:9]
	v_cndmask_b32_e64 v66, 0, v52, s[6:7]
	v_sub_f32_e32 v65, v65, v66
	v_fma_f32 v63, v63, v64, v12
	v_add_f32_e64 v64, |v7|, -0.5
	v_add_f32_e32 v65, -1.0, v65
	v_fmac_f32_e32 v63, v64, v65
.LBB11_125:                             ;   in Loop: Header=BB11_4 Depth=1
	s_or_b64 exec, exec, s[36:37]
.LBB11_126:                             ;   in Loop: Header=BB11_4 Depth=1
	s_andn2_saveexec_b64 s[34:35], s[34:35]
	s_cbranch_execz .LBB11_128
; %bb.127:                              ;   in Loop: Header=BB11_4 Depth=1
	v_cvt_i32_f32_e32 v63, v62
	v_mov_b32_e32 v66, 0x3a4beed6
	v_mov_b32_e32 v65, 0x3af135b4
	v_cvt_f32_i32_e32 v64, v63
	v_cmp_lt_i32_e64 s[6:7], 2, v63
	v_cmp_lt_i32_e64 s[8:9], 3, v63
	v_sub_f32_e64 v64, |v7|, v64
	v_fmac_f32_e32 v66, 0x36f5d7bd, v64
	v_fma_f32 v66, v64, v66, v18
	v_fma_f32 v66, v64, v66, v19
	v_fmac_f32_e32 v65, 0x3805ff67, v64
	v_fma_f32 v66, v64, v66, v20
	v_fma_f32 v65, v64, v65, v13
	;; [unrolled: 1-line block ×4, first 2 shown]
	v_fma_f32 v66, v64, v66, 1.0
	v_fma_f32 v65, v64, v65, v15
	v_rcp_f32_e32 v66, v66
	v_fma_f32 v65, v64, v65, v16
	v_fma_f32 v65, v64, v65, v17
	v_mul_f32_e32 v65, v64, v65
	v_mul_f32_e32 v66, v65, v66
	v_fmac_f32_e32 v66, 0.5, v64
	v_add_f32_e32 v67, 4.0, v64
	v_add_f32_e32 v68, 0x40a00000, v64
	v_add_f32_e32 v69, 0x40c00000, v64
	v_pk_add_f32 v[64:65], v[64:65], s[26:27] op_sel_hi:[0,1]
	v_cndmask_b32_e64 v65, 1.0, v65, s[8:9]
	v_cndmask_b32_e64 v64, 1.0, v64, s[6:7]
	v_cmp_lt_i32_e64 s[6:7], 4, v63
	v_mul_f32_e32 v64, v64, v65
	v_cndmask_b32_e64 v65, 1.0, v67, s[6:7]
	v_cmp_lt_i32_e64 s[6:7], 5, v63
	v_mul_f32_e32 v64, v65, v64
	;; [unrolled: 3-line block ×3, first 2 shown]
	v_cndmask_b32_e64 v63, 1.0, v69, s[6:7]
	v_mul_f32_e32 v63, v63, v64
	v_cmp_gt_f32_e64 s[6:7], s42, v63
	v_cndmask_b32_e64 v64, 1.0, v51, s[6:7]
	v_mul_f32_e32 v63, v63, v64
	v_log_f32_e32 v63, v63
	v_mul_f32_e32 v64, 0x3f317217, v63
	v_fma_f32 v65, v63, s43, -v64
	v_fmac_f32_e32 v65, 0x3377d1cf, v63
	v_add_f32_e32 v64, v64, v65
	v_cmp_lt_f32_e64 s[8:9], |v63|, s44
	v_cndmask_b32_e64 v63, v63, v64, s[8:9]
	v_cndmask_b32_e64 v64, 0, v52, s[6:7]
	v_sub_f32_e32 v63, v63, v64
	v_add_f32_e32 v63, v63, v66
.LBB11_128:                             ;   in Loop: Header=BB11_4 Depth=1
	s_or_b64 exec, exec, s[34:35]
.LBB11_129:                             ;   in Loop: Header=BB11_4 Depth=1
	s_andn2_saveexec_b64 s[8:9], s[30:31]
	s_cbranch_execz .LBB11_147
; %bb.130:                              ;   in Loop: Header=BB11_4 Depth=1
	v_cmp_le_f32_e64 s[6:7], |v7|, s45
                                        ; implicit-def: $vgpr63
                                        ; implicit-def: $vgpr65
                                        ; implicit-def: $vgpr64
	s_and_saveexec_b64 s[30:31], s[6:7]
	s_xor_b64 s[30:31], exec, s[30:31]
	s_cbranch_execz .LBB11_132
; %bb.131:                              ;   in Loop: Header=BB11_4 Depth=1
	v_cmp_lt_f32_e64 s[6:7], |v7|, s42
	v_cndmask_b32_e64 v63, 1.0, v51, s[6:7]
	v_mul_f32_e64 v63, |v7|, v63
	v_log_f32_e32 v63, v63
	v_cndmask_b32_e64 v64, 0, v52, s[6:7]
	v_mul_f32_e32 v65, 0x3f317217, v63
	v_fma_f32 v66, v63, s43, -v65
	v_fmac_f32_e32 v66, 0x3377d1cf, v63
	v_add_f32_e32 v65, v65, v66
	v_cmp_lt_f32_e64 s[6:7], |v63|, s44
	v_cndmask_b32_e64 v63, v63, v65, s[6:7]
	v_sub_f32_e32 v63, v63, v64
	v_sub_f32_e64 v64, 1.0, |v7|
	v_add_f32_e64 v65, |v7|, s48
	v_cmp_lt_f32_e64 s[6:7], |v7|, s47
	v_cndmask_b32_e64 v64, v64, v65, s[6:7]
	v_cndmask_b32_e64 v65, 0, 1, s[6:7]
	v_cmp_lt_f32_e64 s[6:7], |v7|, s49
	v_xor_b32_e32 v63, 0x80000000, v63
	v_cndmask_b32_e64 v64, v64, |v7|, s[6:7]
	v_cndmask_b32_e64 v65, v65, 2, s[6:7]
.LBB11_132:                             ;   in Loop: Header=BB11_4 Depth=1
	s_andn2_saveexec_b64 s[30:31], s[30:31]
; %bb.133:                              ;   in Loop: Header=BB11_4 Depth=1
	v_sub_f32_e64 v63, 2.0, |v7|
	v_add_f32_e64 v64, |v7|, s51
	v_cmp_lt_f32_e64 s[6:7], |v7|, s50
	v_cndmask_b32_e64 v64, v63, v64, s[6:7]
	v_cndmask_b32_e64 v63, v63, 1.0, s[6:7]
	v_cvt_i32_f32_e32 v63, v63
	v_add_f32_e64 v65, |v7|, -1.0
	v_cmp_lt_f32_e64 s[6:7], |v7|, s52
	v_cndmask_b32_e64 v64, v64, v65, s[6:7]
	v_cndmask_b32_e64 v65, v63, 2, s[6:7]
	v_mov_b32_e32 v63, 0
; %bb.134:                              ;   in Loop: Header=BB11_4 Depth=1
	s_or_b64 exec, exec, s[30:31]
	v_cmp_lt_i32_e64 s[6:7], 0, v65
	s_and_saveexec_b64 s[30:31], s[6:7]
	s_xor_b64 s[30:31], exec, s[30:31]
	s_cbranch_execz .LBB11_142
; %bb.135:                              ;   in Loop: Header=BB11_4 Depth=1
	v_cmp_lt_i32_e64 s[6:7], 1, v65
	s_and_saveexec_b64 s[34:35], s[6:7]
	s_xor_b64 s[34:35], exec, s[34:35]
	s_cbranch_execz .LBB11_139
; %bb.136:                              ;   in Loop: Header=BB11_4 Depth=1
	v_cmp_eq_u32_e64 s[6:7], 2, v65
	s_and_saveexec_b64 s[36:37], s[6:7]
	s_cbranch_execz .LBB11_138
; %bb.137:                              ;   in Loop: Header=BB11_4 Depth=1
	v_mov_b32_e32 v66, 0x3dd572af
	v_fmac_f32_e32 v66, 0x3b52d5db, v64
	v_fma_f32 v66, v64, v66, v25
	v_mov_b32_e32 v65, 0x3e6a7578
	v_fma_f32 v66, v64, v66, v26
	v_fmac_f32_e32 v65, 0x3c5b3c5e, v64
	v_fma_f32 v66, v64, v66, v27
	v_fma_f32 v65, v64, v65, v22
	v_fma_f32 v66, v64, v66, 1.0
	v_fma_f32 v65, v64, v65, v23
	v_rcp_f32_e32 v66, v66
	v_fma_f32 v65, v64, v65, v24
	v_fma_f32 v65, v64, v65, v17
	v_mul_f32_e32 v65, v64, v65
	v_mul_f32_e32 v65, v65, v66
	v_fmac_f32_e32 v65, -0.5, v64
	v_add_f32_e32 v63, v63, v65
.LBB11_138:                             ;   in Loop: Header=BB11_4 Depth=1
	s_or_b64 exec, exec, s[36:37]
                                        ; implicit-def: $vgpr64
.LBB11_139:                             ;   in Loop: Header=BB11_4 Depth=1
	s_andn2_saveexec_b64 s[6:7], s[34:35]
	s_cbranch_execz .LBB11_141
; %bb.140:                              ;   in Loop: Header=BB11_4 Depth=1
	v_mul_f32_e32 v65, v64, v64
	v_mul_f32_e32 v66, v64, v65
	v_mov_b32_e32 v68, 0x3a66f867
	v_mov_b32_e32 v69, 0xba0d3085
	v_fmac_f32_e32 v68, 0xb9a3f927, v66
	v_fmac_f32_e32 v69, 0x39afe9f7, v66
	v_mov_b32_e32 v67, 0xbab7f476
	v_fma_f32 v68, v66, v68, v31
	v_fma_f32 v69, v66, v69, v34
	v_fmac_f32_e32 v67, 0x39a57b6b, v66
	v_fma_f32 v68, v66, v68, v32
	v_fma_f32 v69, v66, v69, v35
	;; [unrolled: 1-line block ×6, first 2 shown]
	v_fmac_f32_e32 v68, v64, v69
	v_fma_f32 v67, v66, v67, v30
	v_fma_f32 v64, v66, -v68, s53
	v_fma_f32 v64, v65, v67, -v64
	v_add_f32_e32 v64, 0xbdf8cdce, v64
	v_add_f32_e32 v63, v63, v64
.LBB11_141:                             ;   in Loop: Header=BB11_4 Depth=1
	s_or_b64 exec, exec, s[6:7]
                                        ; implicit-def: $vgpr65
                                        ; implicit-def: $vgpr64
.LBB11_142:                             ;   in Loop: Header=BB11_4 Depth=1
	s_andn2_saveexec_b64 s[30:31], s[30:31]
	s_cbranch_execz .LBB11_146
; %bb.143:                              ;   in Loop: Header=BB11_4 Depth=1
	v_cmp_eq_u32_e64 s[6:7], 0, v65
	s_and_saveexec_b64 s[34:35], s[6:7]
	s_cbranch_execz .LBB11_145
; %bb.144:                              ;   in Loop: Header=BB11_4 Depth=1
	v_mul_f32_e32 v65, v64, v64
	v_mov_b32_e32 v67, 0x38e28445
	v_mov_b32_e32 v66, 0x39679767
	v_fmac_f32_e32 v67, 0x383c2c75, v65
	v_fmac_f32_e32 v66, 0x37d383a2, v65
	v_fma_f32 v67, v65, v67, v41
	v_fma_f32 v66, v65, v66, v37
	;; [unrolled: 1-line block ×8, first 2 shown]
	v_mul_f32_e32 v65, v65, v67
	v_fmac_f32_e32 v65, v64, v66
	v_fmac_f32_e32 v65, -0.5, v64
	v_add_f32_e32 v63, v63, v65
.LBB11_145:                             ;   in Loop: Header=BB11_4 Depth=1
	s_or_b64 exec, exec, s[34:35]
.LBB11_146:                             ;   in Loop: Header=BB11_4 Depth=1
	s_or_b64 exec, exec, s[30:31]
.LBB11_147:                             ;   in Loop: Header=BB11_4 Depth=1
	s_or_b64 exec, exec, s[8:9]
.LBB11_148:                             ;   in Loop: Header=BB11_4 Depth=1
	s_andn2_saveexec_b64 s[10:11], s[10:11]
	s_cbranch_execz .LBB11_150
; %bb.149:                              ;   in Loop: Header=BB11_4 Depth=1
	v_cmp_lt_f32_e64 s[6:7], |v7|, s42
	v_cndmask_b32_e64 v63, 1.0, v51, s[6:7]
	v_mul_f32_e64 v63, |v7|, v63
	v_log_f32_e32 v63, v63
	v_fma_f32 v64, |v7|, s54, v53
	v_fma_f32 v64, |v7|, v64, s55
	;; [unrolled: 1-line block ×3, first 2 shown]
	v_mul_f32_e32 v65, 0x3f317217, v63
	v_fma_f32 v66, v63, s43, -v65
	v_fmac_f32_e32 v66, 0x3377d1cf, v63
	v_add_f32_e32 v65, v65, v66
	v_cmp_lt_f32_e64 s[8:9], |v63|, s44
	v_cndmask_b32_e64 v63, v63, v65, s[8:9]
	v_cndmask_b32_e64 v65, 0, v52, s[6:7]
	v_sub_f32_e32 v63, v63, v65
	v_fma_f32 v63, |v7|, v64, -v63
.LBB11_150:                             ;   in Loop: Header=BB11_4 Depth=1
	s_or_b64 exec, exec, s[10:11]
	v_cmp_le_f32_e64 s[6:7], 0, v7
	v_cmp_nle_f32_e64 s[8:9], 0, v7
	s_and_saveexec_b64 s[10:11], s[8:9]
	s_xor_b64 s[30:31], exec, s[10:11]
	s_cbranch_execz .LBB11_154
; %bb.151:                              ;   in Loop: Header=BB11_4 Depth=1
	v_cmp_lt_f32_e64 s[8:9], |v7|, s57
	v_cmp_gt_f32_e64 s[10:11], |v7|, s58
	s_and_b64 s[8:9], s[8:9], s[10:11]
	s_and_saveexec_b64 s[34:35], s[8:9]
	s_cbranch_execz .LBB11_153
; %bb.152:                              ;   in Loop: Header=BB11_4 Depth=1
	v_mul_f32_e64 v64, |v7|, 0.5
	v_floor_f32_e32 v65, v64
	v_sub_f32_e32 v65, v64, v65
	v_min_f32_e32 v65, 0x3f7fffff, v65
	v_add_f32_e32 v65, v65, v65
	v_cmp_neq_f32_e64 s[8:9], s44, v64
	v_cndmask_b32_e64 v64, 0, v65, s[8:9]
	v_cmp_gt_f32_e64 s[8:9], |v7|, 1.0
	v_cndmask_b32_e64 v64, |v7|, v64, s[8:9]
	v_add_f32_e32 v65, v64, v64
	v_rndne_f32_e32 v65, v65
	v_fmac_f32_e32 v64, -0.5, v65
	v_mul_f32_e32 v66, v64, v64
	v_mov_b32_e32 v67, 0xbf1f24be
	v_fmac_f32_e32 v67, 0x3e75aa41, v66
	v_fma_f32 v67, v66, v67, v45
	v_fma_f32 v67, v66, v67, v46
	v_mul_f32_e32 v68, v64, v66
	v_mul_f32_e32 v67, v68, v67
	v_fmac_f32_e32 v67, 0x40490fdb, v64
	v_mov_b32_e32 v64, 0x3e642e9d
	v_cvt_i32_f32_e32 v65, v65
	v_fmac_f32_e32 v64, 0x3d4be544, v66
	v_fma_f32 v64, v66, v64, v47
	v_fma_f32 v64, v66, v64, v48
	;; [unrolled: 1-line block ×3, first 2 shown]
	v_fma_f32 v64, v66, v64, 1.0
	v_and_b32_e32 v66, 1, v65
	v_cmp_eq_u32_e64 s[8:9], 0, v66
	v_lshlrev_b32_e32 v65, 30, v65
	v_cndmask_b32_e64 v64, v64, v67, s[8:9]
	v_and_or_b32 v62, v65, s46, v62
	v_xor_b32_e32 v62, v62, v64
	v_xor_b32_e32 v62, v62, v7
	v_mul_f32_e32 v62, v7, v62
	v_frexp_mant_f32_e64 v64, |v62|
	v_rcp_f32_e32 v64, v64
	v_frexp_exp_i32_f32_e32 v62, v62
	v_sub_u32_e32 v62, 2, v62
	v_mul_f32_e32 v64, 0x3f490fdb, v64
	v_ldexp_f32 v62, v64, v62
	v_cmp_gt_f32_e64 s[8:9], s42, v62
	v_cndmask_b32_e64 v64, 1.0, v51, s[8:9]
	v_mul_f32_e32 v62, v62, v64
	v_log_f32_e32 v62, v62
	v_mul_f32_e32 v64, 0x3f317217, v62
	v_fma_f32 v65, v62, s43, -v64
	v_fmac_f32_e32 v65, 0x3377d1cf, v62
	v_add_f32_e32 v64, v64, v65
	v_cmp_lt_f32_e64 s[10:11], |v62|, s44
	v_cndmask_b32_e64 v62, v62, v64, s[10:11]
	v_cndmask_b32_e64 v64, 0, v52, s[8:9]
	v_sub_f32_e32 v62, v62, v64
	v_sub_f32_e32 v62, v62, v63
	v_floor_f32_e32 v63, v7
	v_sub_f32_e32 v63, v7, v63
	v_min_f32_e32 v63, 0x3f7fffff, v63
	v_cmp_neq_f32_e64 s[8:9], 0, v63
	v_cndmask_b32_e64 v63, v54, v62, s[8:9]
.LBB11_153:                             ;   in Loop: Header=BB11_4 Depth=1
	s_or_b64 exec, exec, s[34:35]
.LBB11_154:                             ;   in Loop: Header=BB11_4 Depth=1
	s_andn2_saveexec_b64 s[30:31], s[30:31]
	s_cbranch_execz .LBB11_3
; %bb.155:                              ;   in Loop: Header=BB11_4 Depth=1
	v_cmp_eq_f32_e64 s[8:9], 1.0, v7
	v_cmp_eq_f32_e64 s[10:11], 2.0, v7
	s_or_b64 s[8:9], s[8:9], s[10:11]
	v_cndmask_b32_e64 v63, v63, 0, s[8:9]
	s_branch .LBB11_3
.LBB11_156:
	s_or_b64 exec, exec, s[22:23]
	s_mov_b64 s[0:1], 0
.LBB11_157:
	s_andn2_b64 vcc, exec, s[0:1]
	s_cbranch_vccnz .LBB11_329
; %bb.158:
	v_cmp_lt_i64_e64 s[0:1], s[20:21], 1
	s_and_b64 vcc, exec, s[0:1]
	s_cbranch_vccnz .LBB11_329
; %bb.159:
	s_load_dword s0, s[4:5], 0xc5c
	v_mov_b32_e32 v2, 0x10000
	v_mov_b32_e32 v3, 0
	v_cmp_lt_u64_e32 vcc, s[20:21], v[2:3]
	v_lshlrev_b32_e32 v10, 1, v0
	s_waitcnt lgkmcnt(0)
	s_and_b32 s2, s0, 0xffff
	s_and_b64 s[0:1], vcc, exec
	v_mov_b32_e32 v13, s15
	v_add_co_u32_e32 v2, vcc, s14, v10
	v_addc_co_u32_e32 v1, vcc, 0, v13, vcc
	v_mov_b32_e32 v11, 0
	v_mov_b32_e32 v15, s13
	v_add_co_u32_e32 v4, vcc, s12, v10
	v_addc_co_u32_e32 v3, vcc, 0, v15, vcc
	v_mad_u64_u32 v[8:9], s[0:1], s2, 6, v[10:11]
	v_add_co_u32_e32 v6, vcc, s14, v8
	v_addc_co_u32_e32 v5, vcc, v13, v9, vcc
	v_add_co_u32_e32 v8, vcc, s12, v8
	s_mul_i32 s4, s2, 3
	v_addc_co_u32_e32 v7, vcc, v15, v9, vcc
	s_cselect_b32 s23, s21, 0
	s_cselect_b32 s22, s20, 0x10000
	s_lshl_b32 s36, s2, 2
	v_add_co_u32_e32 v17, vcc, s4, v0
	v_addc_co_u32_e64 v18, s[0:1], 0, 0, vcc
	v_add_co_u32_e32 v11, vcc, s36, v10
	v_addc_co_u32_e64 v14, s[0:1], 0, 0, vcc
	v_add_co_u32_e32 v10, vcc, s14, v11
	v_addc_co_u32_e32 v9, vcc, v13, v14, vcc
	v_add_co_u32_e32 v12, vcc, s12, v11
	s_lshl_b32 s3, s2, 1
	v_addc_co_u32_e32 v11, vcc, v15, v14, vcc
	v_add_co_u32_e32 v19, vcc, s3, v0
	v_addc_co_u32_e64 v20, s[0:1], 0, 0, vcc
	v_add_co_u32_e32 v21, vcc, s2, v0
	v_lshlrev_b32_e32 v16, 1, v21
	v_addc_co_u32_e64 v22, s[0:1], 0, 0, vcc
	v_add_co_u32_e32 v14, vcc, s14, v16
	v_addc_co_u32_e32 v13, vcc, 0, v13, vcc
	v_add_co_u32_e32 v16, vcc, s12, v16
	s_mov_b32 s26, 2.0
	s_mov_b32 s33, 0
	s_lshl_b32 s37, s2, 3
	v_addc_co_u32_e32 v15, vcc, 0, v15, vcc
	s_mov_b64 s[24:25], 0
	s_mov_b32 s38, 0x3c800000
	s_mov_b32 s27, 0x40400000
	;; [unrolled: 1-line block ×7, first 2 shown]
	v_mov_b32_e32 v23, 0xba1c065c
	v_mov_b32_e32 v24, 0x3a500cfd
	;; [unrolled: 1-line block ×14, first 2 shown]
	s_mov_b32 s44, 0x3f666666
	s_brev_b32 s45, 1
	s_mov_b32 s46, 0x3f3b4a23
	s_mov_b32 s47, 0xbeec5b0c
	;; [unrolled: 1-line block ×6, first 2 shown]
	v_mov_b32_e32 v37, 0x3f7a4bb2
	v_mov_b32_e32 v38, 0x3fba3ae7
	;; [unrolled: 1-line block ×6, first 2 shown]
	s_mov_b32 s52, 0xa2863e55
	s_mov_b32 s53, 0x3e8a8991
	;; [unrolled: 1-line block ×6, first 2 shown]
	s_movk_i32 s58, 0x7fff
	v_mov_b32_e32 v43, 0x3bc7e707
	v_mov_b32_e32 v44, 0xbd064d47
	;; [unrolled: 1-line block ×28, first 2 shown]
	s_branch .LBB11_161
.LBB11_160:                             ;   in Loop: Header=BB11_161 Depth=1
	s_or_b64 exec, exec, s[0:1]
	s_add_u32 s24, s24, s36
	s_addc_u32 s25, s25, 0
	v_pk_mov_b32 v[72:73], s[20:21], s[20:21] op_sel:[0,1]
	v_cmp_ge_i64_e32 vcc, s[24:25], v[72:73]
	v_mov_b32_e32 v72, 0xffff
	v_mov_b32_e32 v73, 0
	v_cmp_gt_u64_e64 s[0:1], s[24:25], v[72:73]
	s_or_b64 s[0:1], vcc, s[0:1]
	v_mov_b32_e32 v71, s33
	v_add_co_u32_e32 v2, vcc, s37, v2
	v_addc_co_u32_e32 v1, vcc, v1, v71, vcc
	v_add_co_u32_e32 v4, vcc, s37, v4
	v_addc_co_u32_e32 v3, vcc, v3, v71, vcc
	;; [unrolled: 2-line block ×8, first 2 shown]
	s_and_b64 vcc, exec, s[0:1]
	s_cbranch_vccnz .LBB11_329
.LBB11_161:                             ; =>This Inner Loop Header: Depth=1
	v_mov_b32_e32 v71, s25
	v_add_co_u32_e32 v72, vcc, s24, v0
	v_addc_co_u32_e32 v73, vcc, 0, v71, vcc
	v_cmp_gt_u64_e64 s[4:5], s[22:23], v[72:73]
	v_mov_b32_e32 v71, 0
	s_and_saveexec_b64 s[0:1], s[4:5]
	s_cbranch_execz .LBB11_163
; %bb.162:                              ;   in Loop: Header=BB11_161 Depth=1
	v_mov_b32_e32 v71, s19
	v_add_co_u32_e32 v72, vcc, s18, v2
	v_addc_co_u32_e32 v73, vcc, v1, v71, vcc
	global_load_ushort v71, v[72:73], off
.LBB11_163:                             ;   in Loop: Header=BB11_161 Depth=1
	s_or_b64 exec, exec, s[0:1]
	v_mov_b32_e32 v73, s25
	v_add_co_u32_e32 v72, vcc, s24, v21
	v_addc_co_u32_e32 v73, vcc, v22, v73, vcc
	v_cmp_gt_u64_e64 s[2:3], s[22:23], v[72:73]
	v_mov_b32_e32 v73, 0
	s_and_saveexec_b64 s[0:1], s[2:3]
	s_cbranch_execz .LBB11_165
; %bb.164:                              ;   in Loop: Header=BB11_161 Depth=1
	v_mov_b32_e32 v73, s19
	v_add_co_u32_e32 v72, vcc, s18, v14
	v_addc_co_u32_e32 v73, vcc, v13, v73, vcc
	global_load_ushort v73, v[72:73], off
.LBB11_165:                             ;   in Loop: Header=BB11_161 Depth=1
	s_or_b64 exec, exec, s[0:1]
	v_mov_b32_e32 v72, s25
	v_add_co_u32_e32 v74, vcc, s24, v19
	v_addc_co_u32_e32 v75, vcc, v20, v72, vcc
	v_cmp_gt_u64_e64 s[0:1], s[22:23], v[74:75]
	v_mov_b32_e32 v74, 0
	v_mov_b32_e32 v76, 0
	s_and_saveexec_b64 s[6:7], s[0:1]
	s_cbranch_execz .LBB11_167
; %bb.166:                              ;   in Loop: Header=BB11_161 Depth=1
	v_mov_b32_e32 v72, s19
	v_add_co_u32_e32 v76, vcc, s18, v10
	v_addc_co_u32_e32 v77, vcc, v9, v72, vcc
	global_load_ushort v76, v[76:77], off
.LBB11_167:                             ;   in Loop: Header=BB11_161 Depth=1
	s_or_b64 exec, exec, s[6:7]
	v_mov_b32_e32 v72, s25
	v_add_co_u32_e32 v78, vcc, s24, v17
	v_addc_co_u32_e32 v79, vcc, v18, v72, vcc
	v_cmp_gt_u64_e32 vcc, s[22:23], v[78:79]
	s_and_saveexec_b64 s[8:9], vcc
	s_cbranch_execz .LBB11_169
; %bb.168:                              ;   in Loop: Header=BB11_161 Depth=1
	v_mov_b32_e32 v72, s19
	v_add_co_u32_e64 v74, s[6:7], s18, v6
	v_addc_co_u32_e64 v75, s[6:7], v5, v72, s[6:7]
	global_load_ushort v74, v[74:75], off
.LBB11_169:                             ;   in Loop: Header=BB11_161 Depth=1
	s_or_b64 exec, exec, s[8:9]
	s_waitcnt vmcnt(0)
	v_lshlrev_b32_e32 v71, 16, v71
	v_and_b32_e32 v75, 0x7fffffff, v71
	v_cmp_nlt_f32_e64 s[6:7], |v71|, s38
                                        ; implicit-def: $vgpr72
	s_and_saveexec_b64 s[8:9], s[6:7]
	s_xor_b64 s[10:11], exec, s[8:9]
	s_cbranch_execz .LBB11_199
; %bb.170:                              ;   in Loop: Header=BB11_161 Depth=1
	v_cmp_nlt_f32_e64 s[6:7], |v71|, 2.0
                                        ; implicit-def: $vgpr72
	s_and_saveexec_b64 s[8:9], s[6:7]
	s_xor_b64 s[12:13], exec, s[8:9]
	s_cbranch_execz .LBB11_180
; %bb.171:                              ;   in Loop: Header=BB11_161 Depth=1
	v_cmp_nlt_f32_e64 s[6:7], |v71|, s39
                                        ; implicit-def: $vgpr72
	s_and_saveexec_b64 s[8:9], s[6:7]
	s_xor_b64 s[14:15], exec, s[8:9]
	s_cbranch_execz .LBB11_177
; %bb.172:                              ;   in Loop: Header=BB11_161 Depth=1
	v_cmp_nlt_f32_e64 s[6:7], |v71|, s40
                                        ; implicit-def: $vgpr72
	s_and_saveexec_b64 s[8:9], s[6:7]
	s_xor_b64 s[16:17], exec, s[8:9]
	s_cbranch_execz .LBB11_174
; %bb.173:                              ;   in Loop: Header=BB11_161 Depth=1
	v_cmp_lt_f32_e64 s[6:7], |v71|, s41
	v_cndmask_b32_e64 v72, 1.0, v66, s[6:7]
	v_mul_f32_e64 v72, |v71|, v72
	v_log_f32_e32 v72, v72
	v_mul_f32_e32 v77, 0x3f317217, v72
	v_fma_f32 v78, v72, s42, -v77
	v_fmac_f32_e32 v78, 0x3377d1cf, v72
	v_add_f32_e32 v77, v77, v78
	v_cmp_lt_f32_e64 s[8:9], |v72|, s43
	v_cndmask_b32_e64 v72, v72, v77, s[8:9]
	v_cndmask_b32_e64 v77, 0, v67, s[6:7]
	v_sub_f32_e32 v72, v72, v77
	v_fma_f32 v72, |v71|, v72, -|v71|
.LBB11_174:                             ;   in Loop: Header=BB11_161 Depth=1
	s_andn2_saveexec_b64 s[16:17], s[16:17]
	s_cbranch_execz .LBB11_176
; %bb.175:                              ;   in Loop: Header=BB11_161 Depth=1
	v_rcp_f32_e64 v72, |v71|
	v_cmp_lt_f32_e64 s[6:7], |v71|, s41
	v_cndmask_b32_e64 v78, 1.0, v66, s[6:7]
	v_mov_b32_e32 v77, 0x3a5b3dd2
	v_mul_f32_e32 v79, v72, v72
	v_mul_f32_e64 v78, |v71|, v78
	v_fmac_f32_e32 v77, 0xbad5c4e8, v79
	v_log_f32_e32 v78, v78
	v_fma_f32 v77, v79, v77, v23
	v_fma_f32 v77, v79, v77, v24
	;; [unrolled: 1-line block ×4, first 2 shown]
	v_mul_f32_e32 v79, 0x3f317217, v78
	v_fma_f32 v80, v78, s42, -v79
	v_fmac_f32_e32 v80, 0x3377d1cf, v78
	v_add_f32_e32 v79, v79, v80
	v_cmp_lt_f32_e64 s[8:9], |v78|, s43
	v_cndmask_b32_e64 v78, v78, v79, s[8:9]
	v_cndmask_b32_e64 v79, 0, v67, s[6:7]
	v_sub_f32_e32 v78, v78, v79
	v_fma_f32 v72, v72, v77, v27
	v_add_f32_e64 v77, |v71|, -0.5
	v_add_f32_e32 v78, -1.0, v78
	v_fmac_f32_e32 v72, v77, v78
.LBB11_176:                             ;   in Loop: Header=BB11_161 Depth=1
	s_or_b64 exec, exec, s[16:17]
.LBB11_177:                             ;   in Loop: Header=BB11_161 Depth=1
	s_andn2_saveexec_b64 s[14:15], s[14:15]
	s_cbranch_execz .LBB11_179
; %bb.178:                              ;   in Loop: Header=BB11_161 Depth=1
	v_cvt_i32_f32_e32 v77, v75
	v_mov_b32_e32 v78, 0x3af135b4
	v_mov_b32_e32 v79, 0x3a4beed6
	v_cvt_f32_i32_e32 v72, v77
	v_cmp_lt_i32_e64 s[6:7], 3, v77
	v_sub_f32_e64 v72, |v71|, v72
	v_fmac_f32_e32 v78, 0x3805ff67, v72
	v_fmac_f32_e32 v79, 0x36f5d7bd, v72
	v_fma_f32 v78, v72, v78, v28
	v_fma_f32 v79, v72, v79, v33
	;; [unrolled: 1-line block ×9, first 2 shown]
	v_fma_f32 v78, v72, v78, 1.0
	v_rcp_f32_e32 v81, v78
	v_pk_add_f32 v[78:79], v[72:73], s[26:27] op_sel_hi:[0,1]
	v_cndmask_b32_e64 v79, 1.0, v79, s[6:7]
	v_cmp_lt_i32_e64 s[6:7], 2, v77
	v_add_f32_e32 v82, 4.0, v72
	v_cndmask_b32_e64 v78, 1.0, v78, s[6:7]
	v_cmp_lt_i32_e64 s[6:7], 4, v77
	v_add_f32_e32 v83, 0x40a00000, v72
	v_mul_f32_e32 v78, v78, v79
	v_cndmask_b32_e64 v79, 1.0, v82, s[6:7]
	v_cmp_lt_i32_e64 s[6:7], 5, v77
	v_add_f32_e32 v84, 0x40c00000, v72
	v_mul_f32_e32 v78, v79, v78
	v_cndmask_b32_e64 v79, 1.0, v83, s[6:7]
	v_cmp_lt_i32_e64 s[6:7], 6, v77
	v_mul_f32_e32 v78, v79, v78
	v_cndmask_b32_e64 v77, 1.0, v84, s[6:7]
	v_mul_f32_e32 v77, v77, v78
	v_cmp_gt_f32_e64 s[6:7], s41, v77
	v_cndmask_b32_e64 v78, 1.0, v66, s[6:7]
	v_mul_f32_e32 v77, v77, v78
	v_log_f32_e32 v77, v77
	v_mul_f32_e32 v78, v72, v80
	v_mul_f32_e32 v78, v78, v81
	v_fmac_f32_e32 v78, 0.5, v72
	v_mul_f32_e32 v72, 0x3f317217, v77
	v_fma_f32 v79, v77, s42, -v72
	v_fmac_f32_e32 v79, 0x3377d1cf, v77
	v_add_f32_e32 v72, v72, v79
	v_cmp_lt_f32_e64 s[8:9], |v77|, s43
	v_cndmask_b32_e64 v72, v77, v72, s[8:9]
	v_cndmask_b32_e64 v77, 0, v67, s[6:7]
	v_sub_f32_e32 v72, v72, v77
	v_add_f32_e32 v72, v72, v78
.LBB11_179:                             ;   in Loop: Header=BB11_161 Depth=1
	s_or_b64 exec, exec, s[14:15]
.LBB11_180:                             ;   in Loop: Header=BB11_161 Depth=1
	s_andn2_saveexec_b64 s[8:9], s[12:13]
	s_cbranch_execz .LBB11_198
; %bb.181:                              ;   in Loop: Header=BB11_161 Depth=1
	v_cmp_le_f32_e64 s[6:7], |v71|, s44
                                        ; implicit-def: $vgpr72
                                        ; implicit-def: $vgpr78
                                        ; implicit-def: $vgpr77
	s_and_saveexec_b64 s[12:13], s[6:7]
	s_xor_b64 s[12:13], exec, s[12:13]
	s_cbranch_execz .LBB11_183
; %bb.182:                              ;   in Loop: Header=BB11_161 Depth=1
	v_cmp_lt_f32_e64 s[6:7], |v71|, s41
	v_cndmask_b32_e64 v72, 1.0, v66, s[6:7]
	v_mul_f32_e64 v72, |v71|, v72
	v_log_f32_e32 v72, v72
	v_cndmask_b32_e64 v77, 0, v67, s[6:7]
	v_mul_f32_e32 v78, 0x3f317217, v72
	v_fma_f32 v79, v72, s42, -v78
	v_fmac_f32_e32 v79, 0x3377d1cf, v72
	v_add_f32_e32 v78, v78, v79
	v_cmp_lt_f32_e64 s[6:7], |v72|, s43
	v_cndmask_b32_e64 v72, v72, v78, s[6:7]
	v_sub_f32_e32 v72, v72, v77
	v_sub_f32_e64 v77, 1.0, |v71|
	v_add_f32_e64 v78, |v71|, s47
	v_cmp_lt_f32_e64 s[6:7], |v71|, s46
	v_cndmask_b32_e64 v77, v77, v78, s[6:7]
	v_cndmask_b32_e64 v78, 0, 1, s[6:7]
	v_cmp_lt_f32_e64 s[6:7], |v71|, s48
	v_xor_b32_e32 v72, 0x80000000, v72
	v_cndmask_b32_e64 v77, v77, |v71|, s[6:7]
	v_cndmask_b32_e64 v78, v78, 2, s[6:7]
.LBB11_183:                             ;   in Loop: Header=BB11_161 Depth=1
	s_andn2_saveexec_b64 s[12:13], s[12:13]
; %bb.184:                              ;   in Loop: Header=BB11_161 Depth=1
	v_sub_f32_e64 v72, 2.0, |v71|
	v_add_f32_e64 v77, |v71|, s50
	v_cmp_lt_f32_e64 s[6:7], |v71|, s49
	v_cndmask_b32_e64 v77, v72, v77, s[6:7]
	v_cndmask_b32_e64 v72, v72, 1.0, s[6:7]
	v_cvt_i32_f32_e32 v72, v72
	v_add_f32_e64 v78, |v71|, -1.0
	v_cmp_lt_f32_e64 s[6:7], |v71|, s51
	v_cndmask_b32_e64 v77, v77, v78, s[6:7]
	v_cndmask_b32_e64 v78, v72, 2, s[6:7]
	v_mov_b32_e32 v72, 0
; %bb.185:                              ;   in Loop: Header=BB11_161 Depth=1
	s_or_b64 exec, exec, s[12:13]
	v_cmp_lt_i32_e64 s[6:7], 0, v78
	s_and_saveexec_b64 s[12:13], s[6:7]
	s_xor_b64 s[12:13], exec, s[12:13]
	s_cbranch_execz .LBB11_193
; %bb.186:                              ;   in Loop: Header=BB11_161 Depth=1
	v_cmp_lt_i32_e64 s[6:7], 1, v78
	s_and_saveexec_b64 s[14:15], s[6:7]
	s_xor_b64 s[14:15], exec, s[14:15]
	s_cbranch_execz .LBB11_190
; %bb.187:                              ;   in Loop: Header=BB11_161 Depth=1
	v_cmp_eq_u32_e64 s[6:7], 2, v78
	s_and_saveexec_b64 s[16:17], s[6:7]
	s_cbranch_execz .LBB11_189
; %bb.188:                              ;   in Loop: Header=BB11_161 Depth=1
	v_mov_b32_e32 v79, 0x3dd572af
	v_fmac_f32_e32 v79, 0x3b52d5db, v77
	v_fma_f32 v79, v77, v79, v40
	v_mov_b32_e32 v78, 0x3e6a7578
	v_fma_f32 v79, v77, v79, v41
	v_fmac_f32_e32 v78, 0x3c5b3c5e, v77
	v_fma_f32 v79, v77, v79, v42
	v_fma_f32 v78, v77, v78, v37
	v_fma_f32 v79, v77, v79, 1.0
	v_fma_f32 v78, v77, v78, v38
	v_rcp_f32_e32 v79, v79
	v_fma_f32 v78, v77, v78, v39
	v_fma_f32 v78, v77, v78, v32
	v_mul_f32_e32 v78, v77, v78
	v_mul_f32_e32 v78, v78, v79
	v_fmac_f32_e32 v78, -0.5, v77
	v_add_f32_e32 v72, v72, v78
.LBB11_189:                             ;   in Loop: Header=BB11_161 Depth=1
	s_or_b64 exec, exec, s[16:17]
                                        ; implicit-def: $vgpr77
.LBB11_190:                             ;   in Loop: Header=BB11_161 Depth=1
	s_andn2_saveexec_b64 s[6:7], s[14:15]
	s_cbranch_execz .LBB11_192
; %bb.191:                              ;   in Loop: Header=BB11_161 Depth=1
	v_mul_f32_e32 v78, v77, v77
	v_mul_f32_e32 v79, v77, v78
	v_mov_b32_e32 v81, 0x3a66f867
	v_mov_b32_e32 v82, 0xba0d3085
	v_fmac_f32_e32 v81, 0xb9a3f927, v79
	v_fmac_f32_e32 v82, 0x39afe9f7, v79
	v_mov_b32_e32 v80, 0xbab7f476
	v_fma_f32 v81, v79, v81, v46
	v_fma_f32 v82, v79, v82, v49
	v_fmac_f32_e32 v80, 0x39a57b6b, v79
	v_fma_f32 v81, v79, v81, v47
	v_fma_f32 v82, v79, v82, v50
	;; [unrolled: 1-line block ×6, first 2 shown]
	v_fmac_f32_e32 v81, v77, v82
	v_fma_f32 v80, v79, v80, v45
	v_fma_f32 v77, v79, -v81, s52
	v_fma_f32 v77, v78, v80, -v77
	v_add_f32_e32 v77, 0xbdf8cdce, v77
	v_add_f32_e32 v72, v72, v77
.LBB11_192:                             ;   in Loop: Header=BB11_161 Depth=1
	s_or_b64 exec, exec, s[6:7]
                                        ; implicit-def: $vgpr78
                                        ; implicit-def: $vgpr77
.LBB11_193:                             ;   in Loop: Header=BB11_161 Depth=1
	s_andn2_saveexec_b64 s[12:13], s[12:13]
	s_cbranch_execz .LBB11_197
; %bb.194:                              ;   in Loop: Header=BB11_161 Depth=1
	v_cmp_eq_u32_e64 s[6:7], 0, v78
	s_and_saveexec_b64 s[14:15], s[6:7]
	s_cbranch_execz .LBB11_196
; %bb.195:                              ;   in Loop: Header=BB11_161 Depth=1
	v_mul_f32_e32 v78, v77, v77
	v_mov_b32_e32 v80, 0x38e28445
	v_mov_b32_e32 v79, 0x39679767
	v_fmac_f32_e32 v80, 0x383c2c75, v78
	v_fmac_f32_e32 v79, 0x37d383a2, v78
	v_fma_f32 v80, v78, v80, v56
	v_fma_f32 v79, v78, v79, v52
	;; [unrolled: 1-line block ×8, first 2 shown]
	v_mul_f32_e32 v78, v78, v80
	v_fmac_f32_e32 v78, v77, v79
	v_fmac_f32_e32 v78, -0.5, v77
	v_add_f32_e32 v72, v72, v78
.LBB11_196:                             ;   in Loop: Header=BB11_161 Depth=1
	s_or_b64 exec, exec, s[14:15]
.LBB11_197:                             ;   in Loop: Header=BB11_161 Depth=1
	s_or_b64 exec, exec, s[12:13]
.LBB11_198:                             ;   in Loop: Header=BB11_161 Depth=1
	s_or_b64 exec, exec, s[8:9]
.LBB11_199:                             ;   in Loop: Header=BB11_161 Depth=1
	s_andn2_saveexec_b64 s[10:11], s[10:11]
	s_cbranch_execz .LBB11_201
; %bb.200:                              ;   in Loop: Header=BB11_161 Depth=1
	v_cmp_lt_f32_e64 s[6:7], |v71|, s41
	v_cndmask_b32_e64 v72, 1.0, v66, s[6:7]
	v_mul_f32_e64 v72, |v71|, v72
	v_log_f32_e32 v72, v72
	v_fma_f32 v77, |v71|, s53, v68
	v_fma_f32 v77, |v71|, v77, s54
	v_fma_f32 v77, |v71|, v77, s55
	v_mul_f32_e32 v78, 0x3f317217, v72
	v_fma_f32 v79, v72, s42, -v78
	v_fmac_f32_e32 v79, 0x3377d1cf, v72
	v_add_f32_e32 v78, v78, v79
	v_cmp_lt_f32_e64 s[8:9], |v72|, s43
	v_cndmask_b32_e64 v72, v72, v78, s[8:9]
	v_cndmask_b32_e64 v78, 0, v67, s[6:7]
	v_sub_f32_e32 v72, v72, v78
	v_fma_f32 v72, |v71|, v77, -v72
.LBB11_201:                             ;   in Loop: Header=BB11_161 Depth=1
	s_or_b64 exec, exec, s[10:11]
	v_cmp_le_f32_e64 s[6:7], 0, v71
	v_cmp_nle_f32_e64 s[8:9], 0, v71
	s_and_saveexec_b64 s[10:11], s[8:9]
	s_xor_b64 s[12:13], exec, s[10:11]
	s_cbranch_execz .LBB11_205
; %bb.202:                              ;   in Loop: Header=BB11_161 Depth=1
	v_cmp_lt_f32_e64 s[8:9], |v71|, s56
	v_cmp_gt_f32_e64 s[10:11], |v71|, s57
	s_and_b64 s[8:9], s[8:9], s[10:11]
	s_and_saveexec_b64 s[14:15], s[8:9]
	s_cbranch_execz .LBB11_204
; %bb.203:                              ;   in Loop: Header=BB11_161 Depth=1
	v_mul_f32_e64 v77, |v71|, 0.5
	v_floor_f32_e32 v78, v77
	v_sub_f32_e32 v78, v77, v78
	v_min_f32_e32 v78, 0x3f7fffff, v78
	v_add_f32_e32 v78, v78, v78
	v_cmp_neq_f32_e64 s[8:9], s43, v77
	v_cndmask_b32_e64 v77, 0, v78, s[8:9]
	v_cmp_gt_f32_e64 s[8:9], |v71|, 1.0
	v_cndmask_b32_e64 v77, |v71|, v77, s[8:9]
	v_add_f32_e32 v78, v77, v77
	v_rndne_f32_e32 v78, v78
	v_fmac_f32_e32 v77, -0.5, v78
	v_mul_f32_e32 v79, v77, v77
	v_mov_b32_e32 v80, 0xbf1f24be
	v_fmac_f32_e32 v80, 0x3e75aa41, v79
	v_fma_f32 v80, v79, v80, v60
	v_fma_f32 v80, v79, v80, v61
	v_mul_f32_e32 v81, v77, v79
	v_mul_f32_e32 v80, v81, v80
	v_fmac_f32_e32 v80, 0x40490fdb, v77
	v_mov_b32_e32 v77, 0x3e642e9d
	v_cvt_i32_f32_e32 v78, v78
	v_fmac_f32_e32 v77, 0x3d4be544, v79
	v_fma_f32 v77, v79, v77, v62
	v_fma_f32 v77, v79, v77, v63
	;; [unrolled: 1-line block ×3, first 2 shown]
	v_fma_f32 v77, v79, v77, 1.0
	v_and_b32_e32 v79, 1, v78
	v_cmp_eq_u32_e64 s[8:9], 0, v79
	v_lshlrev_b32_e32 v78, 30, v78
	v_cndmask_b32_e64 v77, v77, v80, s[8:9]
	v_and_or_b32 v75, v78, s45, v75
	v_xor_b32_e32 v75, v75, v77
	v_xor_b32_e32 v75, v75, v71
	v_mul_f32_e32 v75, v71, v75
	v_frexp_mant_f32_e64 v77, |v75|
	v_rcp_f32_e32 v77, v77
	v_frexp_exp_i32_f32_e32 v75, v75
	v_sub_u32_e32 v75, 2, v75
	v_mul_f32_e32 v77, 0x3f490fdb, v77
	v_ldexp_f32 v75, v77, v75
	v_cmp_gt_f32_e64 s[8:9], s41, v75
	v_cndmask_b32_e64 v77, 1.0, v66, s[8:9]
	v_mul_f32_e32 v75, v75, v77
	v_log_f32_e32 v75, v75
	v_mul_f32_e32 v77, 0x3f317217, v75
	v_fma_f32 v78, v75, s42, -v77
	v_fmac_f32_e32 v78, 0x3377d1cf, v75
	v_add_f32_e32 v77, v77, v78
	v_cmp_lt_f32_e64 s[10:11], |v75|, s43
	v_cndmask_b32_e64 v75, v75, v77, s[10:11]
	v_cndmask_b32_e64 v77, 0, v67, s[8:9]
	v_sub_f32_e32 v75, v75, v77
	v_sub_f32_e32 v72, v75, v72
	v_floor_f32_e32 v75, v71
	v_sub_f32_e32 v75, v71, v75
	v_min_f32_e32 v75, 0x3f7fffff, v75
	v_cmp_neq_f32_e64 s[8:9], 0, v75
	v_cndmask_b32_e64 v72, v69, v72, s[8:9]
.LBB11_204:                             ;   in Loop: Header=BB11_161 Depth=1
	s_or_b64 exec, exec, s[14:15]
.LBB11_205:                             ;   in Loop: Header=BB11_161 Depth=1
	s_andn2_saveexec_b64 s[12:13], s[12:13]
; %bb.206:                              ;   in Loop: Header=BB11_161 Depth=1
	v_cmp_eq_f32_e64 s[8:9], 1.0, v71
	v_cmp_eq_f32_e64 s[10:11], 2.0, v71
	s_or_b64 s[8:9], s[8:9], s[10:11]
	v_cndmask_b32_e64 v72, v72, 0, s[8:9]
; %bb.207:                              ;   in Loop: Header=BB11_161 Depth=1
	s_or_b64 exec, exec, s[12:13]
	v_lshlrev_b32_e32 v73, 16, v73
	v_and_b32_e32 v77, 0x7fffffff, v73
	v_cmp_nlt_f32_e64 s[8:9], |v73|, s38
                                        ; implicit-def: $vgpr75
	s_and_saveexec_b64 s[10:11], s[8:9]
	s_xor_b64 s[12:13], exec, s[10:11]
	s_cbranch_execz .LBB11_237
; %bb.208:                              ;   in Loop: Header=BB11_161 Depth=1
	v_cmp_nlt_f32_e64 s[8:9], |v73|, 2.0
                                        ; implicit-def: $vgpr75
	s_and_saveexec_b64 s[10:11], s[8:9]
	s_xor_b64 s[14:15], exec, s[10:11]
	s_cbranch_execz .LBB11_218
; %bb.209:                              ;   in Loop: Header=BB11_161 Depth=1
	v_cmp_nlt_f32_e64 s[8:9], |v73|, s39
                                        ; implicit-def: $vgpr75
	s_and_saveexec_b64 s[10:11], s[8:9]
	s_xor_b64 s[16:17], exec, s[10:11]
	s_cbranch_execz .LBB11_215
; %bb.210:                              ;   in Loop: Header=BB11_161 Depth=1
	v_cmp_nlt_f32_e64 s[8:9], |v73|, s40
                                        ; implicit-def: $vgpr75
	s_and_saveexec_b64 s[10:11], s[8:9]
	s_xor_b64 s[28:29], exec, s[10:11]
	s_cbranch_execz .LBB11_212
; %bb.211:                              ;   in Loop: Header=BB11_161 Depth=1
	v_cmp_lt_f32_e64 s[8:9], |v73|, s41
	v_cndmask_b32_e64 v75, 1.0, v66, s[8:9]
	v_mul_f32_e64 v75, |v73|, v75
	v_log_f32_e32 v75, v75
	v_mul_f32_e32 v78, 0x3f317217, v75
	v_fma_f32 v79, v75, s42, -v78
	v_fmac_f32_e32 v79, 0x3377d1cf, v75
	v_add_f32_e32 v78, v78, v79
	v_cmp_lt_f32_e64 s[10:11], |v75|, s43
	v_cndmask_b32_e64 v75, v75, v78, s[10:11]
	v_cndmask_b32_e64 v78, 0, v67, s[8:9]
	v_sub_f32_e32 v75, v75, v78
	v_fma_f32 v75, |v73|, v75, -|v73|
.LBB11_212:                             ;   in Loop: Header=BB11_161 Depth=1
	s_andn2_saveexec_b64 s[28:29], s[28:29]
	s_cbranch_execz .LBB11_214
; %bb.213:                              ;   in Loop: Header=BB11_161 Depth=1
	v_rcp_f32_e64 v75, |v73|
	v_cmp_lt_f32_e64 s[8:9], |v73|, s41
	v_cndmask_b32_e64 v79, 1.0, v66, s[8:9]
	v_mov_b32_e32 v78, 0x3a5b3dd2
	v_mul_f32_e32 v80, v75, v75
	v_mul_f32_e64 v79, |v73|, v79
	v_fmac_f32_e32 v78, 0xbad5c4e8, v80
	v_log_f32_e32 v79, v79
	v_fma_f32 v78, v80, v78, v23
	v_fma_f32 v78, v80, v78, v24
	;; [unrolled: 1-line block ×4, first 2 shown]
	v_mul_f32_e32 v80, 0x3f317217, v79
	v_fma_f32 v81, v79, s42, -v80
	v_fmac_f32_e32 v81, 0x3377d1cf, v79
	v_add_f32_e32 v80, v80, v81
	v_cmp_lt_f32_e64 s[10:11], |v79|, s43
	v_cndmask_b32_e64 v79, v79, v80, s[10:11]
	v_cndmask_b32_e64 v80, 0, v67, s[8:9]
	v_sub_f32_e32 v79, v79, v80
	v_fma_f32 v75, v75, v78, v27
	v_add_f32_e64 v78, |v73|, -0.5
	v_add_f32_e32 v79, -1.0, v79
	v_fmac_f32_e32 v75, v78, v79
.LBB11_214:                             ;   in Loop: Header=BB11_161 Depth=1
	s_or_b64 exec, exec, s[28:29]
.LBB11_215:                             ;   in Loop: Header=BB11_161 Depth=1
	s_andn2_saveexec_b64 s[16:17], s[16:17]
	s_cbranch_execz .LBB11_217
; %bb.216:                              ;   in Loop: Header=BB11_161 Depth=1
	v_cvt_i32_f32_e32 v75, v77
	v_mov_b32_e32 v79, 0x3af135b4
	v_mov_b32_e32 v80, 0x3a4beed6
	v_cvt_f32_i32_e32 v78, v75
	v_cmp_lt_i32_e64 s[8:9], 3, v75
	v_sub_f32_e64 v78, |v73|, v78
	v_fmac_f32_e32 v79, 0x3805ff67, v78
	v_fmac_f32_e32 v80, 0x36f5d7bd, v78
	v_fma_f32 v79, v78, v79, v28
	v_fma_f32 v80, v78, v80, v33
	v_fma_f32 v79, v78, v79, v29
	v_fma_f32 v80, v78, v80, v34
	v_fma_f32 v79, v78, v79, v30
	v_fma_f32 v80, v78, v80, v35
	v_fma_f32 v79, v78, v79, v31
	v_fma_f32 v80, v78, v80, v36
	v_fma_f32 v79, v78, v79, v32
	v_fma_f32 v80, v78, v80, 1.0
	v_rcp_f32_e32 v82, v80
	v_pk_add_f32 v[80:81], v[78:79], s[26:27] op_sel_hi:[0,1]
	v_cndmask_b32_e64 v81, 1.0, v81, s[8:9]
	v_cmp_lt_i32_e64 s[8:9], 2, v75
	v_add_f32_e32 v83, 4.0, v78
	v_cndmask_b32_e64 v80, 1.0, v80, s[8:9]
	v_cmp_lt_i32_e64 s[8:9], 4, v75
	v_add_f32_e32 v84, 0x40a00000, v78
	v_mul_f32_e32 v80, v80, v81
	v_cndmask_b32_e64 v81, 1.0, v83, s[8:9]
	v_cmp_lt_i32_e64 s[8:9], 5, v75
	v_add_f32_e32 v85, 0x40c00000, v78
	v_mul_f32_e32 v80, v81, v80
	v_cndmask_b32_e64 v81, 1.0, v84, s[8:9]
	v_cmp_lt_i32_e64 s[8:9], 6, v75
	v_mul_f32_e32 v80, v81, v80
	v_cndmask_b32_e64 v75, 1.0, v85, s[8:9]
	v_mul_f32_e32 v75, v75, v80
	v_cmp_gt_f32_e64 s[8:9], s41, v75
	v_cndmask_b32_e64 v80, 1.0, v66, s[8:9]
	v_mul_f32_e32 v75, v75, v80
	v_log_f32_e32 v75, v75
	v_mul_f32_e32 v79, v78, v79
	v_mul_f32_e32 v79, v79, v82
	v_fmac_f32_e32 v79, 0.5, v78
	v_mul_f32_e32 v78, 0x3f317217, v75
	v_fma_f32 v80, v75, s42, -v78
	v_fmac_f32_e32 v80, 0x3377d1cf, v75
	v_add_f32_e32 v78, v78, v80
	v_cmp_lt_f32_e64 s[10:11], |v75|, s43
	v_cndmask_b32_e64 v75, v75, v78, s[10:11]
	v_cndmask_b32_e64 v78, 0, v67, s[8:9]
	v_sub_f32_e32 v75, v75, v78
	v_add_f32_e32 v75, v75, v79
.LBB11_217:                             ;   in Loop: Header=BB11_161 Depth=1
	s_or_b64 exec, exec, s[16:17]
.LBB11_218:                             ;   in Loop: Header=BB11_161 Depth=1
	s_andn2_saveexec_b64 s[10:11], s[14:15]
	s_cbranch_execz .LBB11_236
; %bb.219:                              ;   in Loop: Header=BB11_161 Depth=1
	v_cmp_le_f32_e64 s[8:9], |v73|, s44
                                        ; implicit-def: $vgpr75
                                        ; implicit-def: $vgpr79
                                        ; implicit-def: $vgpr78
	s_and_saveexec_b64 s[14:15], s[8:9]
	s_xor_b64 s[14:15], exec, s[14:15]
	s_cbranch_execz .LBB11_221
; %bb.220:                              ;   in Loop: Header=BB11_161 Depth=1
	v_cmp_lt_f32_e64 s[8:9], |v73|, s41
	v_cndmask_b32_e64 v75, 1.0, v66, s[8:9]
	v_mul_f32_e64 v75, |v73|, v75
	v_log_f32_e32 v75, v75
	v_cndmask_b32_e64 v78, 0, v67, s[8:9]
	v_mul_f32_e32 v79, 0x3f317217, v75
	v_fma_f32 v80, v75, s42, -v79
	v_fmac_f32_e32 v80, 0x3377d1cf, v75
	v_add_f32_e32 v79, v79, v80
	v_cmp_lt_f32_e64 s[8:9], |v75|, s43
	v_cndmask_b32_e64 v75, v75, v79, s[8:9]
	v_sub_f32_e32 v75, v75, v78
	v_sub_f32_e64 v78, 1.0, |v73|
	v_add_f32_e64 v79, |v73|, s47
	v_cmp_lt_f32_e64 s[8:9], |v73|, s46
	v_cndmask_b32_e64 v78, v78, v79, s[8:9]
	v_cndmask_b32_e64 v79, 0, 1, s[8:9]
	v_cmp_lt_f32_e64 s[8:9], |v73|, s48
	v_xor_b32_e32 v75, 0x80000000, v75
	v_cndmask_b32_e64 v78, v78, |v73|, s[8:9]
	v_cndmask_b32_e64 v79, v79, 2, s[8:9]
.LBB11_221:                             ;   in Loop: Header=BB11_161 Depth=1
	s_andn2_saveexec_b64 s[14:15], s[14:15]
; %bb.222:                              ;   in Loop: Header=BB11_161 Depth=1
	v_sub_f32_e64 v75, 2.0, |v73|
	v_add_f32_e64 v78, |v73|, s50
	v_cmp_lt_f32_e64 s[8:9], |v73|, s49
	v_cndmask_b32_e64 v78, v75, v78, s[8:9]
	v_cndmask_b32_e64 v75, v75, 1.0, s[8:9]
	v_cvt_i32_f32_e32 v75, v75
	v_add_f32_e64 v79, |v73|, -1.0
	v_cmp_lt_f32_e64 s[8:9], |v73|, s51
	v_cndmask_b32_e64 v78, v78, v79, s[8:9]
	v_cndmask_b32_e64 v79, v75, 2, s[8:9]
	v_mov_b32_e32 v75, 0
; %bb.223:                              ;   in Loop: Header=BB11_161 Depth=1
	s_or_b64 exec, exec, s[14:15]
	v_cmp_lt_i32_e64 s[8:9], 0, v79
	s_and_saveexec_b64 s[14:15], s[8:9]
	s_xor_b64 s[14:15], exec, s[14:15]
	s_cbranch_execz .LBB11_231
; %bb.224:                              ;   in Loop: Header=BB11_161 Depth=1
	v_cmp_lt_i32_e64 s[8:9], 1, v79
	s_and_saveexec_b64 s[16:17], s[8:9]
	s_xor_b64 s[16:17], exec, s[16:17]
	s_cbranch_execz .LBB11_228
; %bb.225:                              ;   in Loop: Header=BB11_161 Depth=1
	v_cmp_eq_u32_e64 s[8:9], 2, v79
	s_and_saveexec_b64 s[28:29], s[8:9]
	s_cbranch_execz .LBB11_227
; %bb.226:                              ;   in Loop: Header=BB11_161 Depth=1
	v_mov_b32_e32 v80, 0x3dd572af
	v_fmac_f32_e32 v80, 0x3b52d5db, v78
	v_fma_f32 v80, v78, v80, v40
	v_mov_b32_e32 v79, 0x3e6a7578
	v_fma_f32 v80, v78, v80, v41
	v_fmac_f32_e32 v79, 0x3c5b3c5e, v78
	v_fma_f32 v80, v78, v80, v42
	v_fma_f32 v79, v78, v79, v37
	v_fma_f32 v80, v78, v80, 1.0
	v_fma_f32 v79, v78, v79, v38
	v_rcp_f32_e32 v80, v80
	v_fma_f32 v79, v78, v79, v39
	v_fma_f32 v79, v78, v79, v32
	v_mul_f32_e32 v79, v78, v79
	v_mul_f32_e32 v79, v79, v80
	v_fmac_f32_e32 v79, -0.5, v78
	v_add_f32_e32 v75, v75, v79
.LBB11_227:                             ;   in Loop: Header=BB11_161 Depth=1
	s_or_b64 exec, exec, s[28:29]
                                        ; implicit-def: $vgpr78
.LBB11_228:                             ;   in Loop: Header=BB11_161 Depth=1
	s_andn2_saveexec_b64 s[8:9], s[16:17]
	s_cbranch_execz .LBB11_230
; %bb.229:                              ;   in Loop: Header=BB11_161 Depth=1
	v_mul_f32_e32 v79, v78, v78
	v_mul_f32_e32 v80, v78, v79
	v_mov_b32_e32 v82, 0x3a66f867
	v_mov_b32_e32 v83, 0xba0d3085
	v_fmac_f32_e32 v82, 0xb9a3f927, v80
	v_fmac_f32_e32 v83, 0x39afe9f7, v80
	v_mov_b32_e32 v81, 0xbab7f476
	v_fma_f32 v82, v80, v82, v46
	v_fma_f32 v83, v80, v83, v49
	v_fmac_f32_e32 v81, 0x39a57b6b, v80
	v_fma_f32 v82, v80, v82, v47
	v_fma_f32 v83, v80, v83, v50
	;; [unrolled: 1-line block ×6, first 2 shown]
	v_fmac_f32_e32 v82, v78, v83
	v_fma_f32 v81, v80, v81, v45
	v_fma_f32 v78, v80, -v82, s52
	v_fma_f32 v78, v79, v81, -v78
	v_add_f32_e32 v78, 0xbdf8cdce, v78
	v_add_f32_e32 v75, v75, v78
.LBB11_230:                             ;   in Loop: Header=BB11_161 Depth=1
	s_or_b64 exec, exec, s[8:9]
                                        ; implicit-def: $vgpr79
                                        ; implicit-def: $vgpr78
.LBB11_231:                             ;   in Loop: Header=BB11_161 Depth=1
	s_andn2_saveexec_b64 s[14:15], s[14:15]
	s_cbranch_execz .LBB11_235
; %bb.232:                              ;   in Loop: Header=BB11_161 Depth=1
	v_cmp_eq_u32_e64 s[8:9], 0, v79
	s_and_saveexec_b64 s[16:17], s[8:9]
	s_cbranch_execz .LBB11_234
; %bb.233:                              ;   in Loop: Header=BB11_161 Depth=1
	v_mul_f32_e32 v79, v78, v78
	v_mov_b32_e32 v81, 0x38e28445
	v_mov_b32_e32 v80, 0x39679767
	v_fmac_f32_e32 v81, 0x383c2c75, v79
	v_fmac_f32_e32 v80, 0x37d383a2, v79
	v_fma_f32 v81, v79, v81, v56
	v_fma_f32 v80, v79, v80, v52
	;; [unrolled: 1-line block ×8, first 2 shown]
	v_mul_f32_e32 v79, v79, v81
	v_fmac_f32_e32 v79, v78, v80
	v_fmac_f32_e32 v79, -0.5, v78
	v_add_f32_e32 v75, v75, v79
.LBB11_234:                             ;   in Loop: Header=BB11_161 Depth=1
	s_or_b64 exec, exec, s[16:17]
.LBB11_235:                             ;   in Loop: Header=BB11_161 Depth=1
	s_or_b64 exec, exec, s[14:15]
.LBB11_236:                             ;   in Loop: Header=BB11_161 Depth=1
	s_or_b64 exec, exec, s[10:11]
.LBB11_237:                             ;   in Loop: Header=BB11_161 Depth=1
	s_andn2_saveexec_b64 s[12:13], s[12:13]
	s_cbranch_execz .LBB11_239
; %bb.238:                              ;   in Loop: Header=BB11_161 Depth=1
	v_cmp_lt_f32_e64 s[8:9], |v73|, s41
	v_cndmask_b32_e64 v75, 1.0, v66, s[8:9]
	v_mul_f32_e64 v75, |v73|, v75
	v_log_f32_e32 v75, v75
	v_fma_f32 v78, |v73|, s53, v68
	v_fma_f32 v78, |v73|, v78, s54
	;; [unrolled: 1-line block ×3, first 2 shown]
	v_mul_f32_e32 v79, 0x3f317217, v75
	v_fma_f32 v80, v75, s42, -v79
	v_fmac_f32_e32 v80, 0x3377d1cf, v75
	v_add_f32_e32 v79, v79, v80
	v_cmp_lt_f32_e64 s[10:11], |v75|, s43
	v_cndmask_b32_e64 v75, v75, v79, s[10:11]
	v_cndmask_b32_e64 v79, 0, v67, s[8:9]
	v_sub_f32_e32 v75, v75, v79
	v_fma_f32 v75, |v73|, v78, -v75
.LBB11_239:                             ;   in Loop: Header=BB11_161 Depth=1
	s_or_b64 exec, exec, s[12:13]
	v_cmp_le_f32_e64 s[8:9], 0, v73
	v_cmp_nle_f32_e64 s[10:11], 0, v73
	s_and_saveexec_b64 s[12:13], s[10:11]
	s_xor_b64 s[14:15], exec, s[12:13]
	s_cbranch_execz .LBB11_243
; %bb.240:                              ;   in Loop: Header=BB11_161 Depth=1
	v_cmp_lt_f32_e64 s[10:11], |v73|, s56
	v_cmp_gt_f32_e64 s[12:13], |v73|, s57
	s_and_b64 s[10:11], s[10:11], s[12:13]
	s_and_saveexec_b64 s[16:17], s[10:11]
	s_cbranch_execz .LBB11_242
; %bb.241:                              ;   in Loop: Header=BB11_161 Depth=1
	v_mul_f32_e64 v78, |v73|, 0.5
	v_floor_f32_e32 v79, v78
	v_sub_f32_e32 v79, v78, v79
	v_min_f32_e32 v79, 0x3f7fffff, v79
	v_add_f32_e32 v79, v79, v79
	v_cmp_neq_f32_e64 s[10:11], s43, v78
	v_cndmask_b32_e64 v78, 0, v79, s[10:11]
	v_cmp_gt_f32_e64 s[10:11], |v73|, 1.0
	v_cndmask_b32_e64 v78, |v73|, v78, s[10:11]
	v_add_f32_e32 v79, v78, v78
	v_rndne_f32_e32 v79, v79
	v_fmac_f32_e32 v78, -0.5, v79
	v_mul_f32_e32 v80, v78, v78
	v_mov_b32_e32 v81, 0xbf1f24be
	v_fmac_f32_e32 v81, 0x3e75aa41, v80
	v_fma_f32 v81, v80, v81, v60
	v_fma_f32 v81, v80, v81, v61
	v_mul_f32_e32 v82, v78, v80
	v_mul_f32_e32 v81, v82, v81
	v_fmac_f32_e32 v81, 0x40490fdb, v78
	v_mov_b32_e32 v78, 0x3e642e9d
	v_cvt_i32_f32_e32 v79, v79
	v_fmac_f32_e32 v78, 0x3d4be544, v80
	v_fma_f32 v78, v80, v78, v62
	v_fma_f32 v78, v80, v78, v63
	;; [unrolled: 1-line block ×3, first 2 shown]
	v_fma_f32 v78, v80, v78, 1.0
	v_and_b32_e32 v80, 1, v79
	v_cmp_eq_u32_e64 s[10:11], 0, v80
	v_lshlrev_b32_e32 v79, 30, v79
	v_cndmask_b32_e64 v78, v78, v81, s[10:11]
	v_and_or_b32 v77, v79, s45, v77
	v_xor_b32_e32 v77, v77, v78
	v_xor_b32_e32 v77, v77, v73
	v_mul_f32_e32 v77, v73, v77
	v_frexp_mant_f32_e64 v78, |v77|
	v_rcp_f32_e32 v78, v78
	v_frexp_exp_i32_f32_e32 v77, v77
	v_sub_u32_e32 v77, 2, v77
	v_mul_f32_e32 v78, 0x3f490fdb, v78
	v_ldexp_f32 v77, v78, v77
	v_cmp_gt_f32_e64 s[10:11], s41, v77
	v_cndmask_b32_e64 v78, 1.0, v66, s[10:11]
	v_mul_f32_e32 v77, v77, v78
	v_log_f32_e32 v77, v77
	v_mul_f32_e32 v78, 0x3f317217, v77
	v_fma_f32 v79, v77, s42, -v78
	v_fmac_f32_e32 v79, 0x3377d1cf, v77
	v_add_f32_e32 v78, v78, v79
	v_cmp_lt_f32_e64 s[12:13], |v77|, s43
	v_cndmask_b32_e64 v77, v77, v78, s[12:13]
	v_cndmask_b32_e64 v78, 0, v67, s[10:11]
	v_sub_f32_e32 v77, v77, v78
	v_sub_f32_e32 v75, v77, v75
	v_floor_f32_e32 v77, v73
	v_sub_f32_e32 v77, v73, v77
	v_min_f32_e32 v77, 0x3f7fffff, v77
	v_cmp_neq_f32_e64 s[10:11], 0, v77
	v_cndmask_b32_e64 v75, v69, v75, s[10:11]
.LBB11_242:                             ;   in Loop: Header=BB11_161 Depth=1
	s_or_b64 exec, exec, s[16:17]
.LBB11_243:                             ;   in Loop: Header=BB11_161 Depth=1
	s_andn2_saveexec_b64 s[14:15], s[14:15]
; %bb.244:                              ;   in Loop: Header=BB11_161 Depth=1
	v_cmp_eq_f32_e64 s[10:11], 1.0, v73
	v_cmp_eq_f32_e64 s[12:13], 2.0, v73
	s_or_b64 s[10:11], s[10:11], s[12:13]
	v_cndmask_b32_e64 v75, v75, 0, s[10:11]
; %bb.245:                              ;   in Loop: Header=BB11_161 Depth=1
	s_or_b64 exec, exec, s[14:15]
	v_lshlrev_b32_e32 v76, 16, v76
	v_and_b32_e32 v78, 0x7fffffff, v76
	v_cmp_nlt_f32_e64 s[10:11], |v76|, s38
                                        ; implicit-def: $vgpr77
	s_and_saveexec_b64 s[12:13], s[10:11]
	s_xor_b64 s[14:15], exec, s[12:13]
	s_cbranch_execz .LBB11_275
; %bb.246:                              ;   in Loop: Header=BB11_161 Depth=1
	v_cmp_nlt_f32_e64 s[10:11], |v76|, 2.0
                                        ; implicit-def: $vgpr77
	s_and_saveexec_b64 s[12:13], s[10:11]
	s_xor_b64 s[16:17], exec, s[12:13]
	s_cbranch_execz .LBB11_256
; %bb.247:                              ;   in Loop: Header=BB11_161 Depth=1
	v_cmp_nlt_f32_e64 s[10:11], |v76|, s39
                                        ; implicit-def: $vgpr77
	s_and_saveexec_b64 s[12:13], s[10:11]
	s_xor_b64 s[28:29], exec, s[12:13]
	s_cbranch_execz .LBB11_253
; %bb.248:                              ;   in Loop: Header=BB11_161 Depth=1
	v_cmp_nlt_f32_e64 s[10:11], |v76|, s40
                                        ; implicit-def: $vgpr77
	s_and_saveexec_b64 s[12:13], s[10:11]
	s_xor_b64 s[30:31], exec, s[12:13]
	s_cbranch_execz .LBB11_250
; %bb.249:                              ;   in Loop: Header=BB11_161 Depth=1
	v_cmp_lt_f32_e64 s[10:11], |v76|, s41
	v_cndmask_b32_e64 v77, 1.0, v66, s[10:11]
	v_mul_f32_e64 v77, |v76|, v77
	v_log_f32_e32 v77, v77
	v_mul_f32_e32 v79, 0x3f317217, v77
	v_fma_f32 v80, v77, s42, -v79
	v_fmac_f32_e32 v80, 0x3377d1cf, v77
	v_add_f32_e32 v79, v79, v80
	v_cmp_lt_f32_e64 s[12:13], |v77|, s43
	v_cndmask_b32_e64 v77, v77, v79, s[12:13]
	v_cndmask_b32_e64 v79, 0, v67, s[10:11]
	v_sub_f32_e32 v77, v77, v79
	v_fma_f32 v77, |v76|, v77, -|v76|
.LBB11_250:                             ;   in Loop: Header=BB11_161 Depth=1
	s_andn2_saveexec_b64 s[30:31], s[30:31]
	s_cbranch_execz .LBB11_252
; %bb.251:                              ;   in Loop: Header=BB11_161 Depth=1
	v_rcp_f32_e64 v77, |v76|
	v_cmp_lt_f32_e64 s[10:11], |v76|, s41
	v_cndmask_b32_e64 v80, 1.0, v66, s[10:11]
	v_mov_b32_e32 v79, 0x3a5b3dd2
	v_mul_f32_e32 v81, v77, v77
	v_mul_f32_e64 v80, |v76|, v80
	v_fmac_f32_e32 v79, 0xbad5c4e8, v81
	v_log_f32_e32 v80, v80
	v_fma_f32 v79, v81, v79, v23
	v_fma_f32 v79, v81, v79, v24
	;; [unrolled: 1-line block ×4, first 2 shown]
	v_mul_f32_e32 v81, 0x3f317217, v80
	v_fma_f32 v82, v80, s42, -v81
	v_fmac_f32_e32 v82, 0x3377d1cf, v80
	v_add_f32_e32 v81, v81, v82
	v_cmp_lt_f32_e64 s[12:13], |v80|, s43
	v_cndmask_b32_e64 v80, v80, v81, s[12:13]
	v_cndmask_b32_e64 v81, 0, v67, s[10:11]
	v_sub_f32_e32 v80, v80, v81
	v_fma_f32 v77, v77, v79, v27
	v_add_f32_e64 v79, |v76|, -0.5
	v_add_f32_e32 v80, -1.0, v80
	v_fmac_f32_e32 v77, v79, v80
.LBB11_252:                             ;   in Loop: Header=BB11_161 Depth=1
	s_or_b64 exec, exec, s[30:31]
.LBB11_253:                             ;   in Loop: Header=BB11_161 Depth=1
	s_andn2_saveexec_b64 s[28:29], s[28:29]
	s_cbranch_execz .LBB11_255
; %bb.254:                              ;   in Loop: Header=BB11_161 Depth=1
	v_cvt_i32_f32_e32 v77, v78
	v_mov_b32_e32 v81, 0x3af135b4
	v_mov_b32_e32 v82, 0x3a4beed6
	v_cvt_f32_i32_e32 v79, v77
	v_cmp_lt_i32_e64 s[10:11], 3, v77
	v_sub_f32_e64 v80, |v76|, v79
	v_fmac_f32_e32 v81, 0x3805ff67, v80
	v_fmac_f32_e32 v82, 0x36f5d7bd, v80
	v_fma_f32 v79, v80, v81, v28
	v_fma_f32 v81, v80, v82, v33
	;; [unrolled: 1-line block ×5, first 2 shown]
	v_fma_f32 v81, v80, v81, 1.0
	v_rcp_f32_e32 v81, v81
	v_add_f32_e32 v84, 4.0, v80
	v_add_f32_e32 v85, 0x40a00000, v80
	v_add_f32_e32 v86, 0x40c00000, v80
	v_pk_add_f32 v[82:83], v[80:81], s[26:27] op_sel_hi:[0,1]
	v_cndmask_b32_e64 v83, 1.0, v83, s[10:11]
	v_cmp_lt_i32_e64 s[10:11], 2, v77
	v_cndmask_b32_e64 v82, 1.0, v82, s[10:11]
	v_cmp_lt_i32_e64 s[10:11], 4, v77
	v_mul_f32_e32 v82, v82, v83
	v_cndmask_b32_e64 v83, 1.0, v84, s[10:11]
	v_cmp_lt_i32_e64 s[10:11], 5, v77
	v_mul_f32_e32 v82, v83, v82
	;; [unrolled: 3-line block ×3, first 2 shown]
	v_cndmask_b32_e64 v77, 1.0, v86, s[10:11]
	v_mul_f32_e32 v77, v77, v82
	v_cmp_gt_f32_e64 s[10:11], s41, v77
	v_fma_f32 v79, v80, v79, v29
	v_cndmask_b32_e64 v82, 1.0, v66, s[10:11]
	v_fma_f32 v79, v80, v79, v30
	v_mul_f32_e32 v77, v77, v82
	v_fma_f32 v79, v80, v79, v31
	v_log_f32_e32 v77, v77
	v_fma_f32 v79, v80, v79, v32
	v_mul_f32_e32 v79, v80, v79
	v_mul_f32_e32 v79, v79, v81
	v_fmac_f32_e32 v79, 0.5, v80
	v_mul_f32_e32 v80, 0x3f317217, v77
	v_fma_f32 v81, v77, s42, -v80
	v_fmac_f32_e32 v81, 0x3377d1cf, v77
	v_add_f32_e32 v80, v80, v81
	v_cmp_lt_f32_e64 s[12:13], |v77|, s43
	v_cndmask_b32_e64 v77, v77, v80, s[12:13]
	v_cndmask_b32_e64 v80, 0, v67, s[10:11]
	v_sub_f32_e32 v77, v77, v80
	v_add_f32_e32 v77, v77, v79
.LBB11_255:                             ;   in Loop: Header=BB11_161 Depth=1
	s_or_b64 exec, exec, s[28:29]
.LBB11_256:                             ;   in Loop: Header=BB11_161 Depth=1
	s_andn2_saveexec_b64 s[12:13], s[16:17]
	s_cbranch_execz .LBB11_274
; %bb.257:                              ;   in Loop: Header=BB11_161 Depth=1
	v_cmp_le_f32_e64 s[10:11], |v76|, s44
                                        ; implicit-def: $vgpr77
                                        ; implicit-def: $vgpr80
                                        ; implicit-def: $vgpr79
	s_and_saveexec_b64 s[16:17], s[10:11]
	s_xor_b64 s[16:17], exec, s[16:17]
	s_cbranch_execz .LBB11_259
; %bb.258:                              ;   in Loop: Header=BB11_161 Depth=1
	v_cmp_lt_f32_e64 s[10:11], |v76|, s41
	v_cndmask_b32_e64 v77, 1.0, v66, s[10:11]
	v_mul_f32_e64 v77, |v76|, v77
	v_log_f32_e32 v77, v77
	v_cndmask_b32_e64 v79, 0, v67, s[10:11]
	v_mul_f32_e32 v80, 0x3f317217, v77
	v_fma_f32 v81, v77, s42, -v80
	v_fmac_f32_e32 v81, 0x3377d1cf, v77
	v_add_f32_e32 v80, v80, v81
	v_cmp_lt_f32_e64 s[10:11], |v77|, s43
	v_cndmask_b32_e64 v77, v77, v80, s[10:11]
	v_sub_f32_e32 v77, v77, v79
	v_sub_f32_e64 v79, 1.0, |v76|
	v_add_f32_e64 v80, |v76|, s47
	v_cmp_lt_f32_e64 s[10:11], |v76|, s46
	v_cndmask_b32_e64 v79, v79, v80, s[10:11]
	v_cndmask_b32_e64 v80, 0, 1, s[10:11]
	v_cmp_lt_f32_e64 s[10:11], |v76|, s48
	v_xor_b32_e32 v77, 0x80000000, v77
	v_cndmask_b32_e64 v79, v79, |v76|, s[10:11]
	v_cndmask_b32_e64 v80, v80, 2, s[10:11]
.LBB11_259:                             ;   in Loop: Header=BB11_161 Depth=1
	s_andn2_saveexec_b64 s[16:17], s[16:17]
; %bb.260:                              ;   in Loop: Header=BB11_161 Depth=1
	v_sub_f32_e64 v77, 2.0, |v76|
	v_add_f32_e64 v79, |v76|, s50
	v_cmp_lt_f32_e64 s[10:11], |v76|, s49
	v_cndmask_b32_e64 v79, v77, v79, s[10:11]
	v_cndmask_b32_e64 v77, v77, 1.0, s[10:11]
	v_cvt_i32_f32_e32 v77, v77
	v_add_f32_e64 v80, |v76|, -1.0
	v_cmp_lt_f32_e64 s[10:11], |v76|, s51
	v_cndmask_b32_e64 v79, v79, v80, s[10:11]
	v_cndmask_b32_e64 v80, v77, 2, s[10:11]
	v_mov_b32_e32 v77, 0
; %bb.261:                              ;   in Loop: Header=BB11_161 Depth=1
	s_or_b64 exec, exec, s[16:17]
	v_cmp_lt_i32_e64 s[10:11], 0, v80
	s_and_saveexec_b64 s[16:17], s[10:11]
	s_xor_b64 s[16:17], exec, s[16:17]
	s_cbranch_execz .LBB11_269
; %bb.262:                              ;   in Loop: Header=BB11_161 Depth=1
	v_cmp_lt_i32_e64 s[10:11], 1, v80
	s_and_saveexec_b64 s[28:29], s[10:11]
	s_xor_b64 s[28:29], exec, s[28:29]
	s_cbranch_execz .LBB11_266
; %bb.263:                              ;   in Loop: Header=BB11_161 Depth=1
	v_cmp_eq_u32_e64 s[10:11], 2, v80
	s_and_saveexec_b64 s[30:31], s[10:11]
	s_cbranch_execz .LBB11_265
; %bb.264:                              ;   in Loop: Header=BB11_161 Depth=1
	v_mov_b32_e32 v81, 0x3dd572af
	v_fmac_f32_e32 v81, 0x3b52d5db, v79
	v_fma_f32 v81, v79, v81, v40
	v_mov_b32_e32 v80, 0x3e6a7578
	v_fma_f32 v81, v79, v81, v41
	v_fmac_f32_e32 v80, 0x3c5b3c5e, v79
	v_fma_f32 v81, v79, v81, v42
	v_fma_f32 v80, v79, v80, v37
	v_fma_f32 v81, v79, v81, 1.0
	v_fma_f32 v80, v79, v80, v38
	v_rcp_f32_e32 v81, v81
	v_fma_f32 v80, v79, v80, v39
	v_fma_f32 v80, v79, v80, v32
	v_mul_f32_e32 v80, v79, v80
	v_mul_f32_e32 v80, v80, v81
	v_fmac_f32_e32 v80, -0.5, v79
	v_add_f32_e32 v77, v77, v80
.LBB11_265:                             ;   in Loop: Header=BB11_161 Depth=1
	s_or_b64 exec, exec, s[30:31]
                                        ; implicit-def: $vgpr79
.LBB11_266:                             ;   in Loop: Header=BB11_161 Depth=1
	s_andn2_saveexec_b64 s[10:11], s[28:29]
	s_cbranch_execz .LBB11_268
; %bb.267:                              ;   in Loop: Header=BB11_161 Depth=1
	v_mul_f32_e32 v80, v79, v79
	v_mul_f32_e32 v81, v79, v80
	v_mov_b32_e32 v83, 0x3a66f867
	v_mov_b32_e32 v84, 0xba0d3085
	v_fmac_f32_e32 v83, 0xb9a3f927, v81
	v_fmac_f32_e32 v84, 0x39afe9f7, v81
	v_mov_b32_e32 v82, 0xbab7f476
	v_fma_f32 v83, v81, v83, v46
	v_fma_f32 v84, v81, v84, v49
	v_fmac_f32_e32 v82, 0x39a57b6b, v81
	v_fma_f32 v83, v81, v83, v47
	v_fma_f32 v84, v81, v84, v50
	;; [unrolled: 1-line block ×6, first 2 shown]
	v_fmac_f32_e32 v83, v79, v84
	v_fma_f32 v82, v81, v82, v45
	v_fma_f32 v79, v81, -v83, s52
	v_fma_f32 v79, v80, v82, -v79
	v_add_f32_e32 v79, 0xbdf8cdce, v79
	v_add_f32_e32 v77, v77, v79
.LBB11_268:                             ;   in Loop: Header=BB11_161 Depth=1
	s_or_b64 exec, exec, s[10:11]
                                        ; implicit-def: $vgpr80
                                        ; implicit-def: $vgpr79
.LBB11_269:                             ;   in Loop: Header=BB11_161 Depth=1
	s_andn2_saveexec_b64 s[16:17], s[16:17]
	s_cbranch_execz .LBB11_273
; %bb.270:                              ;   in Loop: Header=BB11_161 Depth=1
	v_cmp_eq_u32_e64 s[10:11], 0, v80
	s_and_saveexec_b64 s[28:29], s[10:11]
	s_cbranch_execz .LBB11_272
; %bb.271:                              ;   in Loop: Header=BB11_161 Depth=1
	v_mul_f32_e32 v80, v79, v79
	v_mov_b32_e32 v82, 0x38e28445
	v_mov_b32_e32 v81, 0x39679767
	v_fmac_f32_e32 v82, 0x383c2c75, v80
	v_fmac_f32_e32 v81, 0x37d383a2, v80
	v_fma_f32 v82, v80, v82, v56
	v_fma_f32 v81, v80, v81, v52
	;; [unrolled: 1-line block ×8, first 2 shown]
	v_mul_f32_e32 v80, v80, v82
	v_fmac_f32_e32 v80, v79, v81
	v_fmac_f32_e32 v80, -0.5, v79
	v_add_f32_e32 v77, v77, v80
.LBB11_272:                             ;   in Loop: Header=BB11_161 Depth=1
	s_or_b64 exec, exec, s[28:29]
.LBB11_273:                             ;   in Loop: Header=BB11_161 Depth=1
	s_or_b64 exec, exec, s[16:17]
.LBB11_274:                             ;   in Loop: Header=BB11_161 Depth=1
	s_or_b64 exec, exec, s[12:13]
.LBB11_275:                             ;   in Loop: Header=BB11_161 Depth=1
	s_andn2_saveexec_b64 s[14:15], s[14:15]
	s_cbranch_execz .LBB11_277
; %bb.276:                              ;   in Loop: Header=BB11_161 Depth=1
	v_cmp_lt_f32_e64 s[10:11], |v76|, s41
	v_cndmask_b32_e64 v77, 1.0, v66, s[10:11]
	v_mul_f32_e64 v77, |v76|, v77
	v_log_f32_e32 v77, v77
	v_fma_f32 v79, |v76|, s53, v68
	v_fma_f32 v79, |v76|, v79, s54
	;; [unrolled: 1-line block ×3, first 2 shown]
	v_mul_f32_e32 v80, 0x3f317217, v77
	v_fma_f32 v81, v77, s42, -v80
	v_fmac_f32_e32 v81, 0x3377d1cf, v77
	v_add_f32_e32 v80, v80, v81
	v_cmp_lt_f32_e64 s[12:13], |v77|, s43
	v_cndmask_b32_e64 v77, v77, v80, s[12:13]
	v_cndmask_b32_e64 v80, 0, v67, s[10:11]
	v_sub_f32_e32 v77, v77, v80
	v_fma_f32 v77, |v76|, v79, -v77
.LBB11_277:                             ;   in Loop: Header=BB11_161 Depth=1
	s_or_b64 exec, exec, s[14:15]
	v_cmp_le_f32_e64 s[10:11], 0, v76
	v_cmp_nle_f32_e64 s[12:13], 0, v76
	s_and_saveexec_b64 s[14:15], s[12:13]
	s_xor_b64 s[16:17], exec, s[14:15]
	s_cbranch_execz .LBB11_281
; %bb.278:                              ;   in Loop: Header=BB11_161 Depth=1
	v_cmp_lt_f32_e64 s[12:13], |v76|, s56
	v_cmp_gt_f32_e64 s[14:15], |v76|, s57
	s_and_b64 s[12:13], s[12:13], s[14:15]
	s_and_saveexec_b64 s[28:29], s[12:13]
	s_cbranch_execz .LBB11_280
; %bb.279:                              ;   in Loop: Header=BB11_161 Depth=1
	v_mul_f32_e64 v79, |v76|, 0.5
	v_floor_f32_e32 v80, v79
	v_sub_f32_e32 v80, v79, v80
	v_min_f32_e32 v80, 0x3f7fffff, v80
	v_add_f32_e32 v80, v80, v80
	v_cmp_neq_f32_e64 s[12:13], s43, v79
	v_cndmask_b32_e64 v79, 0, v80, s[12:13]
	v_cmp_gt_f32_e64 s[12:13], |v76|, 1.0
	v_cndmask_b32_e64 v79, |v76|, v79, s[12:13]
	v_add_f32_e32 v80, v79, v79
	v_rndne_f32_e32 v80, v80
	v_fmac_f32_e32 v79, -0.5, v80
	v_mul_f32_e32 v81, v79, v79
	v_mov_b32_e32 v82, 0xbf1f24be
	v_fmac_f32_e32 v82, 0x3e75aa41, v81
	v_fma_f32 v82, v81, v82, v60
	v_fma_f32 v82, v81, v82, v61
	v_mul_f32_e32 v83, v79, v81
	v_mul_f32_e32 v82, v83, v82
	v_fmac_f32_e32 v82, 0x40490fdb, v79
	v_mov_b32_e32 v79, 0x3e642e9d
	v_cvt_i32_f32_e32 v80, v80
	v_fmac_f32_e32 v79, 0x3d4be544, v81
	v_fma_f32 v79, v81, v79, v62
	v_fma_f32 v79, v81, v79, v63
	;; [unrolled: 1-line block ×3, first 2 shown]
	v_fma_f32 v79, v81, v79, 1.0
	v_and_b32_e32 v81, 1, v80
	v_cmp_eq_u32_e64 s[12:13], 0, v81
	v_lshlrev_b32_e32 v80, 30, v80
	v_cndmask_b32_e64 v79, v79, v82, s[12:13]
	v_and_or_b32 v78, v80, s45, v78
	v_xor_b32_e32 v78, v78, v79
	v_xor_b32_e32 v78, v78, v76
	v_mul_f32_e32 v78, v76, v78
	v_frexp_mant_f32_e64 v79, |v78|
	v_rcp_f32_e32 v79, v79
	v_frexp_exp_i32_f32_e32 v78, v78
	v_sub_u32_e32 v78, 2, v78
	v_mul_f32_e32 v79, 0x3f490fdb, v79
	v_ldexp_f32 v78, v79, v78
	v_cmp_gt_f32_e64 s[12:13], s41, v78
	v_cndmask_b32_e64 v79, 1.0, v66, s[12:13]
	v_mul_f32_e32 v78, v78, v79
	v_log_f32_e32 v78, v78
	v_mul_f32_e32 v79, 0x3f317217, v78
	v_fma_f32 v80, v78, s42, -v79
	v_fmac_f32_e32 v80, 0x3377d1cf, v78
	v_add_f32_e32 v79, v79, v80
	v_cmp_lt_f32_e64 s[14:15], |v78|, s43
	v_cndmask_b32_e64 v78, v78, v79, s[14:15]
	v_cndmask_b32_e64 v79, 0, v67, s[12:13]
	v_sub_f32_e32 v78, v78, v79
	v_sub_f32_e32 v77, v78, v77
	v_floor_f32_e32 v78, v76
	v_sub_f32_e32 v78, v76, v78
	v_min_f32_e32 v78, 0x3f7fffff, v78
	v_cmp_neq_f32_e64 s[12:13], 0, v78
	v_cndmask_b32_e64 v77, v69, v77, s[12:13]
.LBB11_280:                             ;   in Loop: Header=BB11_161 Depth=1
	s_or_b64 exec, exec, s[28:29]
.LBB11_281:                             ;   in Loop: Header=BB11_161 Depth=1
	s_andn2_saveexec_b64 s[16:17], s[16:17]
; %bb.282:                              ;   in Loop: Header=BB11_161 Depth=1
	v_cmp_eq_f32_e64 s[12:13], 1.0, v76
	v_cmp_eq_f32_e64 s[14:15], 2.0, v76
	s_or_b64 s[12:13], s[12:13], s[14:15]
	v_cndmask_b32_e64 v77, v77, 0, s[12:13]
; %bb.283:                              ;   in Loop: Header=BB11_161 Depth=1
	s_or_b64 exec, exec, s[16:17]
	v_lshlrev_b32_e32 v74, 16, v74
	v_and_b32_e32 v78, 0x7fffffff, v74
	v_cmp_nlt_f32_e64 s[12:13], |v74|, s38
                                        ; implicit-def: $vgpr79
	s_and_saveexec_b64 s[14:15], s[12:13]
	s_xor_b64 s[16:17], exec, s[14:15]
	s_cbranch_execz .LBB11_313
; %bb.284:                              ;   in Loop: Header=BB11_161 Depth=1
	v_cmp_nlt_f32_e64 s[12:13], |v74|, 2.0
                                        ; implicit-def: $vgpr79
	s_and_saveexec_b64 s[14:15], s[12:13]
	s_xor_b64 s[28:29], exec, s[14:15]
	s_cbranch_execz .LBB11_294
; %bb.285:                              ;   in Loop: Header=BB11_161 Depth=1
	v_cmp_nlt_f32_e64 s[12:13], |v74|, s39
                                        ; implicit-def: $vgpr79
	s_and_saveexec_b64 s[14:15], s[12:13]
	s_xor_b64 s[30:31], exec, s[14:15]
	s_cbranch_execz .LBB11_291
; %bb.286:                              ;   in Loop: Header=BB11_161 Depth=1
	v_cmp_nlt_f32_e64 s[12:13], |v74|, s40
                                        ; implicit-def: $vgpr79
	s_and_saveexec_b64 s[14:15], s[12:13]
	s_xor_b64 s[34:35], exec, s[14:15]
	s_cbranch_execz .LBB11_288
; %bb.287:                              ;   in Loop: Header=BB11_161 Depth=1
	v_cmp_lt_f32_e64 s[12:13], |v74|, s41
	v_cndmask_b32_e64 v79, 1.0, v66, s[12:13]
	v_mul_f32_e64 v79, |v74|, v79
	v_log_f32_e32 v79, v79
	v_mul_f32_e32 v80, 0x3f317217, v79
	v_fma_f32 v81, v79, s42, -v80
	v_fmac_f32_e32 v81, 0x3377d1cf, v79
	v_add_f32_e32 v80, v80, v81
	v_cmp_lt_f32_e64 s[14:15], |v79|, s43
	v_cndmask_b32_e64 v79, v79, v80, s[14:15]
	v_cndmask_b32_e64 v80, 0, v67, s[12:13]
	v_sub_f32_e32 v79, v79, v80
	v_fma_f32 v79, |v74|, v79, -|v74|
.LBB11_288:                             ;   in Loop: Header=BB11_161 Depth=1
	s_andn2_saveexec_b64 s[34:35], s[34:35]
	s_cbranch_execz .LBB11_290
; %bb.289:                              ;   in Loop: Header=BB11_161 Depth=1
	v_rcp_f32_e64 v79, |v74|
	v_cmp_lt_f32_e64 s[12:13], |v74|, s41
	v_cndmask_b32_e64 v81, 1.0, v66, s[12:13]
	v_mov_b32_e32 v80, 0x3a5b3dd2
	v_mul_f32_e32 v82, v79, v79
	v_mul_f32_e64 v81, |v74|, v81
	v_fmac_f32_e32 v80, 0xbad5c4e8, v82
	v_log_f32_e32 v81, v81
	v_fma_f32 v80, v82, v80, v23
	v_fma_f32 v80, v82, v80, v24
	v_fma_f32 v80, v82, v80, v25
	v_fma_f32 v80, v82, v80, v26
	v_mul_f32_e32 v82, 0x3f317217, v81
	v_fma_f32 v83, v81, s42, -v82
	v_fmac_f32_e32 v83, 0x3377d1cf, v81
	v_add_f32_e32 v82, v82, v83
	v_cmp_lt_f32_e64 s[14:15], |v81|, s43
	v_cndmask_b32_e64 v81, v81, v82, s[14:15]
	v_cndmask_b32_e64 v82, 0, v67, s[12:13]
	v_sub_f32_e32 v81, v81, v82
	v_fma_f32 v79, v79, v80, v27
	v_add_f32_e64 v80, |v74|, -0.5
	v_add_f32_e32 v81, -1.0, v81
	v_fmac_f32_e32 v79, v80, v81
.LBB11_290:                             ;   in Loop: Header=BB11_161 Depth=1
	s_or_b64 exec, exec, s[34:35]
.LBB11_291:                             ;   in Loop: Header=BB11_161 Depth=1
	s_andn2_saveexec_b64 s[30:31], s[30:31]
	s_cbranch_execz .LBB11_293
; %bb.292:                              ;   in Loop: Header=BB11_161 Depth=1
	v_cvt_i32_f32_e32 v79, v78
	v_mov_b32_e32 v81, 0x3af135b4
	v_mov_b32_e32 v82, 0x3a4beed6
	v_cvt_f32_i32_e32 v80, v79
	v_cmp_lt_i32_e64 s[12:13], 3, v79
	v_sub_f32_e64 v80, |v74|, v80
	v_fmac_f32_e32 v81, 0x3805ff67, v80
	v_fmac_f32_e32 v82, 0x36f5d7bd, v80
	v_fma_f32 v81, v80, v81, v28
	v_fma_f32 v82, v80, v82, v33
	;; [unrolled: 1-line block ×9, first 2 shown]
	v_fma_f32 v82, v80, v82, 1.0
	v_rcp_f32_e32 v84, v82
	v_pk_add_f32 v[82:83], v[80:81], s[26:27] op_sel_hi:[0,1]
	v_cndmask_b32_e64 v83, 1.0, v83, s[12:13]
	v_cmp_lt_i32_e64 s[12:13], 2, v79
	v_add_f32_e32 v85, 4.0, v80
	v_cndmask_b32_e64 v82, 1.0, v82, s[12:13]
	v_cmp_lt_i32_e64 s[12:13], 4, v79
	v_add_f32_e32 v86, 0x40a00000, v80
	v_mul_f32_e32 v82, v82, v83
	v_cndmask_b32_e64 v83, 1.0, v85, s[12:13]
	v_cmp_lt_i32_e64 s[12:13], 5, v79
	v_add_f32_e32 v87, 0x40c00000, v80
	v_mul_f32_e32 v82, v83, v82
	v_cndmask_b32_e64 v83, 1.0, v86, s[12:13]
	v_cmp_lt_i32_e64 s[12:13], 6, v79
	v_mul_f32_e32 v82, v83, v82
	v_cndmask_b32_e64 v79, 1.0, v87, s[12:13]
	v_mul_f32_e32 v79, v79, v82
	v_cmp_gt_f32_e64 s[12:13], s41, v79
	v_cndmask_b32_e64 v82, 1.0, v66, s[12:13]
	v_mul_f32_e32 v79, v79, v82
	v_log_f32_e32 v79, v79
	v_mul_f32_e32 v81, v80, v81
	v_mul_f32_e32 v81, v81, v84
	v_fmac_f32_e32 v81, 0.5, v80
	v_mul_f32_e32 v80, 0x3f317217, v79
	v_fma_f32 v82, v79, s42, -v80
	v_fmac_f32_e32 v82, 0x3377d1cf, v79
	v_add_f32_e32 v80, v80, v82
	v_cmp_lt_f32_e64 s[14:15], |v79|, s43
	v_cndmask_b32_e64 v79, v79, v80, s[14:15]
	v_cndmask_b32_e64 v80, 0, v67, s[12:13]
	v_sub_f32_e32 v79, v79, v80
	v_add_f32_e32 v79, v79, v81
.LBB11_293:                             ;   in Loop: Header=BB11_161 Depth=1
	s_or_b64 exec, exec, s[30:31]
.LBB11_294:                             ;   in Loop: Header=BB11_161 Depth=1
	s_andn2_saveexec_b64 s[14:15], s[28:29]
	s_cbranch_execz .LBB11_312
; %bb.295:                              ;   in Loop: Header=BB11_161 Depth=1
	v_cmp_le_f32_e64 s[12:13], |v74|, s44
                                        ; implicit-def: $vgpr79
                                        ; implicit-def: $vgpr81
                                        ; implicit-def: $vgpr80
	s_and_saveexec_b64 s[28:29], s[12:13]
	s_xor_b64 s[28:29], exec, s[28:29]
	s_cbranch_execz .LBB11_297
; %bb.296:                              ;   in Loop: Header=BB11_161 Depth=1
	v_cmp_lt_f32_e64 s[12:13], |v74|, s41
	v_cndmask_b32_e64 v79, 1.0, v66, s[12:13]
	v_mul_f32_e64 v79, |v74|, v79
	v_log_f32_e32 v79, v79
	v_cndmask_b32_e64 v80, 0, v67, s[12:13]
	v_mul_f32_e32 v81, 0x3f317217, v79
	v_fma_f32 v82, v79, s42, -v81
	v_fmac_f32_e32 v82, 0x3377d1cf, v79
	v_add_f32_e32 v81, v81, v82
	v_cmp_lt_f32_e64 s[12:13], |v79|, s43
	v_cndmask_b32_e64 v79, v79, v81, s[12:13]
	v_sub_f32_e32 v79, v79, v80
	v_sub_f32_e64 v80, 1.0, |v74|
	v_add_f32_e64 v81, |v74|, s47
	v_cmp_lt_f32_e64 s[12:13], |v74|, s46
	v_cndmask_b32_e64 v80, v80, v81, s[12:13]
	v_cndmask_b32_e64 v81, 0, 1, s[12:13]
	v_cmp_lt_f32_e64 s[12:13], |v74|, s48
	v_xor_b32_e32 v79, 0x80000000, v79
	v_cndmask_b32_e64 v80, v80, |v74|, s[12:13]
	v_cndmask_b32_e64 v81, v81, 2, s[12:13]
.LBB11_297:                             ;   in Loop: Header=BB11_161 Depth=1
	s_andn2_saveexec_b64 s[28:29], s[28:29]
; %bb.298:                              ;   in Loop: Header=BB11_161 Depth=1
	v_sub_f32_e64 v79, 2.0, |v74|
	v_add_f32_e64 v80, |v74|, s50
	v_cmp_lt_f32_e64 s[12:13], |v74|, s49
	v_cndmask_b32_e64 v80, v79, v80, s[12:13]
	v_cndmask_b32_e64 v79, v79, 1.0, s[12:13]
	v_cvt_i32_f32_e32 v79, v79
	v_add_f32_e64 v81, |v74|, -1.0
	v_cmp_lt_f32_e64 s[12:13], |v74|, s51
	v_cndmask_b32_e64 v80, v80, v81, s[12:13]
	v_cndmask_b32_e64 v81, v79, 2, s[12:13]
	v_mov_b32_e32 v79, 0
; %bb.299:                              ;   in Loop: Header=BB11_161 Depth=1
	s_or_b64 exec, exec, s[28:29]
	v_cmp_lt_i32_e64 s[12:13], 0, v81
	s_and_saveexec_b64 s[28:29], s[12:13]
	s_xor_b64 s[28:29], exec, s[28:29]
	s_cbranch_execz .LBB11_307
; %bb.300:                              ;   in Loop: Header=BB11_161 Depth=1
	v_cmp_lt_i32_e64 s[12:13], 1, v81
	s_and_saveexec_b64 s[30:31], s[12:13]
	s_xor_b64 s[30:31], exec, s[30:31]
	s_cbranch_execz .LBB11_304
; %bb.301:                              ;   in Loop: Header=BB11_161 Depth=1
	v_cmp_eq_u32_e64 s[12:13], 2, v81
	s_and_saveexec_b64 s[34:35], s[12:13]
	s_cbranch_execz .LBB11_303
; %bb.302:                              ;   in Loop: Header=BB11_161 Depth=1
	v_mov_b32_e32 v82, 0x3dd572af
	v_fmac_f32_e32 v82, 0x3b52d5db, v80
	v_fma_f32 v82, v80, v82, v40
	v_mov_b32_e32 v81, 0x3e6a7578
	v_fma_f32 v82, v80, v82, v41
	v_fmac_f32_e32 v81, 0x3c5b3c5e, v80
	v_fma_f32 v82, v80, v82, v42
	v_fma_f32 v81, v80, v81, v37
	v_fma_f32 v82, v80, v82, 1.0
	v_fma_f32 v81, v80, v81, v38
	v_rcp_f32_e32 v82, v82
	v_fma_f32 v81, v80, v81, v39
	v_fma_f32 v81, v80, v81, v32
	v_mul_f32_e32 v81, v80, v81
	v_mul_f32_e32 v81, v81, v82
	v_fmac_f32_e32 v81, -0.5, v80
	v_add_f32_e32 v79, v79, v81
.LBB11_303:                             ;   in Loop: Header=BB11_161 Depth=1
	s_or_b64 exec, exec, s[34:35]
                                        ; implicit-def: $vgpr80
.LBB11_304:                             ;   in Loop: Header=BB11_161 Depth=1
	s_andn2_saveexec_b64 s[12:13], s[30:31]
	s_cbranch_execz .LBB11_306
; %bb.305:                              ;   in Loop: Header=BB11_161 Depth=1
	v_mul_f32_e32 v81, v80, v80
	v_mul_f32_e32 v82, v80, v81
	v_mov_b32_e32 v84, 0x3a66f867
	v_mov_b32_e32 v85, 0xba0d3085
	v_fmac_f32_e32 v84, 0xb9a3f927, v82
	v_fmac_f32_e32 v85, 0x39afe9f7, v82
	v_mov_b32_e32 v83, 0xbab7f476
	v_fma_f32 v84, v82, v84, v46
	v_fma_f32 v85, v82, v85, v49
	v_fmac_f32_e32 v83, 0x39a57b6b, v82
	v_fma_f32 v84, v82, v84, v47
	v_fma_f32 v85, v82, v85, v50
	;; [unrolled: 1-line block ×6, first 2 shown]
	v_fmac_f32_e32 v84, v80, v85
	v_fma_f32 v83, v82, v83, v45
	v_fma_f32 v80, v82, -v84, s52
	v_fma_f32 v80, v81, v83, -v80
	v_add_f32_e32 v80, 0xbdf8cdce, v80
	v_add_f32_e32 v79, v79, v80
.LBB11_306:                             ;   in Loop: Header=BB11_161 Depth=1
	s_or_b64 exec, exec, s[12:13]
                                        ; implicit-def: $vgpr81
                                        ; implicit-def: $vgpr80
.LBB11_307:                             ;   in Loop: Header=BB11_161 Depth=1
	s_andn2_saveexec_b64 s[28:29], s[28:29]
	s_cbranch_execz .LBB11_311
; %bb.308:                              ;   in Loop: Header=BB11_161 Depth=1
	v_cmp_eq_u32_e64 s[12:13], 0, v81
	s_and_saveexec_b64 s[30:31], s[12:13]
	s_cbranch_execz .LBB11_310
; %bb.309:                              ;   in Loop: Header=BB11_161 Depth=1
	v_mul_f32_e32 v81, v80, v80
	v_mov_b32_e32 v83, 0x38e28445
	v_mov_b32_e32 v82, 0x39679767
	v_fmac_f32_e32 v83, 0x383c2c75, v81
	v_fmac_f32_e32 v82, 0x37d383a2, v81
	v_fma_f32 v83, v81, v83, v56
	v_fma_f32 v82, v81, v82, v52
	;; [unrolled: 1-line block ×8, first 2 shown]
	v_mul_f32_e32 v81, v81, v83
	v_fmac_f32_e32 v81, v80, v82
	v_fmac_f32_e32 v81, -0.5, v80
	v_add_f32_e32 v79, v79, v81
.LBB11_310:                             ;   in Loop: Header=BB11_161 Depth=1
	s_or_b64 exec, exec, s[30:31]
.LBB11_311:                             ;   in Loop: Header=BB11_161 Depth=1
	s_or_b64 exec, exec, s[28:29]
.LBB11_312:                             ;   in Loop: Header=BB11_161 Depth=1
	s_or_b64 exec, exec, s[14:15]
.LBB11_313:                             ;   in Loop: Header=BB11_161 Depth=1
	s_andn2_saveexec_b64 s[16:17], s[16:17]
	s_cbranch_execz .LBB11_315
; %bb.314:                              ;   in Loop: Header=BB11_161 Depth=1
	v_cmp_lt_f32_e64 s[12:13], |v74|, s41
	v_cndmask_b32_e64 v79, 1.0, v66, s[12:13]
	v_mul_f32_e64 v79, |v74|, v79
	v_log_f32_e32 v79, v79
	v_fma_f32 v80, |v74|, s53, v68
	v_fma_f32 v80, |v74|, v80, s54
	;; [unrolled: 1-line block ×3, first 2 shown]
	v_mul_f32_e32 v81, 0x3f317217, v79
	v_fma_f32 v82, v79, s42, -v81
	v_fmac_f32_e32 v82, 0x3377d1cf, v79
	v_add_f32_e32 v81, v81, v82
	v_cmp_lt_f32_e64 s[14:15], |v79|, s43
	v_cndmask_b32_e64 v79, v79, v81, s[14:15]
	v_cndmask_b32_e64 v81, 0, v67, s[12:13]
	v_sub_f32_e32 v79, v79, v81
	v_fma_f32 v79, |v74|, v80, -v79
.LBB11_315:                             ;   in Loop: Header=BB11_161 Depth=1
	s_or_b64 exec, exec, s[16:17]
	v_cmp_le_f32_e64 s[12:13], 0, v74
	v_cmp_nle_f32_e64 s[14:15], 0, v74
	s_and_saveexec_b64 s[16:17], s[14:15]
	s_xor_b64 s[28:29], exec, s[16:17]
	s_cbranch_execnz .LBB11_321
; %bb.316:                              ;   in Loop: Header=BB11_161 Depth=1
	s_andn2_saveexec_b64 s[28:29], s[28:29]
	s_cbranch_execnz .LBB11_324
.LBB11_317:                             ;   in Loop: Header=BB11_161 Depth=1
	s_or_b64 exec, exec, s[28:29]
	s_and_saveexec_b64 s[14:15], s[4:5]
	s_xor_b64 s[14:15], exec, s[14:15]
	s_cbranch_execnz .LBB11_325
.LBB11_318:                             ;   in Loop: Header=BB11_161 Depth=1
	s_or_b64 exec, exec, s[14:15]
	s_and_saveexec_b64 s[4:5], s[2:3]
	s_cbranch_execnz .LBB11_326
.LBB11_319:                             ;   in Loop: Header=BB11_161 Depth=1
	s_or_b64 exec, exec, s[4:5]
	s_and_saveexec_b64 s[2:3], s[0:1]
	s_cbranch_execnz .LBB11_327
.LBB11_320:                             ;   in Loop: Header=BB11_161 Depth=1
	s_or_b64 exec, exec, s[2:3]
	s_and_saveexec_b64 s[0:1], vcc
	s_cbranch_execz .LBB11_160
	s_branch .LBB11_328
.LBB11_321:                             ;   in Loop: Header=BB11_161 Depth=1
	v_cmp_lt_f32_e64 s[14:15], |v74|, s56
	v_cmp_gt_f32_e64 s[16:17], |v74|, s57
	s_and_b64 s[14:15], s[14:15], s[16:17]
	s_and_saveexec_b64 s[30:31], s[14:15]
	s_cbranch_execz .LBB11_323
; %bb.322:                              ;   in Loop: Header=BB11_161 Depth=1
	v_mul_f32_e64 v80, |v74|, 0.5
	v_floor_f32_e32 v81, v80
	v_sub_f32_e32 v81, v80, v81
	v_min_f32_e32 v81, 0x3f7fffff, v81
	v_add_f32_e32 v81, v81, v81
	v_cmp_neq_f32_e64 s[14:15], s43, v80
	v_cndmask_b32_e64 v80, 0, v81, s[14:15]
	v_cmp_gt_f32_e64 s[14:15], |v74|, 1.0
	v_cndmask_b32_e64 v80, |v74|, v80, s[14:15]
	v_add_f32_e32 v81, v80, v80
	v_rndne_f32_e32 v81, v81
	v_fmac_f32_e32 v80, -0.5, v81
	v_mul_f32_e32 v82, v80, v80
	v_mov_b32_e32 v83, 0xbf1f24be
	v_fmac_f32_e32 v83, 0x3e75aa41, v82
	v_fma_f32 v83, v82, v83, v60
	v_fma_f32 v83, v82, v83, v61
	v_mul_f32_e32 v84, v80, v82
	v_mul_f32_e32 v83, v84, v83
	v_fmac_f32_e32 v83, 0x40490fdb, v80
	v_mov_b32_e32 v80, 0x3e642e9d
	v_cvt_i32_f32_e32 v81, v81
	v_fmac_f32_e32 v80, 0x3d4be544, v82
	v_fma_f32 v80, v82, v80, v62
	v_fma_f32 v80, v82, v80, v63
	;; [unrolled: 1-line block ×3, first 2 shown]
	v_fma_f32 v80, v82, v80, 1.0
	v_and_b32_e32 v82, 1, v81
	v_cmp_eq_u32_e64 s[14:15], 0, v82
	v_lshlrev_b32_e32 v81, 30, v81
	v_cndmask_b32_e64 v80, v80, v83, s[14:15]
	v_and_or_b32 v78, v81, s45, v78
	v_xor_b32_e32 v78, v78, v80
	v_xor_b32_e32 v78, v78, v74
	v_mul_f32_e32 v78, v74, v78
	v_frexp_mant_f32_e64 v80, |v78|
	v_rcp_f32_e32 v80, v80
	v_frexp_exp_i32_f32_e32 v78, v78
	v_sub_u32_e32 v78, 2, v78
	v_mul_f32_e32 v80, 0x3f490fdb, v80
	v_ldexp_f32 v78, v80, v78
	v_cmp_gt_f32_e64 s[14:15], s41, v78
	v_cndmask_b32_e64 v80, 1.0, v66, s[14:15]
	v_mul_f32_e32 v78, v78, v80
	v_log_f32_e32 v78, v78
	v_mul_f32_e32 v80, 0x3f317217, v78
	v_fma_f32 v81, v78, s42, -v80
	v_fmac_f32_e32 v81, 0x3377d1cf, v78
	v_add_f32_e32 v80, v80, v81
	v_cmp_lt_f32_e64 s[16:17], |v78|, s43
	v_cndmask_b32_e64 v78, v78, v80, s[16:17]
	v_cndmask_b32_e64 v80, 0, v67, s[14:15]
	v_sub_f32_e32 v78, v78, v80
	v_sub_f32_e32 v78, v78, v79
	v_floor_f32_e32 v79, v74
	v_sub_f32_e32 v79, v74, v79
	v_min_f32_e32 v79, 0x3f7fffff, v79
	v_cmp_neq_f32_e64 s[14:15], 0, v79
	v_cndmask_b32_e64 v79, v69, v78, s[14:15]
.LBB11_323:                             ;   in Loop: Header=BB11_161 Depth=1
	s_or_b64 exec, exec, s[30:31]
	s_andn2_saveexec_b64 s[28:29], s[28:29]
	s_cbranch_execz .LBB11_317
.LBB11_324:                             ;   in Loop: Header=BB11_161 Depth=1
	v_cmp_eq_f32_e64 s[14:15], 1.0, v74
	v_cmp_eq_f32_e64 s[16:17], 2.0, v74
	s_or_b64 s[14:15], s[14:15], s[16:17]
	v_cndmask_b32_e64 v79, v79, 0, s[14:15]
	s_or_b64 exec, exec, s[28:29]
	s_and_saveexec_b64 s[14:15], s[4:5]
	s_xor_b64 s[14:15], exec, s[14:15]
	s_cbranch_execz .LBB11_318
.LBB11_325:                             ;   in Loop: Header=BB11_161 Depth=1
	v_cmp_lt_f32_e64 s[4:5], |v71|, s56
	s_or_b64 s[4:5], s[6:7], s[4:5]
	v_cndmask_b32_e64 v72, v69, v72, s[4:5]
	v_cmp_class_f32_e64 s[4:5], v71, v65
	v_cndmask_b32_e64 v72, v72, v69, s[4:5]
	v_cmp_u_f32_e64 s[4:5], v71, v71
	v_cndmask_b32_e64 v71, v72, v71, s[4:5]
	v_bfe_u32 v72, v71, 16, 1
	v_add3_u32 v72, v71, v72, s58
	v_lshrrev_b32_e32 v72, 16, v72
	v_cmp_o_f32_e64 s[4:5], v71, v71
	v_cndmask_b32_e64 v71, v70, v72, s[4:5]
	v_mov_b32_e32 v72, s19
	v_add_co_u32_e64 v80, s[4:5], s18, v4
	v_addc_co_u32_e64 v81, s[4:5], v3, v72, s[4:5]
	global_store_short v[80:81], v71, off
	s_or_b64 exec, exec, s[14:15]
	s_and_saveexec_b64 s[4:5], s[2:3]
	s_cbranch_execz .LBB11_319
.LBB11_326:                             ;   in Loop: Header=BB11_161 Depth=1
	v_cmp_lt_f32_e64 s[2:3], |v73|, s56
	s_or_b64 s[2:3], s[8:9], s[2:3]
	v_cndmask_b32_e64 v71, v69, v75, s[2:3]
	v_cmp_class_f32_e64 s[2:3], v73, v65
	v_cndmask_b32_e64 v71, v71, v69, s[2:3]
	v_cmp_u_f32_e64 s[2:3], v73, v73
	v_cndmask_b32_e64 v71, v71, v73, s[2:3]
	v_bfe_u32 v72, v71, 16, 1
	v_add3_u32 v72, v71, v72, s58
	v_lshrrev_b32_e32 v72, 16, v72
	v_cmp_o_f32_e64 s[2:3], v71, v71
	v_cndmask_b32_e64 v71, v70, v72, s[2:3]
	v_mov_b32_e32 v73, s19
	v_add_co_u32_e64 v72, s[2:3], s18, v16
	v_addc_co_u32_e64 v73, s[2:3], v15, v73, s[2:3]
	global_store_short v[72:73], v71, off
	s_or_b64 exec, exec, s[4:5]
	s_and_saveexec_b64 s[2:3], s[0:1]
	s_cbranch_execz .LBB11_320
.LBB11_327:                             ;   in Loop: Header=BB11_161 Depth=1
	v_cmp_lt_f32_e64 s[0:1], |v76|, s56
	s_or_b64 s[0:1], s[10:11], s[0:1]
	v_cndmask_b32_e64 v71, v69, v77, s[0:1]
	v_cmp_class_f32_e64 s[0:1], v76, v65
	v_cndmask_b32_e64 v71, v71, v69, s[0:1]
	v_cmp_u_f32_e64 s[0:1], v76, v76
	v_cndmask_b32_e64 v71, v71, v76, s[0:1]
	v_bfe_u32 v72, v71, 16, 1
	v_add3_u32 v72, v71, v72, s58
	v_lshrrev_b32_e32 v72, 16, v72
	v_cmp_o_f32_e64 s[0:1], v71, v71
	v_cndmask_b32_e64 v71, v70, v72, s[0:1]
	v_mov_b32_e32 v73, s19
	v_add_co_u32_e64 v72, s[0:1], s18, v12
	v_addc_co_u32_e64 v73, s[0:1], v11, v73, s[0:1]
	global_store_short v[72:73], v71, off
	s_or_b64 exec, exec, s[2:3]
	s_and_saveexec_b64 s[0:1], vcc
	s_cbranch_execz .LBB11_160
.LBB11_328:                             ;   in Loop: Header=BB11_161 Depth=1
	v_cmp_lt_f32_e64 s[2:3], |v74|, s56
	s_or_b64 vcc, s[12:13], s[2:3]
	v_cndmask_b32_e32 v71, v69, v79, vcc
	v_cmp_class_f32_e32 vcc, v74, v65
	v_cndmask_b32_e32 v71, v71, v69, vcc
	v_cmp_u_f32_e32 vcc, v74, v74
	v_cndmask_b32_e32 v71, v71, v74, vcc
	v_bfe_u32 v72, v71, 16, 1
	v_add3_u32 v72, v71, v72, s58
	v_lshrrev_b32_e32 v72, 16, v72
	v_cmp_o_f32_e32 vcc, v71, v71
	v_cndmask_b32_e32 v71, v70, v72, vcc
	v_mov_b32_e32 v73, s19
	v_add_co_u32_e32 v72, vcc, s18, v8
	v_addc_co_u32_e32 v73, vcc, v7, v73, vcc
	global_store_short v[72:73], v71, off
	s_branch .LBB11_160
.LBB11_329:
	s_endpgm
	.section	.rodata,"a",@progbits
	.p2align	6, 0x0
	.amdhsa_kernel _ZN2at6native12_GLOBAL__N_125multi_tensor_apply_kernelINS1_18TensorListMetadataILi2EEENS1_14UnaryOpFunctorIN3c108BFloat16ELi2ELi1ELi1EEEJNS0_6LgammaIfEEEEEvT_T0_DpT1_
		.amdhsa_group_segment_fixed_size 0
		.amdhsa_private_segment_fixed_size 0
		.amdhsa_kernarg_size 3408
		.amdhsa_user_sgpr_count 6
		.amdhsa_user_sgpr_private_segment_buffer 1
		.amdhsa_user_sgpr_dispatch_ptr 0
		.amdhsa_user_sgpr_queue_ptr 0
		.amdhsa_user_sgpr_kernarg_segment_ptr 1
		.amdhsa_user_sgpr_dispatch_id 0
		.amdhsa_user_sgpr_flat_scratch_init 0
		.amdhsa_user_sgpr_kernarg_preload_length 0
		.amdhsa_user_sgpr_kernarg_preload_offset 0
		.amdhsa_user_sgpr_private_segment_size 0
		.amdhsa_uses_dynamic_stack 0
		.amdhsa_system_sgpr_private_segment_wavefront_offset 0
		.amdhsa_system_sgpr_workgroup_id_x 1
		.amdhsa_system_sgpr_workgroup_id_y 0
		.amdhsa_system_sgpr_workgroup_id_z 0
		.amdhsa_system_sgpr_workgroup_info 0
		.amdhsa_system_vgpr_workitem_id 0
		.amdhsa_next_free_vgpr 88
		.amdhsa_next_free_sgpr 60
		.amdhsa_accum_offset 88
		.amdhsa_reserve_vcc 1
		.amdhsa_reserve_flat_scratch 0
		.amdhsa_float_round_mode_32 0
		.amdhsa_float_round_mode_16_64 0
		.amdhsa_float_denorm_mode_32 3
		.amdhsa_float_denorm_mode_16_64 3
		.amdhsa_dx10_clamp 1
		.amdhsa_ieee_mode 1
		.amdhsa_fp16_overflow 0
		.amdhsa_tg_split 0
		.amdhsa_exception_fp_ieee_invalid_op 0
		.amdhsa_exception_fp_denorm_src 0
		.amdhsa_exception_fp_ieee_div_zero 0
		.amdhsa_exception_fp_ieee_overflow 0
		.amdhsa_exception_fp_ieee_underflow 0
		.amdhsa_exception_fp_ieee_inexact 0
		.amdhsa_exception_int_div_zero 0
	.end_amdhsa_kernel
	.section	.text._ZN2at6native12_GLOBAL__N_125multi_tensor_apply_kernelINS1_18TensorListMetadataILi2EEENS1_14UnaryOpFunctorIN3c108BFloat16ELi2ELi1ELi1EEEJNS0_6LgammaIfEEEEEvT_T0_DpT1_,"axG",@progbits,_ZN2at6native12_GLOBAL__N_125multi_tensor_apply_kernelINS1_18TensorListMetadataILi2EEENS1_14UnaryOpFunctorIN3c108BFloat16ELi2ELi1ELi1EEEJNS0_6LgammaIfEEEEEvT_T0_DpT1_,comdat
.Lfunc_end11:
	.size	_ZN2at6native12_GLOBAL__N_125multi_tensor_apply_kernelINS1_18TensorListMetadataILi2EEENS1_14UnaryOpFunctorIN3c108BFloat16ELi2ELi1ELi1EEEJNS0_6LgammaIfEEEEEvT_T0_DpT1_, .Lfunc_end11-_ZN2at6native12_GLOBAL__N_125multi_tensor_apply_kernelINS1_18TensorListMetadataILi2EEENS1_14UnaryOpFunctorIN3c108BFloat16ELi2ELi1ELi1EEEJNS0_6LgammaIfEEEEEvT_T0_DpT1_
                                        ; -- End function
	.section	.AMDGPU.csdata,"",@progbits
; Kernel info:
; codeLenInByte = 19604
; NumSgprs: 64
; NumVgprs: 88
; NumAgprs: 0
; TotalNumVgprs: 88
; ScratchSize: 0
; MemoryBound: 0
; FloatMode: 240
; IeeeMode: 1
; LDSByteSize: 0 bytes/workgroup (compile time only)
; SGPRBlocks: 7
; VGPRBlocks: 10
; NumSGPRsForWavesPerEU: 64
; NumVGPRsForWavesPerEU: 88
; AccumOffset: 88
; Occupancy: 5
; WaveLimiterHint : 0
; COMPUTE_PGM_RSRC2:SCRATCH_EN: 0
; COMPUTE_PGM_RSRC2:USER_SGPR: 6
; COMPUTE_PGM_RSRC2:TRAP_HANDLER: 0
; COMPUTE_PGM_RSRC2:TGID_X_EN: 1
; COMPUTE_PGM_RSRC2:TGID_Y_EN: 0
; COMPUTE_PGM_RSRC2:TGID_Z_EN: 0
; COMPUTE_PGM_RSRC2:TIDIG_COMP_CNT: 0
; COMPUTE_PGM_RSRC3_GFX90A:ACCUM_OFFSET: 21
; COMPUTE_PGM_RSRC3_GFX90A:TG_SPLIT: 0
	.section	.text._ZN2at6native12_GLOBAL__N_125multi_tensor_apply_kernelINS1_18TensorListMetadataILi1EEENS1_14UnaryOpFunctorIdLi1ELi1ELi0EEEJNS0_6LgammaIdEEEEEvT_T0_DpT1_,"axG",@progbits,_ZN2at6native12_GLOBAL__N_125multi_tensor_apply_kernelINS1_18TensorListMetadataILi1EEENS1_14UnaryOpFunctorIdLi1ELi1ELi0EEEJNS0_6LgammaIdEEEEEvT_T0_DpT1_,comdat
	.globl	_ZN2at6native12_GLOBAL__N_125multi_tensor_apply_kernelINS1_18TensorListMetadataILi1EEENS1_14UnaryOpFunctorIdLi1ELi1ELi0EEEJNS0_6LgammaIdEEEEEvT_T0_DpT1_ ; -- Begin function _ZN2at6native12_GLOBAL__N_125multi_tensor_apply_kernelINS1_18TensorListMetadataILi1EEENS1_14UnaryOpFunctorIdLi1ELi1ELi0EEEJNS0_6LgammaIdEEEEEvT_T0_DpT1_
	.p2align	8
	.type	_ZN2at6native12_GLOBAL__N_125multi_tensor_apply_kernelINS1_18TensorListMetadataILi1EEENS1_14UnaryOpFunctorIdLi1ELi1ELi0EEEJNS0_6LgammaIdEEEEEvT_T0_DpT1_,@function
_ZN2at6native12_GLOBAL__N_125multi_tensor_apply_kernelINS1_18TensorListMetadataILi1EEENS1_14UnaryOpFunctorIdLi1ELi1ELi0EEEJNS0_6LgammaIdEEEEEvT_T0_DpT1_: ; @_ZN2at6native12_GLOBAL__N_125multi_tensor_apply_kernelINS1_18TensorListMetadataILi1EEENS1_14UnaryOpFunctorIdLi1ELi1ELi0EEEJNS0_6LgammaIdEEEEEvT_T0_DpT1_
; %bb.0:
	v_mov_b32_e32 v1, s6
	global_load_ubyte v1, v1, s[4:5] offset:1760
	s_add_u32 s0, s4, s6
	s_mul_hi_u32 s1, s6, 3
	s_mul_i32 s6, s6, 3
	s_addc_u32 s2, s5, 0
	s_add_u32 s0, s0, s6
	s_addc_u32 s1, s2, s1
	s_load_dword s6, s[0:1], 0x820
                                        ; implicit-def: $vgpr188 : SGPR spill to VGPR lane
	s_mov_b32 s11, 0
	s_waitcnt lgkmcnt(0)
	s_ashr_i32 s7, s6, 31
	s_waitcnt vmcnt(0)
	v_readfirstlane_b32 s0, v1
	s_lshl_b32 s2, s0, 3
	s_load_dwordx2 s[0:1], s[4:5], s2 offset:0x0
	s_load_dwordx2 s[8:9], s[4:5], s2 offset:0x370
	s_lshl_b64 s[2:3], s[6:7], 19
	s_waitcnt lgkmcnt(0)
	s_add_u32 s33, s0, s2
	s_addc_u32 s10, s1, s3
	v_writelane_b32 v188, s10, 0
	s_and_b32 s10, s33, 31
	s_lshl_b64 s[6:7], s[6:7], 16
	s_sub_u32 s12, s8, s6
	s_subb_u32 s13, s9, s7
	s_and_b32 s6, s8, 3
	s_mov_b32 s7, s11
	s_or_b64 s[6:7], s[10:11], s[6:7]
	s_cmp_eq_u64 s[6:7], 0
	s_cbranch_scc1 .LBB12_157
; %bb.1:
	v_cmp_lt_i64_e64 s[6:7], s[12:13], 1
	s_and_b64 vcc, exec, s[6:7]
	s_cbranch_vccnz .LBB12_156
; %bb.2:
	s_load_dword s6, s[4:5], 0xd3c
	v_mov_b32_e32 v2, 0x10000
	v_mov_b32_e32 v3, 0
	v_cmp_lt_u64_e32 vcc, s[12:13], v[2:3]
	v_lshlrev_b32_e32 v1, 3, v0
	s_waitcnt lgkmcnt(0)
	s_and_b32 s8, s6, 0xffff
	s_and_b64 s[6:7], vcc, exec
	s_cselect_b32 s15, s13, 0
	s_cselect_b32 s14, s12, 0x10000
	s_lshl_b32 s6, s8, 1
	s_lshl_b32 s86, s8, 2
	s_add_u32 s2, s0, s2
	s_addc_u32 s3, s1, s3
	v_mov_b32_e32 v3, s3
	v_add_co_u32_e32 v2, vcc, s2, v1
	v_addc_co_u32_e32 v3, vcc, 0, v3, vcc
	v_add_co_u32_e32 v1, vcc, s8, v0
	v_lshlrev_b32_e32 v4, 3, v1
	v_addc_co_u32_e64 v168, s[0:1], 0, 0, vcc
	v_mov_b32_e32 v5, s3
	v_add_co_u32_e32 v4, vcc, s2, v4
	s_mul_i32 s7, s8, 3
	v_addc_co_u32_e32 v5, vcc, 0, v5, vcc
	v_add_co_u32_e32 v169, vcc, s7, v0
	s_mov_b32 s85, 0
	s_mov_b32 s18, 0x55555555
	;; [unrolled: 1-line block ×26, first 2 shown]
	v_addc_co_u32_e64 v170, s[0:1], 0, 0, vcc
	v_add_co_u32_e32 v171, vcc, s6, v0
	s_lshl_b32 s87, s8, 5
	s_mul_i32 s88, s8, 24
	s_mov_b32 s89, s85
	s_lshl_b32 s90, s8, 4
	s_mov_b32 s91, s85
	s_mov_b64 s[16:17], 0
	s_mov_b32 s92, 0x3f6fffff
	s_brev_b32 s93, -4
	s_mov_b32 s94, 0x401fffff
	s_mov_b32 s95, 0x438fffff
	;; [unrolled: 1-line block ×6, first 2 shown]
	s_movk_i32 s84, 0x204
	s_mov_b32 s29, 0x3f00bfec
	s_mov_b32 s31, 0x3edebaf7
	s_mov_b32 s35, 0x40080000
	s_mov_b32 s37, 0x40140000
	s_mov_b32 s39, 0x40180000
	s_mov_b32 s26, 0x3feccccc
	s_mov_b32 s27, 0x3ffbb4c3
	s_mov_b32 s41, 0xbff762d8
	s_mov_b32 s48, 0x3ff3b4c4
	s_mov_b32 s49, 0x3fe76944
	s_mov_b32 s43, 0xbfdd8b61
	s_mov_b32 s50, 0x3fcda661
	s_mov_b32 s45, 0x3f8b678b
	s_mov_b32 s47, 0x3f6a5abb
	s_mov_b32 s55, 0xbf347f24
	s_mov_b32 s57, 0x3f35fd3e
	s_mov_b32 s59, 0xbc50c7ca
	s_mov_b32 s61, 0xbfbf19b9
	s_mov_b32 s63, 0xbfca8b9c
	s_mov_b32 s65, 0xbfd9a4d5
	s_mov_b32 s67, 0x3fea51a6
	v_mov_b32_e32 v6, 0x6b47b09a
	v_mov_b32_e32 v8, 0xd7f4df2e
	v_mov_b32_e32 v10, 0x16291751
	v_mov_b32_e32 v12, 0x9b27acf1
	v_mov_b32_e32 v14, 0x998ef7b6
	v_mov_b32_e32 v16, 0x55555780
	v_mov_b32_e32 v18, 0x4cdad5d1
	v_mov_b32_e32 v20, 0x8c0fe741
	v_mov_b32_e32 v22, 0x98cf38b6
	v_mov_b32_e32 v24, 0x16b02e5c
	v_mov_b32_e32 v26, 0x5555553b
	v_mov_b32_e32 v28, 0x90c97d69
	v_mov_b32_e32 v30, 0x7368f239
	v_mov_b32_e32 v32, 0x7e939961
	v_mov_b32_e32 v34, 0xbee5f2f7
	v_mov_b32_e32 v36, 0x4f139f59
	v_mov_b32_e32 v38, 0x36e20878
	v_mov_b32_e32 v40, 0xca41a95b
	v_mov_b32_e32 v42, 0x742ed475
	v_mov_b32_e32 v44, 0xccfbdf27
	v_mov_b32_e32 v46, 0x93d3dcdc
	v_mov_b32_e32 v48, 0x62c4ab74
	v_mov_b32_e32 v50, 0xf6010924
	v_mov_b32_e32 v52, 0x44ea8450
	v_mov_b32_e32 v54, 0xd119bd6f
	v_mov_b32_e32 v56, 0x8b005dff
	v_mov_b32_e32 v58, 0xd6537c88
	s_mov_b32 s69, 0xbfe2788c
	s_mov_b32 s51, 0x65fffff
	v_mov_b32_e32 v60, 0xe45050af
	s_mov_b32 s71, 0x7ff00000
	v_mov_b32_e32 v62, 0xa42b18f5
	;; [unrolled: 2-line block ×5, first 2 shown]
	s_movk_i32 s52, 0x1f8
	s_mov_b32 s53, 0x432fffff
	v_mov_b32_e32 v7, 0x3fc38538
	v_mov_b32_e32 v9, 0x3fc7474d
	;; [unrolled: 1-line block ×96, first 2 shown]
	v_addc_co_u32_e64 v172, s[0:1], 0, 0, vcc
	v_mov_b32_e32 v173, 0x264
	v_mov_b32_e32 v174, 0x3ff00000
	;; [unrolled: 1-line block ×7, first 2 shown]
	s_branch .LBB12_4
.LBB12_3:                               ;   in Loop: Header=BB12_4 Depth=1
	s_or_b64 exec, exec, s[6:7]
	s_add_u32 s16, s16, s86
	s_addc_u32 s17, s17, 0
	v_pk_mov_b32 v[138:139], s[12:13], s[12:13] op_sel:[0,1]
	v_cmp_ge_i64_e32 vcc, s[16:17], v[138:139]
	v_mov_b32_e32 v138, 0xffff
	v_mov_b32_e32 v139, 0
	v_cmp_gt_u64_e64 s[0:1], s[16:17], v[138:139]
	s_or_b64 s[0:1], vcc, s[0:1]
	v_mov_b32_e32 v135, s85
	v_add_co_u32_e32 v2, vcc, s87, v2
	v_addc_co_u32_e32 v3, vcc, v3, v135, vcc
	v_add_co_u32_e32 v4, vcc, s87, v4
	v_addc_co_u32_e32 v5, vcc, v5, v135, vcc
	s_and_b64 vcc, exec, s[0:1]
	s_cbranch_vccnz .LBB12_156
.LBB12_4:                               ; =>This Inner Loop Header: Depth=1
	v_mov_b32_e32 v135, s17
	v_add_co_u32_e32 v138, vcc, s16, v0
	v_addc_co_u32_e32 v139, vcc, 0, v135, vcc
	v_pk_mov_b32 v[140:141], 0, 0
	v_cmp_gt_u64_e64 s[8:9], s[14:15], v[138:139]
	v_pk_mov_b32 v[142:143], v[140:141], v[140:141] op_sel:[0,1]
	s_and_saveexec_b64 s[0:1], s[8:9]
	s_cbranch_execz .LBB12_6
; %bb.5:                                ;   in Loop: Header=BB12_4 Depth=1
	global_load_dwordx2 v[142:143], v[2:3], off
.LBB12_6:                               ;   in Loop: Header=BB12_4 Depth=1
	s_or_b64 exec, exec, s[0:1]
	v_mov_b32_e32 v135, s17
	v_add_co_u32_e32 v138, vcc, s16, v1
	v_addc_co_u32_e32 v139, vcc, v168, v135, vcc
	v_cmp_gt_u64_e64 s[6:7], s[14:15], v[138:139]
	s_and_saveexec_b64 s[0:1], s[6:7]
	s_cbranch_execz .LBB12_8
; %bb.7:                                ;   in Loop: Header=BB12_4 Depth=1
	global_load_dwordx2 v[140:141], v[4:5], off
.LBB12_8:                               ;   in Loop: Header=BB12_4 Depth=1
	s_or_b64 exec, exec, s[0:1]
	v_mov_b32_e32 v135, s17
	v_add_co_u32_e32 v138, vcc, s16, v171
	v_addc_co_u32_e32 v139, vcc, v172, v135, vcc
	v_cmp_gt_u64_e64 s[2:3], s[14:15], v[138:139]
	v_pk_mov_b32 v[138:139], 0, 0
	v_pk_mov_b32 v[144:145], v[138:139], v[138:139] op_sel:[0,1]
	s_and_saveexec_b64 s[0:1], s[2:3]
	s_cbranch_execz .LBB12_10
; %bb.9:                                ;   in Loop: Header=BB12_4 Depth=1
	v_mov_b32_e32 v135, s91
	v_add_co_u32_e32 v144, vcc, s90, v2
	v_addc_co_u32_e32 v145, vcc, v3, v135, vcc
	global_load_dwordx2 v[144:145], v[144:145], off
.LBB12_10:                              ;   in Loop: Header=BB12_4 Depth=1
	s_or_b64 exec, exec, s[0:1]
	v_mov_b32_e32 v135, s17
	v_add_co_u32_e32 v146, vcc, s16, v169
	v_addc_co_u32_e32 v147, vcc, v170, v135, vcc
	v_cmp_gt_u64_e64 s[0:1], s[14:15], v[146:147]
	s_and_saveexec_b64 s[10:11], s[0:1]
	s_cbranch_execz .LBB12_12
; %bb.11:                               ;   in Loop: Header=BB12_4 Depth=1
	v_mov_b32_e32 v135, s89
	v_add_co_u32_e32 v138, vcc, s88, v2
	v_addc_co_u32_e32 v139, vcc, v3, v135, vcc
	global_load_dwordx2 v[138:139], v[138:139], off
.LBB12_12:                              ;   in Loop: Header=BB12_4 Depth=1
	s_or_b64 exec, exec, s[10:11]
	s_waitcnt vmcnt(0)
	v_and_b32_e32 v147, 0x7fffffff, v143
	v_mov_b32_e32 v146, v142
	v_cmp_lt_u32_e32 vcc, s92, v147
                                        ; implicit-def: $vgpr148_vgpr149
	s_and_saveexec_b64 s[10:11], vcc
	s_xor_b64 s[10:11], exec, s[10:11]
	s_cbranch_execz .LBB12_38
; %bb.13:                               ;   in Loop: Header=BB12_4 Depth=1
	v_cmp_lt_u32_e32 vcc, s93, v147
                                        ; implicit-def: $vgpr148_vgpr149
	s_and_saveexec_b64 s[78:79], vcc
	s_xor_b64 s[78:79], exec, s[78:79]
	s_cbranch_execz .LBB12_23
; %bb.14:                               ;   in Loop: Header=BB12_4 Depth=1
	;; [unrolled: 6-line block ×4, first 2 shown]
	v_frexp_mant_f64_e64 v[148:149], |v[142:143]|
	v_cmp_gt_f64_e32 vcc, s[18:19], v[148:149]
	v_cndmask_b32_e64 v135, v174, 2.0, vcc
	v_mul_f64 v[148:149], v[148:149], v[134:135]
	v_add_f64 v[150:151], v[148:149], 1.0
	v_rcp_f64_e32 v[152:153], v[150:151]
	v_add_f64 v[156:157], v[150:151], -1.0
	v_add_f64 v[154:155], v[148:149], -1.0
	v_add_f64 v[148:149], v[148:149], -v[156:157]
	v_fma_f64 v[156:157], -v[150:151], v[152:153], 1.0
	v_fmac_f64_e32 v[152:153], v[156:157], v[152:153]
	v_fma_f64 v[156:157], -v[150:151], v[152:153], 1.0
	v_fmac_f64_e32 v[152:153], v[156:157], v[152:153]
	v_mul_f64 v[156:157], v[154:155], v[152:153]
	v_mul_f64 v[158:159], v[150:151], v[156:157]
	v_fma_f64 v[150:151], v[156:157], v[150:151], -v[158:159]
	v_fmac_f64_e32 v[150:151], v[156:157], v[148:149]
	v_add_f64 v[148:149], v[158:159], v[150:151]
	v_add_f64 v[160:161], v[154:155], -v[148:149]
	v_add_f64 v[158:159], v[148:149], -v[158:159]
	;; [unrolled: 1-line block ×5, first 2 shown]
	v_add_f64 v[148:149], v[150:151], v[148:149]
	v_add_f64 v[148:149], v[160:161], v[148:149]
	v_mul_f64 v[148:149], v[152:153], v[148:149]
	v_add_f64 v[150:151], v[156:157], v[148:149]
	v_add_f64 v[152:153], v[150:151], -v[156:157]
	v_add_f64 v[148:149], v[148:149], -v[152:153]
	v_mul_f64 v[152:153], v[150:151], v[150:151]
	v_pk_mov_b32 v[154:155], v[6:7], v[6:7] op_sel:[0,1]
	v_fmac_f64_e32 v[154:155], s[20:21], v[152:153]
	v_pk_mov_b32 v[156:157], v[8:9], v[8:9] op_sel:[0,1]
	v_fmac_f64_e32 v[156:157], v[152:153], v[154:155]
	v_pk_mov_b32 v[154:155], v[10:11], v[10:11] op_sel:[0,1]
	v_fmac_f64_e32 v[154:155], v[152:153], v[156:157]
	v_pk_mov_b32 v[156:157], v[12:13], v[12:13] op_sel:[0,1]
	v_fmac_f64_e32 v[156:157], v[152:153], v[154:155]
	v_pk_mov_b32 v[154:155], v[14:15], v[14:15] op_sel:[0,1]
	v_fmac_f64_e32 v[154:155], v[152:153], v[156:157]
	v_pk_mov_b32 v[156:157], v[16:17], v[16:17] op_sel:[0,1]
	v_fmac_f64_e32 v[156:157], v[152:153], v[154:155]
	v_ldexp_f64 v[154:155], v[150:151], 1
	v_mul_f64 v[150:151], v[150:151], v[152:153]
	v_mul_f64 v[150:151], v[150:151], v[156:157]
	v_add_f64 v[152:153], v[154:155], v[150:151]
	v_add_f64 v[154:155], v[152:153], -v[154:155]
	v_ldexp_f64 v[148:149], v[148:149], 1
	v_add_f64 v[150:151], v[150:151], -v[154:155]
	v_add_f64 v[148:149], v[148:149], v[150:151]
	v_frexp_exp_i32_f64_e32 v136, v[142:143]
	v_add_f64 v[150:151], v[152:153], v[148:149]
	v_subbrev_co_u32_e32 v135, vcc, 0, v136, vcc
	v_add_f64 v[152:153], v[150:151], -v[152:153]
	v_add_f64 v[148:149], v[148:149], -v[152:153]
	v_cvt_f64_i32_e32 v[152:153], v135
	v_mul_f64 v[154:155], v[152:153], s[22:23]
	v_fma_f64 v[156:157], v[152:153], s[22:23], -v[154:155]
	v_fmac_f64_e32 v[156:157], s[24:25], v[152:153]
	v_add_f64 v[152:153], v[154:155], v[156:157]
	v_add_f64 v[154:155], v[152:153], -v[154:155]
	v_add_f64 v[154:155], v[156:157], -v[154:155]
	v_add_f64 v[156:157], v[152:153], v[150:151]
	v_add_f64 v[158:159], v[156:157], -v[152:153]
	v_add_f64 v[160:161], v[156:157], -v[158:159]
	;; [unrolled: 1-line block ×4, first 2 shown]
	v_add_f64 v[150:151], v[150:151], v[152:153]
	v_add_f64 v[152:153], v[154:155], v[148:149]
	v_add_f64 v[158:159], v[152:153], -v[154:155]
	v_add_f64 v[160:161], v[152:153], -v[158:159]
	v_add_f64 v[150:151], v[152:153], v[150:151]
	v_add_f64 v[154:155], v[154:155], -v[160:161]
	v_add_f64 v[148:149], v[148:149], -v[158:159]
	v_add_f64 v[152:153], v[156:157], v[150:151]
	v_add_f64 v[148:149], v[148:149], v[154:155]
	v_add_f64 v[154:155], v[152:153], -v[156:157]
	v_add_f64 v[150:151], v[150:151], -v[154:155]
	v_add_f64 v[148:149], v[148:149], v[150:151]
	v_add_f64 v[148:149], v[152:153], v[148:149]
	v_cmp_class_f64_e64 vcc, v[142:143], s84
	v_cndmask_b32_e32 v135, v148, v142, vcc
	v_cndmask_b32_e32 v136, v149, v147, vcc
	v_cmp_neq_f64_e32 vcc, 0, v[142:143]
	v_cndmask_b32_e32 v149, v175, v136, vcc
	v_cndmask_b32_e32 v148, 0, v135, vcc
	v_fma_f64 v[148:149], |v[142:143]|, v[148:149], -|v[142:143]|
.LBB12_17:                              ;   in Loop: Header=BB12_4 Depth=1
	s_andn2_saveexec_b64 s[82:83], s[82:83]
	s_cbranch_execz .LBB12_19
; %bb.18:                               ;   in Loop: Header=BB12_4 Depth=1
	v_mov_b32_e32 v146, v142
	v_div_scale_f64 v[148:149], vcc, v[146:147], v[146:147], 1.0
	v_rcp_f64_e32 v[150:151], v[148:149]
	v_div_scale_f64 v[152:153], vcc, 1.0, v[146:147], 1.0
	v_frexp_exp_i32_f64_e32 v136, v[142:143]
	v_fma_f64 v[154:155], -v[148:149], v[150:151], 1.0
	v_fmac_f64_e32 v[150:151], v[150:151], v[154:155]
	v_fma_f64 v[154:155], -v[148:149], v[150:151], 1.0
	v_fmac_f64_e32 v[150:151], v[150:151], v[154:155]
	v_mul_f64 v[154:155], v[152:153], v[150:151]
	v_fma_f64 v[148:149], -v[148:149], v[154:155], v[152:153]
	v_div_fmas_f64 v[148:149], v[148:149], v[150:151], v[154:155]
	v_div_fixup_f64 v[150:151], v[148:149], |v[142:143]|, 1.0
	s_mov_b32 vcc_lo, 0xb9e43e4
	v_mul_f64 v[148:149], v[150:151], v[150:151]
	v_pk_mov_b32 v[152:153], v[18:19], v[18:19] op_sel:[0,1]
	s_mov_b32 vcc_hi, 0xbf5ab89d
	v_fmac_f64_e32 v[152:153], vcc, v[148:149]
	v_pk_mov_b32 v[154:155], v[20:21], v[20:21] op_sel:[0,1]
	v_fmac_f64_e32 v[154:155], v[148:149], v[152:153]
	v_pk_mov_b32 v[152:153], v[22:23], v[22:23] op_sel:[0,1]
	v_fmac_f64_e32 v[152:153], v[148:149], v[154:155]
	;; [unrolled: 2-line block ×5, first 2 shown]
	v_frexp_mant_f64_e64 v[152:153], |v[142:143]|
	v_cmp_gt_f64_e32 vcc, s[18:19], v[152:153]
	v_cndmask_b32_e64 v135, v174, 2.0, vcc
	v_mul_f64 v[152:153], v[152:153], v[134:135]
	v_add_f64 v[154:155], v[152:153], 1.0
	v_rcp_f64_e32 v[156:157], v[154:155]
	v_add_f64 v[160:161], v[154:155], -1.0
	v_add_f64 v[158:159], v[152:153], -1.0
	v_add_f64 v[152:153], v[152:153], -v[160:161]
	v_fma_f64 v[160:161], -v[154:155], v[156:157], 1.0
	v_fmac_f64_e32 v[156:157], v[160:161], v[156:157]
	v_fma_f64 v[160:161], -v[154:155], v[156:157], 1.0
	v_fmac_f64_e32 v[156:157], v[160:161], v[156:157]
	v_mul_f64 v[160:161], v[158:159], v[156:157]
	v_mul_f64 v[162:163], v[154:155], v[160:161]
	v_fma_f64 v[154:155], v[160:161], v[154:155], -v[162:163]
	v_fmac_f64_e32 v[154:155], v[160:161], v[152:153]
	v_add_f64 v[152:153], v[162:163], v[154:155]
	v_add_f64 v[164:165], v[158:159], -v[152:153]
	v_add_f64 v[162:163], v[152:153], -v[162:163]
	v_add_f64 v[158:159], v[158:159], -v[164:165]
	v_add_f64 v[152:153], v[158:159], -v[152:153]
	v_add_f64 v[154:155], v[162:163], -v[154:155]
	v_add_f64 v[152:153], v[154:155], v[152:153]
	v_add_f64 v[152:153], v[164:165], v[152:153]
	v_mul_f64 v[152:153], v[156:157], v[152:153]
	v_add_f64 v[154:155], v[160:161], v[152:153]
	v_add_f64 v[156:157], v[154:155], -v[160:161]
	v_add_f64 v[152:153], v[152:153], -v[156:157]
	v_mul_f64 v[156:157], v[154:155], v[154:155]
	v_pk_mov_b32 v[158:159], v[6:7], v[6:7] op_sel:[0,1]
	v_fmac_f64_e32 v[158:159], s[20:21], v[156:157]
	v_pk_mov_b32 v[160:161], v[8:9], v[8:9] op_sel:[0,1]
	v_fmac_f64_e32 v[160:161], v[156:157], v[158:159]
	;; [unrolled: 2-line block ×6, first 2 shown]
	v_ldexp_f64 v[158:159], v[154:155], 1
	v_mul_f64 v[154:155], v[154:155], v[156:157]
	v_mul_f64 v[154:155], v[154:155], v[160:161]
	v_add_f64 v[156:157], v[158:159], v[154:155]
	v_add_f64 v[158:159], v[156:157], -v[158:159]
	v_ldexp_f64 v[152:153], v[152:153], 1
	v_add_f64 v[154:155], v[154:155], -v[158:159]
	v_add_f64 v[152:153], v[152:153], v[154:155]
	v_add_f64 v[154:155], v[156:157], v[152:153]
	v_subbrev_co_u32_e32 v135, vcc, 0, v136, vcc
	v_add_f64 v[156:157], v[154:155], -v[156:157]
	v_add_f64 v[152:153], v[152:153], -v[156:157]
	v_cvt_f64_i32_e32 v[156:157], v135
	v_mul_f64 v[158:159], v[156:157], s[22:23]
	v_fma_f64 v[160:161], v[156:157], s[22:23], -v[158:159]
	v_fmac_f64_e32 v[160:161], s[24:25], v[156:157]
	v_add_f64 v[156:157], v[158:159], v[160:161]
	v_add_f64 v[158:159], v[156:157], -v[158:159]
	v_add_f64 v[158:159], v[160:161], -v[158:159]
	v_add_f64 v[160:161], v[156:157], v[154:155]
	v_add_f64 v[162:163], v[160:161], -v[156:157]
	v_add_f64 v[164:165], v[160:161], -v[162:163]
	;; [unrolled: 1-line block ×4, first 2 shown]
	v_add_f64 v[154:155], v[154:155], v[156:157]
	v_add_f64 v[156:157], v[158:159], v[152:153]
	v_add_f64 v[162:163], v[156:157], -v[158:159]
	v_add_f64 v[164:165], v[156:157], -v[162:163]
	v_add_f64 v[154:155], v[156:157], v[154:155]
	v_add_f64 v[158:159], v[158:159], -v[164:165]
	v_add_f64 v[152:153], v[152:153], -v[162:163]
	v_add_f64 v[156:157], v[160:161], v[154:155]
	v_add_f64 v[152:153], v[152:153], v[158:159]
	v_add_f64 v[158:159], v[156:157], -v[160:161]
	v_add_f64 v[154:155], v[154:155], -v[158:159]
	v_add_f64 v[152:153], v[152:153], v[154:155]
	v_add_f64 v[152:153], v[156:157], v[152:153]
	v_cmp_class_f64_e64 vcc, v[142:143], s84
	v_cndmask_b32_e32 v153, v153, v147, vcc
	v_cndmask_b32_e32 v152, v152, v146, vcc
	v_add_f64 v[152:153], v[152:153], -1.0
	v_cmp_neq_f64_e32 vcc, 0, v[142:143]
	v_add_f64 v[150:151], |v[142:143]|, -0.5
	v_cndmask_b32_e32 v153, v175, v153, vcc
	v_cndmask_b32_e32 v152, 0, v152, vcc
	v_fmac_f64_e32 v[148:149], v[150:151], v[152:153]
.LBB12_19:                              ;   in Loop: Header=BB12_4 Depth=1
	s_or_b64 exec, exec, s[82:83]
.LBB12_20:                              ;   in Loop: Header=BB12_4 Depth=1
	s_andn2_saveexec_b64 s[80:81], s[80:81]
	s_cbranch_execz .LBB12_22
; %bb.21:                               ;   in Loop: Header=BB12_4 Depth=1
	v_cvt_i32_f64_e32 v135, v[146:147]
	v_cvt_f64_i32_e32 v[148:149], v135
	v_add_f64 v[148:149], |v[142:143]|, -v[148:149]
	v_pk_mov_b32 v[150:151], v[30:31], v[30:31] op_sel:[0,1]
	v_fmac_f64_e32 v[150:151], s[28:29], v[148:149]
	v_pk_mov_b32 v[152:153], v[32:33], v[32:33] op_sel:[0,1]
	v_fmac_f64_e32 v[152:153], v[148:149], v[150:151]
	;; [unrolled: 2-line block ×4, first 2 shown]
	v_pk_mov_b32 v[150:151], v[38:39], v[38:39] op_sel:[0,1]
	v_mov_b32_e32 v136, v74
	v_fmac_f64_e32 v[150:151], v[148:149], v[152:153]
	v_pk_mov_b32 v[152:153], v[136:137], v[136:137] op_sel:[0,1]
	v_fmac_f64_e32 v[152:153], v[148:149], v[150:151]
	v_mul_f64 v[150:151], v[148:149], v[152:153]
	v_pk_mov_b32 v[152:153], v[40:41], v[40:41] op_sel:[0,1]
	v_fmac_f64_e32 v[152:153], s[30:31], v[148:149]
	v_pk_mov_b32 v[154:155], v[42:43], v[42:43] op_sel:[0,1]
	v_fmac_f64_e32 v[154:155], v[148:149], v[152:153]
	;; [unrolled: 2-line block ×5, first 2 shown]
	v_fma_f64 v[152:153], v[148:149], v[152:153], 1.0
	v_div_scale_f64 v[154:155], s[82:83], v[152:153], v[152:153], v[150:151]
	v_rcp_f64_e32 v[156:157], v[154:155]
	v_fma_f64 v[158:159], -v[154:155], v[156:157], 1.0
	v_fmac_f64_e32 v[156:157], v[156:157], v[158:159]
	v_fma_f64 v[158:159], -v[154:155], v[156:157], 1.0
	v_fmac_f64_e32 v[156:157], v[156:157], v[158:159]
	v_div_scale_f64 v[158:159], vcc, v[150:151], v[152:153], v[150:151]
	v_mul_f64 v[160:161], v[158:159], v[156:157]
	v_fma_f64 v[154:155], -v[154:155], v[160:161], v[158:159]
	v_add_f64 v[158:159], v[148:149], s[36:37]
	s_nop 0
	v_div_fmas_f64 v[154:155], v[154:155], v[156:157], v[160:161]
	v_div_fixup_f64 v[150:151], v[154:155], v[152:153], v[150:151]
	v_add_f64 v[152:153], v[148:149], 2.0
	v_cmp_lt_i32_e32 vcc, 2, v135
	v_add_f64 v[154:155], v[148:149], s[34:35]
	v_cndmask_b32_e32 v153, v174, v153, vcc
	v_cndmask_b32_e32 v152, 0, v152, vcc
	v_cmp_lt_i32_e32 vcc, 3, v135
	v_add_f64 v[156:157], v[148:149], 4.0
	v_cndmask_b32_e32 v155, v174, v155, vcc
	v_cndmask_b32_e32 v154, 0, v154, vcc
	v_cmp_lt_i32_e32 vcc, 4, v135
	v_mul_f64 v[152:153], v[152:153], v[154:155]
	v_cndmask_b32_e32 v155, v174, v157, vcc
	v_cndmask_b32_e32 v154, 0, v156, vcc
	v_cmp_lt_i32_e32 vcc, 5, v135
	v_fmac_f64_e32 v[150:151], 0.5, v[148:149]
	v_add_f64 v[148:149], v[148:149], s[38:39]
	v_mul_f64 v[152:153], v[154:155], v[152:153]
	v_cndmask_b32_e32 v155, v174, v159, vcc
	v_cndmask_b32_e32 v154, 0, v158, vcc
	v_cmp_lt_i32_e32 vcc, 6, v135
	v_mul_f64 v[152:153], v[154:155], v[152:153]
	v_cndmask_b32_e32 v149, v174, v149, vcc
	v_cndmask_b32_e32 v148, 0, v148, vcc
	v_mul_f64 v[148:149], v[148:149], v[152:153]
	v_frexp_mant_f64_e32 v[152:153], v[148:149]
	v_cmp_gt_f64_e32 vcc, s[18:19], v[152:153]
	v_cndmask_b32_e64 v135, v174, 2.0, vcc
	v_mul_f64 v[152:153], v[152:153], v[134:135]
	v_add_f64 v[154:155], v[152:153], 1.0
	v_rcp_f64_e32 v[156:157], v[154:155]
	v_add_f64 v[160:161], v[154:155], -1.0
	v_add_f64 v[158:159], v[152:153], -1.0
	v_add_f64 v[152:153], v[152:153], -v[160:161]
	v_fma_f64 v[160:161], -v[154:155], v[156:157], 1.0
	v_fmac_f64_e32 v[156:157], v[160:161], v[156:157]
	v_fma_f64 v[160:161], -v[154:155], v[156:157], 1.0
	v_fmac_f64_e32 v[156:157], v[160:161], v[156:157]
	v_mul_f64 v[160:161], v[158:159], v[156:157]
	v_mul_f64 v[162:163], v[154:155], v[160:161]
	v_fma_f64 v[154:155], v[160:161], v[154:155], -v[162:163]
	v_fmac_f64_e32 v[154:155], v[160:161], v[152:153]
	v_add_f64 v[152:153], v[162:163], v[154:155]
	v_add_f64 v[164:165], v[158:159], -v[152:153]
	v_add_f64 v[162:163], v[152:153], -v[162:163]
	;; [unrolled: 1-line block ×5, first 2 shown]
	v_add_f64 v[152:153], v[154:155], v[152:153]
	v_add_f64 v[152:153], v[164:165], v[152:153]
	v_mul_f64 v[152:153], v[156:157], v[152:153]
	v_add_f64 v[154:155], v[160:161], v[152:153]
	v_add_f64 v[156:157], v[154:155], -v[160:161]
	v_add_f64 v[152:153], v[152:153], -v[156:157]
	v_mul_f64 v[156:157], v[154:155], v[154:155]
	v_pk_mov_b32 v[158:159], v[6:7], v[6:7] op_sel:[0,1]
	v_fmac_f64_e32 v[158:159], s[20:21], v[156:157]
	v_pk_mov_b32 v[160:161], v[8:9], v[8:9] op_sel:[0,1]
	v_fmac_f64_e32 v[160:161], v[156:157], v[158:159]
	;; [unrolled: 2-line block ×6, first 2 shown]
	v_ldexp_f64 v[158:159], v[154:155], 1
	v_mul_f64 v[154:155], v[154:155], v[156:157]
	v_mul_f64 v[154:155], v[154:155], v[160:161]
	v_add_f64 v[156:157], v[158:159], v[154:155]
	v_add_f64 v[158:159], v[156:157], -v[158:159]
	v_ldexp_f64 v[152:153], v[152:153], 1
	v_add_f64 v[154:155], v[154:155], -v[158:159]
	v_add_f64 v[152:153], v[152:153], v[154:155]
	v_frexp_exp_i32_f64_e32 v136, v[148:149]
	v_add_f64 v[154:155], v[156:157], v[152:153]
	v_subbrev_co_u32_e32 v135, vcc, 0, v136, vcc
	v_add_f64 v[156:157], v[154:155], -v[156:157]
	v_add_f64 v[152:153], v[152:153], -v[156:157]
	v_cvt_f64_i32_e32 v[156:157], v135
	v_mul_f64 v[158:159], v[156:157], s[22:23]
	v_fma_f64 v[160:161], v[156:157], s[22:23], -v[158:159]
	v_fmac_f64_e32 v[160:161], s[24:25], v[156:157]
	v_add_f64 v[156:157], v[158:159], v[160:161]
	v_add_f64 v[158:159], v[156:157], -v[158:159]
	v_add_f64 v[158:159], v[160:161], -v[158:159]
	v_add_f64 v[160:161], v[156:157], v[154:155]
	v_add_f64 v[162:163], v[160:161], -v[156:157]
	v_add_f64 v[164:165], v[160:161], -v[162:163]
	;; [unrolled: 1-line block ×4, first 2 shown]
	v_add_f64 v[154:155], v[154:155], v[156:157]
	v_add_f64 v[156:157], v[158:159], v[152:153]
	v_add_f64 v[162:163], v[156:157], -v[158:159]
	v_add_f64 v[164:165], v[156:157], -v[162:163]
	v_add_f64 v[154:155], v[156:157], v[154:155]
	v_add_f64 v[158:159], v[158:159], -v[164:165]
	v_add_f64 v[152:153], v[152:153], -v[162:163]
	v_add_f64 v[156:157], v[160:161], v[154:155]
	v_add_f64 v[152:153], v[152:153], v[158:159]
	v_add_f64 v[158:159], v[156:157], -v[160:161]
	v_add_f64 v[154:155], v[154:155], -v[158:159]
	v_add_f64 v[152:153], v[152:153], v[154:155]
	v_add_f64 v[152:153], v[156:157], v[152:153]
	v_cmp_class_f64_e64 vcc, v[148:149], s84
	v_cndmask_b32_e32 v135, v152, v148, vcc
	v_cndmask_b32_e32 v136, v153, v149, vcc
	v_cmp_ngt_f64_e32 vcc, 0, v[148:149]
	v_cndmask_b32_e32 v136, v176, v136, vcc
	v_cmp_nge_f64_e32 vcc, 0, v[148:149]
	v_cndmask_b32_e32 v152, 0, v135, vcc
	v_cmp_neq_f64_e32 vcc, 0, v[148:149]
	v_cndmask_b32_e32 v153, v175, v136, vcc
	v_add_f64 v[148:149], v[150:151], v[152:153]
.LBB12_22:                              ;   in Loop: Header=BB12_4 Depth=1
	s_or_b64 exec, exec, s[80:81]
.LBB12_23:                              ;   in Loop: Header=BB12_4 Depth=1
	s_andn2_saveexec_b64 s[78:79], s[78:79]
	s_cbranch_execz .LBB12_37
; %bb.24:                               ;   in Loop: Header=BB12_4 Depth=1
	v_cmp_lt_u32_e32 vcc, s26, v147
                                        ; implicit-def: $sgpr82_sgpr83
                                        ; implicit-def: $vgpr135
                                        ; implicit-def: $vgpr150_vgpr151
	s_and_saveexec_b64 s[80:81], vcc
	s_xor_b64 s[80:81], exec, s[80:81]
	s_cbranch_execz .LBB12_26
; %bb.25:                               ;   in Loop: Header=BB12_4 Depth=1
	v_add_f64 v[148:149], -|v[142:143]|, 2.0
	v_add_f64 v[150:151], |v[142:143]|, s[40:41]
	v_cmp_gt_u32_e32 vcc, s27, v147
	v_cndmask_b32_e32 v135, v148, v150, vcc
	v_cndmask_b32_e32 v136, v149, v151, vcc
	v_cndmask_b32_e64 v146, 0, 1, vcc
	v_add_f64 v[148:149], |v[142:143]|, -1.0
	v_cmp_gt_u32_e32 vcc, s48, v147
	v_cndmask_b32_e32 v151, v136, v149, vcc
	v_cndmask_b32_e32 v150, v135, v148, vcc
	v_cndmask_b32_e64 v135, v146, 2, vcc
	s_mov_b64 s[82:83], 0
.LBB12_26:                              ;   in Loop: Header=BB12_4 Depth=1
	s_or_saveexec_b64 s[80:81], s[80:81]
	v_pk_mov_b32 v[148:149], s[82:83], s[82:83] op_sel:[0,1]
	s_xor_b64 exec, exec, s[80:81]
	s_cbranch_execz .LBB12_28
; %bb.27:                               ;   in Loop: Header=BB12_4 Depth=1
	v_frexp_mant_f64_e64 v[148:149], |v[142:143]|
	v_cmp_gt_f64_e32 vcc, s[18:19], v[148:149]
	v_cndmask_b32_e64 v135, v174, 2.0, vcc
	v_mul_f64 v[148:149], v[148:149], v[134:135]
	v_add_f64 v[150:151], v[148:149], 1.0
	v_rcp_f64_e32 v[152:153], v[150:151]
	v_add_f64 v[156:157], v[150:151], -1.0
	v_add_f64 v[154:155], v[148:149], -1.0
	v_add_f64 v[148:149], v[148:149], -v[156:157]
	v_fma_f64 v[156:157], -v[150:151], v[152:153], 1.0
	v_fmac_f64_e32 v[152:153], v[156:157], v[152:153]
	v_fma_f64 v[156:157], -v[150:151], v[152:153], 1.0
	v_fmac_f64_e32 v[152:153], v[156:157], v[152:153]
	v_mul_f64 v[156:157], v[154:155], v[152:153]
	v_mul_f64 v[158:159], v[150:151], v[156:157]
	v_fma_f64 v[150:151], v[156:157], v[150:151], -v[158:159]
	v_fmac_f64_e32 v[150:151], v[156:157], v[148:149]
	v_add_f64 v[148:149], v[158:159], v[150:151]
	v_add_f64 v[160:161], v[154:155], -v[148:149]
	v_add_f64 v[158:159], v[148:149], -v[158:159]
	;; [unrolled: 1-line block ×5, first 2 shown]
	v_add_f64 v[148:149], v[150:151], v[148:149]
	v_add_f64 v[148:149], v[160:161], v[148:149]
	v_mul_f64 v[148:149], v[152:153], v[148:149]
	v_add_f64 v[150:151], v[156:157], v[148:149]
	v_add_f64 v[152:153], v[150:151], -v[156:157]
	v_add_f64 v[148:149], v[148:149], -v[152:153]
	v_mul_f64 v[152:153], v[150:151], v[150:151]
	v_pk_mov_b32 v[154:155], v[6:7], v[6:7] op_sel:[0,1]
	v_fmac_f64_e32 v[154:155], s[20:21], v[152:153]
	v_pk_mov_b32 v[156:157], v[8:9], v[8:9] op_sel:[0,1]
	v_fmac_f64_e32 v[156:157], v[152:153], v[154:155]
	;; [unrolled: 2-line block ×6, first 2 shown]
	v_ldexp_f64 v[154:155], v[150:151], 1
	v_mul_f64 v[150:151], v[150:151], v[152:153]
	v_mul_f64 v[150:151], v[150:151], v[156:157]
	v_add_f64 v[152:153], v[154:155], v[150:151]
	v_add_f64 v[154:155], v[152:153], -v[154:155]
	v_ldexp_f64 v[148:149], v[148:149], 1
	v_add_f64 v[150:151], v[150:151], -v[154:155]
	v_add_f64 v[148:149], v[148:149], v[150:151]
	v_frexp_exp_i32_f64_e32 v136, v[142:143]
	v_add_f64 v[150:151], v[152:153], v[148:149]
	v_subbrev_co_u32_e32 v135, vcc, 0, v136, vcc
	v_add_f64 v[152:153], v[150:151], -v[152:153]
	v_add_f64 v[148:149], v[148:149], -v[152:153]
	v_cvt_f64_i32_e32 v[152:153], v135
	v_mul_f64 v[154:155], v[152:153], s[22:23]
	v_fma_f64 v[156:157], v[152:153], s[22:23], -v[154:155]
	v_fmac_f64_e32 v[156:157], s[24:25], v[152:153]
	v_add_f64 v[152:153], v[154:155], v[156:157]
	v_add_f64 v[154:155], v[152:153], -v[154:155]
	v_add_f64 v[154:155], v[156:157], -v[154:155]
	v_add_f64 v[156:157], v[152:153], v[150:151]
	v_add_f64 v[158:159], v[156:157], -v[152:153]
	v_add_f64 v[160:161], v[156:157], -v[158:159]
	;; [unrolled: 1-line block ×4, first 2 shown]
	v_add_f64 v[150:151], v[150:151], v[152:153]
	v_add_f64 v[152:153], v[154:155], v[148:149]
	v_add_f64 v[158:159], v[152:153], -v[154:155]
	v_add_f64 v[160:161], v[152:153], -v[158:159]
	v_add_f64 v[150:151], v[152:153], v[150:151]
	v_add_f64 v[154:155], v[154:155], -v[160:161]
	v_add_f64 v[148:149], v[148:149], -v[158:159]
	v_add_f64 v[152:153], v[156:157], v[150:151]
	v_add_f64 v[148:149], v[148:149], v[154:155]
	v_add_f64 v[154:155], v[152:153], -v[156:157]
	v_add_f64 v[150:151], v[150:151], -v[154:155]
	v_add_f64 v[148:149], v[148:149], v[150:151]
	v_add_f64 v[148:149], v[152:153], v[148:149]
	v_cmp_class_f64_e64 vcc, v[142:143], s84
	v_cndmask_b32_e32 v135, v148, v142, vcc
	v_cndmask_b32_e64 v136, -v149, -v147, vcc
	v_cmp_neq_f64_e32 vcc, 0, v[142:143]
	v_cndmask_b32_e32 v149, v177, v136, vcc
	v_cndmask_b32_e32 v148, 0, v135, vcc
	v_add_f64 v[150:151], -|v[142:143]|, 1.0
	v_add_f64 v[152:153], |v[142:143]|, s[42:43]
	v_cmp_gt_u32_e32 vcc, s49, v147
	v_cndmask_b32_e32 v135, v150, v152, vcc
	v_cndmask_b32_e32 v136, v151, v153, vcc
	v_cndmask_b32_e64 v146, 0, 1, vcc
	v_cmp_gt_u32_e32 vcc, s50, v147
	v_cndmask_b32_e32 v151, v136, v147, vcc
	v_cndmask_b32_e32 v150, v135, v142, vcc
	v_cndmask_b32_e64 v135, v146, 2, vcc
.LBB12_28:                              ;   in Loop: Header=BB12_4 Depth=1
	s_or_b64 exec, exec, s[80:81]
	v_cmp_lt_i32_e32 vcc, 1, v135
                                        ; implicit-def: $vgpr154_vgpr155
	s_and_saveexec_b64 s[80:81], vcc
	s_xor_b64 s[80:81], exec, s[80:81]
	s_cbranch_execz .LBB12_30
; %bb.29:                               ;   in Loop: Header=BB12_4 Depth=1
	v_pk_mov_b32 v[152:153], v[50:51], v[50:51] op_sel:[0,1]
	v_fmac_f64_e32 v[152:153], s[44:45], v[150:151]
	v_pk_mov_b32 v[154:155], v[52:53], v[52:53] op_sel:[0,1]
	v_fmac_f64_e32 v[154:155], v[150:151], v[152:153]
	v_pk_mov_b32 v[152:153], v[54:55], v[54:55] op_sel:[0,1]
	v_fmac_f64_e32 v[152:153], v[150:151], v[154:155]
	v_pk_mov_b32 v[154:155], v[56:57], v[56:57] op_sel:[0,1]
	v_mov_b32_e32 v136, v74
	v_fmac_f64_e32 v[154:155], v[150:151], v[152:153]
	v_pk_mov_b32 v[152:153], v[136:137], v[136:137] op_sel:[0,1]
	v_fmac_f64_e32 v[152:153], v[150:151], v[154:155]
	v_pk_mov_b32 v[154:155], v[58:59], v[58:59] op_sel:[0,1]
	;; [unrolled: 2-line block ×5, first 2 shown]
	v_fmac_f64_e32 v[156:157], v[150:151], v[154:155]
	v_mul_f64 v[152:153], v[150:151], v[152:153]
	v_fma_f64 v[154:155], v[150:151], v[156:157], 1.0
	v_div_scale_f64 v[156:157], s[82:83], v[154:155], v[154:155], v[152:153]
	v_rcp_f64_e32 v[158:159], v[156:157]
                                        ; implicit-def: $vgpr135
	v_fma_f64 v[160:161], -v[156:157], v[158:159], 1.0
	v_fmac_f64_e32 v[158:159], v[158:159], v[160:161]
	v_fma_f64 v[160:161], -v[156:157], v[158:159], 1.0
	v_fmac_f64_e32 v[158:159], v[158:159], v[160:161]
	v_div_scale_f64 v[160:161], vcc, v[152:153], v[154:155], v[152:153]
	v_mul_f64 v[162:163], v[160:161], v[158:159]
	v_fma_f64 v[156:157], -v[156:157], v[162:163], v[160:161]
	s_nop 1
	v_div_fmas_f64 v[156:157], v[156:157], v[158:159], v[162:163]
	v_div_fixup_f64 v[154:155], v[156:157], v[154:155], v[152:153]
	v_fmac_f64_e32 v[154:155], -0.5, v[150:151]
                                        ; implicit-def: $vgpr150_vgpr151
.LBB12_30:                              ;   in Loop: Header=BB12_4 Depth=1
	s_andn2_saveexec_b64 s[80:81], s[80:81]
	s_cbranch_execz .LBB12_36
; %bb.31:                               ;   in Loop: Header=BB12_4 Depth=1
	v_cmp_ne_u32_e32 vcc, 1, v135
	v_mul_f64 v[152:153], v[150:151], v[150:151]
                                        ; implicit-def: $vgpr154_vgpr155
	s_and_saveexec_b64 s[82:83], vcc
	s_xor_b64 s[82:83], exec, s[82:83]
	s_cbranch_execz .LBB12_33
; %bb.32:                               ;   in Loop: Header=BB12_4 Depth=1
	s_mov_b32 vcc_lo, 0x428cfa52
	v_pk_mov_b32 v[154:155], v[66:67], v[66:67] op_sel:[0,1]
	s_mov_b32 vcc_hi, 0x3efa7074
	v_fmac_f64_e32 v[154:155], vcc, v[152:153]
	v_pk_mov_b32 v[156:157], v[68:69], v[68:69] op_sel:[0,1]
	v_fmac_f64_e32 v[156:157], v[152:153], v[154:155]
	v_pk_mov_b32 v[154:155], v[70:71], v[70:71] op_sel:[0,1]
	v_fmac_f64_e32 v[154:155], v[152:153], v[156:157]
	v_pk_mov_b32 v[156:157], v[72:73], v[72:73] op_sel:[0,1]
	s_mov_b32 vcc_lo, 0x90a45837
	v_fmac_f64_e32 v[156:157], v[152:153], v[154:155]
	v_pk_mov_b32 v[158:159], v[74:75], v[74:75] op_sel:[0,1]
	v_pk_mov_b32 v[154:155], v[76:77], v[76:77] op_sel:[0,1]
	s_mov_b32 vcc_hi, 0x3f07858e
	v_fmac_f64_e32 v[158:159], v[152:153], v[156:157]
	v_fmac_f64_e32 v[154:155], vcc, v[152:153]
	v_pk_mov_b32 v[156:157], v[78:79], v[78:79] op_sel:[0,1]
	v_fmac_f64_e32 v[156:157], v[152:153], v[154:155]
	v_pk_mov_b32 v[154:155], v[80:81], v[80:81] op_sel:[0,1]
	v_fmac_f64_e32 v[154:155], v[152:153], v[156:157]
	;; [unrolled: 2-line block ×4, first 2 shown]
	v_mul_f64 v[154:155], v[152:153], v[154:155]
	v_fmac_f64_e32 v[154:155], v[150:151], v[158:159]
	v_fmac_f64_e32 v[154:155], -0.5, v[150:151]
                                        ; implicit-def: $vgpr150_vgpr151
                                        ; implicit-def: $vgpr152_vgpr153
.LBB12_33:                              ;   in Loop: Header=BB12_4 Depth=1
	s_andn2_saveexec_b64 s[82:83], s[82:83]
	s_cbranch_execz .LBB12_35
; %bb.34:                               ;   in Loop: Header=BB12_4 Depth=1
	s_mov_b32 vcc_lo, 0x6c0ebbf7
	v_mul_f64 v[154:155], v[150:151], v[152:153]
	v_pk_mov_b32 v[156:157], v[86:87], v[86:87] op_sel:[0,1]
	s_mov_b32 vcc_hi, 0x3f34af6d
	v_fmac_f64_e32 v[156:157], vcc, v[154:155]
	v_pk_mov_b32 v[158:159], v[88:89], v[88:89] op_sel:[0,1]
	v_fmac_f64_e32 v[158:159], v[154:155], v[156:157]
	v_pk_mov_b32 v[156:157], v[90:91], v[90:91] op_sel:[0,1]
	v_fmac_f64_e32 v[156:157], v[154:155], v[158:159]
	;; [unrolled: 2-line block ×11, first 2 shown]
	v_fmac_f64_e32 v[160:161], v[150:151], v[162:163]
	v_fma_f64 v[150:151], v[154:155], -v[160:161], s[58:59]
	v_fma_f64 v[150:151], v[152:153], v[158:159], -v[150:151]
	v_add_f64 v[154:155], v[150:151], s[60:61]
.LBB12_35:                              ;   in Loop: Header=BB12_4 Depth=1
	s_or_b64 exec, exec, s[82:83]
.LBB12_36:                              ;   in Loop: Header=BB12_4 Depth=1
	s_or_b64 exec, exec, s[80:81]
	v_add_f64 v[148:149], v[148:149], v[154:155]
.LBB12_37:                              ;   in Loop: Header=BB12_4 Depth=1
	s_or_b64 exec, exec, s[78:79]
.LBB12_38:                              ;   in Loop: Header=BB12_4 Depth=1
	s_andn2_saveexec_b64 s[10:11], s[10:11]
	s_cbranch_execz .LBB12_40
; %bb.39:                               ;   in Loop: Header=BB12_4 Depth=1
	v_frexp_mant_f64_e64 v[150:151], |v[142:143]|
	v_cmp_gt_f64_e32 vcc, s[18:19], v[150:151]
	v_cndmask_b32_e64 v135, v174, 2.0, vcc
	v_mul_f64 v[150:151], v[150:151], v[134:135]
	v_add_f64 v[152:153], v[150:151], 1.0
	v_rcp_f64_e32 v[154:155], v[152:153]
	v_add_f64 v[158:159], v[152:153], -1.0
	v_add_f64 v[156:157], v[150:151], -1.0
	v_add_f64 v[150:151], v[150:151], -v[158:159]
	v_fma_f64 v[158:159], -v[152:153], v[154:155], 1.0
	v_fmac_f64_e32 v[154:155], v[158:159], v[154:155]
	v_fma_f64 v[158:159], -v[152:153], v[154:155], 1.0
	v_fmac_f64_e32 v[154:155], v[158:159], v[154:155]
	v_mul_f64 v[158:159], v[156:157], v[154:155]
	v_mul_f64 v[160:161], v[152:153], v[158:159]
	v_fma_f64 v[152:153], v[158:159], v[152:153], -v[160:161]
	v_fmac_f64_e32 v[152:153], v[158:159], v[150:151]
	v_add_f64 v[150:151], v[160:161], v[152:153]
	v_add_f64 v[162:163], v[156:157], -v[150:151]
	v_add_f64 v[160:161], v[150:151], -v[160:161]
	;; [unrolled: 1-line block ×5, first 2 shown]
	v_add_f64 v[150:151], v[152:153], v[150:151]
	v_add_f64 v[150:151], v[162:163], v[150:151]
	v_mul_f64 v[150:151], v[154:155], v[150:151]
	v_add_f64 v[152:153], v[158:159], v[150:151]
	v_add_f64 v[154:155], v[152:153], -v[158:159]
	v_add_f64 v[150:151], v[150:151], -v[154:155]
	v_mul_f64 v[154:155], v[152:153], v[152:153]
	v_pk_mov_b32 v[156:157], v[6:7], v[6:7] op_sel:[0,1]
	v_fmac_f64_e32 v[156:157], s[20:21], v[154:155]
	v_pk_mov_b32 v[158:159], v[8:9], v[8:9] op_sel:[0,1]
	v_fmac_f64_e32 v[158:159], v[154:155], v[156:157]
	;; [unrolled: 2-line block ×6, first 2 shown]
	v_ldexp_f64 v[156:157], v[152:153], 1
	v_mul_f64 v[152:153], v[152:153], v[154:155]
	v_mul_f64 v[152:153], v[152:153], v[158:159]
	v_add_f64 v[154:155], v[156:157], v[152:153]
	v_add_f64 v[156:157], v[154:155], -v[156:157]
	v_ldexp_f64 v[150:151], v[150:151], 1
	v_add_f64 v[152:153], v[152:153], -v[156:157]
	v_add_f64 v[150:151], v[150:151], v[152:153]
	v_frexp_exp_i32_f64_e32 v136, v[142:143]
	v_add_f64 v[152:153], v[154:155], v[150:151]
	v_subbrev_co_u32_e32 v135, vcc, 0, v136, vcc
	v_add_f64 v[154:155], v[152:153], -v[154:155]
	v_add_f64 v[150:151], v[150:151], -v[154:155]
	v_cvt_f64_i32_e32 v[154:155], v135
	v_mul_f64 v[156:157], v[154:155], s[22:23]
	v_fma_f64 v[158:159], v[154:155], s[22:23], -v[156:157]
	v_fmac_f64_e32 v[158:159], s[24:25], v[154:155]
	v_add_f64 v[154:155], v[156:157], v[158:159]
	v_add_f64 v[156:157], v[154:155], -v[156:157]
	v_add_f64 v[156:157], v[158:159], -v[156:157]
	v_add_f64 v[158:159], v[154:155], v[152:153]
	v_add_f64 v[160:161], v[158:159], -v[154:155]
	v_add_f64 v[162:163], v[158:159], -v[160:161]
	;; [unrolled: 1-line block ×4, first 2 shown]
	v_add_f64 v[152:153], v[152:153], v[154:155]
	v_add_f64 v[154:155], v[156:157], v[150:151]
	v_add_f64 v[160:161], v[154:155], -v[156:157]
	v_add_f64 v[162:163], v[154:155], -v[160:161]
	v_add_f64 v[152:153], v[154:155], v[152:153]
	v_add_f64 v[156:157], v[156:157], -v[162:163]
	v_add_f64 v[150:151], v[150:151], -v[160:161]
	v_add_f64 v[154:155], v[158:159], v[152:153]
	v_add_f64 v[150:151], v[150:151], v[156:157]
	v_add_f64 v[156:157], v[154:155], -v[158:159]
	v_add_f64 v[152:153], v[152:153], -v[156:157]
	v_fma_f64 v[148:149], |v[142:143]|, s[62:63], v[110:111]
	v_add_f64 v[150:151], v[150:151], v[152:153]
	v_fma_f64 v[148:149], |v[142:143]|, v[148:149], s[64:65]
	v_add_f64 v[150:151], v[154:155], v[150:151]
	v_cmp_class_f64_e64 vcc, v[142:143], s84
	v_fma_f64 v[148:149], |v[142:143]|, v[148:149], s[66:67]
	v_cndmask_b32_e32 v135, v150, v142, vcc
	v_cndmask_b32_e64 v136, -v151, -v147, vcc
	v_cmp_neq_f64_e32 vcc, 0, v[142:143]
	v_fma_f64 v[148:149], |v[142:143]|, v[148:149], s[68:69]
	v_cndmask_b32_e32 v151, v177, v136, vcc
	v_cndmask_b32_e32 v150, 0, v135, vcc
	v_fma_f64 v[148:149], |v[142:143]|, v[148:149], v[150:151]
.LBB12_40:                              ;   in Loop: Header=BB12_4 Depth=1
	s_or_b64 exec, exec, s[10:11]
	v_cmp_le_f64_e32 vcc, 0, v[142:143]
	s_and_saveexec_b64 s[10:11], vcc
	s_xor_b64 s[78:79], exec, s[10:11]
; %bb.41:                               ;   in Loop: Header=BB12_4 Depth=1
	v_cmp_eq_f64_e32 vcc, 1.0, v[142:143]
	v_cmp_eq_f64_e64 s[10:11], 2.0, v[142:143]
	s_or_b64 s[10:11], vcc, s[10:11]
	v_cndmask_b32_e64 v149, v149, 0, s[10:11]
	v_cndmask_b32_e64 v148, v148, 0, s[10:11]
; %bb.42:                               ;   in Loop: Header=BB12_4 Depth=1
	s_andn2_saveexec_b64 s[10:11], s[78:79]
	s_cbranch_execz .LBB12_46
; %bb.43:                               ;   in Loop: Header=BB12_4 Depth=1
	v_add_u32_e32 v135, 0xc32fffff, v147
	v_cmp_gt_u32_e32 vcc, s51, v135
	s_and_saveexec_b64 s[78:79], vcc
	s_cbranch_execz .LBB12_45
; %bb.44:                               ;   in Loop: Header=BB12_4 Depth=1
	v_mul_f64 v[150:151], |v[142:143]|, 0.5
	v_fract_f64_e32 v[152:153], v[150:151]
	v_add_f64 v[152:153], v[152:153], v[152:153]
	v_cmp_neq_f64_e64 vcc, |v[150:151]|, s[70:71]
	v_cndmask_b32_e32 v135, 0, v152, vcc
	v_cndmask_b32_e32 v136, 0, v153, vcc
	v_cmp_gt_f64_e64 vcc, |v[142:143]|, 1.0
	v_cndmask_b32_e32 v151, v147, v136, vcc
	v_cndmask_b32_e32 v150, v142, v135, vcc
	v_add_f64 v[152:153], v[150:151], v[150:151]
	v_rndne_f64_e32 v[152:153], v[152:153]
	v_fmac_f64_e32 v[150:151], -0.5, v[152:153]
	v_cvt_i32_f64_e32 v135, v[152:153]
	v_mul_f64 v[152:153], v[150:151], v[150:151]
	v_pk_mov_b32 v[154:155], v[112:113], v[112:113] op_sel:[0,1]
	v_fmac_f64_e32 v[154:155], s[72:73], v[152:153]
	v_pk_mov_b32 v[156:157], v[114:115], v[114:115] op_sel:[0,1]
	v_fmac_f64_e32 v[156:157], v[152:153], v[154:155]
	;; [unrolled: 2-line block ×5, first 2 shown]
	v_mul_f64 v[156:157], v[150:151], v[152:153]
	v_mul_f64 v[154:155], v[156:157], v[154:155]
	v_fmac_f64_e32 v[154:155], s[74:75], v[150:151]
	v_pk_mov_b32 v[150:151], v[122:123], v[122:123] op_sel:[0,1]
	v_fmac_f64_e32 v[150:151], s[76:77], v[152:153]
	v_pk_mov_b32 v[156:157], v[124:125], v[124:125] op_sel:[0,1]
	;; [unrolled: 2-line block ×6, first 2 shown]
	v_fmac_f64_e32 v[156:157], v[152:153], v[150:151]
	v_and_b32_e32 v136, 1, v135
	v_lshlrev_b32_e32 v135, 30, v135
	v_fma_f64 v[150:151], v[152:153], v[156:157], 1.0
	v_cmp_eq_u32_e32 vcc, 0, v136
	v_xor_b32_e32 v135, v135, v143
	v_cndmask_b32_e32 v146, v151, v155, vcc
	v_and_b32_e32 v135, 0x80000000, v135
	v_cndmask_b32_e32 v136, v150, v154, vcc
	v_xor_b32_e32 v135, v146, v135
	v_cmp_class_f64_e64 vcc, v[142:143], s52
	v_cndmask_b32_e32 v150, 0, v136, vcc
	v_cndmask_b32_e32 v151, v176, v135, vcc
	v_mul_f64 v[150:151], v[142:143], v[150:151]
	v_and_b32_e32 v153, 0x7fffffff, v151
	v_mov_b32_e32 v152, v150
	v_div_scale_f64 v[154:155], s[80:81], v[152:153], v[152:153], s[74:75]
	v_rcp_f64_e32 v[156:157], v[154:155]
	v_div_scale_f64 v[152:153], vcc, s[74:75], v[152:153], s[74:75]
	v_cmp_class_f64_e64 s[80:81], v[142:143], s84
	v_fma_f64 v[158:159], -v[154:155], v[156:157], 1.0
	v_fmac_f64_e32 v[156:157], v[156:157], v[158:159]
	v_fma_f64 v[158:159], -v[154:155], v[156:157], 1.0
	v_fmac_f64_e32 v[156:157], v[156:157], v[158:159]
	v_mul_f64 v[158:159], v[152:153], v[156:157]
	v_fma_f64 v[152:153], -v[154:155], v[158:159], v[152:153]
	v_div_fmas_f64 v[152:153], v[152:153], v[156:157], v[158:159]
	v_div_fixup_f64 v[150:151], v[152:153], |v[150:151]|, s[74:75]
	v_frexp_mant_f64_e32 v[152:153], v[150:151]
	v_cmp_gt_f64_e32 vcc, s[18:19], v[152:153]
	v_cndmask_b32_e64 v135, v174, 2.0, vcc
	v_mul_f64 v[152:153], v[152:153], v[134:135]
	v_add_f64 v[154:155], v[152:153], 1.0
	v_rcp_f64_e32 v[156:157], v[154:155]
	v_add_f64 v[160:161], v[154:155], -1.0
	v_add_f64 v[158:159], v[152:153], -1.0
	v_add_f64 v[152:153], v[152:153], -v[160:161]
	v_fma_f64 v[160:161], -v[154:155], v[156:157], 1.0
	v_fmac_f64_e32 v[156:157], v[160:161], v[156:157]
	v_fma_f64 v[160:161], -v[154:155], v[156:157], 1.0
	v_fmac_f64_e32 v[156:157], v[160:161], v[156:157]
	v_mul_f64 v[160:161], v[158:159], v[156:157]
	v_mul_f64 v[162:163], v[154:155], v[160:161]
	v_fma_f64 v[154:155], v[160:161], v[154:155], -v[162:163]
	v_fmac_f64_e32 v[154:155], v[160:161], v[152:153]
	v_add_f64 v[152:153], v[162:163], v[154:155]
	v_add_f64 v[164:165], v[158:159], -v[152:153]
	v_add_f64 v[162:163], v[152:153], -v[162:163]
	v_add_f64 v[158:159], v[158:159], -v[164:165]
	v_add_f64 v[152:153], v[158:159], -v[152:153]
	v_add_f64 v[154:155], v[162:163], -v[154:155]
	v_add_f64 v[152:153], v[154:155], v[152:153]
	v_add_f64 v[152:153], v[164:165], v[152:153]
	v_mul_f64 v[152:153], v[156:157], v[152:153]
	v_add_f64 v[154:155], v[160:161], v[152:153]
	v_add_f64 v[156:157], v[154:155], -v[160:161]
	v_add_f64 v[152:153], v[152:153], -v[156:157]
	v_mul_f64 v[156:157], v[154:155], v[154:155]
	v_pk_mov_b32 v[158:159], v[6:7], v[6:7] op_sel:[0,1]
	v_fmac_f64_e32 v[158:159], s[20:21], v[156:157]
	v_pk_mov_b32 v[160:161], v[8:9], v[8:9] op_sel:[0,1]
	v_fmac_f64_e32 v[160:161], v[156:157], v[158:159]
	;; [unrolled: 2-line block ×6, first 2 shown]
	v_ldexp_f64 v[158:159], v[154:155], 1
	v_mul_f64 v[154:155], v[154:155], v[156:157]
	v_mul_f64 v[154:155], v[154:155], v[160:161]
	v_add_f64 v[156:157], v[158:159], v[154:155]
	v_add_f64 v[158:159], v[156:157], -v[158:159]
	v_ldexp_f64 v[152:153], v[152:153], 1
	v_add_f64 v[154:155], v[154:155], -v[158:159]
	v_add_f64 v[152:153], v[152:153], v[154:155]
	v_frexp_exp_i32_f64_e32 v136, v[150:151]
	v_add_f64 v[154:155], v[156:157], v[152:153]
	v_subbrev_co_u32_e32 v135, vcc, 0, v136, vcc
	v_add_f64 v[156:157], v[154:155], -v[156:157]
	v_add_f64 v[152:153], v[152:153], -v[156:157]
	v_cvt_f64_i32_e32 v[156:157], v135
	v_mul_f64 v[158:159], v[156:157], s[22:23]
	v_fma_f64 v[160:161], v[156:157], s[22:23], -v[158:159]
	v_fmac_f64_e32 v[160:161], s[24:25], v[156:157]
	v_add_f64 v[156:157], v[158:159], v[160:161]
	v_add_f64 v[158:159], v[156:157], -v[158:159]
	v_add_f64 v[158:159], v[160:161], -v[158:159]
	v_add_f64 v[160:161], v[156:157], v[154:155]
	v_add_f64 v[162:163], v[160:161], -v[156:157]
	v_add_f64 v[164:165], v[160:161], -v[162:163]
	;; [unrolled: 1-line block ×4, first 2 shown]
	v_add_f64 v[154:155], v[154:155], v[156:157]
	v_add_f64 v[156:157], v[158:159], v[152:153]
	v_add_f64 v[162:163], v[156:157], -v[158:159]
	v_add_f64 v[164:165], v[156:157], -v[162:163]
	v_add_f64 v[154:155], v[156:157], v[154:155]
	v_add_f64 v[158:159], v[158:159], -v[164:165]
	v_add_f64 v[152:153], v[152:153], -v[162:163]
	v_add_f64 v[156:157], v[160:161], v[154:155]
	v_add_f64 v[152:153], v[152:153], v[158:159]
	v_add_f64 v[158:159], v[156:157], -v[160:161]
	v_add_f64 v[154:155], v[154:155], -v[158:159]
	v_add_f64 v[152:153], v[152:153], v[154:155]
	v_add_f64 v[152:153], v[156:157], v[152:153]
	v_cmp_class_f64_e64 vcc, v[150:151], s84
	v_cndmask_b32_e32 v135, v152, v150, vcc
	v_cndmask_b32_e32 v136, v153, v151, vcc
	v_cmp_neq_f64_e32 vcc, 0, v[150:151]
	v_cndmask_b32_e32 v151, v175, v136, vcc
	v_cndmask_b32_e32 v150, 0, v135, vcc
	v_add_f64 v[148:149], v[150:151], -v[148:149]
	v_fract_f64_e32 v[150:151], v[142:143]
	v_cmp_eq_f64_e32 vcc, 0, v[150:151]
	s_or_b64 vcc, s[80:81], vcc
	v_cndmask_b32_e32 v149, v149, v177, vcc
	v_cndmask_b32_e64 v148, v148, 0, vcc
.LBB12_45:                              ;   in Loop: Header=BB12_4 Depth=1
	s_or_b64 exec, exec, s[78:79]
.LBB12_46:                              ;   in Loop: Header=BB12_4 Depth=1
	s_or_b64 exec, exec, s[10:11]
	v_and_b32_e32 v151, 0x7fffffff, v141
	v_mov_b32_e32 v150, v140
	v_cmp_lt_u32_e32 vcc, s92, v151
                                        ; implicit-def: $vgpr152_vgpr153
	s_and_saveexec_b64 s[10:11], vcc
	s_xor_b64 s[10:11], exec, s[10:11]
	s_cbranch_execz .LBB12_72
; %bb.47:                               ;   in Loop: Header=BB12_4 Depth=1
	v_cmp_lt_u32_e32 vcc, s93, v151
                                        ; implicit-def: $vgpr152_vgpr153
	s_and_saveexec_b64 s[78:79], vcc
	s_xor_b64 s[78:79], exec, s[78:79]
	s_cbranch_execz .LBB12_57
; %bb.48:                               ;   in Loop: Header=BB12_4 Depth=1
	;; [unrolled: 6-line block ×4, first 2 shown]
	v_frexp_mant_f64_e64 v[152:153], |v[140:141]|
	v_cmp_gt_f64_e32 vcc, s[18:19], v[152:153]
	v_cndmask_b32_e64 v135, v174, 2.0, vcc
	v_mul_f64 v[152:153], v[152:153], v[134:135]
	v_add_f64 v[154:155], v[152:153], 1.0
	v_rcp_f64_e32 v[156:157], v[154:155]
	v_add_f64 v[160:161], v[154:155], -1.0
	v_add_f64 v[158:159], v[152:153], -1.0
	v_add_f64 v[152:153], v[152:153], -v[160:161]
	v_fma_f64 v[160:161], -v[154:155], v[156:157], 1.0
	v_fmac_f64_e32 v[156:157], v[160:161], v[156:157]
	v_fma_f64 v[160:161], -v[154:155], v[156:157], 1.0
	v_fmac_f64_e32 v[156:157], v[160:161], v[156:157]
	v_mul_f64 v[160:161], v[158:159], v[156:157]
	v_mul_f64 v[162:163], v[154:155], v[160:161]
	v_fma_f64 v[154:155], v[160:161], v[154:155], -v[162:163]
	v_fmac_f64_e32 v[154:155], v[160:161], v[152:153]
	v_add_f64 v[152:153], v[162:163], v[154:155]
	v_add_f64 v[164:165], v[158:159], -v[152:153]
	v_add_f64 v[162:163], v[152:153], -v[162:163]
	;; [unrolled: 1-line block ×5, first 2 shown]
	v_add_f64 v[152:153], v[154:155], v[152:153]
	v_add_f64 v[152:153], v[164:165], v[152:153]
	v_mul_f64 v[152:153], v[156:157], v[152:153]
	v_add_f64 v[154:155], v[160:161], v[152:153]
	v_add_f64 v[156:157], v[154:155], -v[160:161]
	v_add_f64 v[152:153], v[152:153], -v[156:157]
	v_mul_f64 v[156:157], v[154:155], v[154:155]
	v_pk_mov_b32 v[158:159], v[6:7], v[6:7] op_sel:[0,1]
	v_fmac_f64_e32 v[158:159], s[20:21], v[156:157]
	v_pk_mov_b32 v[160:161], v[8:9], v[8:9] op_sel:[0,1]
	v_fmac_f64_e32 v[160:161], v[156:157], v[158:159]
	;; [unrolled: 2-line block ×6, first 2 shown]
	v_ldexp_f64 v[158:159], v[154:155], 1
	v_mul_f64 v[154:155], v[154:155], v[156:157]
	v_mul_f64 v[154:155], v[154:155], v[160:161]
	v_add_f64 v[156:157], v[158:159], v[154:155]
	v_add_f64 v[158:159], v[156:157], -v[158:159]
	v_ldexp_f64 v[152:153], v[152:153], 1
	v_add_f64 v[154:155], v[154:155], -v[158:159]
	v_add_f64 v[152:153], v[152:153], v[154:155]
	v_frexp_exp_i32_f64_e32 v136, v[140:141]
	v_add_f64 v[154:155], v[156:157], v[152:153]
	v_subbrev_co_u32_e32 v135, vcc, 0, v136, vcc
	v_add_f64 v[156:157], v[154:155], -v[156:157]
	v_add_f64 v[152:153], v[152:153], -v[156:157]
	v_cvt_f64_i32_e32 v[156:157], v135
	v_mul_f64 v[158:159], v[156:157], s[22:23]
	v_fma_f64 v[160:161], v[156:157], s[22:23], -v[158:159]
	v_fmac_f64_e32 v[160:161], s[24:25], v[156:157]
	v_add_f64 v[156:157], v[158:159], v[160:161]
	v_add_f64 v[158:159], v[156:157], -v[158:159]
	v_add_f64 v[158:159], v[160:161], -v[158:159]
	v_add_f64 v[160:161], v[156:157], v[154:155]
	v_add_f64 v[162:163], v[160:161], -v[156:157]
	v_add_f64 v[164:165], v[160:161], -v[162:163]
	;; [unrolled: 1-line block ×4, first 2 shown]
	v_add_f64 v[154:155], v[154:155], v[156:157]
	v_add_f64 v[156:157], v[158:159], v[152:153]
	v_add_f64 v[162:163], v[156:157], -v[158:159]
	v_add_f64 v[164:165], v[156:157], -v[162:163]
	v_add_f64 v[154:155], v[156:157], v[154:155]
	v_add_f64 v[158:159], v[158:159], -v[164:165]
	v_add_f64 v[152:153], v[152:153], -v[162:163]
	v_add_f64 v[156:157], v[160:161], v[154:155]
	v_add_f64 v[152:153], v[152:153], v[158:159]
	v_add_f64 v[158:159], v[156:157], -v[160:161]
	v_add_f64 v[154:155], v[154:155], -v[158:159]
	v_add_f64 v[152:153], v[152:153], v[154:155]
	v_add_f64 v[152:153], v[156:157], v[152:153]
	v_cmp_class_f64_e64 vcc, v[140:141], s84
	v_cndmask_b32_e32 v135, v152, v140, vcc
	v_cndmask_b32_e32 v136, v153, v151, vcc
	v_cmp_neq_f64_e32 vcc, 0, v[140:141]
	v_cndmask_b32_e32 v153, v175, v136, vcc
	v_cndmask_b32_e32 v152, 0, v135, vcc
	v_fma_f64 v[152:153], |v[140:141]|, v[152:153], -|v[140:141]|
.LBB12_51:                              ;   in Loop: Header=BB12_4 Depth=1
	s_andn2_saveexec_b64 s[82:83], s[82:83]
	s_cbranch_execz .LBB12_53
; %bb.52:                               ;   in Loop: Header=BB12_4 Depth=1
	v_mov_b32_e32 v150, v140
	v_div_scale_f64 v[152:153], vcc, v[150:151], v[150:151], 1.0
	v_rcp_f64_e32 v[154:155], v[152:153]
	v_div_scale_f64 v[156:157], vcc, 1.0, v[150:151], 1.0
	v_frexp_exp_i32_f64_e32 v136, v[140:141]
	v_fma_f64 v[158:159], -v[152:153], v[154:155], 1.0
	v_fmac_f64_e32 v[154:155], v[154:155], v[158:159]
	v_fma_f64 v[158:159], -v[152:153], v[154:155], 1.0
	v_fmac_f64_e32 v[154:155], v[154:155], v[158:159]
	v_mul_f64 v[158:159], v[156:157], v[154:155]
	v_fma_f64 v[152:153], -v[152:153], v[158:159], v[156:157]
	v_div_fmas_f64 v[152:153], v[152:153], v[154:155], v[158:159]
	v_div_fixup_f64 v[154:155], v[152:153], |v[140:141]|, 1.0
	s_mov_b32 vcc_lo, 0xb9e43e4
	v_mul_f64 v[152:153], v[154:155], v[154:155]
	v_pk_mov_b32 v[156:157], v[18:19], v[18:19] op_sel:[0,1]
	s_mov_b32 vcc_hi, 0xbf5ab89d
	v_fmac_f64_e32 v[156:157], vcc, v[152:153]
	v_pk_mov_b32 v[158:159], v[20:21], v[20:21] op_sel:[0,1]
	v_fmac_f64_e32 v[158:159], v[152:153], v[156:157]
	v_pk_mov_b32 v[156:157], v[22:23], v[22:23] op_sel:[0,1]
	v_fmac_f64_e32 v[156:157], v[152:153], v[158:159]
	;; [unrolled: 2-line block ×5, first 2 shown]
	v_frexp_mant_f64_e64 v[156:157], |v[140:141]|
	v_cmp_gt_f64_e32 vcc, s[18:19], v[156:157]
	v_cndmask_b32_e64 v135, v174, 2.0, vcc
	v_mul_f64 v[156:157], v[156:157], v[134:135]
	v_add_f64 v[158:159], v[156:157], 1.0
	v_rcp_f64_e32 v[160:161], v[158:159]
	v_add_f64 v[164:165], v[158:159], -1.0
	v_add_f64 v[162:163], v[156:157], -1.0
	v_add_f64 v[156:157], v[156:157], -v[164:165]
	v_fma_f64 v[164:165], -v[158:159], v[160:161], 1.0
	v_fmac_f64_e32 v[160:161], v[164:165], v[160:161]
	v_fma_f64 v[164:165], -v[158:159], v[160:161], 1.0
	v_fmac_f64_e32 v[160:161], v[164:165], v[160:161]
	v_mul_f64 v[164:165], v[162:163], v[160:161]
	v_mul_f64 v[166:167], v[158:159], v[164:165]
	v_fma_f64 v[158:159], v[164:165], v[158:159], -v[166:167]
	v_fmac_f64_e32 v[158:159], v[164:165], v[156:157]
	v_add_f64 v[156:157], v[166:167], v[158:159]
	v_add_f64 v[178:179], v[162:163], -v[156:157]
	v_add_f64 v[166:167], v[156:157], -v[166:167]
	v_add_f64 v[162:163], v[162:163], -v[178:179]
	v_add_f64 v[156:157], v[162:163], -v[156:157]
	v_add_f64 v[158:159], v[166:167], -v[158:159]
	v_add_f64 v[156:157], v[158:159], v[156:157]
	v_add_f64 v[156:157], v[178:179], v[156:157]
	v_mul_f64 v[156:157], v[160:161], v[156:157]
	v_add_f64 v[158:159], v[164:165], v[156:157]
	v_add_f64 v[160:161], v[158:159], -v[164:165]
	v_add_f64 v[156:157], v[156:157], -v[160:161]
	v_mul_f64 v[160:161], v[158:159], v[158:159]
	v_pk_mov_b32 v[162:163], v[6:7], v[6:7] op_sel:[0,1]
	v_fmac_f64_e32 v[162:163], s[20:21], v[160:161]
	v_pk_mov_b32 v[164:165], v[8:9], v[8:9] op_sel:[0,1]
	v_fmac_f64_e32 v[164:165], v[160:161], v[162:163]
	;; [unrolled: 2-line block ×6, first 2 shown]
	v_ldexp_f64 v[162:163], v[158:159], 1
	v_mul_f64 v[158:159], v[158:159], v[160:161]
	v_mul_f64 v[158:159], v[158:159], v[164:165]
	v_add_f64 v[160:161], v[162:163], v[158:159]
	v_add_f64 v[162:163], v[160:161], -v[162:163]
	v_ldexp_f64 v[156:157], v[156:157], 1
	v_add_f64 v[158:159], v[158:159], -v[162:163]
	v_add_f64 v[156:157], v[156:157], v[158:159]
	v_add_f64 v[158:159], v[160:161], v[156:157]
	v_subbrev_co_u32_e32 v135, vcc, 0, v136, vcc
	v_add_f64 v[160:161], v[158:159], -v[160:161]
	v_add_f64 v[156:157], v[156:157], -v[160:161]
	v_cvt_f64_i32_e32 v[160:161], v135
	v_mul_f64 v[162:163], v[160:161], s[22:23]
	v_fma_f64 v[164:165], v[160:161], s[22:23], -v[162:163]
	v_fmac_f64_e32 v[164:165], s[24:25], v[160:161]
	v_add_f64 v[160:161], v[162:163], v[164:165]
	v_add_f64 v[162:163], v[160:161], -v[162:163]
	v_add_f64 v[162:163], v[164:165], -v[162:163]
	v_add_f64 v[164:165], v[160:161], v[158:159]
	v_add_f64 v[166:167], v[164:165], -v[160:161]
	v_add_f64 v[178:179], v[164:165], -v[166:167]
	;; [unrolled: 1-line block ×4, first 2 shown]
	v_add_f64 v[158:159], v[158:159], v[160:161]
	v_add_f64 v[160:161], v[162:163], v[156:157]
	v_add_f64 v[166:167], v[160:161], -v[162:163]
	v_add_f64 v[178:179], v[160:161], -v[166:167]
	v_add_f64 v[158:159], v[160:161], v[158:159]
	v_add_f64 v[162:163], v[162:163], -v[178:179]
	v_add_f64 v[156:157], v[156:157], -v[166:167]
	v_add_f64 v[160:161], v[164:165], v[158:159]
	v_add_f64 v[156:157], v[156:157], v[162:163]
	v_add_f64 v[162:163], v[160:161], -v[164:165]
	v_add_f64 v[158:159], v[158:159], -v[162:163]
	v_add_f64 v[156:157], v[156:157], v[158:159]
	v_add_f64 v[156:157], v[160:161], v[156:157]
	v_cmp_class_f64_e64 vcc, v[140:141], s84
	v_cndmask_b32_e32 v157, v157, v151, vcc
	v_cndmask_b32_e32 v156, v156, v150, vcc
	v_add_f64 v[156:157], v[156:157], -1.0
	v_cmp_neq_f64_e32 vcc, 0, v[140:141]
	v_add_f64 v[154:155], |v[140:141]|, -0.5
	v_cndmask_b32_e32 v157, v175, v157, vcc
	v_cndmask_b32_e32 v156, 0, v156, vcc
	v_fmac_f64_e32 v[152:153], v[154:155], v[156:157]
.LBB12_53:                              ;   in Loop: Header=BB12_4 Depth=1
	s_or_b64 exec, exec, s[82:83]
.LBB12_54:                              ;   in Loop: Header=BB12_4 Depth=1
	s_andn2_saveexec_b64 s[80:81], s[80:81]
	s_cbranch_execz .LBB12_56
; %bb.55:                               ;   in Loop: Header=BB12_4 Depth=1
	v_cvt_i32_f64_e32 v135, v[150:151]
	v_cvt_f64_i32_e32 v[152:153], v135
	v_add_f64 v[152:153], |v[140:141]|, -v[152:153]
	v_pk_mov_b32 v[154:155], v[30:31], v[30:31] op_sel:[0,1]
	v_fmac_f64_e32 v[154:155], s[28:29], v[152:153]
	v_pk_mov_b32 v[156:157], v[32:33], v[32:33] op_sel:[0,1]
	v_fmac_f64_e32 v[156:157], v[152:153], v[154:155]
	;; [unrolled: 2-line block ×4, first 2 shown]
	v_pk_mov_b32 v[154:155], v[38:39], v[38:39] op_sel:[0,1]
	v_mov_b32_e32 v136, v74
	v_fmac_f64_e32 v[154:155], v[152:153], v[156:157]
	v_pk_mov_b32 v[156:157], v[136:137], v[136:137] op_sel:[0,1]
	v_fmac_f64_e32 v[156:157], v[152:153], v[154:155]
	v_mul_f64 v[154:155], v[152:153], v[156:157]
	v_pk_mov_b32 v[156:157], v[40:41], v[40:41] op_sel:[0,1]
	v_fmac_f64_e32 v[156:157], s[30:31], v[152:153]
	v_pk_mov_b32 v[158:159], v[42:43], v[42:43] op_sel:[0,1]
	v_fmac_f64_e32 v[158:159], v[152:153], v[156:157]
	;; [unrolled: 2-line block ×5, first 2 shown]
	v_fma_f64 v[156:157], v[152:153], v[156:157], 1.0
	v_div_scale_f64 v[158:159], s[82:83], v[156:157], v[156:157], v[154:155]
	v_rcp_f64_e32 v[160:161], v[158:159]
	v_fma_f64 v[162:163], -v[158:159], v[160:161], 1.0
	v_fmac_f64_e32 v[160:161], v[160:161], v[162:163]
	v_fma_f64 v[162:163], -v[158:159], v[160:161], 1.0
	v_fmac_f64_e32 v[160:161], v[160:161], v[162:163]
	v_div_scale_f64 v[162:163], vcc, v[154:155], v[156:157], v[154:155]
	v_mul_f64 v[164:165], v[162:163], v[160:161]
	v_fma_f64 v[158:159], -v[158:159], v[164:165], v[162:163]
	v_add_f64 v[162:163], v[152:153], s[36:37]
	s_nop 0
	v_div_fmas_f64 v[158:159], v[158:159], v[160:161], v[164:165]
	v_div_fixup_f64 v[154:155], v[158:159], v[156:157], v[154:155]
	v_add_f64 v[156:157], v[152:153], 2.0
	v_cmp_lt_i32_e32 vcc, 2, v135
	v_add_f64 v[158:159], v[152:153], s[34:35]
	v_cndmask_b32_e32 v157, v174, v157, vcc
	v_cndmask_b32_e32 v156, 0, v156, vcc
	v_cmp_lt_i32_e32 vcc, 3, v135
	v_add_f64 v[160:161], v[152:153], 4.0
	v_cndmask_b32_e32 v159, v174, v159, vcc
	v_cndmask_b32_e32 v158, 0, v158, vcc
	v_cmp_lt_i32_e32 vcc, 4, v135
	v_mul_f64 v[156:157], v[156:157], v[158:159]
	v_cndmask_b32_e32 v159, v174, v161, vcc
	v_cndmask_b32_e32 v158, 0, v160, vcc
	v_cmp_lt_i32_e32 vcc, 5, v135
	v_fmac_f64_e32 v[154:155], 0.5, v[152:153]
	v_add_f64 v[152:153], v[152:153], s[38:39]
	v_mul_f64 v[156:157], v[158:159], v[156:157]
	v_cndmask_b32_e32 v159, v174, v163, vcc
	v_cndmask_b32_e32 v158, 0, v162, vcc
	v_cmp_lt_i32_e32 vcc, 6, v135
	v_mul_f64 v[156:157], v[158:159], v[156:157]
	v_cndmask_b32_e32 v153, v174, v153, vcc
	v_cndmask_b32_e32 v152, 0, v152, vcc
	v_mul_f64 v[152:153], v[152:153], v[156:157]
	v_frexp_mant_f64_e32 v[156:157], v[152:153]
	v_cmp_gt_f64_e32 vcc, s[18:19], v[156:157]
	v_cndmask_b32_e64 v135, v174, 2.0, vcc
	v_mul_f64 v[156:157], v[156:157], v[134:135]
	v_add_f64 v[158:159], v[156:157], 1.0
	v_rcp_f64_e32 v[160:161], v[158:159]
	v_add_f64 v[164:165], v[158:159], -1.0
	v_add_f64 v[162:163], v[156:157], -1.0
	v_add_f64 v[156:157], v[156:157], -v[164:165]
	v_fma_f64 v[164:165], -v[158:159], v[160:161], 1.0
	v_fmac_f64_e32 v[160:161], v[164:165], v[160:161]
	v_fma_f64 v[164:165], -v[158:159], v[160:161], 1.0
	v_fmac_f64_e32 v[160:161], v[164:165], v[160:161]
	v_mul_f64 v[164:165], v[162:163], v[160:161]
	v_mul_f64 v[166:167], v[158:159], v[164:165]
	v_fma_f64 v[158:159], v[164:165], v[158:159], -v[166:167]
	v_fmac_f64_e32 v[158:159], v[164:165], v[156:157]
	v_add_f64 v[156:157], v[166:167], v[158:159]
	v_add_f64 v[178:179], v[162:163], -v[156:157]
	v_add_f64 v[166:167], v[156:157], -v[166:167]
	;; [unrolled: 1-line block ×5, first 2 shown]
	v_add_f64 v[156:157], v[158:159], v[156:157]
	v_add_f64 v[156:157], v[178:179], v[156:157]
	v_mul_f64 v[156:157], v[160:161], v[156:157]
	v_add_f64 v[158:159], v[164:165], v[156:157]
	v_add_f64 v[160:161], v[158:159], -v[164:165]
	v_add_f64 v[156:157], v[156:157], -v[160:161]
	v_mul_f64 v[160:161], v[158:159], v[158:159]
	v_pk_mov_b32 v[162:163], v[6:7], v[6:7] op_sel:[0,1]
	v_fmac_f64_e32 v[162:163], s[20:21], v[160:161]
	v_pk_mov_b32 v[164:165], v[8:9], v[8:9] op_sel:[0,1]
	v_fmac_f64_e32 v[164:165], v[160:161], v[162:163]
	;; [unrolled: 2-line block ×6, first 2 shown]
	v_ldexp_f64 v[162:163], v[158:159], 1
	v_mul_f64 v[158:159], v[158:159], v[160:161]
	v_mul_f64 v[158:159], v[158:159], v[164:165]
	v_add_f64 v[160:161], v[162:163], v[158:159]
	v_add_f64 v[162:163], v[160:161], -v[162:163]
	v_ldexp_f64 v[156:157], v[156:157], 1
	v_add_f64 v[158:159], v[158:159], -v[162:163]
	v_add_f64 v[156:157], v[156:157], v[158:159]
	v_frexp_exp_i32_f64_e32 v136, v[152:153]
	v_add_f64 v[158:159], v[160:161], v[156:157]
	v_subbrev_co_u32_e32 v135, vcc, 0, v136, vcc
	v_add_f64 v[160:161], v[158:159], -v[160:161]
	v_add_f64 v[156:157], v[156:157], -v[160:161]
	v_cvt_f64_i32_e32 v[160:161], v135
	v_mul_f64 v[162:163], v[160:161], s[22:23]
	v_fma_f64 v[164:165], v[160:161], s[22:23], -v[162:163]
	v_fmac_f64_e32 v[164:165], s[24:25], v[160:161]
	v_add_f64 v[160:161], v[162:163], v[164:165]
	v_add_f64 v[162:163], v[160:161], -v[162:163]
	v_add_f64 v[162:163], v[164:165], -v[162:163]
	v_add_f64 v[164:165], v[160:161], v[158:159]
	v_add_f64 v[166:167], v[164:165], -v[160:161]
	v_add_f64 v[178:179], v[164:165], -v[166:167]
	;; [unrolled: 1-line block ×4, first 2 shown]
	v_add_f64 v[158:159], v[158:159], v[160:161]
	v_add_f64 v[160:161], v[162:163], v[156:157]
	v_add_f64 v[166:167], v[160:161], -v[162:163]
	v_add_f64 v[178:179], v[160:161], -v[166:167]
	v_add_f64 v[158:159], v[160:161], v[158:159]
	v_add_f64 v[162:163], v[162:163], -v[178:179]
	v_add_f64 v[156:157], v[156:157], -v[166:167]
	v_add_f64 v[160:161], v[164:165], v[158:159]
	v_add_f64 v[156:157], v[156:157], v[162:163]
	v_add_f64 v[162:163], v[160:161], -v[164:165]
	v_add_f64 v[158:159], v[158:159], -v[162:163]
	v_add_f64 v[156:157], v[156:157], v[158:159]
	v_add_f64 v[156:157], v[160:161], v[156:157]
	v_cmp_class_f64_e64 vcc, v[152:153], s84
	v_cndmask_b32_e32 v135, v156, v152, vcc
	v_cndmask_b32_e32 v136, v157, v153, vcc
	v_cmp_ngt_f64_e32 vcc, 0, v[152:153]
	v_cndmask_b32_e32 v136, v176, v136, vcc
	v_cmp_nge_f64_e32 vcc, 0, v[152:153]
	v_cndmask_b32_e32 v156, 0, v135, vcc
	v_cmp_neq_f64_e32 vcc, 0, v[152:153]
	v_cndmask_b32_e32 v157, v175, v136, vcc
	v_add_f64 v[152:153], v[154:155], v[156:157]
.LBB12_56:                              ;   in Loop: Header=BB12_4 Depth=1
	s_or_b64 exec, exec, s[80:81]
.LBB12_57:                              ;   in Loop: Header=BB12_4 Depth=1
	s_andn2_saveexec_b64 s[78:79], s[78:79]
	s_cbranch_execz .LBB12_71
; %bb.58:                               ;   in Loop: Header=BB12_4 Depth=1
	v_cmp_lt_u32_e32 vcc, s26, v151
                                        ; implicit-def: $sgpr82_sgpr83
                                        ; implicit-def: $vgpr135
                                        ; implicit-def: $vgpr154_vgpr155
	s_and_saveexec_b64 s[80:81], vcc
	s_xor_b64 s[80:81], exec, s[80:81]
	s_cbranch_execz .LBB12_60
; %bb.59:                               ;   in Loop: Header=BB12_4 Depth=1
	v_add_f64 v[152:153], -|v[140:141]|, 2.0
	v_add_f64 v[154:155], |v[140:141]|, s[40:41]
	v_cmp_gt_u32_e32 vcc, s27, v151
	v_cndmask_b32_e32 v135, v152, v154, vcc
	v_cndmask_b32_e32 v136, v153, v155, vcc
	v_cndmask_b32_e64 v146, 0, 1, vcc
	v_add_f64 v[152:153], |v[140:141]|, -1.0
	v_cmp_gt_u32_e32 vcc, s48, v151
	v_cndmask_b32_e32 v155, v136, v153, vcc
	v_cndmask_b32_e32 v154, v135, v152, vcc
	v_cndmask_b32_e64 v135, v146, 2, vcc
	s_mov_b64 s[82:83], 0
.LBB12_60:                              ;   in Loop: Header=BB12_4 Depth=1
	s_or_saveexec_b64 s[80:81], s[80:81]
	v_pk_mov_b32 v[152:153], s[82:83], s[82:83] op_sel:[0,1]
	s_xor_b64 exec, exec, s[80:81]
	s_cbranch_execz .LBB12_62
; %bb.61:                               ;   in Loop: Header=BB12_4 Depth=1
	v_frexp_mant_f64_e64 v[152:153], |v[140:141]|
	v_cmp_gt_f64_e32 vcc, s[18:19], v[152:153]
	v_cndmask_b32_e64 v135, v174, 2.0, vcc
	v_mul_f64 v[152:153], v[152:153], v[134:135]
	v_add_f64 v[154:155], v[152:153], 1.0
	v_rcp_f64_e32 v[156:157], v[154:155]
	v_add_f64 v[160:161], v[154:155], -1.0
	v_add_f64 v[158:159], v[152:153], -1.0
	v_add_f64 v[152:153], v[152:153], -v[160:161]
	v_fma_f64 v[160:161], -v[154:155], v[156:157], 1.0
	v_fmac_f64_e32 v[156:157], v[160:161], v[156:157]
	v_fma_f64 v[160:161], -v[154:155], v[156:157], 1.0
	v_fmac_f64_e32 v[156:157], v[160:161], v[156:157]
	v_mul_f64 v[160:161], v[158:159], v[156:157]
	v_mul_f64 v[162:163], v[154:155], v[160:161]
	v_fma_f64 v[154:155], v[160:161], v[154:155], -v[162:163]
	v_fmac_f64_e32 v[154:155], v[160:161], v[152:153]
	v_add_f64 v[152:153], v[162:163], v[154:155]
	v_add_f64 v[164:165], v[158:159], -v[152:153]
	v_add_f64 v[162:163], v[152:153], -v[162:163]
	;; [unrolled: 1-line block ×5, first 2 shown]
	v_add_f64 v[152:153], v[154:155], v[152:153]
	v_add_f64 v[152:153], v[164:165], v[152:153]
	v_mul_f64 v[152:153], v[156:157], v[152:153]
	v_add_f64 v[154:155], v[160:161], v[152:153]
	v_add_f64 v[156:157], v[154:155], -v[160:161]
	v_add_f64 v[152:153], v[152:153], -v[156:157]
	v_mul_f64 v[156:157], v[154:155], v[154:155]
	v_pk_mov_b32 v[158:159], v[6:7], v[6:7] op_sel:[0,1]
	v_fmac_f64_e32 v[158:159], s[20:21], v[156:157]
	v_pk_mov_b32 v[160:161], v[8:9], v[8:9] op_sel:[0,1]
	v_fmac_f64_e32 v[160:161], v[156:157], v[158:159]
	;; [unrolled: 2-line block ×6, first 2 shown]
	v_ldexp_f64 v[158:159], v[154:155], 1
	v_mul_f64 v[154:155], v[154:155], v[156:157]
	v_mul_f64 v[154:155], v[154:155], v[160:161]
	v_add_f64 v[156:157], v[158:159], v[154:155]
	v_add_f64 v[158:159], v[156:157], -v[158:159]
	v_ldexp_f64 v[152:153], v[152:153], 1
	v_add_f64 v[154:155], v[154:155], -v[158:159]
	v_add_f64 v[152:153], v[152:153], v[154:155]
	v_frexp_exp_i32_f64_e32 v136, v[140:141]
	v_add_f64 v[154:155], v[156:157], v[152:153]
	v_subbrev_co_u32_e32 v135, vcc, 0, v136, vcc
	v_add_f64 v[156:157], v[154:155], -v[156:157]
	v_add_f64 v[152:153], v[152:153], -v[156:157]
	v_cvt_f64_i32_e32 v[156:157], v135
	v_mul_f64 v[158:159], v[156:157], s[22:23]
	v_fma_f64 v[160:161], v[156:157], s[22:23], -v[158:159]
	v_fmac_f64_e32 v[160:161], s[24:25], v[156:157]
	v_add_f64 v[156:157], v[158:159], v[160:161]
	v_add_f64 v[158:159], v[156:157], -v[158:159]
	v_add_f64 v[158:159], v[160:161], -v[158:159]
	v_add_f64 v[160:161], v[156:157], v[154:155]
	v_add_f64 v[162:163], v[160:161], -v[156:157]
	v_add_f64 v[164:165], v[160:161], -v[162:163]
	;; [unrolled: 1-line block ×4, first 2 shown]
	v_add_f64 v[154:155], v[154:155], v[156:157]
	v_add_f64 v[156:157], v[158:159], v[152:153]
	v_add_f64 v[162:163], v[156:157], -v[158:159]
	v_add_f64 v[164:165], v[156:157], -v[162:163]
	v_add_f64 v[154:155], v[156:157], v[154:155]
	v_add_f64 v[158:159], v[158:159], -v[164:165]
	v_add_f64 v[152:153], v[152:153], -v[162:163]
	v_add_f64 v[156:157], v[160:161], v[154:155]
	v_add_f64 v[152:153], v[152:153], v[158:159]
	v_add_f64 v[158:159], v[156:157], -v[160:161]
	v_add_f64 v[154:155], v[154:155], -v[158:159]
	v_add_f64 v[152:153], v[152:153], v[154:155]
	v_add_f64 v[152:153], v[156:157], v[152:153]
	v_cmp_class_f64_e64 vcc, v[140:141], s84
	v_cndmask_b32_e32 v135, v152, v140, vcc
	v_cndmask_b32_e64 v136, -v153, -v151, vcc
	v_cmp_neq_f64_e32 vcc, 0, v[140:141]
	v_cndmask_b32_e32 v153, v177, v136, vcc
	v_cndmask_b32_e32 v152, 0, v135, vcc
	v_add_f64 v[154:155], -|v[140:141]|, 1.0
	v_add_f64 v[156:157], |v[140:141]|, s[42:43]
	v_cmp_gt_u32_e32 vcc, s49, v151
	v_cndmask_b32_e32 v135, v154, v156, vcc
	v_cndmask_b32_e32 v136, v155, v157, vcc
	v_cndmask_b32_e64 v146, 0, 1, vcc
	v_cmp_gt_u32_e32 vcc, s50, v151
	v_cndmask_b32_e32 v155, v136, v151, vcc
	v_cndmask_b32_e32 v154, v135, v140, vcc
	v_cndmask_b32_e64 v135, v146, 2, vcc
.LBB12_62:                              ;   in Loop: Header=BB12_4 Depth=1
	s_or_b64 exec, exec, s[80:81]
	v_cmp_lt_i32_e32 vcc, 1, v135
                                        ; implicit-def: $vgpr158_vgpr159
	s_and_saveexec_b64 s[80:81], vcc
	s_xor_b64 s[80:81], exec, s[80:81]
	s_cbranch_execz .LBB12_64
; %bb.63:                               ;   in Loop: Header=BB12_4 Depth=1
	v_pk_mov_b32 v[156:157], v[50:51], v[50:51] op_sel:[0,1]
	v_fmac_f64_e32 v[156:157], s[44:45], v[154:155]
	v_pk_mov_b32 v[158:159], v[52:53], v[52:53] op_sel:[0,1]
	v_fmac_f64_e32 v[158:159], v[154:155], v[156:157]
	;; [unrolled: 2-line block ×3, first 2 shown]
	v_pk_mov_b32 v[158:159], v[56:57], v[56:57] op_sel:[0,1]
	v_mov_b32_e32 v136, v74
	v_fmac_f64_e32 v[158:159], v[154:155], v[156:157]
	v_pk_mov_b32 v[156:157], v[136:137], v[136:137] op_sel:[0,1]
	v_fmac_f64_e32 v[156:157], v[154:155], v[158:159]
	v_pk_mov_b32 v[158:159], v[58:59], v[58:59] op_sel:[0,1]
	;; [unrolled: 2-line block ×5, first 2 shown]
	v_fmac_f64_e32 v[160:161], v[154:155], v[158:159]
	v_mul_f64 v[156:157], v[154:155], v[156:157]
	v_fma_f64 v[158:159], v[154:155], v[160:161], 1.0
	v_div_scale_f64 v[160:161], s[82:83], v[158:159], v[158:159], v[156:157]
	v_rcp_f64_e32 v[162:163], v[160:161]
                                        ; implicit-def: $vgpr135
	v_fma_f64 v[164:165], -v[160:161], v[162:163], 1.0
	v_fmac_f64_e32 v[162:163], v[162:163], v[164:165]
	v_fma_f64 v[164:165], -v[160:161], v[162:163], 1.0
	v_fmac_f64_e32 v[162:163], v[162:163], v[164:165]
	v_div_scale_f64 v[164:165], vcc, v[156:157], v[158:159], v[156:157]
	v_mul_f64 v[166:167], v[164:165], v[162:163]
	v_fma_f64 v[160:161], -v[160:161], v[166:167], v[164:165]
	s_nop 1
	v_div_fmas_f64 v[160:161], v[160:161], v[162:163], v[166:167]
	v_div_fixup_f64 v[158:159], v[160:161], v[158:159], v[156:157]
	v_fmac_f64_e32 v[158:159], -0.5, v[154:155]
                                        ; implicit-def: $vgpr154_vgpr155
.LBB12_64:                              ;   in Loop: Header=BB12_4 Depth=1
	s_andn2_saveexec_b64 s[80:81], s[80:81]
	s_cbranch_execz .LBB12_70
; %bb.65:                               ;   in Loop: Header=BB12_4 Depth=1
	v_cmp_ne_u32_e32 vcc, 1, v135
	v_mul_f64 v[156:157], v[154:155], v[154:155]
                                        ; implicit-def: $vgpr158_vgpr159
	s_and_saveexec_b64 s[82:83], vcc
	s_xor_b64 s[82:83], exec, s[82:83]
	s_cbranch_execz .LBB12_67
; %bb.66:                               ;   in Loop: Header=BB12_4 Depth=1
	s_mov_b32 vcc_lo, 0x428cfa52
	v_pk_mov_b32 v[158:159], v[66:67], v[66:67] op_sel:[0,1]
	s_mov_b32 vcc_hi, 0x3efa7074
	v_fmac_f64_e32 v[158:159], vcc, v[156:157]
	v_pk_mov_b32 v[160:161], v[68:69], v[68:69] op_sel:[0,1]
	v_fmac_f64_e32 v[160:161], v[156:157], v[158:159]
	v_pk_mov_b32 v[158:159], v[70:71], v[70:71] op_sel:[0,1]
	v_fmac_f64_e32 v[158:159], v[156:157], v[160:161]
	v_pk_mov_b32 v[160:161], v[72:73], v[72:73] op_sel:[0,1]
	s_mov_b32 vcc_lo, 0x90a45837
	v_fmac_f64_e32 v[160:161], v[156:157], v[158:159]
	v_pk_mov_b32 v[162:163], v[74:75], v[74:75] op_sel:[0,1]
	v_pk_mov_b32 v[158:159], v[76:77], v[76:77] op_sel:[0,1]
	s_mov_b32 vcc_hi, 0x3f07858e
	v_fmac_f64_e32 v[162:163], v[156:157], v[160:161]
	v_fmac_f64_e32 v[158:159], vcc, v[156:157]
	v_pk_mov_b32 v[160:161], v[78:79], v[78:79] op_sel:[0,1]
	v_fmac_f64_e32 v[160:161], v[156:157], v[158:159]
	v_pk_mov_b32 v[158:159], v[80:81], v[80:81] op_sel:[0,1]
	v_fmac_f64_e32 v[158:159], v[156:157], v[160:161]
	;; [unrolled: 2-line block ×4, first 2 shown]
	v_mul_f64 v[158:159], v[156:157], v[158:159]
	v_fmac_f64_e32 v[158:159], v[154:155], v[162:163]
	v_fmac_f64_e32 v[158:159], -0.5, v[154:155]
                                        ; implicit-def: $vgpr154_vgpr155
                                        ; implicit-def: $vgpr156_vgpr157
.LBB12_67:                              ;   in Loop: Header=BB12_4 Depth=1
	s_andn2_saveexec_b64 s[82:83], s[82:83]
	s_cbranch_execz .LBB12_69
; %bb.68:                               ;   in Loop: Header=BB12_4 Depth=1
	s_mov_b32 vcc_lo, 0x6c0ebbf7
	v_mul_f64 v[158:159], v[154:155], v[156:157]
	v_pk_mov_b32 v[160:161], v[86:87], v[86:87] op_sel:[0,1]
	s_mov_b32 vcc_hi, 0x3f34af6d
	v_fmac_f64_e32 v[160:161], vcc, v[158:159]
	v_pk_mov_b32 v[162:163], v[88:89], v[88:89] op_sel:[0,1]
	v_fmac_f64_e32 v[162:163], v[158:159], v[160:161]
	v_pk_mov_b32 v[160:161], v[90:91], v[90:91] op_sel:[0,1]
	v_fmac_f64_e32 v[160:161], v[158:159], v[162:163]
	;; [unrolled: 2-line block ×11, first 2 shown]
	v_fmac_f64_e32 v[164:165], v[154:155], v[166:167]
	v_fma_f64 v[154:155], v[158:159], -v[164:165], s[58:59]
	v_fma_f64 v[154:155], v[156:157], v[162:163], -v[154:155]
	v_add_f64 v[158:159], v[154:155], s[60:61]
.LBB12_69:                              ;   in Loop: Header=BB12_4 Depth=1
	s_or_b64 exec, exec, s[82:83]
.LBB12_70:                              ;   in Loop: Header=BB12_4 Depth=1
	s_or_b64 exec, exec, s[80:81]
	v_add_f64 v[152:153], v[152:153], v[158:159]
.LBB12_71:                              ;   in Loop: Header=BB12_4 Depth=1
	s_or_b64 exec, exec, s[78:79]
.LBB12_72:                              ;   in Loop: Header=BB12_4 Depth=1
	s_andn2_saveexec_b64 s[10:11], s[10:11]
	s_cbranch_execz .LBB12_74
; %bb.73:                               ;   in Loop: Header=BB12_4 Depth=1
	v_frexp_mant_f64_e64 v[154:155], |v[140:141]|
	v_cmp_gt_f64_e32 vcc, s[18:19], v[154:155]
	v_cndmask_b32_e64 v135, v174, 2.0, vcc
	v_mul_f64 v[154:155], v[154:155], v[134:135]
	v_add_f64 v[156:157], v[154:155], 1.0
	v_rcp_f64_e32 v[158:159], v[156:157]
	v_add_f64 v[162:163], v[156:157], -1.0
	v_add_f64 v[160:161], v[154:155], -1.0
	v_add_f64 v[154:155], v[154:155], -v[162:163]
	v_fma_f64 v[162:163], -v[156:157], v[158:159], 1.0
	v_fmac_f64_e32 v[158:159], v[162:163], v[158:159]
	v_fma_f64 v[162:163], -v[156:157], v[158:159], 1.0
	v_fmac_f64_e32 v[158:159], v[162:163], v[158:159]
	v_mul_f64 v[162:163], v[160:161], v[158:159]
	v_mul_f64 v[164:165], v[156:157], v[162:163]
	v_fma_f64 v[156:157], v[162:163], v[156:157], -v[164:165]
	v_fmac_f64_e32 v[156:157], v[162:163], v[154:155]
	v_add_f64 v[154:155], v[164:165], v[156:157]
	v_add_f64 v[166:167], v[160:161], -v[154:155]
	v_add_f64 v[164:165], v[154:155], -v[164:165]
	;; [unrolled: 1-line block ×5, first 2 shown]
	v_add_f64 v[154:155], v[156:157], v[154:155]
	v_add_f64 v[154:155], v[166:167], v[154:155]
	v_mul_f64 v[154:155], v[158:159], v[154:155]
	v_add_f64 v[156:157], v[162:163], v[154:155]
	v_add_f64 v[158:159], v[156:157], -v[162:163]
	v_add_f64 v[154:155], v[154:155], -v[158:159]
	v_mul_f64 v[158:159], v[156:157], v[156:157]
	v_pk_mov_b32 v[160:161], v[6:7], v[6:7] op_sel:[0,1]
	v_fmac_f64_e32 v[160:161], s[20:21], v[158:159]
	v_pk_mov_b32 v[162:163], v[8:9], v[8:9] op_sel:[0,1]
	v_fmac_f64_e32 v[162:163], v[158:159], v[160:161]
	;; [unrolled: 2-line block ×6, first 2 shown]
	v_ldexp_f64 v[160:161], v[156:157], 1
	v_mul_f64 v[156:157], v[156:157], v[158:159]
	v_mul_f64 v[156:157], v[156:157], v[162:163]
	v_add_f64 v[158:159], v[160:161], v[156:157]
	v_add_f64 v[160:161], v[158:159], -v[160:161]
	v_ldexp_f64 v[154:155], v[154:155], 1
	v_add_f64 v[156:157], v[156:157], -v[160:161]
	v_add_f64 v[154:155], v[154:155], v[156:157]
	v_frexp_exp_i32_f64_e32 v136, v[140:141]
	v_add_f64 v[156:157], v[158:159], v[154:155]
	v_subbrev_co_u32_e32 v135, vcc, 0, v136, vcc
	v_add_f64 v[158:159], v[156:157], -v[158:159]
	v_add_f64 v[154:155], v[154:155], -v[158:159]
	v_cvt_f64_i32_e32 v[158:159], v135
	v_mul_f64 v[160:161], v[158:159], s[22:23]
	v_fma_f64 v[162:163], v[158:159], s[22:23], -v[160:161]
	v_fmac_f64_e32 v[162:163], s[24:25], v[158:159]
	v_add_f64 v[158:159], v[160:161], v[162:163]
	v_add_f64 v[160:161], v[158:159], -v[160:161]
	v_add_f64 v[160:161], v[162:163], -v[160:161]
	v_add_f64 v[162:163], v[158:159], v[156:157]
	v_add_f64 v[164:165], v[162:163], -v[158:159]
	v_add_f64 v[166:167], v[162:163], -v[164:165]
	;; [unrolled: 1-line block ×4, first 2 shown]
	v_add_f64 v[156:157], v[156:157], v[158:159]
	v_add_f64 v[158:159], v[160:161], v[154:155]
	v_add_f64 v[164:165], v[158:159], -v[160:161]
	v_add_f64 v[166:167], v[158:159], -v[164:165]
	v_add_f64 v[156:157], v[158:159], v[156:157]
	v_add_f64 v[160:161], v[160:161], -v[166:167]
	v_add_f64 v[154:155], v[154:155], -v[164:165]
	v_add_f64 v[158:159], v[162:163], v[156:157]
	v_add_f64 v[154:155], v[154:155], v[160:161]
	v_add_f64 v[160:161], v[158:159], -v[162:163]
	v_add_f64 v[156:157], v[156:157], -v[160:161]
	v_fma_f64 v[152:153], |v[140:141]|, s[62:63], v[110:111]
	v_add_f64 v[154:155], v[154:155], v[156:157]
	v_fma_f64 v[152:153], |v[140:141]|, v[152:153], s[64:65]
	v_add_f64 v[154:155], v[158:159], v[154:155]
	v_cmp_class_f64_e64 vcc, v[140:141], s84
	v_fma_f64 v[152:153], |v[140:141]|, v[152:153], s[66:67]
	v_cndmask_b32_e32 v135, v154, v140, vcc
	v_cndmask_b32_e64 v136, -v155, -v151, vcc
	v_cmp_neq_f64_e32 vcc, 0, v[140:141]
	v_fma_f64 v[152:153], |v[140:141]|, v[152:153], s[68:69]
	v_cndmask_b32_e32 v155, v177, v136, vcc
	v_cndmask_b32_e32 v154, 0, v135, vcc
	v_fma_f64 v[152:153], |v[140:141]|, v[152:153], v[154:155]
.LBB12_74:                              ;   in Loop: Header=BB12_4 Depth=1
	s_or_b64 exec, exec, s[10:11]
	v_cmp_le_f64_e32 vcc, 0, v[140:141]
	s_and_saveexec_b64 s[10:11], vcc
	s_xor_b64 s[78:79], exec, s[10:11]
; %bb.75:                               ;   in Loop: Header=BB12_4 Depth=1
	v_cmp_eq_f64_e32 vcc, 1.0, v[140:141]
	v_cmp_eq_f64_e64 s[10:11], 2.0, v[140:141]
	s_or_b64 s[10:11], vcc, s[10:11]
	v_cndmask_b32_e64 v153, v153, 0, s[10:11]
	v_cndmask_b32_e64 v152, v152, 0, s[10:11]
; %bb.76:                               ;   in Loop: Header=BB12_4 Depth=1
	s_andn2_saveexec_b64 s[10:11], s[78:79]
	s_cbranch_execz .LBB12_80
; %bb.77:                               ;   in Loop: Header=BB12_4 Depth=1
	v_add_u32_e32 v135, 0xc32fffff, v151
	v_cmp_gt_u32_e32 vcc, s51, v135
	s_and_saveexec_b64 s[78:79], vcc
	s_cbranch_execz .LBB12_79
; %bb.78:                               ;   in Loop: Header=BB12_4 Depth=1
	v_mul_f64 v[154:155], |v[140:141]|, 0.5
	v_fract_f64_e32 v[156:157], v[154:155]
	v_add_f64 v[156:157], v[156:157], v[156:157]
	v_cmp_neq_f64_e64 vcc, |v[154:155]|, s[70:71]
	v_cndmask_b32_e32 v135, 0, v156, vcc
	v_cndmask_b32_e32 v136, 0, v157, vcc
	v_cmp_gt_f64_e64 vcc, |v[140:141]|, 1.0
	v_cndmask_b32_e32 v155, v151, v136, vcc
	v_cndmask_b32_e32 v154, v140, v135, vcc
	v_add_f64 v[156:157], v[154:155], v[154:155]
	v_rndne_f64_e32 v[156:157], v[156:157]
	v_fmac_f64_e32 v[154:155], -0.5, v[156:157]
	v_cvt_i32_f64_e32 v135, v[156:157]
	v_mul_f64 v[156:157], v[154:155], v[154:155]
	v_pk_mov_b32 v[158:159], v[112:113], v[112:113] op_sel:[0,1]
	v_fmac_f64_e32 v[158:159], s[72:73], v[156:157]
	v_pk_mov_b32 v[160:161], v[114:115], v[114:115] op_sel:[0,1]
	v_fmac_f64_e32 v[160:161], v[156:157], v[158:159]
	;; [unrolled: 2-line block ×5, first 2 shown]
	v_mul_f64 v[160:161], v[154:155], v[156:157]
	v_mul_f64 v[158:159], v[160:161], v[158:159]
	v_fmac_f64_e32 v[158:159], s[74:75], v[154:155]
	v_pk_mov_b32 v[154:155], v[122:123], v[122:123] op_sel:[0,1]
	v_fmac_f64_e32 v[154:155], s[76:77], v[156:157]
	v_pk_mov_b32 v[160:161], v[124:125], v[124:125] op_sel:[0,1]
	;; [unrolled: 2-line block ×6, first 2 shown]
	v_fmac_f64_e32 v[160:161], v[156:157], v[154:155]
	v_and_b32_e32 v136, 1, v135
	v_lshlrev_b32_e32 v135, 30, v135
	v_fma_f64 v[154:155], v[156:157], v[160:161], 1.0
	v_cmp_eq_u32_e32 vcc, 0, v136
	v_xor_b32_e32 v135, v135, v141
	v_cndmask_b32_e32 v146, v155, v159, vcc
	v_and_b32_e32 v135, 0x80000000, v135
	v_cndmask_b32_e32 v136, v154, v158, vcc
	v_xor_b32_e32 v135, v146, v135
	v_cmp_class_f64_e64 vcc, v[140:141], s52
	v_cndmask_b32_e32 v154, 0, v136, vcc
	v_cndmask_b32_e32 v155, v176, v135, vcc
	v_mul_f64 v[154:155], v[140:141], v[154:155]
	v_and_b32_e32 v157, 0x7fffffff, v155
	v_mov_b32_e32 v156, v154
	v_div_scale_f64 v[158:159], s[80:81], v[156:157], v[156:157], s[74:75]
	v_rcp_f64_e32 v[160:161], v[158:159]
	v_div_scale_f64 v[156:157], vcc, s[74:75], v[156:157], s[74:75]
	v_cmp_class_f64_e64 s[80:81], v[140:141], s84
	v_fma_f64 v[162:163], -v[158:159], v[160:161], 1.0
	v_fmac_f64_e32 v[160:161], v[160:161], v[162:163]
	v_fma_f64 v[162:163], -v[158:159], v[160:161], 1.0
	v_fmac_f64_e32 v[160:161], v[160:161], v[162:163]
	v_mul_f64 v[162:163], v[156:157], v[160:161]
	v_fma_f64 v[156:157], -v[158:159], v[162:163], v[156:157]
	v_div_fmas_f64 v[156:157], v[156:157], v[160:161], v[162:163]
	v_div_fixup_f64 v[154:155], v[156:157], |v[154:155]|, s[74:75]
	v_frexp_mant_f64_e32 v[156:157], v[154:155]
	v_cmp_gt_f64_e32 vcc, s[18:19], v[156:157]
	v_cndmask_b32_e64 v135, v174, 2.0, vcc
	v_mul_f64 v[156:157], v[156:157], v[134:135]
	v_add_f64 v[158:159], v[156:157], 1.0
	v_rcp_f64_e32 v[160:161], v[158:159]
	v_add_f64 v[164:165], v[158:159], -1.0
	v_add_f64 v[162:163], v[156:157], -1.0
	v_add_f64 v[156:157], v[156:157], -v[164:165]
	v_fma_f64 v[164:165], -v[158:159], v[160:161], 1.0
	v_fmac_f64_e32 v[160:161], v[164:165], v[160:161]
	v_fma_f64 v[164:165], -v[158:159], v[160:161], 1.0
	v_fmac_f64_e32 v[160:161], v[164:165], v[160:161]
	v_mul_f64 v[164:165], v[162:163], v[160:161]
	v_mul_f64 v[166:167], v[158:159], v[164:165]
	v_fma_f64 v[158:159], v[164:165], v[158:159], -v[166:167]
	v_fmac_f64_e32 v[158:159], v[164:165], v[156:157]
	v_add_f64 v[156:157], v[166:167], v[158:159]
	v_add_f64 v[178:179], v[162:163], -v[156:157]
	v_add_f64 v[166:167], v[156:157], -v[166:167]
	v_add_f64 v[162:163], v[162:163], -v[178:179]
	v_add_f64 v[156:157], v[162:163], -v[156:157]
	v_add_f64 v[158:159], v[166:167], -v[158:159]
	v_add_f64 v[156:157], v[158:159], v[156:157]
	v_add_f64 v[156:157], v[178:179], v[156:157]
	v_mul_f64 v[156:157], v[160:161], v[156:157]
	v_add_f64 v[158:159], v[164:165], v[156:157]
	v_add_f64 v[160:161], v[158:159], -v[164:165]
	v_add_f64 v[156:157], v[156:157], -v[160:161]
	v_mul_f64 v[160:161], v[158:159], v[158:159]
	v_pk_mov_b32 v[162:163], v[6:7], v[6:7] op_sel:[0,1]
	v_fmac_f64_e32 v[162:163], s[20:21], v[160:161]
	v_pk_mov_b32 v[164:165], v[8:9], v[8:9] op_sel:[0,1]
	v_fmac_f64_e32 v[164:165], v[160:161], v[162:163]
	;; [unrolled: 2-line block ×6, first 2 shown]
	v_ldexp_f64 v[162:163], v[158:159], 1
	v_mul_f64 v[158:159], v[158:159], v[160:161]
	v_mul_f64 v[158:159], v[158:159], v[164:165]
	v_add_f64 v[160:161], v[162:163], v[158:159]
	v_add_f64 v[162:163], v[160:161], -v[162:163]
	v_ldexp_f64 v[156:157], v[156:157], 1
	v_add_f64 v[158:159], v[158:159], -v[162:163]
	v_add_f64 v[156:157], v[156:157], v[158:159]
	v_frexp_exp_i32_f64_e32 v136, v[154:155]
	v_add_f64 v[158:159], v[160:161], v[156:157]
	v_subbrev_co_u32_e32 v135, vcc, 0, v136, vcc
	v_add_f64 v[160:161], v[158:159], -v[160:161]
	v_add_f64 v[156:157], v[156:157], -v[160:161]
	v_cvt_f64_i32_e32 v[160:161], v135
	v_mul_f64 v[162:163], v[160:161], s[22:23]
	v_fma_f64 v[164:165], v[160:161], s[22:23], -v[162:163]
	v_fmac_f64_e32 v[164:165], s[24:25], v[160:161]
	v_add_f64 v[160:161], v[162:163], v[164:165]
	v_add_f64 v[162:163], v[160:161], -v[162:163]
	v_add_f64 v[162:163], v[164:165], -v[162:163]
	v_add_f64 v[164:165], v[160:161], v[158:159]
	v_add_f64 v[166:167], v[164:165], -v[160:161]
	v_add_f64 v[178:179], v[164:165], -v[166:167]
	;; [unrolled: 1-line block ×4, first 2 shown]
	v_add_f64 v[158:159], v[158:159], v[160:161]
	v_add_f64 v[160:161], v[162:163], v[156:157]
	v_add_f64 v[166:167], v[160:161], -v[162:163]
	v_add_f64 v[178:179], v[160:161], -v[166:167]
	v_add_f64 v[158:159], v[160:161], v[158:159]
	v_add_f64 v[162:163], v[162:163], -v[178:179]
	v_add_f64 v[156:157], v[156:157], -v[166:167]
	v_add_f64 v[160:161], v[164:165], v[158:159]
	v_add_f64 v[156:157], v[156:157], v[162:163]
	v_add_f64 v[162:163], v[160:161], -v[164:165]
	v_add_f64 v[158:159], v[158:159], -v[162:163]
	v_add_f64 v[156:157], v[156:157], v[158:159]
	v_add_f64 v[156:157], v[160:161], v[156:157]
	v_cmp_class_f64_e64 vcc, v[154:155], s84
	v_cndmask_b32_e32 v135, v156, v154, vcc
	v_cndmask_b32_e32 v136, v157, v155, vcc
	v_cmp_neq_f64_e32 vcc, 0, v[154:155]
	v_cndmask_b32_e32 v155, v175, v136, vcc
	v_cndmask_b32_e32 v154, 0, v135, vcc
	v_add_f64 v[152:153], v[154:155], -v[152:153]
	v_fract_f64_e32 v[154:155], v[140:141]
	v_cmp_eq_f64_e32 vcc, 0, v[154:155]
	s_or_b64 vcc, s[80:81], vcc
	v_cndmask_b32_e32 v153, v153, v177, vcc
	v_cndmask_b32_e64 v152, v152, 0, vcc
.LBB12_79:                              ;   in Loop: Header=BB12_4 Depth=1
	s_or_b64 exec, exec, s[78:79]
.LBB12_80:                              ;   in Loop: Header=BB12_4 Depth=1
	s_or_b64 exec, exec, s[10:11]
	v_and_b32_e32 v155, 0x7fffffff, v145
	v_mov_b32_e32 v154, v144
	v_cmp_lt_u32_e32 vcc, s92, v155
                                        ; implicit-def: $vgpr156_vgpr157
	s_and_saveexec_b64 s[10:11], vcc
	s_xor_b64 s[10:11], exec, s[10:11]
	s_cbranch_execz .LBB12_106
; %bb.81:                               ;   in Loop: Header=BB12_4 Depth=1
	v_cmp_lt_u32_e32 vcc, s93, v155
                                        ; implicit-def: $vgpr156_vgpr157
	s_and_saveexec_b64 s[78:79], vcc
	s_xor_b64 s[78:79], exec, s[78:79]
	s_cbranch_execz .LBB12_91
; %bb.82:                               ;   in Loop: Header=BB12_4 Depth=1
	;; [unrolled: 6-line block ×4, first 2 shown]
	v_frexp_mant_f64_e64 v[156:157], |v[144:145]|
	v_cmp_gt_f64_e32 vcc, s[18:19], v[156:157]
	v_cndmask_b32_e64 v135, v174, 2.0, vcc
	v_mul_f64 v[156:157], v[156:157], v[134:135]
	v_add_f64 v[158:159], v[156:157], 1.0
	v_rcp_f64_e32 v[160:161], v[158:159]
	v_add_f64 v[164:165], v[158:159], -1.0
	v_add_f64 v[162:163], v[156:157], -1.0
	v_add_f64 v[156:157], v[156:157], -v[164:165]
	v_fma_f64 v[164:165], -v[158:159], v[160:161], 1.0
	v_fmac_f64_e32 v[160:161], v[164:165], v[160:161]
	v_fma_f64 v[164:165], -v[158:159], v[160:161], 1.0
	v_fmac_f64_e32 v[160:161], v[164:165], v[160:161]
	v_mul_f64 v[164:165], v[162:163], v[160:161]
	v_mul_f64 v[166:167], v[158:159], v[164:165]
	v_fma_f64 v[158:159], v[164:165], v[158:159], -v[166:167]
	v_fmac_f64_e32 v[158:159], v[164:165], v[156:157]
	v_add_f64 v[156:157], v[166:167], v[158:159]
	v_add_f64 v[178:179], v[162:163], -v[156:157]
	v_add_f64 v[166:167], v[156:157], -v[166:167]
	;; [unrolled: 1-line block ×5, first 2 shown]
	v_add_f64 v[156:157], v[158:159], v[156:157]
	v_add_f64 v[156:157], v[178:179], v[156:157]
	v_mul_f64 v[156:157], v[160:161], v[156:157]
	v_add_f64 v[158:159], v[164:165], v[156:157]
	v_add_f64 v[160:161], v[158:159], -v[164:165]
	v_add_f64 v[156:157], v[156:157], -v[160:161]
	v_mul_f64 v[160:161], v[158:159], v[158:159]
	v_pk_mov_b32 v[162:163], v[6:7], v[6:7] op_sel:[0,1]
	v_fmac_f64_e32 v[162:163], s[20:21], v[160:161]
	v_pk_mov_b32 v[164:165], v[8:9], v[8:9] op_sel:[0,1]
	v_fmac_f64_e32 v[164:165], v[160:161], v[162:163]
	;; [unrolled: 2-line block ×6, first 2 shown]
	v_ldexp_f64 v[162:163], v[158:159], 1
	v_mul_f64 v[158:159], v[158:159], v[160:161]
	v_mul_f64 v[158:159], v[158:159], v[164:165]
	v_add_f64 v[160:161], v[162:163], v[158:159]
	v_add_f64 v[162:163], v[160:161], -v[162:163]
	v_ldexp_f64 v[156:157], v[156:157], 1
	v_add_f64 v[158:159], v[158:159], -v[162:163]
	v_add_f64 v[156:157], v[156:157], v[158:159]
	v_frexp_exp_i32_f64_e32 v136, v[144:145]
	v_add_f64 v[158:159], v[160:161], v[156:157]
	v_subbrev_co_u32_e32 v135, vcc, 0, v136, vcc
	v_add_f64 v[160:161], v[158:159], -v[160:161]
	v_add_f64 v[156:157], v[156:157], -v[160:161]
	v_cvt_f64_i32_e32 v[160:161], v135
	v_mul_f64 v[162:163], v[160:161], s[22:23]
	v_fma_f64 v[164:165], v[160:161], s[22:23], -v[162:163]
	v_fmac_f64_e32 v[164:165], s[24:25], v[160:161]
	v_add_f64 v[160:161], v[162:163], v[164:165]
	v_add_f64 v[162:163], v[160:161], -v[162:163]
	v_add_f64 v[162:163], v[164:165], -v[162:163]
	v_add_f64 v[164:165], v[160:161], v[158:159]
	v_add_f64 v[166:167], v[164:165], -v[160:161]
	v_add_f64 v[178:179], v[164:165], -v[166:167]
	;; [unrolled: 1-line block ×4, first 2 shown]
	v_add_f64 v[158:159], v[158:159], v[160:161]
	v_add_f64 v[160:161], v[162:163], v[156:157]
	v_add_f64 v[166:167], v[160:161], -v[162:163]
	v_add_f64 v[178:179], v[160:161], -v[166:167]
	v_add_f64 v[158:159], v[160:161], v[158:159]
	v_add_f64 v[162:163], v[162:163], -v[178:179]
	v_add_f64 v[156:157], v[156:157], -v[166:167]
	v_add_f64 v[160:161], v[164:165], v[158:159]
	v_add_f64 v[156:157], v[156:157], v[162:163]
	v_add_f64 v[162:163], v[160:161], -v[164:165]
	v_add_f64 v[158:159], v[158:159], -v[162:163]
	v_add_f64 v[156:157], v[156:157], v[158:159]
	v_add_f64 v[156:157], v[160:161], v[156:157]
	v_cmp_class_f64_e64 vcc, v[144:145], s84
	v_cndmask_b32_e32 v135, v156, v144, vcc
	v_cndmask_b32_e32 v136, v157, v155, vcc
	v_cmp_neq_f64_e32 vcc, 0, v[144:145]
	v_cndmask_b32_e32 v157, v175, v136, vcc
	v_cndmask_b32_e32 v156, 0, v135, vcc
	v_fma_f64 v[156:157], |v[144:145]|, v[156:157], -|v[144:145]|
.LBB12_85:                              ;   in Loop: Header=BB12_4 Depth=1
	s_andn2_saveexec_b64 s[82:83], s[82:83]
	s_cbranch_execz .LBB12_87
; %bb.86:                               ;   in Loop: Header=BB12_4 Depth=1
	v_mov_b32_e32 v154, v144
	v_div_scale_f64 v[156:157], vcc, v[154:155], v[154:155], 1.0
	v_rcp_f64_e32 v[158:159], v[156:157]
	v_div_scale_f64 v[160:161], vcc, 1.0, v[154:155], 1.0
	v_frexp_exp_i32_f64_e32 v136, v[144:145]
	v_fma_f64 v[162:163], -v[156:157], v[158:159], 1.0
	v_fmac_f64_e32 v[158:159], v[158:159], v[162:163]
	v_fma_f64 v[162:163], -v[156:157], v[158:159], 1.0
	v_fmac_f64_e32 v[158:159], v[158:159], v[162:163]
	v_mul_f64 v[162:163], v[160:161], v[158:159]
	v_fma_f64 v[156:157], -v[156:157], v[162:163], v[160:161]
	v_div_fmas_f64 v[156:157], v[156:157], v[158:159], v[162:163]
	v_div_fixup_f64 v[158:159], v[156:157], |v[144:145]|, 1.0
	s_mov_b32 vcc_lo, 0xb9e43e4
	v_mul_f64 v[156:157], v[158:159], v[158:159]
	v_pk_mov_b32 v[160:161], v[18:19], v[18:19] op_sel:[0,1]
	s_mov_b32 vcc_hi, 0xbf5ab89d
	v_fmac_f64_e32 v[160:161], vcc, v[156:157]
	v_pk_mov_b32 v[162:163], v[20:21], v[20:21] op_sel:[0,1]
	v_fmac_f64_e32 v[162:163], v[156:157], v[160:161]
	v_pk_mov_b32 v[160:161], v[22:23], v[22:23] op_sel:[0,1]
	v_fmac_f64_e32 v[160:161], v[156:157], v[162:163]
	v_pk_mov_b32 v[162:163], v[24:25], v[24:25] op_sel:[0,1]
	v_fmac_f64_e32 v[162:163], v[156:157], v[160:161]
	v_pk_mov_b32 v[160:161], v[26:27], v[26:27] op_sel:[0,1]
	v_fmac_f64_e32 v[160:161], v[156:157], v[162:163]
	v_pk_mov_b32 v[156:157], v[28:29], v[28:29] op_sel:[0,1]
	v_fmac_f64_e32 v[156:157], v[158:159], v[160:161]
	v_frexp_mant_f64_e64 v[160:161], |v[144:145]|
	v_cmp_gt_f64_e32 vcc, s[18:19], v[160:161]
	v_cndmask_b32_e64 v135, v174, 2.0, vcc
	v_mul_f64 v[160:161], v[160:161], v[134:135]
	v_add_f64 v[162:163], v[160:161], 1.0
	v_rcp_f64_e32 v[164:165], v[162:163]
	v_add_f64 v[178:179], v[162:163], -1.0
	v_add_f64 v[166:167], v[160:161], -1.0
	v_add_f64 v[160:161], v[160:161], -v[178:179]
	v_fma_f64 v[178:179], -v[162:163], v[164:165], 1.0
	v_fmac_f64_e32 v[164:165], v[178:179], v[164:165]
	v_fma_f64 v[178:179], -v[162:163], v[164:165], 1.0
	v_fmac_f64_e32 v[164:165], v[178:179], v[164:165]
	v_mul_f64 v[178:179], v[166:167], v[164:165]
	v_mul_f64 v[180:181], v[162:163], v[178:179]
	v_fma_f64 v[162:163], v[178:179], v[162:163], -v[180:181]
	v_fmac_f64_e32 v[162:163], v[178:179], v[160:161]
	v_add_f64 v[160:161], v[180:181], v[162:163]
	v_add_f64 v[182:183], v[166:167], -v[160:161]
	v_add_f64 v[180:181], v[160:161], -v[180:181]
	;; [unrolled: 1-line block ×5, first 2 shown]
	v_add_f64 v[160:161], v[162:163], v[160:161]
	v_add_f64 v[160:161], v[182:183], v[160:161]
	v_mul_f64 v[160:161], v[164:165], v[160:161]
	v_add_f64 v[162:163], v[178:179], v[160:161]
	v_add_f64 v[164:165], v[162:163], -v[178:179]
	v_add_f64 v[160:161], v[160:161], -v[164:165]
	v_mul_f64 v[164:165], v[162:163], v[162:163]
	v_pk_mov_b32 v[166:167], v[6:7], v[6:7] op_sel:[0,1]
	v_fmac_f64_e32 v[166:167], s[20:21], v[164:165]
	v_pk_mov_b32 v[178:179], v[8:9], v[8:9] op_sel:[0,1]
	v_fmac_f64_e32 v[178:179], v[164:165], v[166:167]
	;; [unrolled: 2-line block ×6, first 2 shown]
	v_ldexp_f64 v[166:167], v[162:163], 1
	v_mul_f64 v[162:163], v[162:163], v[164:165]
	v_mul_f64 v[162:163], v[162:163], v[178:179]
	v_add_f64 v[164:165], v[166:167], v[162:163]
	v_add_f64 v[166:167], v[164:165], -v[166:167]
	v_ldexp_f64 v[160:161], v[160:161], 1
	v_add_f64 v[162:163], v[162:163], -v[166:167]
	v_add_f64 v[160:161], v[160:161], v[162:163]
	v_add_f64 v[162:163], v[164:165], v[160:161]
	v_subbrev_co_u32_e32 v135, vcc, 0, v136, vcc
	v_add_f64 v[164:165], v[162:163], -v[164:165]
	v_add_f64 v[160:161], v[160:161], -v[164:165]
	v_cvt_f64_i32_e32 v[164:165], v135
	v_mul_f64 v[166:167], v[164:165], s[22:23]
	v_fma_f64 v[178:179], v[164:165], s[22:23], -v[166:167]
	v_fmac_f64_e32 v[178:179], s[24:25], v[164:165]
	v_add_f64 v[164:165], v[166:167], v[178:179]
	v_add_f64 v[166:167], v[164:165], -v[166:167]
	v_add_f64 v[166:167], v[178:179], -v[166:167]
	v_add_f64 v[178:179], v[164:165], v[162:163]
	v_add_f64 v[180:181], v[178:179], -v[164:165]
	v_add_f64 v[182:183], v[178:179], -v[180:181]
	;; [unrolled: 1-line block ×4, first 2 shown]
	v_add_f64 v[162:163], v[162:163], v[164:165]
	v_add_f64 v[164:165], v[166:167], v[160:161]
	v_add_f64 v[180:181], v[164:165], -v[166:167]
	v_add_f64 v[182:183], v[164:165], -v[180:181]
	v_add_f64 v[162:163], v[164:165], v[162:163]
	v_add_f64 v[166:167], v[166:167], -v[182:183]
	v_add_f64 v[160:161], v[160:161], -v[180:181]
	v_add_f64 v[164:165], v[178:179], v[162:163]
	v_add_f64 v[160:161], v[160:161], v[166:167]
	v_add_f64 v[166:167], v[164:165], -v[178:179]
	v_add_f64 v[162:163], v[162:163], -v[166:167]
	v_add_f64 v[160:161], v[160:161], v[162:163]
	v_add_f64 v[160:161], v[164:165], v[160:161]
	v_cmp_class_f64_e64 vcc, v[144:145], s84
	v_cndmask_b32_e32 v161, v161, v155, vcc
	v_cndmask_b32_e32 v160, v160, v154, vcc
	v_add_f64 v[160:161], v[160:161], -1.0
	v_cmp_neq_f64_e32 vcc, 0, v[144:145]
	v_add_f64 v[158:159], |v[144:145]|, -0.5
	v_cndmask_b32_e32 v161, v175, v161, vcc
	v_cndmask_b32_e32 v160, 0, v160, vcc
	v_fmac_f64_e32 v[156:157], v[158:159], v[160:161]
.LBB12_87:                              ;   in Loop: Header=BB12_4 Depth=1
	s_or_b64 exec, exec, s[82:83]
.LBB12_88:                              ;   in Loop: Header=BB12_4 Depth=1
	s_andn2_saveexec_b64 s[80:81], s[80:81]
	s_cbranch_execz .LBB12_90
; %bb.89:                               ;   in Loop: Header=BB12_4 Depth=1
	v_cvt_i32_f64_e32 v135, v[154:155]
	v_cvt_f64_i32_e32 v[156:157], v135
	v_add_f64 v[156:157], |v[144:145]|, -v[156:157]
	v_pk_mov_b32 v[158:159], v[30:31], v[30:31] op_sel:[0,1]
	v_fmac_f64_e32 v[158:159], s[28:29], v[156:157]
	v_pk_mov_b32 v[160:161], v[32:33], v[32:33] op_sel:[0,1]
	v_fmac_f64_e32 v[160:161], v[156:157], v[158:159]
	;; [unrolled: 2-line block ×4, first 2 shown]
	v_pk_mov_b32 v[158:159], v[38:39], v[38:39] op_sel:[0,1]
	v_mov_b32_e32 v136, v74
	v_fmac_f64_e32 v[158:159], v[156:157], v[160:161]
	v_pk_mov_b32 v[160:161], v[136:137], v[136:137] op_sel:[0,1]
	v_fmac_f64_e32 v[160:161], v[156:157], v[158:159]
	v_mul_f64 v[158:159], v[156:157], v[160:161]
	v_pk_mov_b32 v[160:161], v[40:41], v[40:41] op_sel:[0,1]
	v_fmac_f64_e32 v[160:161], s[30:31], v[156:157]
	v_pk_mov_b32 v[162:163], v[42:43], v[42:43] op_sel:[0,1]
	v_fmac_f64_e32 v[162:163], v[156:157], v[160:161]
	;; [unrolled: 2-line block ×5, first 2 shown]
	v_fma_f64 v[160:161], v[156:157], v[160:161], 1.0
	v_div_scale_f64 v[162:163], s[82:83], v[160:161], v[160:161], v[158:159]
	v_rcp_f64_e32 v[164:165], v[162:163]
	v_fma_f64 v[166:167], -v[162:163], v[164:165], 1.0
	v_fmac_f64_e32 v[164:165], v[164:165], v[166:167]
	v_fma_f64 v[166:167], -v[162:163], v[164:165], 1.0
	v_fmac_f64_e32 v[164:165], v[164:165], v[166:167]
	v_div_scale_f64 v[166:167], vcc, v[158:159], v[160:161], v[158:159]
	v_mul_f64 v[178:179], v[166:167], v[164:165]
	v_fma_f64 v[162:163], -v[162:163], v[178:179], v[166:167]
	v_add_f64 v[166:167], v[156:157], s[36:37]
	s_nop 0
	v_div_fmas_f64 v[162:163], v[162:163], v[164:165], v[178:179]
	v_div_fixup_f64 v[158:159], v[162:163], v[160:161], v[158:159]
	v_add_f64 v[160:161], v[156:157], 2.0
	v_cmp_lt_i32_e32 vcc, 2, v135
	v_add_f64 v[162:163], v[156:157], s[34:35]
	v_cndmask_b32_e32 v161, v174, v161, vcc
	v_cndmask_b32_e32 v160, 0, v160, vcc
	v_cmp_lt_i32_e32 vcc, 3, v135
	v_add_f64 v[164:165], v[156:157], 4.0
	v_cndmask_b32_e32 v163, v174, v163, vcc
	v_cndmask_b32_e32 v162, 0, v162, vcc
	v_cmp_lt_i32_e32 vcc, 4, v135
	v_mul_f64 v[160:161], v[160:161], v[162:163]
	v_cndmask_b32_e32 v163, v174, v165, vcc
	v_cndmask_b32_e32 v162, 0, v164, vcc
	v_cmp_lt_i32_e32 vcc, 5, v135
	v_fmac_f64_e32 v[158:159], 0.5, v[156:157]
	v_add_f64 v[156:157], v[156:157], s[38:39]
	v_mul_f64 v[160:161], v[162:163], v[160:161]
	v_cndmask_b32_e32 v163, v174, v167, vcc
	v_cndmask_b32_e32 v162, 0, v166, vcc
	v_cmp_lt_i32_e32 vcc, 6, v135
	v_mul_f64 v[160:161], v[162:163], v[160:161]
	v_cndmask_b32_e32 v157, v174, v157, vcc
	v_cndmask_b32_e32 v156, 0, v156, vcc
	v_mul_f64 v[156:157], v[156:157], v[160:161]
	v_frexp_mant_f64_e32 v[160:161], v[156:157]
	v_cmp_gt_f64_e32 vcc, s[18:19], v[160:161]
	v_cndmask_b32_e64 v135, v174, 2.0, vcc
	v_mul_f64 v[160:161], v[160:161], v[134:135]
	v_add_f64 v[162:163], v[160:161], 1.0
	v_rcp_f64_e32 v[164:165], v[162:163]
	v_add_f64 v[178:179], v[162:163], -1.0
	v_add_f64 v[166:167], v[160:161], -1.0
	v_add_f64 v[160:161], v[160:161], -v[178:179]
	v_fma_f64 v[178:179], -v[162:163], v[164:165], 1.0
	v_fmac_f64_e32 v[164:165], v[178:179], v[164:165]
	v_fma_f64 v[178:179], -v[162:163], v[164:165], 1.0
	v_fmac_f64_e32 v[164:165], v[178:179], v[164:165]
	v_mul_f64 v[178:179], v[166:167], v[164:165]
	v_mul_f64 v[180:181], v[162:163], v[178:179]
	v_fma_f64 v[162:163], v[178:179], v[162:163], -v[180:181]
	v_fmac_f64_e32 v[162:163], v[178:179], v[160:161]
	v_add_f64 v[160:161], v[180:181], v[162:163]
	v_add_f64 v[182:183], v[166:167], -v[160:161]
	v_add_f64 v[180:181], v[160:161], -v[180:181]
	;; [unrolled: 1-line block ×5, first 2 shown]
	v_add_f64 v[160:161], v[162:163], v[160:161]
	v_add_f64 v[160:161], v[182:183], v[160:161]
	v_mul_f64 v[160:161], v[164:165], v[160:161]
	v_add_f64 v[162:163], v[178:179], v[160:161]
	v_add_f64 v[164:165], v[162:163], -v[178:179]
	v_add_f64 v[160:161], v[160:161], -v[164:165]
	v_mul_f64 v[164:165], v[162:163], v[162:163]
	v_pk_mov_b32 v[166:167], v[6:7], v[6:7] op_sel:[0,1]
	v_fmac_f64_e32 v[166:167], s[20:21], v[164:165]
	v_pk_mov_b32 v[178:179], v[8:9], v[8:9] op_sel:[0,1]
	v_fmac_f64_e32 v[178:179], v[164:165], v[166:167]
	;; [unrolled: 2-line block ×6, first 2 shown]
	v_ldexp_f64 v[166:167], v[162:163], 1
	v_mul_f64 v[162:163], v[162:163], v[164:165]
	v_mul_f64 v[162:163], v[162:163], v[178:179]
	v_add_f64 v[164:165], v[166:167], v[162:163]
	v_add_f64 v[166:167], v[164:165], -v[166:167]
	v_ldexp_f64 v[160:161], v[160:161], 1
	v_add_f64 v[162:163], v[162:163], -v[166:167]
	v_add_f64 v[160:161], v[160:161], v[162:163]
	v_frexp_exp_i32_f64_e32 v136, v[156:157]
	v_add_f64 v[162:163], v[164:165], v[160:161]
	v_subbrev_co_u32_e32 v135, vcc, 0, v136, vcc
	v_add_f64 v[164:165], v[162:163], -v[164:165]
	v_add_f64 v[160:161], v[160:161], -v[164:165]
	v_cvt_f64_i32_e32 v[164:165], v135
	v_mul_f64 v[166:167], v[164:165], s[22:23]
	v_fma_f64 v[178:179], v[164:165], s[22:23], -v[166:167]
	v_fmac_f64_e32 v[178:179], s[24:25], v[164:165]
	v_add_f64 v[164:165], v[166:167], v[178:179]
	v_add_f64 v[166:167], v[164:165], -v[166:167]
	v_add_f64 v[166:167], v[178:179], -v[166:167]
	v_add_f64 v[178:179], v[164:165], v[162:163]
	v_add_f64 v[180:181], v[178:179], -v[164:165]
	v_add_f64 v[182:183], v[178:179], -v[180:181]
	;; [unrolled: 1-line block ×4, first 2 shown]
	v_add_f64 v[162:163], v[162:163], v[164:165]
	v_add_f64 v[164:165], v[166:167], v[160:161]
	v_add_f64 v[180:181], v[164:165], -v[166:167]
	v_add_f64 v[182:183], v[164:165], -v[180:181]
	v_add_f64 v[162:163], v[164:165], v[162:163]
	v_add_f64 v[166:167], v[166:167], -v[182:183]
	v_add_f64 v[160:161], v[160:161], -v[180:181]
	v_add_f64 v[164:165], v[178:179], v[162:163]
	v_add_f64 v[160:161], v[160:161], v[166:167]
	v_add_f64 v[166:167], v[164:165], -v[178:179]
	v_add_f64 v[162:163], v[162:163], -v[166:167]
	v_add_f64 v[160:161], v[160:161], v[162:163]
	v_add_f64 v[160:161], v[164:165], v[160:161]
	v_cmp_class_f64_e64 vcc, v[156:157], s84
	v_cndmask_b32_e32 v135, v160, v156, vcc
	v_cndmask_b32_e32 v136, v161, v157, vcc
	v_cmp_ngt_f64_e32 vcc, 0, v[156:157]
	v_cndmask_b32_e32 v136, v176, v136, vcc
	v_cmp_nge_f64_e32 vcc, 0, v[156:157]
	v_cndmask_b32_e32 v160, 0, v135, vcc
	v_cmp_neq_f64_e32 vcc, 0, v[156:157]
	v_cndmask_b32_e32 v161, v175, v136, vcc
	v_add_f64 v[156:157], v[158:159], v[160:161]
.LBB12_90:                              ;   in Loop: Header=BB12_4 Depth=1
	s_or_b64 exec, exec, s[80:81]
.LBB12_91:                              ;   in Loop: Header=BB12_4 Depth=1
	s_andn2_saveexec_b64 s[78:79], s[78:79]
	s_cbranch_execz .LBB12_105
; %bb.92:                               ;   in Loop: Header=BB12_4 Depth=1
	v_cmp_lt_u32_e32 vcc, s26, v155
                                        ; implicit-def: $sgpr82_sgpr83
                                        ; implicit-def: $vgpr135
                                        ; implicit-def: $vgpr158_vgpr159
	s_and_saveexec_b64 s[80:81], vcc
	s_xor_b64 s[80:81], exec, s[80:81]
	s_cbranch_execz .LBB12_94
; %bb.93:                               ;   in Loop: Header=BB12_4 Depth=1
	v_add_f64 v[156:157], -|v[144:145]|, 2.0
	v_add_f64 v[158:159], |v[144:145]|, s[40:41]
	v_cmp_gt_u32_e32 vcc, s27, v155
	v_cndmask_b32_e32 v135, v156, v158, vcc
	v_cndmask_b32_e32 v136, v157, v159, vcc
	v_cndmask_b32_e64 v146, 0, 1, vcc
	v_add_f64 v[156:157], |v[144:145]|, -1.0
	v_cmp_gt_u32_e32 vcc, s48, v155
	v_cndmask_b32_e32 v159, v136, v157, vcc
	v_cndmask_b32_e32 v158, v135, v156, vcc
	v_cndmask_b32_e64 v135, v146, 2, vcc
	s_mov_b64 s[82:83], 0
.LBB12_94:                              ;   in Loop: Header=BB12_4 Depth=1
	s_or_saveexec_b64 s[80:81], s[80:81]
	v_pk_mov_b32 v[156:157], s[82:83], s[82:83] op_sel:[0,1]
	s_xor_b64 exec, exec, s[80:81]
	s_cbranch_execz .LBB12_96
; %bb.95:                               ;   in Loop: Header=BB12_4 Depth=1
	v_frexp_mant_f64_e64 v[156:157], |v[144:145]|
	v_cmp_gt_f64_e32 vcc, s[18:19], v[156:157]
	v_cndmask_b32_e64 v135, v174, 2.0, vcc
	v_mul_f64 v[156:157], v[156:157], v[134:135]
	v_add_f64 v[158:159], v[156:157], 1.0
	v_rcp_f64_e32 v[160:161], v[158:159]
	v_add_f64 v[164:165], v[158:159], -1.0
	v_add_f64 v[162:163], v[156:157], -1.0
	v_add_f64 v[156:157], v[156:157], -v[164:165]
	v_fma_f64 v[164:165], -v[158:159], v[160:161], 1.0
	v_fmac_f64_e32 v[160:161], v[164:165], v[160:161]
	v_fma_f64 v[164:165], -v[158:159], v[160:161], 1.0
	v_fmac_f64_e32 v[160:161], v[164:165], v[160:161]
	v_mul_f64 v[164:165], v[162:163], v[160:161]
	v_mul_f64 v[166:167], v[158:159], v[164:165]
	v_fma_f64 v[158:159], v[164:165], v[158:159], -v[166:167]
	v_fmac_f64_e32 v[158:159], v[164:165], v[156:157]
	v_add_f64 v[156:157], v[166:167], v[158:159]
	v_add_f64 v[178:179], v[162:163], -v[156:157]
	v_add_f64 v[166:167], v[156:157], -v[166:167]
	v_add_f64 v[162:163], v[162:163], -v[178:179]
	v_add_f64 v[156:157], v[162:163], -v[156:157]
	v_add_f64 v[158:159], v[166:167], -v[158:159]
	v_add_f64 v[156:157], v[158:159], v[156:157]
	v_add_f64 v[156:157], v[178:179], v[156:157]
	v_mul_f64 v[156:157], v[160:161], v[156:157]
	v_add_f64 v[158:159], v[164:165], v[156:157]
	v_add_f64 v[160:161], v[158:159], -v[164:165]
	v_add_f64 v[156:157], v[156:157], -v[160:161]
	v_mul_f64 v[160:161], v[158:159], v[158:159]
	v_pk_mov_b32 v[162:163], v[6:7], v[6:7] op_sel:[0,1]
	v_fmac_f64_e32 v[162:163], s[20:21], v[160:161]
	v_pk_mov_b32 v[164:165], v[8:9], v[8:9] op_sel:[0,1]
	v_fmac_f64_e32 v[164:165], v[160:161], v[162:163]
	;; [unrolled: 2-line block ×6, first 2 shown]
	v_ldexp_f64 v[162:163], v[158:159], 1
	v_mul_f64 v[158:159], v[158:159], v[160:161]
	v_mul_f64 v[158:159], v[158:159], v[164:165]
	v_add_f64 v[160:161], v[162:163], v[158:159]
	v_add_f64 v[162:163], v[160:161], -v[162:163]
	v_ldexp_f64 v[156:157], v[156:157], 1
	v_add_f64 v[158:159], v[158:159], -v[162:163]
	v_add_f64 v[156:157], v[156:157], v[158:159]
	v_frexp_exp_i32_f64_e32 v136, v[144:145]
	v_add_f64 v[158:159], v[160:161], v[156:157]
	v_subbrev_co_u32_e32 v135, vcc, 0, v136, vcc
	v_add_f64 v[160:161], v[158:159], -v[160:161]
	v_add_f64 v[156:157], v[156:157], -v[160:161]
	v_cvt_f64_i32_e32 v[160:161], v135
	v_mul_f64 v[162:163], v[160:161], s[22:23]
	v_fma_f64 v[164:165], v[160:161], s[22:23], -v[162:163]
	v_fmac_f64_e32 v[164:165], s[24:25], v[160:161]
	v_add_f64 v[160:161], v[162:163], v[164:165]
	v_add_f64 v[162:163], v[160:161], -v[162:163]
	v_add_f64 v[162:163], v[164:165], -v[162:163]
	v_add_f64 v[164:165], v[160:161], v[158:159]
	v_add_f64 v[166:167], v[164:165], -v[160:161]
	v_add_f64 v[178:179], v[164:165], -v[166:167]
	;; [unrolled: 1-line block ×4, first 2 shown]
	v_add_f64 v[158:159], v[158:159], v[160:161]
	v_add_f64 v[160:161], v[162:163], v[156:157]
	v_add_f64 v[166:167], v[160:161], -v[162:163]
	v_add_f64 v[178:179], v[160:161], -v[166:167]
	v_add_f64 v[158:159], v[160:161], v[158:159]
	v_add_f64 v[162:163], v[162:163], -v[178:179]
	v_add_f64 v[156:157], v[156:157], -v[166:167]
	v_add_f64 v[160:161], v[164:165], v[158:159]
	v_add_f64 v[156:157], v[156:157], v[162:163]
	v_add_f64 v[162:163], v[160:161], -v[164:165]
	v_add_f64 v[158:159], v[158:159], -v[162:163]
	v_add_f64 v[156:157], v[156:157], v[158:159]
	v_add_f64 v[156:157], v[160:161], v[156:157]
	v_cmp_class_f64_e64 vcc, v[144:145], s84
	v_cndmask_b32_e32 v135, v156, v144, vcc
	v_cndmask_b32_e64 v136, -v157, -v155, vcc
	v_cmp_neq_f64_e32 vcc, 0, v[144:145]
	v_cndmask_b32_e32 v157, v177, v136, vcc
	v_cndmask_b32_e32 v156, 0, v135, vcc
	v_add_f64 v[158:159], -|v[144:145]|, 1.0
	v_add_f64 v[160:161], |v[144:145]|, s[42:43]
	v_cmp_gt_u32_e32 vcc, s49, v155
	v_cndmask_b32_e32 v135, v158, v160, vcc
	v_cndmask_b32_e32 v136, v159, v161, vcc
	v_cndmask_b32_e64 v146, 0, 1, vcc
	v_cmp_gt_u32_e32 vcc, s50, v155
	v_cndmask_b32_e32 v159, v136, v155, vcc
	v_cndmask_b32_e32 v158, v135, v144, vcc
	v_cndmask_b32_e64 v135, v146, 2, vcc
.LBB12_96:                              ;   in Loop: Header=BB12_4 Depth=1
	s_or_b64 exec, exec, s[80:81]
	v_cmp_lt_i32_e32 vcc, 1, v135
                                        ; implicit-def: $vgpr162_vgpr163
	s_and_saveexec_b64 s[80:81], vcc
	s_xor_b64 s[80:81], exec, s[80:81]
	s_cbranch_execz .LBB12_98
; %bb.97:                               ;   in Loop: Header=BB12_4 Depth=1
	v_pk_mov_b32 v[160:161], v[50:51], v[50:51] op_sel:[0,1]
	v_fmac_f64_e32 v[160:161], s[44:45], v[158:159]
	v_pk_mov_b32 v[162:163], v[52:53], v[52:53] op_sel:[0,1]
	v_fmac_f64_e32 v[162:163], v[158:159], v[160:161]
	;; [unrolled: 2-line block ×3, first 2 shown]
	v_pk_mov_b32 v[162:163], v[56:57], v[56:57] op_sel:[0,1]
	v_mov_b32_e32 v136, v74
	v_fmac_f64_e32 v[162:163], v[158:159], v[160:161]
	v_pk_mov_b32 v[160:161], v[136:137], v[136:137] op_sel:[0,1]
	v_fmac_f64_e32 v[160:161], v[158:159], v[162:163]
	v_pk_mov_b32 v[162:163], v[58:59], v[58:59] op_sel:[0,1]
	;; [unrolled: 2-line block ×5, first 2 shown]
	v_fmac_f64_e32 v[164:165], v[158:159], v[162:163]
	v_mul_f64 v[160:161], v[158:159], v[160:161]
	v_fma_f64 v[162:163], v[158:159], v[164:165], 1.0
	v_div_scale_f64 v[164:165], s[82:83], v[162:163], v[162:163], v[160:161]
	v_rcp_f64_e32 v[166:167], v[164:165]
                                        ; implicit-def: $vgpr135
	v_fma_f64 v[178:179], -v[164:165], v[166:167], 1.0
	v_fmac_f64_e32 v[166:167], v[166:167], v[178:179]
	v_fma_f64 v[178:179], -v[164:165], v[166:167], 1.0
	v_fmac_f64_e32 v[166:167], v[166:167], v[178:179]
	v_div_scale_f64 v[178:179], vcc, v[160:161], v[162:163], v[160:161]
	v_mul_f64 v[180:181], v[178:179], v[166:167]
	v_fma_f64 v[164:165], -v[164:165], v[180:181], v[178:179]
	s_nop 1
	v_div_fmas_f64 v[164:165], v[164:165], v[166:167], v[180:181]
	v_div_fixup_f64 v[162:163], v[164:165], v[162:163], v[160:161]
	v_fmac_f64_e32 v[162:163], -0.5, v[158:159]
                                        ; implicit-def: $vgpr158_vgpr159
.LBB12_98:                              ;   in Loop: Header=BB12_4 Depth=1
	s_andn2_saveexec_b64 s[80:81], s[80:81]
	s_cbranch_execz .LBB12_104
; %bb.99:                               ;   in Loop: Header=BB12_4 Depth=1
	v_cmp_ne_u32_e32 vcc, 1, v135
	v_mul_f64 v[160:161], v[158:159], v[158:159]
                                        ; implicit-def: $vgpr162_vgpr163
	s_and_saveexec_b64 s[82:83], vcc
	s_xor_b64 s[82:83], exec, s[82:83]
	s_cbranch_execz .LBB12_101
; %bb.100:                              ;   in Loop: Header=BB12_4 Depth=1
	s_mov_b32 vcc_lo, 0x428cfa52
	v_pk_mov_b32 v[162:163], v[66:67], v[66:67] op_sel:[0,1]
	s_mov_b32 vcc_hi, 0x3efa7074
	v_fmac_f64_e32 v[162:163], vcc, v[160:161]
	v_pk_mov_b32 v[164:165], v[68:69], v[68:69] op_sel:[0,1]
	v_fmac_f64_e32 v[164:165], v[160:161], v[162:163]
	v_pk_mov_b32 v[162:163], v[70:71], v[70:71] op_sel:[0,1]
	v_fmac_f64_e32 v[162:163], v[160:161], v[164:165]
	v_pk_mov_b32 v[164:165], v[72:73], v[72:73] op_sel:[0,1]
	s_mov_b32 vcc_lo, 0x90a45837
	v_fmac_f64_e32 v[164:165], v[160:161], v[162:163]
	v_pk_mov_b32 v[166:167], v[74:75], v[74:75] op_sel:[0,1]
	v_pk_mov_b32 v[162:163], v[76:77], v[76:77] op_sel:[0,1]
	s_mov_b32 vcc_hi, 0x3f07858e
	v_fmac_f64_e32 v[166:167], v[160:161], v[164:165]
	v_fmac_f64_e32 v[162:163], vcc, v[160:161]
	v_pk_mov_b32 v[164:165], v[78:79], v[78:79] op_sel:[0,1]
	v_fmac_f64_e32 v[164:165], v[160:161], v[162:163]
	v_pk_mov_b32 v[162:163], v[80:81], v[80:81] op_sel:[0,1]
	v_fmac_f64_e32 v[162:163], v[160:161], v[164:165]
	;; [unrolled: 2-line block ×4, first 2 shown]
	v_mul_f64 v[162:163], v[160:161], v[162:163]
	v_fmac_f64_e32 v[162:163], v[158:159], v[166:167]
	v_fmac_f64_e32 v[162:163], -0.5, v[158:159]
                                        ; implicit-def: $vgpr158_vgpr159
                                        ; implicit-def: $vgpr160_vgpr161
.LBB12_101:                             ;   in Loop: Header=BB12_4 Depth=1
	s_andn2_saveexec_b64 s[82:83], s[82:83]
	s_cbranch_execz .LBB12_103
; %bb.102:                              ;   in Loop: Header=BB12_4 Depth=1
	s_mov_b32 vcc_lo, 0x6c0ebbf7
	v_mul_f64 v[162:163], v[158:159], v[160:161]
	v_pk_mov_b32 v[164:165], v[86:87], v[86:87] op_sel:[0,1]
	s_mov_b32 vcc_hi, 0x3f34af6d
	v_fmac_f64_e32 v[164:165], vcc, v[162:163]
	v_pk_mov_b32 v[166:167], v[88:89], v[88:89] op_sel:[0,1]
	v_fmac_f64_e32 v[166:167], v[162:163], v[164:165]
	v_pk_mov_b32 v[164:165], v[90:91], v[90:91] op_sel:[0,1]
	v_fmac_f64_e32 v[164:165], v[162:163], v[166:167]
	;; [unrolled: 2-line block ×11, first 2 shown]
	v_fmac_f64_e32 v[178:179], v[158:159], v[180:181]
	v_fma_f64 v[158:159], v[162:163], -v[178:179], s[58:59]
	v_fma_f64 v[158:159], v[160:161], v[166:167], -v[158:159]
	v_add_f64 v[162:163], v[158:159], s[60:61]
.LBB12_103:                             ;   in Loop: Header=BB12_4 Depth=1
	s_or_b64 exec, exec, s[82:83]
.LBB12_104:                             ;   in Loop: Header=BB12_4 Depth=1
	s_or_b64 exec, exec, s[80:81]
	v_add_f64 v[156:157], v[156:157], v[162:163]
.LBB12_105:                             ;   in Loop: Header=BB12_4 Depth=1
	s_or_b64 exec, exec, s[78:79]
.LBB12_106:                             ;   in Loop: Header=BB12_4 Depth=1
	s_andn2_saveexec_b64 s[10:11], s[10:11]
	s_cbranch_execz .LBB12_108
; %bb.107:                              ;   in Loop: Header=BB12_4 Depth=1
	v_frexp_mant_f64_e64 v[158:159], |v[144:145]|
	v_cmp_gt_f64_e32 vcc, s[18:19], v[158:159]
	v_cndmask_b32_e64 v135, v174, 2.0, vcc
	v_mul_f64 v[158:159], v[158:159], v[134:135]
	v_add_f64 v[160:161], v[158:159], 1.0
	v_rcp_f64_e32 v[162:163], v[160:161]
	v_add_f64 v[166:167], v[160:161], -1.0
	v_add_f64 v[164:165], v[158:159], -1.0
	v_add_f64 v[158:159], v[158:159], -v[166:167]
	v_fma_f64 v[166:167], -v[160:161], v[162:163], 1.0
	v_fmac_f64_e32 v[162:163], v[166:167], v[162:163]
	v_fma_f64 v[166:167], -v[160:161], v[162:163], 1.0
	v_fmac_f64_e32 v[162:163], v[166:167], v[162:163]
	v_mul_f64 v[166:167], v[164:165], v[162:163]
	v_mul_f64 v[178:179], v[160:161], v[166:167]
	v_fma_f64 v[160:161], v[166:167], v[160:161], -v[178:179]
	v_fmac_f64_e32 v[160:161], v[166:167], v[158:159]
	v_add_f64 v[158:159], v[178:179], v[160:161]
	v_add_f64 v[180:181], v[164:165], -v[158:159]
	v_add_f64 v[178:179], v[158:159], -v[178:179]
	;; [unrolled: 1-line block ×5, first 2 shown]
	v_add_f64 v[158:159], v[160:161], v[158:159]
	v_add_f64 v[158:159], v[180:181], v[158:159]
	v_mul_f64 v[158:159], v[162:163], v[158:159]
	v_add_f64 v[160:161], v[166:167], v[158:159]
	v_add_f64 v[162:163], v[160:161], -v[166:167]
	v_add_f64 v[158:159], v[158:159], -v[162:163]
	v_mul_f64 v[162:163], v[160:161], v[160:161]
	v_pk_mov_b32 v[164:165], v[6:7], v[6:7] op_sel:[0,1]
	v_fmac_f64_e32 v[164:165], s[20:21], v[162:163]
	v_pk_mov_b32 v[166:167], v[8:9], v[8:9] op_sel:[0,1]
	v_fmac_f64_e32 v[166:167], v[162:163], v[164:165]
	;; [unrolled: 2-line block ×6, first 2 shown]
	v_ldexp_f64 v[164:165], v[160:161], 1
	v_mul_f64 v[160:161], v[160:161], v[162:163]
	v_mul_f64 v[160:161], v[160:161], v[166:167]
	v_add_f64 v[162:163], v[164:165], v[160:161]
	v_add_f64 v[164:165], v[162:163], -v[164:165]
	v_ldexp_f64 v[158:159], v[158:159], 1
	v_add_f64 v[160:161], v[160:161], -v[164:165]
	v_add_f64 v[158:159], v[158:159], v[160:161]
	v_frexp_exp_i32_f64_e32 v136, v[144:145]
	v_add_f64 v[160:161], v[162:163], v[158:159]
	v_subbrev_co_u32_e32 v135, vcc, 0, v136, vcc
	v_add_f64 v[162:163], v[160:161], -v[162:163]
	v_add_f64 v[158:159], v[158:159], -v[162:163]
	v_cvt_f64_i32_e32 v[162:163], v135
	v_mul_f64 v[164:165], v[162:163], s[22:23]
	v_fma_f64 v[166:167], v[162:163], s[22:23], -v[164:165]
	v_fmac_f64_e32 v[166:167], s[24:25], v[162:163]
	v_add_f64 v[162:163], v[164:165], v[166:167]
	v_add_f64 v[164:165], v[162:163], -v[164:165]
	v_add_f64 v[164:165], v[166:167], -v[164:165]
	v_add_f64 v[166:167], v[162:163], v[160:161]
	v_add_f64 v[178:179], v[166:167], -v[162:163]
	v_add_f64 v[180:181], v[166:167], -v[178:179]
	;; [unrolled: 1-line block ×4, first 2 shown]
	v_add_f64 v[160:161], v[160:161], v[162:163]
	v_add_f64 v[162:163], v[164:165], v[158:159]
	v_add_f64 v[178:179], v[162:163], -v[164:165]
	v_add_f64 v[180:181], v[162:163], -v[178:179]
	v_add_f64 v[160:161], v[162:163], v[160:161]
	v_add_f64 v[164:165], v[164:165], -v[180:181]
	v_add_f64 v[158:159], v[158:159], -v[178:179]
	v_add_f64 v[162:163], v[166:167], v[160:161]
	v_add_f64 v[158:159], v[158:159], v[164:165]
	v_add_f64 v[164:165], v[162:163], -v[166:167]
	v_add_f64 v[160:161], v[160:161], -v[164:165]
	v_fma_f64 v[156:157], |v[144:145]|, s[62:63], v[110:111]
	v_add_f64 v[158:159], v[158:159], v[160:161]
	v_fma_f64 v[156:157], |v[144:145]|, v[156:157], s[64:65]
	v_add_f64 v[158:159], v[162:163], v[158:159]
	v_cmp_class_f64_e64 vcc, v[144:145], s84
	v_fma_f64 v[156:157], |v[144:145]|, v[156:157], s[66:67]
	v_cndmask_b32_e32 v135, v158, v144, vcc
	v_cndmask_b32_e64 v136, -v159, -v155, vcc
	v_cmp_neq_f64_e32 vcc, 0, v[144:145]
	v_fma_f64 v[156:157], |v[144:145]|, v[156:157], s[68:69]
	v_cndmask_b32_e32 v159, v177, v136, vcc
	v_cndmask_b32_e32 v158, 0, v135, vcc
	v_fma_f64 v[156:157], |v[144:145]|, v[156:157], v[158:159]
.LBB12_108:                             ;   in Loop: Header=BB12_4 Depth=1
	s_or_b64 exec, exec, s[10:11]
	v_cmp_le_f64_e32 vcc, 0, v[144:145]
	s_and_saveexec_b64 s[10:11], vcc
	s_xor_b64 s[78:79], exec, s[10:11]
; %bb.109:                              ;   in Loop: Header=BB12_4 Depth=1
	v_cmp_eq_f64_e32 vcc, 1.0, v[144:145]
	v_cmp_eq_f64_e64 s[10:11], 2.0, v[144:145]
	s_or_b64 s[10:11], vcc, s[10:11]
	v_cndmask_b32_e64 v157, v157, 0, s[10:11]
	v_cndmask_b32_e64 v156, v156, 0, s[10:11]
; %bb.110:                              ;   in Loop: Header=BB12_4 Depth=1
	s_andn2_saveexec_b64 s[10:11], s[78:79]
	s_cbranch_execz .LBB12_114
; %bb.111:                              ;   in Loop: Header=BB12_4 Depth=1
	v_add_u32_e32 v135, 0xc32fffff, v155
	v_cmp_gt_u32_e32 vcc, s51, v135
	s_and_saveexec_b64 s[78:79], vcc
	s_cbranch_execz .LBB12_113
; %bb.112:                              ;   in Loop: Header=BB12_4 Depth=1
	v_mul_f64 v[158:159], |v[144:145]|, 0.5
	v_fract_f64_e32 v[160:161], v[158:159]
	v_add_f64 v[160:161], v[160:161], v[160:161]
	v_cmp_neq_f64_e64 vcc, |v[158:159]|, s[70:71]
	v_cndmask_b32_e32 v135, 0, v160, vcc
	v_cndmask_b32_e32 v136, 0, v161, vcc
	v_cmp_gt_f64_e64 vcc, |v[144:145]|, 1.0
	v_cndmask_b32_e32 v159, v155, v136, vcc
	v_cndmask_b32_e32 v158, v144, v135, vcc
	v_add_f64 v[160:161], v[158:159], v[158:159]
	v_rndne_f64_e32 v[160:161], v[160:161]
	v_fmac_f64_e32 v[158:159], -0.5, v[160:161]
	v_cvt_i32_f64_e32 v135, v[160:161]
	v_mul_f64 v[160:161], v[158:159], v[158:159]
	v_pk_mov_b32 v[162:163], v[112:113], v[112:113] op_sel:[0,1]
	v_fmac_f64_e32 v[162:163], s[72:73], v[160:161]
	v_pk_mov_b32 v[164:165], v[114:115], v[114:115] op_sel:[0,1]
	v_fmac_f64_e32 v[164:165], v[160:161], v[162:163]
	;; [unrolled: 2-line block ×5, first 2 shown]
	v_mul_f64 v[164:165], v[158:159], v[160:161]
	v_mul_f64 v[162:163], v[164:165], v[162:163]
	v_fmac_f64_e32 v[162:163], s[74:75], v[158:159]
	v_pk_mov_b32 v[158:159], v[122:123], v[122:123] op_sel:[0,1]
	v_fmac_f64_e32 v[158:159], s[76:77], v[160:161]
	v_pk_mov_b32 v[164:165], v[124:125], v[124:125] op_sel:[0,1]
	;; [unrolled: 2-line block ×6, first 2 shown]
	v_fmac_f64_e32 v[164:165], v[160:161], v[158:159]
	v_and_b32_e32 v136, 1, v135
	v_lshlrev_b32_e32 v135, 30, v135
	v_fma_f64 v[158:159], v[160:161], v[164:165], 1.0
	v_cmp_eq_u32_e32 vcc, 0, v136
	v_xor_b32_e32 v135, v135, v145
	v_cndmask_b32_e32 v146, v159, v163, vcc
	v_and_b32_e32 v135, 0x80000000, v135
	v_cndmask_b32_e32 v136, v158, v162, vcc
	v_xor_b32_e32 v135, v146, v135
	v_cmp_class_f64_e64 vcc, v[144:145], s52
	v_cndmask_b32_e32 v158, 0, v136, vcc
	v_cndmask_b32_e32 v159, v176, v135, vcc
	v_mul_f64 v[158:159], v[144:145], v[158:159]
	v_and_b32_e32 v161, 0x7fffffff, v159
	v_mov_b32_e32 v160, v158
	v_div_scale_f64 v[162:163], s[80:81], v[160:161], v[160:161], s[74:75]
	v_rcp_f64_e32 v[164:165], v[162:163]
	v_div_scale_f64 v[160:161], vcc, s[74:75], v[160:161], s[74:75]
	v_cmp_class_f64_e64 s[80:81], v[144:145], s84
	v_fma_f64 v[166:167], -v[162:163], v[164:165], 1.0
	v_fmac_f64_e32 v[164:165], v[164:165], v[166:167]
	v_fma_f64 v[166:167], -v[162:163], v[164:165], 1.0
	v_fmac_f64_e32 v[164:165], v[164:165], v[166:167]
	v_mul_f64 v[166:167], v[160:161], v[164:165]
	v_fma_f64 v[160:161], -v[162:163], v[166:167], v[160:161]
	v_div_fmas_f64 v[160:161], v[160:161], v[164:165], v[166:167]
	v_div_fixup_f64 v[158:159], v[160:161], |v[158:159]|, s[74:75]
	v_frexp_mant_f64_e32 v[160:161], v[158:159]
	v_cmp_gt_f64_e32 vcc, s[18:19], v[160:161]
	v_cndmask_b32_e64 v135, v174, 2.0, vcc
	v_mul_f64 v[160:161], v[160:161], v[134:135]
	v_add_f64 v[162:163], v[160:161], 1.0
	v_rcp_f64_e32 v[164:165], v[162:163]
	v_add_f64 v[178:179], v[162:163], -1.0
	v_add_f64 v[166:167], v[160:161], -1.0
	v_add_f64 v[160:161], v[160:161], -v[178:179]
	v_fma_f64 v[178:179], -v[162:163], v[164:165], 1.0
	v_fmac_f64_e32 v[164:165], v[178:179], v[164:165]
	v_fma_f64 v[178:179], -v[162:163], v[164:165], 1.0
	v_fmac_f64_e32 v[164:165], v[178:179], v[164:165]
	v_mul_f64 v[178:179], v[166:167], v[164:165]
	v_mul_f64 v[180:181], v[162:163], v[178:179]
	v_fma_f64 v[162:163], v[178:179], v[162:163], -v[180:181]
	v_fmac_f64_e32 v[162:163], v[178:179], v[160:161]
	v_add_f64 v[160:161], v[180:181], v[162:163]
	v_add_f64 v[182:183], v[166:167], -v[160:161]
	v_add_f64 v[180:181], v[160:161], -v[180:181]
	;; [unrolled: 1-line block ×5, first 2 shown]
	v_add_f64 v[160:161], v[162:163], v[160:161]
	v_add_f64 v[160:161], v[182:183], v[160:161]
	v_mul_f64 v[160:161], v[164:165], v[160:161]
	v_add_f64 v[162:163], v[178:179], v[160:161]
	v_add_f64 v[164:165], v[162:163], -v[178:179]
	v_add_f64 v[160:161], v[160:161], -v[164:165]
	v_mul_f64 v[164:165], v[162:163], v[162:163]
	v_pk_mov_b32 v[166:167], v[6:7], v[6:7] op_sel:[0,1]
	v_fmac_f64_e32 v[166:167], s[20:21], v[164:165]
	v_pk_mov_b32 v[178:179], v[8:9], v[8:9] op_sel:[0,1]
	v_fmac_f64_e32 v[178:179], v[164:165], v[166:167]
	;; [unrolled: 2-line block ×6, first 2 shown]
	v_ldexp_f64 v[166:167], v[162:163], 1
	v_mul_f64 v[162:163], v[162:163], v[164:165]
	v_mul_f64 v[162:163], v[162:163], v[178:179]
	v_add_f64 v[164:165], v[166:167], v[162:163]
	v_add_f64 v[166:167], v[164:165], -v[166:167]
	v_ldexp_f64 v[160:161], v[160:161], 1
	v_add_f64 v[162:163], v[162:163], -v[166:167]
	v_add_f64 v[160:161], v[160:161], v[162:163]
	v_frexp_exp_i32_f64_e32 v136, v[158:159]
	v_add_f64 v[162:163], v[164:165], v[160:161]
	v_subbrev_co_u32_e32 v135, vcc, 0, v136, vcc
	v_add_f64 v[164:165], v[162:163], -v[164:165]
	v_add_f64 v[160:161], v[160:161], -v[164:165]
	v_cvt_f64_i32_e32 v[164:165], v135
	v_mul_f64 v[166:167], v[164:165], s[22:23]
	v_fma_f64 v[178:179], v[164:165], s[22:23], -v[166:167]
	v_fmac_f64_e32 v[178:179], s[24:25], v[164:165]
	v_add_f64 v[164:165], v[166:167], v[178:179]
	v_add_f64 v[166:167], v[164:165], -v[166:167]
	v_add_f64 v[166:167], v[178:179], -v[166:167]
	v_add_f64 v[178:179], v[164:165], v[162:163]
	v_add_f64 v[180:181], v[178:179], -v[164:165]
	v_add_f64 v[182:183], v[178:179], -v[180:181]
	;; [unrolled: 1-line block ×4, first 2 shown]
	v_add_f64 v[162:163], v[162:163], v[164:165]
	v_add_f64 v[164:165], v[166:167], v[160:161]
	v_add_f64 v[180:181], v[164:165], -v[166:167]
	v_add_f64 v[182:183], v[164:165], -v[180:181]
	v_add_f64 v[162:163], v[164:165], v[162:163]
	v_add_f64 v[166:167], v[166:167], -v[182:183]
	v_add_f64 v[160:161], v[160:161], -v[180:181]
	v_add_f64 v[164:165], v[178:179], v[162:163]
	v_add_f64 v[160:161], v[160:161], v[166:167]
	v_add_f64 v[166:167], v[164:165], -v[178:179]
	v_add_f64 v[162:163], v[162:163], -v[166:167]
	v_add_f64 v[160:161], v[160:161], v[162:163]
	v_add_f64 v[160:161], v[164:165], v[160:161]
	v_cmp_class_f64_e64 vcc, v[158:159], s84
	v_cndmask_b32_e32 v135, v160, v158, vcc
	v_cndmask_b32_e32 v136, v161, v159, vcc
	v_cmp_neq_f64_e32 vcc, 0, v[158:159]
	v_cndmask_b32_e32 v159, v175, v136, vcc
	v_cndmask_b32_e32 v158, 0, v135, vcc
	v_add_f64 v[156:157], v[158:159], -v[156:157]
	v_fract_f64_e32 v[158:159], v[144:145]
	v_cmp_eq_f64_e32 vcc, 0, v[158:159]
	s_or_b64 vcc, s[80:81], vcc
	v_cndmask_b32_e32 v157, v157, v177, vcc
	v_cndmask_b32_e64 v156, v156, 0, vcc
.LBB12_113:                             ;   in Loop: Header=BB12_4 Depth=1
	s_or_b64 exec, exec, s[78:79]
.LBB12_114:                             ;   in Loop: Header=BB12_4 Depth=1
	s_or_b64 exec, exec, s[10:11]
	v_and_b32_e32 v159, 0x7fffffff, v139
	v_mov_b32_e32 v158, v138
	v_cmp_lt_u32_e32 vcc, s92, v159
                                        ; implicit-def: $vgpr160_vgpr161
	s_and_saveexec_b64 s[10:11], vcc
	s_xor_b64 s[10:11], exec, s[10:11]
	s_cbranch_execz .LBB12_140
; %bb.115:                              ;   in Loop: Header=BB12_4 Depth=1
	v_cmp_lt_u32_e32 vcc, s93, v159
                                        ; implicit-def: $vgpr160_vgpr161
	s_and_saveexec_b64 s[78:79], vcc
	s_xor_b64 s[78:79], exec, s[78:79]
	s_cbranch_execz .LBB12_125
; %bb.116:                              ;   in Loop: Header=BB12_4 Depth=1
	;; [unrolled: 6-line block ×4, first 2 shown]
	v_frexp_mant_f64_e64 v[160:161], |v[138:139]|
	v_cmp_gt_f64_e32 vcc, s[18:19], v[160:161]
	v_cndmask_b32_e64 v135, v174, 2.0, vcc
	v_mul_f64 v[160:161], v[160:161], v[134:135]
	v_add_f64 v[162:163], v[160:161], 1.0
	v_rcp_f64_e32 v[164:165], v[162:163]
	v_add_f64 v[178:179], v[162:163], -1.0
	v_add_f64 v[166:167], v[160:161], -1.0
	v_add_f64 v[160:161], v[160:161], -v[178:179]
	v_fma_f64 v[178:179], -v[162:163], v[164:165], 1.0
	v_fmac_f64_e32 v[164:165], v[178:179], v[164:165]
	v_fma_f64 v[178:179], -v[162:163], v[164:165], 1.0
	v_fmac_f64_e32 v[164:165], v[178:179], v[164:165]
	v_mul_f64 v[178:179], v[166:167], v[164:165]
	v_mul_f64 v[180:181], v[162:163], v[178:179]
	v_fma_f64 v[162:163], v[178:179], v[162:163], -v[180:181]
	v_fmac_f64_e32 v[162:163], v[178:179], v[160:161]
	v_add_f64 v[160:161], v[180:181], v[162:163]
	v_add_f64 v[182:183], v[166:167], -v[160:161]
	v_add_f64 v[180:181], v[160:161], -v[180:181]
	v_add_f64 v[166:167], v[166:167], -v[182:183]
	v_add_f64 v[160:161], v[166:167], -v[160:161]
	v_add_f64 v[162:163], v[180:181], -v[162:163]
	v_add_f64 v[160:161], v[162:163], v[160:161]
	v_add_f64 v[160:161], v[182:183], v[160:161]
	v_mul_f64 v[160:161], v[164:165], v[160:161]
	v_add_f64 v[162:163], v[178:179], v[160:161]
	v_add_f64 v[164:165], v[162:163], -v[178:179]
	v_add_f64 v[160:161], v[160:161], -v[164:165]
	v_mul_f64 v[164:165], v[162:163], v[162:163]
	v_pk_mov_b32 v[166:167], v[6:7], v[6:7] op_sel:[0,1]
	v_fmac_f64_e32 v[166:167], s[20:21], v[164:165]
	v_pk_mov_b32 v[178:179], v[8:9], v[8:9] op_sel:[0,1]
	v_fmac_f64_e32 v[178:179], v[164:165], v[166:167]
	;; [unrolled: 2-line block ×6, first 2 shown]
	v_ldexp_f64 v[166:167], v[162:163], 1
	v_mul_f64 v[162:163], v[162:163], v[164:165]
	v_mul_f64 v[162:163], v[162:163], v[178:179]
	v_add_f64 v[164:165], v[166:167], v[162:163]
	v_add_f64 v[166:167], v[164:165], -v[166:167]
	v_ldexp_f64 v[160:161], v[160:161], 1
	v_add_f64 v[162:163], v[162:163], -v[166:167]
	v_add_f64 v[160:161], v[160:161], v[162:163]
	v_frexp_exp_i32_f64_e32 v136, v[138:139]
	v_add_f64 v[162:163], v[164:165], v[160:161]
	v_subbrev_co_u32_e32 v135, vcc, 0, v136, vcc
	v_add_f64 v[164:165], v[162:163], -v[164:165]
	v_add_f64 v[160:161], v[160:161], -v[164:165]
	v_cvt_f64_i32_e32 v[164:165], v135
	v_mul_f64 v[166:167], v[164:165], s[22:23]
	v_fma_f64 v[178:179], v[164:165], s[22:23], -v[166:167]
	v_fmac_f64_e32 v[178:179], s[24:25], v[164:165]
	v_add_f64 v[164:165], v[166:167], v[178:179]
	v_add_f64 v[166:167], v[164:165], -v[166:167]
	v_add_f64 v[166:167], v[178:179], -v[166:167]
	v_add_f64 v[178:179], v[164:165], v[162:163]
	v_add_f64 v[180:181], v[178:179], -v[164:165]
	v_add_f64 v[182:183], v[178:179], -v[180:181]
	;; [unrolled: 1-line block ×4, first 2 shown]
	v_add_f64 v[162:163], v[162:163], v[164:165]
	v_add_f64 v[164:165], v[166:167], v[160:161]
	v_add_f64 v[180:181], v[164:165], -v[166:167]
	v_add_f64 v[182:183], v[164:165], -v[180:181]
	v_add_f64 v[162:163], v[164:165], v[162:163]
	v_add_f64 v[166:167], v[166:167], -v[182:183]
	v_add_f64 v[160:161], v[160:161], -v[180:181]
	v_add_f64 v[164:165], v[178:179], v[162:163]
	v_add_f64 v[160:161], v[160:161], v[166:167]
	v_add_f64 v[166:167], v[164:165], -v[178:179]
	v_add_f64 v[162:163], v[162:163], -v[166:167]
	v_add_f64 v[160:161], v[160:161], v[162:163]
	v_add_f64 v[160:161], v[164:165], v[160:161]
	v_cmp_class_f64_e64 vcc, v[138:139], s84
	v_cndmask_b32_e32 v135, v160, v138, vcc
	v_cndmask_b32_e32 v136, v161, v159, vcc
	v_cmp_neq_f64_e32 vcc, 0, v[138:139]
	v_cndmask_b32_e32 v161, v175, v136, vcc
	v_cndmask_b32_e32 v160, 0, v135, vcc
	v_fma_f64 v[160:161], |v[138:139]|, v[160:161], -|v[138:139]|
.LBB12_119:                             ;   in Loop: Header=BB12_4 Depth=1
	s_andn2_saveexec_b64 s[82:83], s[82:83]
	s_cbranch_execz .LBB12_121
; %bb.120:                              ;   in Loop: Header=BB12_4 Depth=1
	v_mov_b32_e32 v158, v138
	v_div_scale_f64 v[160:161], vcc, v[158:159], v[158:159], 1.0
	v_rcp_f64_e32 v[162:163], v[160:161]
	v_div_scale_f64 v[164:165], vcc, 1.0, v[158:159], 1.0
	v_frexp_exp_i32_f64_e32 v136, v[138:139]
	v_fma_f64 v[166:167], -v[160:161], v[162:163], 1.0
	v_fmac_f64_e32 v[162:163], v[162:163], v[166:167]
	v_fma_f64 v[166:167], -v[160:161], v[162:163], 1.0
	v_fmac_f64_e32 v[162:163], v[162:163], v[166:167]
	v_mul_f64 v[166:167], v[164:165], v[162:163]
	v_fma_f64 v[160:161], -v[160:161], v[166:167], v[164:165]
	v_div_fmas_f64 v[160:161], v[160:161], v[162:163], v[166:167]
	v_div_fixup_f64 v[162:163], v[160:161], |v[138:139]|, 1.0
	s_mov_b32 vcc_lo, 0xb9e43e4
	v_mul_f64 v[160:161], v[162:163], v[162:163]
	v_pk_mov_b32 v[164:165], v[18:19], v[18:19] op_sel:[0,1]
	s_mov_b32 vcc_hi, 0xbf5ab89d
	v_fmac_f64_e32 v[164:165], vcc, v[160:161]
	v_pk_mov_b32 v[166:167], v[20:21], v[20:21] op_sel:[0,1]
	v_fmac_f64_e32 v[166:167], v[160:161], v[164:165]
	v_pk_mov_b32 v[164:165], v[22:23], v[22:23] op_sel:[0,1]
	v_fmac_f64_e32 v[164:165], v[160:161], v[166:167]
	;; [unrolled: 2-line block ×5, first 2 shown]
	v_frexp_mant_f64_e64 v[164:165], |v[138:139]|
	v_cmp_gt_f64_e32 vcc, s[18:19], v[164:165]
	v_cndmask_b32_e64 v135, v174, 2.0, vcc
	v_mul_f64 v[164:165], v[164:165], v[134:135]
	v_add_f64 v[166:167], v[164:165], 1.0
	v_rcp_f64_e32 v[178:179], v[166:167]
	v_add_f64 v[182:183], v[166:167], -1.0
	v_add_f64 v[180:181], v[164:165], -1.0
	v_add_f64 v[164:165], v[164:165], -v[182:183]
	v_fma_f64 v[182:183], -v[166:167], v[178:179], 1.0
	v_fmac_f64_e32 v[178:179], v[182:183], v[178:179]
	v_fma_f64 v[182:183], -v[166:167], v[178:179], 1.0
	v_fmac_f64_e32 v[178:179], v[182:183], v[178:179]
	v_mul_f64 v[182:183], v[180:181], v[178:179]
	v_mul_f64 v[184:185], v[166:167], v[182:183]
	v_fma_f64 v[166:167], v[182:183], v[166:167], -v[184:185]
	v_fmac_f64_e32 v[166:167], v[182:183], v[164:165]
	v_add_f64 v[164:165], v[184:185], v[166:167]
	v_add_f64 v[186:187], v[180:181], -v[164:165]
	v_add_f64 v[184:185], v[164:165], -v[184:185]
	;; [unrolled: 1-line block ×5, first 2 shown]
	v_add_f64 v[164:165], v[166:167], v[164:165]
	v_add_f64 v[164:165], v[186:187], v[164:165]
	v_mul_f64 v[164:165], v[178:179], v[164:165]
	v_add_f64 v[166:167], v[182:183], v[164:165]
	v_add_f64 v[178:179], v[166:167], -v[182:183]
	v_add_f64 v[164:165], v[164:165], -v[178:179]
	v_mul_f64 v[178:179], v[166:167], v[166:167]
	v_pk_mov_b32 v[180:181], v[6:7], v[6:7] op_sel:[0,1]
	v_fmac_f64_e32 v[180:181], s[20:21], v[178:179]
	v_pk_mov_b32 v[182:183], v[8:9], v[8:9] op_sel:[0,1]
	v_fmac_f64_e32 v[182:183], v[178:179], v[180:181]
	;; [unrolled: 2-line block ×6, first 2 shown]
	v_ldexp_f64 v[180:181], v[166:167], 1
	v_mul_f64 v[166:167], v[166:167], v[178:179]
	v_mul_f64 v[166:167], v[166:167], v[182:183]
	v_add_f64 v[178:179], v[180:181], v[166:167]
	v_add_f64 v[180:181], v[178:179], -v[180:181]
	v_ldexp_f64 v[164:165], v[164:165], 1
	v_add_f64 v[166:167], v[166:167], -v[180:181]
	v_add_f64 v[164:165], v[164:165], v[166:167]
	v_add_f64 v[166:167], v[178:179], v[164:165]
	v_subbrev_co_u32_e32 v135, vcc, 0, v136, vcc
	v_add_f64 v[178:179], v[166:167], -v[178:179]
	v_add_f64 v[164:165], v[164:165], -v[178:179]
	v_cvt_f64_i32_e32 v[178:179], v135
	v_mul_f64 v[180:181], v[178:179], s[22:23]
	v_fma_f64 v[182:183], v[178:179], s[22:23], -v[180:181]
	v_fmac_f64_e32 v[182:183], s[24:25], v[178:179]
	v_add_f64 v[178:179], v[180:181], v[182:183]
	v_add_f64 v[180:181], v[178:179], -v[180:181]
	v_add_f64 v[180:181], v[182:183], -v[180:181]
	v_add_f64 v[182:183], v[178:179], v[166:167]
	v_add_f64 v[184:185], v[182:183], -v[178:179]
	v_add_f64 v[186:187], v[182:183], -v[184:185]
	;; [unrolled: 1-line block ×4, first 2 shown]
	v_add_f64 v[166:167], v[166:167], v[178:179]
	v_add_f64 v[178:179], v[180:181], v[164:165]
	v_add_f64 v[184:185], v[178:179], -v[180:181]
	v_add_f64 v[186:187], v[178:179], -v[184:185]
	v_add_f64 v[166:167], v[178:179], v[166:167]
	v_add_f64 v[180:181], v[180:181], -v[186:187]
	v_add_f64 v[164:165], v[164:165], -v[184:185]
	v_add_f64 v[178:179], v[182:183], v[166:167]
	v_add_f64 v[164:165], v[164:165], v[180:181]
	v_add_f64 v[180:181], v[178:179], -v[182:183]
	v_add_f64 v[166:167], v[166:167], -v[180:181]
	v_add_f64 v[164:165], v[164:165], v[166:167]
	v_add_f64 v[164:165], v[178:179], v[164:165]
	v_cmp_class_f64_e64 vcc, v[138:139], s84
	v_cndmask_b32_e32 v165, v165, v159, vcc
	v_cndmask_b32_e32 v164, v164, v158, vcc
	v_add_f64 v[164:165], v[164:165], -1.0
	v_cmp_neq_f64_e32 vcc, 0, v[138:139]
	v_add_f64 v[162:163], |v[138:139]|, -0.5
	v_cndmask_b32_e32 v165, v175, v165, vcc
	v_cndmask_b32_e32 v164, 0, v164, vcc
	v_fmac_f64_e32 v[160:161], v[162:163], v[164:165]
.LBB12_121:                             ;   in Loop: Header=BB12_4 Depth=1
	s_or_b64 exec, exec, s[82:83]
.LBB12_122:                             ;   in Loop: Header=BB12_4 Depth=1
	s_andn2_saveexec_b64 s[80:81], s[80:81]
	s_cbranch_execz .LBB12_124
; %bb.123:                              ;   in Loop: Header=BB12_4 Depth=1
	v_cvt_i32_f64_e32 v135, v[158:159]
	v_cvt_f64_i32_e32 v[160:161], v135
	v_add_f64 v[160:161], |v[138:139]|, -v[160:161]
	v_pk_mov_b32 v[162:163], v[30:31], v[30:31] op_sel:[0,1]
	v_fmac_f64_e32 v[162:163], s[28:29], v[160:161]
	v_pk_mov_b32 v[164:165], v[32:33], v[32:33] op_sel:[0,1]
	v_fmac_f64_e32 v[164:165], v[160:161], v[162:163]
	;; [unrolled: 2-line block ×4, first 2 shown]
	v_pk_mov_b32 v[162:163], v[38:39], v[38:39] op_sel:[0,1]
	v_mov_b32_e32 v136, v74
	v_fmac_f64_e32 v[162:163], v[160:161], v[164:165]
	v_pk_mov_b32 v[164:165], v[136:137], v[136:137] op_sel:[0,1]
	v_fmac_f64_e32 v[164:165], v[160:161], v[162:163]
	v_mul_f64 v[162:163], v[160:161], v[164:165]
	v_pk_mov_b32 v[164:165], v[40:41], v[40:41] op_sel:[0,1]
	v_fmac_f64_e32 v[164:165], s[30:31], v[160:161]
	v_pk_mov_b32 v[166:167], v[42:43], v[42:43] op_sel:[0,1]
	v_fmac_f64_e32 v[166:167], v[160:161], v[164:165]
	;; [unrolled: 2-line block ×5, first 2 shown]
	v_fma_f64 v[164:165], v[160:161], v[164:165], 1.0
	v_div_scale_f64 v[166:167], s[82:83], v[164:165], v[164:165], v[162:163]
	v_rcp_f64_e32 v[178:179], v[166:167]
	v_fma_f64 v[180:181], -v[166:167], v[178:179], 1.0
	v_fmac_f64_e32 v[178:179], v[178:179], v[180:181]
	v_fma_f64 v[180:181], -v[166:167], v[178:179], 1.0
	v_fmac_f64_e32 v[178:179], v[178:179], v[180:181]
	v_div_scale_f64 v[180:181], vcc, v[162:163], v[164:165], v[162:163]
	v_mul_f64 v[182:183], v[180:181], v[178:179]
	v_fma_f64 v[166:167], -v[166:167], v[182:183], v[180:181]
	v_add_f64 v[180:181], v[160:161], s[36:37]
	s_nop 0
	v_div_fmas_f64 v[166:167], v[166:167], v[178:179], v[182:183]
	v_div_fixup_f64 v[162:163], v[166:167], v[164:165], v[162:163]
	v_add_f64 v[164:165], v[160:161], 2.0
	v_cmp_lt_i32_e32 vcc, 2, v135
	v_add_f64 v[166:167], v[160:161], s[34:35]
	v_cndmask_b32_e32 v165, v174, v165, vcc
	v_cndmask_b32_e32 v164, 0, v164, vcc
	v_cmp_lt_i32_e32 vcc, 3, v135
	v_add_f64 v[178:179], v[160:161], 4.0
	v_cndmask_b32_e32 v167, v174, v167, vcc
	v_cndmask_b32_e32 v166, 0, v166, vcc
	v_cmp_lt_i32_e32 vcc, 4, v135
	v_mul_f64 v[164:165], v[164:165], v[166:167]
	v_cndmask_b32_e32 v167, v174, v179, vcc
	v_cndmask_b32_e32 v166, 0, v178, vcc
	v_cmp_lt_i32_e32 vcc, 5, v135
	v_fmac_f64_e32 v[162:163], 0.5, v[160:161]
	v_add_f64 v[160:161], v[160:161], s[38:39]
	v_mul_f64 v[164:165], v[166:167], v[164:165]
	v_cndmask_b32_e32 v167, v174, v181, vcc
	v_cndmask_b32_e32 v166, 0, v180, vcc
	v_cmp_lt_i32_e32 vcc, 6, v135
	v_mul_f64 v[164:165], v[166:167], v[164:165]
	v_cndmask_b32_e32 v161, v174, v161, vcc
	v_cndmask_b32_e32 v160, 0, v160, vcc
	v_mul_f64 v[160:161], v[160:161], v[164:165]
	v_frexp_mant_f64_e32 v[164:165], v[160:161]
	v_cmp_gt_f64_e32 vcc, s[18:19], v[164:165]
	v_cndmask_b32_e64 v135, v174, 2.0, vcc
	v_mul_f64 v[164:165], v[164:165], v[134:135]
	v_add_f64 v[166:167], v[164:165], 1.0
	v_rcp_f64_e32 v[178:179], v[166:167]
	v_add_f64 v[182:183], v[166:167], -1.0
	v_add_f64 v[180:181], v[164:165], -1.0
	v_add_f64 v[164:165], v[164:165], -v[182:183]
	v_fma_f64 v[182:183], -v[166:167], v[178:179], 1.0
	v_fmac_f64_e32 v[178:179], v[182:183], v[178:179]
	v_fma_f64 v[182:183], -v[166:167], v[178:179], 1.0
	v_fmac_f64_e32 v[178:179], v[182:183], v[178:179]
	v_mul_f64 v[182:183], v[180:181], v[178:179]
	v_mul_f64 v[184:185], v[166:167], v[182:183]
	v_fma_f64 v[166:167], v[182:183], v[166:167], -v[184:185]
	v_fmac_f64_e32 v[166:167], v[182:183], v[164:165]
	v_add_f64 v[164:165], v[184:185], v[166:167]
	v_add_f64 v[186:187], v[180:181], -v[164:165]
	v_add_f64 v[184:185], v[164:165], -v[184:185]
	;; [unrolled: 1-line block ×5, first 2 shown]
	v_add_f64 v[164:165], v[166:167], v[164:165]
	v_add_f64 v[164:165], v[186:187], v[164:165]
	v_mul_f64 v[164:165], v[178:179], v[164:165]
	v_add_f64 v[166:167], v[182:183], v[164:165]
	v_add_f64 v[178:179], v[166:167], -v[182:183]
	v_add_f64 v[164:165], v[164:165], -v[178:179]
	v_mul_f64 v[178:179], v[166:167], v[166:167]
	v_pk_mov_b32 v[180:181], v[6:7], v[6:7] op_sel:[0,1]
	v_fmac_f64_e32 v[180:181], s[20:21], v[178:179]
	v_pk_mov_b32 v[182:183], v[8:9], v[8:9] op_sel:[0,1]
	v_fmac_f64_e32 v[182:183], v[178:179], v[180:181]
	;; [unrolled: 2-line block ×6, first 2 shown]
	v_ldexp_f64 v[180:181], v[166:167], 1
	v_mul_f64 v[166:167], v[166:167], v[178:179]
	v_mul_f64 v[166:167], v[166:167], v[182:183]
	v_add_f64 v[178:179], v[180:181], v[166:167]
	v_add_f64 v[180:181], v[178:179], -v[180:181]
	v_ldexp_f64 v[164:165], v[164:165], 1
	v_add_f64 v[166:167], v[166:167], -v[180:181]
	v_add_f64 v[164:165], v[164:165], v[166:167]
	v_frexp_exp_i32_f64_e32 v136, v[160:161]
	v_add_f64 v[166:167], v[178:179], v[164:165]
	v_subbrev_co_u32_e32 v135, vcc, 0, v136, vcc
	v_add_f64 v[178:179], v[166:167], -v[178:179]
	v_add_f64 v[164:165], v[164:165], -v[178:179]
	v_cvt_f64_i32_e32 v[178:179], v135
	v_mul_f64 v[180:181], v[178:179], s[22:23]
	v_fma_f64 v[182:183], v[178:179], s[22:23], -v[180:181]
	v_fmac_f64_e32 v[182:183], s[24:25], v[178:179]
	v_add_f64 v[178:179], v[180:181], v[182:183]
	v_add_f64 v[180:181], v[178:179], -v[180:181]
	v_add_f64 v[180:181], v[182:183], -v[180:181]
	v_add_f64 v[182:183], v[178:179], v[166:167]
	v_add_f64 v[184:185], v[182:183], -v[178:179]
	v_add_f64 v[186:187], v[182:183], -v[184:185]
	;; [unrolled: 1-line block ×4, first 2 shown]
	v_add_f64 v[166:167], v[166:167], v[178:179]
	v_add_f64 v[178:179], v[180:181], v[164:165]
	v_add_f64 v[184:185], v[178:179], -v[180:181]
	v_add_f64 v[186:187], v[178:179], -v[184:185]
	v_add_f64 v[166:167], v[178:179], v[166:167]
	v_add_f64 v[180:181], v[180:181], -v[186:187]
	v_add_f64 v[164:165], v[164:165], -v[184:185]
	v_add_f64 v[178:179], v[182:183], v[166:167]
	v_add_f64 v[164:165], v[164:165], v[180:181]
	v_add_f64 v[180:181], v[178:179], -v[182:183]
	v_add_f64 v[166:167], v[166:167], -v[180:181]
	v_add_f64 v[164:165], v[164:165], v[166:167]
	v_add_f64 v[164:165], v[178:179], v[164:165]
	v_cmp_class_f64_e64 vcc, v[160:161], s84
	v_cndmask_b32_e32 v135, v164, v160, vcc
	v_cndmask_b32_e32 v136, v165, v161, vcc
	v_cmp_ngt_f64_e32 vcc, 0, v[160:161]
	v_cndmask_b32_e32 v136, v176, v136, vcc
	v_cmp_nge_f64_e32 vcc, 0, v[160:161]
	v_cndmask_b32_e32 v164, 0, v135, vcc
	v_cmp_neq_f64_e32 vcc, 0, v[160:161]
	v_cndmask_b32_e32 v165, v175, v136, vcc
	v_add_f64 v[160:161], v[162:163], v[164:165]
.LBB12_124:                             ;   in Loop: Header=BB12_4 Depth=1
	s_or_b64 exec, exec, s[80:81]
.LBB12_125:                             ;   in Loop: Header=BB12_4 Depth=1
	s_andn2_saveexec_b64 s[78:79], s[78:79]
	s_cbranch_execz .LBB12_139
; %bb.126:                              ;   in Loop: Header=BB12_4 Depth=1
	v_cmp_lt_u32_e32 vcc, s26, v159
                                        ; implicit-def: $sgpr82_sgpr83
                                        ; implicit-def: $vgpr135
                                        ; implicit-def: $vgpr162_vgpr163
	s_and_saveexec_b64 s[80:81], vcc
	s_xor_b64 s[80:81], exec, s[80:81]
	s_cbranch_execz .LBB12_128
; %bb.127:                              ;   in Loop: Header=BB12_4 Depth=1
	v_add_f64 v[160:161], -|v[138:139]|, 2.0
	v_add_f64 v[162:163], |v[138:139]|, s[40:41]
	v_cmp_gt_u32_e32 vcc, s27, v159
	v_cndmask_b32_e32 v135, v160, v162, vcc
	v_cndmask_b32_e32 v136, v161, v163, vcc
	v_cndmask_b32_e64 v146, 0, 1, vcc
	v_add_f64 v[160:161], |v[138:139]|, -1.0
	v_cmp_gt_u32_e32 vcc, s48, v159
	v_cndmask_b32_e32 v163, v136, v161, vcc
	v_cndmask_b32_e32 v162, v135, v160, vcc
	v_cndmask_b32_e64 v135, v146, 2, vcc
	s_mov_b64 s[82:83], 0
.LBB12_128:                             ;   in Loop: Header=BB12_4 Depth=1
	s_or_saveexec_b64 s[80:81], s[80:81]
	v_pk_mov_b32 v[160:161], s[82:83], s[82:83] op_sel:[0,1]
	s_xor_b64 exec, exec, s[80:81]
	s_cbranch_execz .LBB12_130
; %bb.129:                              ;   in Loop: Header=BB12_4 Depth=1
	v_frexp_mant_f64_e64 v[160:161], |v[138:139]|
	v_cmp_gt_f64_e32 vcc, s[18:19], v[160:161]
	v_cndmask_b32_e64 v135, v174, 2.0, vcc
	v_mul_f64 v[160:161], v[160:161], v[134:135]
	v_add_f64 v[162:163], v[160:161], 1.0
	v_rcp_f64_e32 v[164:165], v[162:163]
	v_add_f64 v[178:179], v[162:163], -1.0
	v_add_f64 v[166:167], v[160:161], -1.0
	v_add_f64 v[160:161], v[160:161], -v[178:179]
	v_fma_f64 v[178:179], -v[162:163], v[164:165], 1.0
	v_fmac_f64_e32 v[164:165], v[178:179], v[164:165]
	v_fma_f64 v[178:179], -v[162:163], v[164:165], 1.0
	v_fmac_f64_e32 v[164:165], v[178:179], v[164:165]
	v_mul_f64 v[178:179], v[166:167], v[164:165]
	v_mul_f64 v[180:181], v[162:163], v[178:179]
	v_fma_f64 v[162:163], v[178:179], v[162:163], -v[180:181]
	v_fmac_f64_e32 v[162:163], v[178:179], v[160:161]
	v_add_f64 v[160:161], v[180:181], v[162:163]
	v_add_f64 v[182:183], v[166:167], -v[160:161]
	v_add_f64 v[180:181], v[160:161], -v[180:181]
	;; [unrolled: 1-line block ×5, first 2 shown]
	v_add_f64 v[160:161], v[162:163], v[160:161]
	v_add_f64 v[160:161], v[182:183], v[160:161]
	v_mul_f64 v[160:161], v[164:165], v[160:161]
	v_add_f64 v[162:163], v[178:179], v[160:161]
	v_add_f64 v[164:165], v[162:163], -v[178:179]
	v_add_f64 v[160:161], v[160:161], -v[164:165]
	v_mul_f64 v[164:165], v[162:163], v[162:163]
	v_pk_mov_b32 v[166:167], v[6:7], v[6:7] op_sel:[0,1]
	v_fmac_f64_e32 v[166:167], s[20:21], v[164:165]
	v_pk_mov_b32 v[178:179], v[8:9], v[8:9] op_sel:[0,1]
	v_fmac_f64_e32 v[178:179], v[164:165], v[166:167]
	;; [unrolled: 2-line block ×6, first 2 shown]
	v_ldexp_f64 v[166:167], v[162:163], 1
	v_mul_f64 v[162:163], v[162:163], v[164:165]
	v_mul_f64 v[162:163], v[162:163], v[178:179]
	v_add_f64 v[164:165], v[166:167], v[162:163]
	v_add_f64 v[166:167], v[164:165], -v[166:167]
	v_ldexp_f64 v[160:161], v[160:161], 1
	v_add_f64 v[162:163], v[162:163], -v[166:167]
	v_add_f64 v[160:161], v[160:161], v[162:163]
	v_frexp_exp_i32_f64_e32 v136, v[138:139]
	v_add_f64 v[162:163], v[164:165], v[160:161]
	v_subbrev_co_u32_e32 v135, vcc, 0, v136, vcc
	v_add_f64 v[164:165], v[162:163], -v[164:165]
	v_add_f64 v[160:161], v[160:161], -v[164:165]
	v_cvt_f64_i32_e32 v[164:165], v135
	v_mul_f64 v[166:167], v[164:165], s[22:23]
	v_fma_f64 v[178:179], v[164:165], s[22:23], -v[166:167]
	v_fmac_f64_e32 v[178:179], s[24:25], v[164:165]
	v_add_f64 v[164:165], v[166:167], v[178:179]
	v_add_f64 v[166:167], v[164:165], -v[166:167]
	v_add_f64 v[166:167], v[178:179], -v[166:167]
	v_add_f64 v[178:179], v[164:165], v[162:163]
	v_add_f64 v[180:181], v[178:179], -v[164:165]
	v_add_f64 v[182:183], v[178:179], -v[180:181]
	;; [unrolled: 1-line block ×4, first 2 shown]
	v_add_f64 v[162:163], v[162:163], v[164:165]
	v_add_f64 v[164:165], v[166:167], v[160:161]
	v_add_f64 v[180:181], v[164:165], -v[166:167]
	v_add_f64 v[182:183], v[164:165], -v[180:181]
	v_add_f64 v[162:163], v[164:165], v[162:163]
	v_add_f64 v[166:167], v[166:167], -v[182:183]
	v_add_f64 v[160:161], v[160:161], -v[180:181]
	v_add_f64 v[164:165], v[178:179], v[162:163]
	v_add_f64 v[160:161], v[160:161], v[166:167]
	v_add_f64 v[166:167], v[164:165], -v[178:179]
	v_add_f64 v[162:163], v[162:163], -v[166:167]
	v_add_f64 v[160:161], v[160:161], v[162:163]
	v_add_f64 v[160:161], v[164:165], v[160:161]
	v_cmp_class_f64_e64 vcc, v[138:139], s84
	v_cndmask_b32_e32 v135, v160, v138, vcc
	v_cndmask_b32_e64 v136, -v161, -v159, vcc
	v_cmp_neq_f64_e32 vcc, 0, v[138:139]
	v_cndmask_b32_e32 v161, v177, v136, vcc
	v_cndmask_b32_e32 v160, 0, v135, vcc
	v_add_f64 v[162:163], -|v[138:139]|, 1.0
	v_add_f64 v[164:165], |v[138:139]|, s[42:43]
	v_cmp_gt_u32_e32 vcc, s49, v159
	v_cndmask_b32_e32 v135, v162, v164, vcc
	v_cndmask_b32_e32 v136, v163, v165, vcc
	v_cndmask_b32_e64 v146, 0, 1, vcc
	v_cmp_gt_u32_e32 vcc, s50, v159
	v_cndmask_b32_e32 v163, v136, v159, vcc
	v_cndmask_b32_e32 v162, v135, v138, vcc
	v_cndmask_b32_e64 v135, v146, 2, vcc
.LBB12_130:                             ;   in Loop: Header=BB12_4 Depth=1
	s_or_b64 exec, exec, s[80:81]
	v_cmp_lt_i32_e32 vcc, 1, v135
                                        ; implicit-def: $vgpr166_vgpr167
	s_and_saveexec_b64 s[80:81], vcc
	s_xor_b64 s[80:81], exec, s[80:81]
	s_cbranch_execz .LBB12_132
; %bb.131:                              ;   in Loop: Header=BB12_4 Depth=1
	v_pk_mov_b32 v[164:165], v[50:51], v[50:51] op_sel:[0,1]
	v_fmac_f64_e32 v[164:165], s[44:45], v[162:163]
	v_pk_mov_b32 v[166:167], v[52:53], v[52:53] op_sel:[0,1]
	v_fmac_f64_e32 v[166:167], v[162:163], v[164:165]
	;; [unrolled: 2-line block ×3, first 2 shown]
	v_pk_mov_b32 v[166:167], v[56:57], v[56:57] op_sel:[0,1]
	v_mov_b32_e32 v136, v74
	v_fmac_f64_e32 v[166:167], v[162:163], v[164:165]
	v_pk_mov_b32 v[164:165], v[136:137], v[136:137] op_sel:[0,1]
	v_fmac_f64_e32 v[164:165], v[162:163], v[166:167]
	v_pk_mov_b32 v[166:167], v[58:59], v[58:59] op_sel:[0,1]
	;; [unrolled: 2-line block ×5, first 2 shown]
	v_fmac_f64_e32 v[178:179], v[162:163], v[166:167]
	v_mul_f64 v[164:165], v[162:163], v[164:165]
	v_fma_f64 v[166:167], v[162:163], v[178:179], 1.0
	v_div_scale_f64 v[178:179], s[82:83], v[166:167], v[166:167], v[164:165]
	v_rcp_f64_e32 v[180:181], v[178:179]
                                        ; implicit-def: $vgpr135
	v_fma_f64 v[182:183], -v[178:179], v[180:181], 1.0
	v_fmac_f64_e32 v[180:181], v[180:181], v[182:183]
	v_fma_f64 v[182:183], -v[178:179], v[180:181], 1.0
	v_fmac_f64_e32 v[180:181], v[180:181], v[182:183]
	v_div_scale_f64 v[182:183], vcc, v[164:165], v[166:167], v[164:165]
	v_mul_f64 v[184:185], v[182:183], v[180:181]
	v_fma_f64 v[178:179], -v[178:179], v[184:185], v[182:183]
	s_nop 1
	v_div_fmas_f64 v[178:179], v[178:179], v[180:181], v[184:185]
	v_div_fixup_f64 v[166:167], v[178:179], v[166:167], v[164:165]
	v_fmac_f64_e32 v[166:167], -0.5, v[162:163]
                                        ; implicit-def: $vgpr162_vgpr163
.LBB12_132:                             ;   in Loop: Header=BB12_4 Depth=1
	s_andn2_saveexec_b64 s[80:81], s[80:81]
	s_cbranch_execz .LBB12_138
; %bb.133:                              ;   in Loop: Header=BB12_4 Depth=1
	v_cmp_ne_u32_e32 vcc, 1, v135
	v_mul_f64 v[164:165], v[162:163], v[162:163]
                                        ; implicit-def: $vgpr166_vgpr167
	s_and_saveexec_b64 s[82:83], vcc
	s_xor_b64 s[82:83], exec, s[82:83]
	s_cbranch_execz .LBB12_135
; %bb.134:                              ;   in Loop: Header=BB12_4 Depth=1
	s_mov_b32 vcc_lo, 0x428cfa52
	v_pk_mov_b32 v[166:167], v[66:67], v[66:67] op_sel:[0,1]
	s_mov_b32 vcc_hi, 0x3efa7074
	v_fmac_f64_e32 v[166:167], vcc, v[164:165]
	v_pk_mov_b32 v[178:179], v[68:69], v[68:69] op_sel:[0,1]
	v_fmac_f64_e32 v[178:179], v[164:165], v[166:167]
	v_pk_mov_b32 v[166:167], v[70:71], v[70:71] op_sel:[0,1]
	v_fmac_f64_e32 v[166:167], v[164:165], v[178:179]
	v_pk_mov_b32 v[178:179], v[72:73], v[72:73] op_sel:[0,1]
	s_mov_b32 vcc_lo, 0x90a45837
	v_fmac_f64_e32 v[178:179], v[164:165], v[166:167]
	v_pk_mov_b32 v[180:181], v[74:75], v[74:75] op_sel:[0,1]
	v_pk_mov_b32 v[166:167], v[76:77], v[76:77] op_sel:[0,1]
	s_mov_b32 vcc_hi, 0x3f07858e
	v_fmac_f64_e32 v[180:181], v[164:165], v[178:179]
	v_fmac_f64_e32 v[166:167], vcc, v[164:165]
	v_pk_mov_b32 v[178:179], v[78:79], v[78:79] op_sel:[0,1]
	v_fmac_f64_e32 v[178:179], v[164:165], v[166:167]
	v_pk_mov_b32 v[166:167], v[80:81], v[80:81] op_sel:[0,1]
	v_fmac_f64_e32 v[166:167], v[164:165], v[178:179]
	;; [unrolled: 2-line block ×4, first 2 shown]
	v_mul_f64 v[166:167], v[164:165], v[166:167]
	v_fmac_f64_e32 v[166:167], v[162:163], v[180:181]
	v_fmac_f64_e32 v[166:167], -0.5, v[162:163]
                                        ; implicit-def: $vgpr162_vgpr163
                                        ; implicit-def: $vgpr164_vgpr165
.LBB12_135:                             ;   in Loop: Header=BB12_4 Depth=1
	s_andn2_saveexec_b64 s[82:83], s[82:83]
	s_cbranch_execz .LBB12_137
; %bb.136:                              ;   in Loop: Header=BB12_4 Depth=1
	s_mov_b32 vcc_lo, 0x6c0ebbf7
	v_mul_f64 v[166:167], v[162:163], v[164:165]
	v_pk_mov_b32 v[178:179], v[86:87], v[86:87] op_sel:[0,1]
	s_mov_b32 vcc_hi, 0x3f34af6d
	v_fmac_f64_e32 v[178:179], vcc, v[166:167]
	v_pk_mov_b32 v[180:181], v[88:89], v[88:89] op_sel:[0,1]
	v_fmac_f64_e32 v[180:181], v[166:167], v[178:179]
	v_pk_mov_b32 v[178:179], v[90:91], v[90:91] op_sel:[0,1]
	v_fmac_f64_e32 v[178:179], v[166:167], v[180:181]
	;; [unrolled: 2-line block ×11, first 2 shown]
	v_fmac_f64_e32 v[182:183], v[162:163], v[184:185]
	v_fma_f64 v[162:163], v[166:167], -v[182:183], s[58:59]
	v_fma_f64 v[162:163], v[164:165], v[180:181], -v[162:163]
	v_add_f64 v[166:167], v[162:163], s[60:61]
.LBB12_137:                             ;   in Loop: Header=BB12_4 Depth=1
	s_or_b64 exec, exec, s[82:83]
.LBB12_138:                             ;   in Loop: Header=BB12_4 Depth=1
	s_or_b64 exec, exec, s[80:81]
	v_add_f64 v[160:161], v[160:161], v[166:167]
.LBB12_139:                             ;   in Loop: Header=BB12_4 Depth=1
	s_or_b64 exec, exec, s[78:79]
.LBB12_140:                             ;   in Loop: Header=BB12_4 Depth=1
	s_andn2_saveexec_b64 s[10:11], s[10:11]
	s_cbranch_execz .LBB12_142
; %bb.141:                              ;   in Loop: Header=BB12_4 Depth=1
	v_frexp_mant_f64_e64 v[162:163], |v[138:139]|
	v_cmp_gt_f64_e32 vcc, s[18:19], v[162:163]
	v_cndmask_b32_e64 v135, v174, 2.0, vcc
	v_mul_f64 v[162:163], v[162:163], v[134:135]
	v_add_f64 v[164:165], v[162:163], 1.0
	v_rcp_f64_e32 v[166:167], v[164:165]
	v_add_f64 v[180:181], v[164:165], -1.0
	v_add_f64 v[178:179], v[162:163], -1.0
	v_add_f64 v[162:163], v[162:163], -v[180:181]
	v_fma_f64 v[180:181], -v[164:165], v[166:167], 1.0
	v_fmac_f64_e32 v[166:167], v[180:181], v[166:167]
	v_fma_f64 v[180:181], -v[164:165], v[166:167], 1.0
	v_fmac_f64_e32 v[166:167], v[180:181], v[166:167]
	v_mul_f64 v[180:181], v[178:179], v[166:167]
	v_mul_f64 v[182:183], v[164:165], v[180:181]
	v_fma_f64 v[164:165], v[180:181], v[164:165], -v[182:183]
	v_fmac_f64_e32 v[164:165], v[180:181], v[162:163]
	v_add_f64 v[162:163], v[182:183], v[164:165]
	v_add_f64 v[184:185], v[178:179], -v[162:163]
	v_add_f64 v[182:183], v[162:163], -v[182:183]
	;; [unrolled: 1-line block ×5, first 2 shown]
	v_add_f64 v[162:163], v[164:165], v[162:163]
	v_add_f64 v[162:163], v[184:185], v[162:163]
	v_mul_f64 v[162:163], v[166:167], v[162:163]
	v_add_f64 v[164:165], v[180:181], v[162:163]
	v_add_f64 v[166:167], v[164:165], -v[180:181]
	v_add_f64 v[162:163], v[162:163], -v[166:167]
	v_mul_f64 v[166:167], v[164:165], v[164:165]
	v_pk_mov_b32 v[178:179], v[6:7], v[6:7] op_sel:[0,1]
	v_fmac_f64_e32 v[178:179], s[20:21], v[166:167]
	v_pk_mov_b32 v[180:181], v[8:9], v[8:9] op_sel:[0,1]
	v_fmac_f64_e32 v[180:181], v[166:167], v[178:179]
	;; [unrolled: 2-line block ×6, first 2 shown]
	v_ldexp_f64 v[178:179], v[164:165], 1
	v_mul_f64 v[164:165], v[164:165], v[166:167]
	v_mul_f64 v[164:165], v[164:165], v[180:181]
	v_add_f64 v[166:167], v[178:179], v[164:165]
	v_add_f64 v[178:179], v[166:167], -v[178:179]
	v_ldexp_f64 v[162:163], v[162:163], 1
	v_add_f64 v[164:165], v[164:165], -v[178:179]
	v_add_f64 v[162:163], v[162:163], v[164:165]
	v_frexp_exp_i32_f64_e32 v136, v[138:139]
	v_add_f64 v[164:165], v[166:167], v[162:163]
	v_subbrev_co_u32_e32 v135, vcc, 0, v136, vcc
	v_add_f64 v[166:167], v[164:165], -v[166:167]
	v_add_f64 v[162:163], v[162:163], -v[166:167]
	v_cvt_f64_i32_e32 v[166:167], v135
	v_mul_f64 v[178:179], v[166:167], s[22:23]
	v_fma_f64 v[180:181], v[166:167], s[22:23], -v[178:179]
	v_fmac_f64_e32 v[180:181], s[24:25], v[166:167]
	v_add_f64 v[166:167], v[178:179], v[180:181]
	v_add_f64 v[178:179], v[166:167], -v[178:179]
	v_add_f64 v[178:179], v[180:181], -v[178:179]
	v_add_f64 v[180:181], v[166:167], v[164:165]
	v_add_f64 v[182:183], v[180:181], -v[166:167]
	v_add_f64 v[184:185], v[180:181], -v[182:183]
	;; [unrolled: 1-line block ×4, first 2 shown]
	v_add_f64 v[164:165], v[164:165], v[166:167]
	v_add_f64 v[166:167], v[178:179], v[162:163]
	v_add_f64 v[182:183], v[166:167], -v[178:179]
	v_add_f64 v[184:185], v[166:167], -v[182:183]
	v_add_f64 v[164:165], v[166:167], v[164:165]
	v_add_f64 v[178:179], v[178:179], -v[184:185]
	v_add_f64 v[162:163], v[162:163], -v[182:183]
	v_add_f64 v[166:167], v[180:181], v[164:165]
	v_add_f64 v[162:163], v[162:163], v[178:179]
	v_add_f64 v[178:179], v[166:167], -v[180:181]
	v_add_f64 v[164:165], v[164:165], -v[178:179]
	v_fma_f64 v[160:161], |v[138:139]|, s[62:63], v[110:111]
	v_add_f64 v[162:163], v[162:163], v[164:165]
	v_fma_f64 v[160:161], |v[138:139]|, v[160:161], s[64:65]
	v_add_f64 v[162:163], v[166:167], v[162:163]
	v_cmp_class_f64_e64 vcc, v[138:139], s84
	v_fma_f64 v[160:161], |v[138:139]|, v[160:161], s[66:67]
	v_cndmask_b32_e32 v135, v162, v138, vcc
	v_cndmask_b32_e64 v136, -v163, -v159, vcc
	v_cmp_neq_f64_e32 vcc, 0, v[138:139]
	v_fma_f64 v[160:161], |v[138:139]|, v[160:161], s[68:69]
	v_cndmask_b32_e32 v163, v177, v136, vcc
	v_cndmask_b32_e32 v162, 0, v135, vcc
	v_fma_f64 v[160:161], |v[138:139]|, v[160:161], v[162:163]
.LBB12_142:                             ;   in Loop: Header=BB12_4 Depth=1
	s_or_b64 exec, exec, s[10:11]
	v_cmp_le_f64_e32 vcc, 0, v[138:139]
	s_and_saveexec_b64 s[10:11], vcc
	s_xor_b64 s[78:79], exec, s[10:11]
	s_cbranch_execnz .LBB12_148
; %bb.143:                              ;   in Loop: Header=BB12_4 Depth=1
	s_andn2_saveexec_b64 s[10:11], s[78:79]
	s_cbranch_execnz .LBB12_149
.LBB12_144:                             ;   in Loop: Header=BB12_4 Depth=1
	s_or_b64 exec, exec, s[10:11]
	s_and_saveexec_b64 s[10:11], s[8:9]
	s_xor_b64 s[78:79], exec, s[10:11]
	s_cbranch_execnz .LBB12_152
.LBB12_145:                             ;   in Loop: Header=BB12_4 Depth=1
	s_or_b64 exec, exec, s[78:79]
	s_and_saveexec_b64 s[10:11], s[6:7]
	s_cbranch_execnz .LBB12_153
.LBB12_146:                             ;   in Loop: Header=BB12_4 Depth=1
	s_or_b64 exec, exec, s[10:11]
	s_and_saveexec_b64 s[8:9], s[2:3]
	s_cbranch_execnz .LBB12_154
.LBB12_147:                             ;   in Loop: Header=BB12_4 Depth=1
	s_or_b64 exec, exec, s[8:9]
	s_and_saveexec_b64 s[6:7], s[0:1]
	s_cbranch_execz .LBB12_3
	s_branch .LBB12_155
.LBB12_148:                             ;   in Loop: Header=BB12_4 Depth=1
	v_cmp_eq_f64_e32 vcc, 1.0, v[138:139]
	v_cmp_eq_f64_e64 s[10:11], 2.0, v[138:139]
	s_or_b64 s[10:11], vcc, s[10:11]
	v_cndmask_b32_e64 v161, v161, 0, s[10:11]
	v_cndmask_b32_e64 v160, v160, 0, s[10:11]
	s_andn2_saveexec_b64 s[10:11], s[78:79]
	s_cbranch_execz .LBB12_144
.LBB12_149:                             ;   in Loop: Header=BB12_4 Depth=1
	v_add_u32_e32 v135, 0xc32fffff, v159
	v_cmp_gt_u32_e32 vcc, s51, v135
	s_and_saveexec_b64 s[78:79], vcc
	s_cbranch_execz .LBB12_151
; %bb.150:                              ;   in Loop: Header=BB12_4 Depth=1
	v_mul_f64 v[162:163], |v[138:139]|, 0.5
	v_fract_f64_e32 v[164:165], v[162:163]
	v_add_f64 v[164:165], v[164:165], v[164:165]
	v_cmp_neq_f64_e64 vcc, |v[162:163]|, s[70:71]
	v_cndmask_b32_e32 v135, 0, v164, vcc
	v_cndmask_b32_e32 v136, 0, v165, vcc
	v_cmp_gt_f64_e64 vcc, |v[138:139]|, 1.0
	v_cndmask_b32_e32 v163, v159, v136, vcc
	v_cndmask_b32_e32 v162, v138, v135, vcc
	v_add_f64 v[164:165], v[162:163], v[162:163]
	v_rndne_f64_e32 v[164:165], v[164:165]
	v_fmac_f64_e32 v[162:163], -0.5, v[164:165]
	v_cvt_i32_f64_e32 v135, v[164:165]
	v_mul_f64 v[164:165], v[162:163], v[162:163]
	v_pk_mov_b32 v[166:167], v[112:113], v[112:113] op_sel:[0,1]
	v_fmac_f64_e32 v[166:167], s[72:73], v[164:165]
	v_pk_mov_b32 v[178:179], v[114:115], v[114:115] op_sel:[0,1]
	v_fmac_f64_e32 v[178:179], v[164:165], v[166:167]
	;; [unrolled: 2-line block ×5, first 2 shown]
	v_mul_f64 v[178:179], v[162:163], v[164:165]
	v_mul_f64 v[166:167], v[178:179], v[166:167]
	v_fmac_f64_e32 v[166:167], s[74:75], v[162:163]
	v_pk_mov_b32 v[162:163], v[122:123], v[122:123] op_sel:[0,1]
	v_fmac_f64_e32 v[162:163], s[76:77], v[164:165]
	v_pk_mov_b32 v[178:179], v[124:125], v[124:125] op_sel:[0,1]
	;; [unrolled: 2-line block ×6, first 2 shown]
	v_fmac_f64_e32 v[178:179], v[164:165], v[162:163]
	v_and_b32_e32 v136, 1, v135
	v_lshlrev_b32_e32 v135, 30, v135
	v_fma_f64 v[162:163], v[164:165], v[178:179], 1.0
	v_cmp_eq_u32_e32 vcc, 0, v136
	v_xor_b32_e32 v135, v135, v139
	v_cndmask_b32_e32 v146, v163, v167, vcc
	v_and_b32_e32 v135, 0x80000000, v135
	v_cndmask_b32_e32 v136, v162, v166, vcc
	v_xor_b32_e32 v135, v146, v135
	v_cmp_class_f64_e64 vcc, v[138:139], s52
	v_cndmask_b32_e32 v162, 0, v136, vcc
	v_cndmask_b32_e32 v163, v176, v135, vcc
	v_mul_f64 v[162:163], v[138:139], v[162:163]
	v_and_b32_e32 v165, 0x7fffffff, v163
	v_mov_b32_e32 v164, v162
	v_div_scale_f64 v[166:167], s[80:81], v[164:165], v[164:165], s[74:75]
	v_rcp_f64_e32 v[178:179], v[166:167]
	v_div_scale_f64 v[164:165], vcc, s[74:75], v[164:165], s[74:75]
	v_cmp_class_f64_e64 s[80:81], v[138:139], s84
	v_fma_f64 v[180:181], -v[166:167], v[178:179], 1.0
	v_fmac_f64_e32 v[178:179], v[178:179], v[180:181]
	v_fma_f64 v[180:181], -v[166:167], v[178:179], 1.0
	v_fmac_f64_e32 v[178:179], v[178:179], v[180:181]
	v_mul_f64 v[180:181], v[164:165], v[178:179]
	v_fma_f64 v[164:165], -v[166:167], v[180:181], v[164:165]
	v_div_fmas_f64 v[164:165], v[164:165], v[178:179], v[180:181]
	v_div_fixup_f64 v[162:163], v[164:165], |v[162:163]|, s[74:75]
	v_frexp_mant_f64_e32 v[164:165], v[162:163]
	v_cmp_gt_f64_e32 vcc, s[18:19], v[164:165]
	v_cndmask_b32_e64 v135, v174, 2.0, vcc
	v_mul_f64 v[164:165], v[164:165], v[134:135]
	v_add_f64 v[166:167], v[164:165], 1.0
	v_rcp_f64_e32 v[178:179], v[166:167]
	v_add_f64 v[182:183], v[166:167], -1.0
	v_add_f64 v[180:181], v[164:165], -1.0
	v_add_f64 v[164:165], v[164:165], -v[182:183]
	v_fma_f64 v[182:183], -v[166:167], v[178:179], 1.0
	v_fmac_f64_e32 v[178:179], v[182:183], v[178:179]
	v_fma_f64 v[182:183], -v[166:167], v[178:179], 1.0
	v_fmac_f64_e32 v[178:179], v[182:183], v[178:179]
	v_mul_f64 v[182:183], v[180:181], v[178:179]
	v_mul_f64 v[184:185], v[166:167], v[182:183]
	v_fma_f64 v[166:167], v[182:183], v[166:167], -v[184:185]
	v_fmac_f64_e32 v[166:167], v[182:183], v[164:165]
	v_add_f64 v[164:165], v[184:185], v[166:167]
	v_add_f64 v[186:187], v[180:181], -v[164:165]
	v_add_f64 v[184:185], v[164:165], -v[184:185]
	;; [unrolled: 1-line block ×5, first 2 shown]
	v_add_f64 v[164:165], v[166:167], v[164:165]
	v_add_f64 v[164:165], v[186:187], v[164:165]
	v_mul_f64 v[164:165], v[178:179], v[164:165]
	v_add_f64 v[166:167], v[182:183], v[164:165]
	v_add_f64 v[178:179], v[166:167], -v[182:183]
	v_add_f64 v[164:165], v[164:165], -v[178:179]
	v_mul_f64 v[178:179], v[166:167], v[166:167]
	v_pk_mov_b32 v[180:181], v[6:7], v[6:7] op_sel:[0,1]
	v_fmac_f64_e32 v[180:181], s[20:21], v[178:179]
	v_pk_mov_b32 v[182:183], v[8:9], v[8:9] op_sel:[0,1]
	v_fmac_f64_e32 v[182:183], v[178:179], v[180:181]
	;; [unrolled: 2-line block ×6, first 2 shown]
	v_ldexp_f64 v[180:181], v[166:167], 1
	v_mul_f64 v[166:167], v[166:167], v[178:179]
	v_mul_f64 v[166:167], v[166:167], v[182:183]
	v_add_f64 v[178:179], v[180:181], v[166:167]
	v_add_f64 v[180:181], v[178:179], -v[180:181]
	v_ldexp_f64 v[164:165], v[164:165], 1
	v_add_f64 v[166:167], v[166:167], -v[180:181]
	v_add_f64 v[164:165], v[164:165], v[166:167]
	v_frexp_exp_i32_f64_e32 v136, v[162:163]
	v_add_f64 v[166:167], v[178:179], v[164:165]
	v_subbrev_co_u32_e32 v135, vcc, 0, v136, vcc
	v_add_f64 v[178:179], v[166:167], -v[178:179]
	v_add_f64 v[164:165], v[164:165], -v[178:179]
	v_cvt_f64_i32_e32 v[178:179], v135
	v_mul_f64 v[180:181], v[178:179], s[22:23]
	v_fma_f64 v[182:183], v[178:179], s[22:23], -v[180:181]
	v_fmac_f64_e32 v[182:183], s[24:25], v[178:179]
	v_add_f64 v[178:179], v[180:181], v[182:183]
	v_add_f64 v[180:181], v[178:179], -v[180:181]
	v_add_f64 v[180:181], v[182:183], -v[180:181]
	v_add_f64 v[182:183], v[178:179], v[166:167]
	v_add_f64 v[184:185], v[182:183], -v[178:179]
	v_add_f64 v[186:187], v[182:183], -v[184:185]
	;; [unrolled: 1-line block ×4, first 2 shown]
	v_add_f64 v[166:167], v[166:167], v[178:179]
	v_add_f64 v[178:179], v[180:181], v[164:165]
	v_add_f64 v[184:185], v[178:179], -v[180:181]
	v_add_f64 v[186:187], v[178:179], -v[184:185]
	v_add_f64 v[166:167], v[178:179], v[166:167]
	v_add_f64 v[180:181], v[180:181], -v[186:187]
	v_add_f64 v[164:165], v[164:165], -v[184:185]
	v_add_f64 v[178:179], v[182:183], v[166:167]
	v_add_f64 v[164:165], v[164:165], v[180:181]
	v_add_f64 v[180:181], v[178:179], -v[182:183]
	v_add_f64 v[166:167], v[166:167], -v[180:181]
	v_add_f64 v[164:165], v[164:165], v[166:167]
	v_add_f64 v[164:165], v[178:179], v[164:165]
	v_cmp_class_f64_e64 vcc, v[162:163], s84
	v_cndmask_b32_e32 v135, v164, v162, vcc
	v_cndmask_b32_e32 v136, v165, v163, vcc
	v_cmp_neq_f64_e32 vcc, 0, v[162:163]
	v_cndmask_b32_e32 v163, v175, v136, vcc
	v_cndmask_b32_e32 v162, 0, v135, vcc
	v_add_f64 v[160:161], v[162:163], -v[160:161]
	v_fract_f64_e32 v[162:163], v[138:139]
	v_cmp_eq_f64_e32 vcc, 0, v[162:163]
	s_or_b64 vcc, s[80:81], vcc
	v_cndmask_b32_e32 v161, v161, v177, vcc
	v_cndmask_b32_e64 v160, v160, 0, vcc
.LBB12_151:                             ;   in Loop: Header=BB12_4 Depth=1
	s_or_b64 exec, exec, s[78:79]
	s_or_b64 exec, exec, s[10:11]
	s_and_saveexec_b64 s[10:11], s[8:9]
	s_xor_b64 s[78:79], exec, s[10:11]
	s_cbranch_execz .LBB12_145
.LBB12_152:                             ;   in Loop: Header=BB12_4 Depth=1
	v_cmp_gt_f64_e64 s[8:9], 0, v[142:143]
	v_cmp_lt_u32_e64 s[10:11], s53, v147
	v_cmp_class_f64_e32 vcc, v[142:143], v173
	s_and_b64 s[8:9], s[8:9], s[10:11]
	s_or_b64 vcc, vcc, s[8:9]
	v_cndmask_b32_e64 v135, v148, 0, vcc
	v_cndmask_b32_e32 v136, v149, v177, vcc
	v_cmp_u_f64_e32 vcc, v[142:143], v[142:143]
	v_cndmask_b32_e32 v143, v136, v143, vcc
	v_cndmask_b32_e32 v142, v135, v142, vcc
	global_store_dwordx2 v[2:3], v[142:143], off
	s_or_b64 exec, exec, s[78:79]
	s_and_saveexec_b64 s[10:11], s[6:7]
	s_cbranch_execz .LBB12_146
.LBB12_153:                             ;   in Loop: Header=BB12_4 Depth=1
	v_cmp_gt_f64_e64 s[6:7], 0, v[140:141]
	v_cmp_lt_u32_e64 s[8:9], s53, v151
	v_cmp_class_f64_e32 vcc, v[140:141], v173
	s_and_b64 s[6:7], s[6:7], s[8:9]
	s_or_b64 vcc, vcc, s[6:7]
	v_cndmask_b32_e64 v135, v152, 0, vcc
	v_cndmask_b32_e32 v136, v153, v177, vcc
	v_cmp_u_f64_e32 vcc, v[140:141], v[140:141]
	v_cndmask_b32_e32 v141, v136, v141, vcc
	v_cndmask_b32_e32 v140, v135, v140, vcc
	global_store_dwordx2 v[4:5], v[140:141], off
	s_or_b64 exec, exec, s[10:11]
	s_and_saveexec_b64 s[8:9], s[2:3]
	s_cbranch_execz .LBB12_147
.LBB12_154:                             ;   in Loop: Header=BB12_4 Depth=1
	v_cmp_gt_f64_e64 s[2:3], 0, v[144:145]
	v_cmp_lt_u32_e64 s[6:7], s53, v155
	v_cmp_class_f64_e32 vcc, v[144:145], v173
	s_and_b64 s[2:3], s[2:3], s[6:7]
	s_or_b64 vcc, vcc, s[2:3]
	v_cndmask_b32_e64 v135, v156, 0, vcc
	v_cndmask_b32_e32 v136, v157, v177, vcc
	v_cmp_u_f64_e32 vcc, v[144:145], v[144:145]
	v_cndmask_b32_e32 v141, v136, v145, vcc
	v_cndmask_b32_e32 v140, v135, v144, vcc
	v_mov_b32_e32 v135, s91
	v_add_co_u32_e32 v142, vcc, s90, v2
	v_addc_co_u32_e32 v143, vcc, v3, v135, vcc
	global_store_dwordx2 v[142:143], v[140:141], off
	s_or_b64 exec, exec, s[8:9]
	s_and_saveexec_b64 s[6:7], s[0:1]
	s_cbranch_execz .LBB12_3
.LBB12_155:                             ;   in Loop: Header=BB12_4 Depth=1
	v_cmp_gt_f64_e64 s[0:1], 0, v[138:139]
	v_cmp_lt_u32_e64 s[2:3], s53, v159
	v_cmp_class_f64_e32 vcc, v[138:139], v173
	s_and_b64 s[0:1], s[0:1], s[2:3]
	s_or_b64 vcc, vcc, s[0:1]
	v_cndmask_b32_e64 v135, v160, 0, vcc
	v_cndmask_b32_e32 v136, v161, v177, vcc
	v_cmp_u_f64_e32 vcc, v[138:139], v[138:139]
	v_cndmask_b32_e32 v139, v136, v139, vcc
	v_cndmask_b32_e32 v138, v135, v138, vcc
	v_mov_b32_e32 v135, s89
	v_add_co_u32_e32 v140, vcc, s88, v2
	v_addc_co_u32_e32 v141, vcc, v3, v135, vcc
	global_store_dwordx2 v[140:141], v[138:139], off
	s_branch .LBB12_3
.LBB12_156:
	s_cbranch_execz .LBB12_158
	s_branch .LBB12_297
.LBB12_157:
.LBB12_158:
	v_mov_b32_e32 v10, 0
	v_lshlrev_b32_e32 v2, 2, v0
	v_mov_b32_e32 v3, v10
	v_cmp_gt_i64_e32 vcc, s[12:13], v[2:3]
	s_and_saveexec_b64 s[0:1], vcc
	s_cbranch_execz .LBB12_297
; %bb.159:
	s_add_u32 s4, s4, 0xd30
	v_readlane_b32 s0, v188, 0
	s_mov_b32 s8, 0x55555555
	s_mov_b32 s10, 0xbf559e2b
	s_mov_b32 s14, 0xfefa39ef
	s_mov_b32 s16, 0x3b39803f
	s_mov_b32 s18, 0xb9e43e4
	s_mov_b32 s20, 0xdd17e945
	s_mov_b32 s22, 0xa5b38140
	s_mov_b32 s24, 0
	s_mov_b32 s26, 0
	s_mov_b32 s28, 0
	s_mov_b32 s30, 0x6356be3f
	s_mov_b32 s34, 0x8d5af8fc
	s_mov_b32 s36, 0xbf2bab09
	s_mov_b32 s38, 0x57d0cf61
	s_mov_b32 s40, 0x428cfa52
	s_mov_b32 s42, 0x90a45837
	s_mov_b32 s44, 0x6c0ebbf7
	s_mov_b32 s46, 0xecc38c38
	s_mov_b32 s48, 0xe8c2d3f4
	s_mov_b32 s50, 0xa48a971f
	s_mov_b32 s52, 0xbcc38a42
	s_mov_b32 s54, 0x17aa6149
	s_mov_b32 s56, 0x5beab2d7
	s_mov_b32 s58, 0x625307d3
	s_mov_b32 s60, 0xfc6fb619
	s_mov_b32 s62, 0
	s_mov_b32 s64, 0xf99eb0bb
	s_mov_b32 s66, 0x54442d18
	s_mov_b32 s68, 0x2e21c33
	v_mov_b32_e32 v1, v10
	s_addc_u32 s5, s5, 0
	s_mov_b64 s[6:7], 0
	v_mov_b32_e32 v166, s0
	s_mov_b32 s76, 0x3f6fffff
	s_brev_b32 s77, -4
	s_mov_b32 s78, 0x401fffff
	s_mov_b32 s79, 0x438fffff
	;; [unrolled: 1-line block ×6, first 2 shown]
	s_movk_i32 s80, 0x204
	s_mov_b32 s19, 0xbf5ab89d
	s_mov_b32 s21, 0x3f00bfec
	;; [unrolled: 1-line block ×31, first 2 shown]
	s_movk_i32 s87, 0x1f8
	v_mov_b32_e32 v167, 0x264
	s_mov_b32 s88, 0x432fffff
	s_mov_b64 s[70:71], 0xffff
	v_mov_b32_e32 v168, 0x3ff00000
	v_mov_b32_e32 v12, 0x6b47b09a
	;; [unrolled: 1-line block ×133, first 2 shown]
	s_branch .LBB12_162
.LBB12_160:                             ;   in Loop: Header=BB12_162 Depth=1
	s_or_b64 exec, exec, s[2:3]
.LBB12_161:                             ;   in Loop: Header=BB12_162 Depth=1
	s_or_b64 exec, exec, s[0:1]
	v_cmp_gt_f64_e64 s[0:1], 0, v[2:3]
	v_cmp_lt_u32_e64 s[2:3], s88, v153
	v_cmp_class_f64_e32 vcc, v[2:3], v167
	s_and_b64 s[0:1], s[0:1], s[2:3]
	s_or_b64 vcc, vcc, s[0:1]
	v_cndmask_b32_e64 v11, v154, 0, vcc
	v_cndmask_b32_e32 v48, v155, v171, vcc
	v_cmp_u_f64_e32 vcc, v[2:3], v[2:3]
	v_cmp_gt_f64_e64 s[0:1], 0, v[8:9]
	v_cmp_lt_u32_e64 s[2:3], s88, v149
	v_cndmask_b32_e32 v3, v48, v3, vcc
	v_cndmask_b32_e32 v2, v11, v2, vcc
	v_cmp_class_f64_e32 vcc, v[8:9], v167
	s_and_b64 s[0:1], s[0:1], s[2:3]
	s_or_b64 vcc, vcc, s[0:1]
	v_cndmask_b32_e64 v11, v150, 0, vcc
	v_cndmask_b32_e32 v48, v151, v171, vcc
	v_cmp_u_f64_e32 vcc, v[8:9], v[8:9]
	v_cmp_gt_f64_e64 s[0:1], 0, v[6:7]
	v_cmp_lt_u32_e64 s[2:3], s88, v145
	v_cndmask_b32_e32 v9, v48, v9, vcc
	v_cndmask_b32_e32 v8, v11, v8, vcc
	;; [unrolled: 10-line block ×3, first 2 shown]
	v_cmp_class_f64_e32 vcc, v[4:5], v167
	s_and_b64 s[0:1], s[0:1], s[2:3]
	s_or_b64 vcc, vcc, s[0:1]
	v_cndmask_b32_e64 v11, v158, 0, vcc
	v_cndmask_b32_e32 v48, v159, v171, vcc
	v_cmp_u_f64_e32 vcc, v[4:5], v[4:5]
	v_cndmask_b32_e32 v5, v48, v5, vcc
	v_cndmask_b32_e32 v4, v11, v4, vcc
	global_store_dwordx4 v[142:143], v[6:9], off
	global_store_dwordx4 v[142:143], v[2:5], off offset:16
	s_load_dword s0, s[4:5], 0xc
	s_waitcnt lgkmcnt(0)
	s_and_b32 s0, s0, 0xffff
	v_add_co_u32_e32 v0, vcc, s0, v0
	v_addc_co_u32_e32 v1, vcc, 0, v1, vcc
	v_lshlrev_b64 v[2:3], 2, v[0:1]
	v_cmp_le_i64_e32 vcc, s[12:13], v[2:3]
	v_cmp_lt_u64_e64 s[0:1], s[70:71], v[2:3]
	s_or_b64 s[0:1], vcc, s[0:1]
	s_and_b64 s[0:1], exec, s[0:1]
	s_or_b64 s[6:7], s[0:1], s[6:7]
	s_andn2_b64 exec, exec, s[6:7]
	s_cbranch_execz .LBB12_297
.LBB12_162:                             ; =>This Inner Loop Header: Depth=1
	v_lshlrev_b64 v[2:3], 5, v[0:1]
	v_add_co_u32_e32 v142, vcc, s33, v2
	v_addc_co_u32_e32 v143, vcc, v166, v3, vcc
	global_load_dwordx4 v[6:9], v[142:143], off
	global_load_dwordx4 v[2:5], v[142:143], off offset:16
                                        ; implicit-def: $vgpr146_vgpr147
	s_waitcnt vmcnt(1)
	v_and_b32_e32 v145, 0x7fffffff, v7
	v_mov_b32_e32 v144, v6
	v_cmp_lt_u32_e32 vcc, s76, v145
	s_and_saveexec_b64 s[0:1], vcc
	s_xor_b64 s[0:1], exec, s[0:1]
	s_cbranch_execz .LBB12_188
; %bb.163:                              ;   in Loop: Header=BB12_162 Depth=1
	v_cmp_lt_u32_e32 vcc, s77, v145
                                        ; implicit-def: $vgpr146_vgpr147
	s_and_saveexec_b64 s[2:3], vcc
	s_xor_b64 s[2:3], exec, s[2:3]
	s_cbranch_execz .LBB12_173
; %bb.164:                              ;   in Loop: Header=BB12_162 Depth=1
	v_cmp_lt_u32_e32 vcc, s78, v145
                                        ; implicit-def: $vgpr146_vgpr147
	;; [unrolled: 6-line block ×3, first 2 shown]
	s_and_saveexec_b64 s[74:75], vcc
	s_xor_b64 s[74:75], exec, s[74:75]
	s_cbranch_execz .LBB12_167
; %bb.166:                              ;   in Loop: Header=BB12_162 Depth=1
	v_frexp_mant_f64_e64 v[146:147], |v[6:7]|
	v_cmp_gt_f64_e32 vcc, s[8:9], v[146:147]
	v_cndmask_b32_e64 v11, v168, 2.0, vcc
	v_mul_f64 v[146:147], v[146:147], v[10:11]
	v_add_f64 v[148:149], v[146:147], 1.0
	v_rcp_f64_e32 v[150:151], v[148:149]
	v_add_f64 v[154:155], v[148:149], -1.0
	v_add_f64 v[152:153], v[146:147], -1.0
	v_add_f64 v[146:147], v[146:147], -v[154:155]
	v_fma_f64 v[154:155], -v[148:149], v[150:151], 1.0
	v_fmac_f64_e32 v[150:151], v[154:155], v[150:151]
	v_fma_f64 v[154:155], -v[148:149], v[150:151], 1.0
	v_fmac_f64_e32 v[150:151], v[154:155], v[150:151]
	v_mul_f64 v[154:155], v[152:153], v[150:151]
	v_mul_f64 v[156:157], v[148:149], v[154:155]
	v_fma_f64 v[148:149], v[154:155], v[148:149], -v[156:157]
	v_fmac_f64_e32 v[148:149], v[154:155], v[146:147]
	v_add_f64 v[146:147], v[156:157], v[148:149]
	v_add_f64 v[158:159], v[152:153], -v[146:147]
	v_add_f64 v[156:157], v[146:147], -v[156:157]
	;; [unrolled: 1-line block ×5, first 2 shown]
	v_add_f64 v[146:147], v[148:149], v[146:147]
	v_add_f64 v[146:147], v[158:159], v[146:147]
	v_mul_f64 v[146:147], v[150:151], v[146:147]
	v_add_f64 v[148:149], v[154:155], v[146:147]
	v_add_f64 v[150:151], v[148:149], -v[154:155]
	v_add_f64 v[146:147], v[146:147], -v[150:151]
	v_mul_f64 v[150:151], v[148:149], v[148:149]
	v_pk_mov_b32 v[152:153], v[12:13], v[12:13] op_sel:[0,1]
	v_fmac_f64_e32 v[152:153], s[10:11], v[150:151]
	v_pk_mov_b32 v[154:155], v[14:15], v[14:15] op_sel:[0,1]
	v_fmac_f64_e32 v[154:155], v[150:151], v[152:153]
	;; [unrolled: 2-line block ×6, first 2 shown]
	v_ldexp_f64 v[152:153], v[148:149], 1
	v_mul_f64 v[148:149], v[148:149], v[150:151]
	v_mul_f64 v[148:149], v[148:149], v[154:155]
	v_add_f64 v[150:151], v[152:153], v[148:149]
	v_add_f64 v[152:153], v[150:151], -v[152:153]
	v_ldexp_f64 v[146:147], v[146:147], 1
	v_add_f64 v[148:149], v[148:149], -v[152:153]
	v_add_f64 v[146:147], v[146:147], v[148:149]
	v_frexp_exp_i32_f64_e32 v144, v[6:7]
	v_add_f64 v[148:149], v[150:151], v[146:147]
	v_subbrev_co_u32_e32 v11, vcc, 0, v144, vcc
	v_add_f64 v[150:151], v[148:149], -v[150:151]
	v_add_f64 v[146:147], v[146:147], -v[150:151]
	v_cvt_f64_i32_e32 v[150:151], v11
	v_mul_f64 v[152:153], v[150:151], s[14:15]
	v_fma_f64 v[154:155], v[150:151], s[14:15], -v[152:153]
	v_fmac_f64_e32 v[154:155], s[16:17], v[150:151]
	v_add_f64 v[150:151], v[152:153], v[154:155]
	v_add_f64 v[152:153], v[150:151], -v[152:153]
	v_add_f64 v[152:153], v[154:155], -v[152:153]
	v_add_f64 v[154:155], v[150:151], v[148:149]
	v_add_f64 v[156:157], v[154:155], -v[150:151]
	v_add_f64 v[158:159], v[154:155], -v[156:157]
	;; [unrolled: 1-line block ×4, first 2 shown]
	v_add_f64 v[148:149], v[148:149], v[150:151]
	v_add_f64 v[150:151], v[152:153], v[146:147]
	v_add_f64 v[156:157], v[150:151], -v[152:153]
	v_add_f64 v[158:159], v[150:151], -v[156:157]
	v_add_f64 v[148:149], v[150:151], v[148:149]
	v_add_f64 v[152:153], v[152:153], -v[158:159]
	v_add_f64 v[146:147], v[146:147], -v[156:157]
	v_add_f64 v[150:151], v[154:155], v[148:149]
	v_add_f64 v[146:147], v[146:147], v[152:153]
	v_add_f64 v[152:153], v[150:151], -v[154:155]
	v_add_f64 v[148:149], v[148:149], -v[152:153]
	v_add_f64 v[146:147], v[146:147], v[148:149]
	v_and_b32_e32 v48, 0x7fffffff, v7
	v_add_f64 v[146:147], v[150:151], v[146:147]
	v_cmp_class_f64_e64 vcc, v[6:7], s80
	v_cndmask_b32_e32 v11, v146, v6, vcc
	v_cndmask_b32_e32 v48, v147, v48, vcc
	v_cmp_neq_f64_e32 vcc, 0, v[6:7]
	v_cndmask_b32_e32 v147, v169, v48, vcc
	v_cndmask_b32_e32 v146, 0, v11, vcc
	v_fma_f64 v[146:147], |v[6:7]|, v[146:147], -|v[6:7]|
.LBB12_167:                             ;   in Loop: Header=BB12_162 Depth=1
	s_andn2_saveexec_b64 s[74:75], s[74:75]
	s_cbranch_execz .LBB12_169
; %bb.168:                              ;   in Loop: Header=BB12_162 Depth=1
	v_and_b32_e32 v149, 0x7fffffff, v7
	v_mov_b32_e32 v148, v6
	v_div_scale_f64 v[146:147], s[90:91], v[148:149], v[148:149], 1.0
	v_rcp_f64_e32 v[150:151], v[146:147]
	v_frexp_exp_i32_f64_e32 v48, v[6:7]
	v_fma_f64 v[152:153], -v[146:147], v[150:151], 1.0
	v_fmac_f64_e32 v[150:151], v[150:151], v[152:153]
	v_fma_f64 v[152:153], -v[146:147], v[150:151], 1.0
	v_fmac_f64_e32 v[150:151], v[150:151], v[152:153]
	v_div_scale_f64 v[152:153], vcc, 1.0, v[148:149], 1.0
	v_mul_f64 v[154:155], v[152:153], v[150:151]
	v_fma_f64 v[146:147], -v[146:147], v[154:155], v[152:153]
	v_pk_mov_b32 v[152:153], v[24:25], v[24:25] op_sel:[0,1]
	s_nop 0
	v_div_fmas_f64 v[146:147], v[146:147], v[150:151], v[154:155]
	v_div_fixup_f64 v[150:151], v[146:147], |v[6:7]|, 1.0
	v_mul_f64 v[146:147], v[150:151], v[150:151]
	v_fmac_f64_e32 v[152:153], s[18:19], v[146:147]
	v_pk_mov_b32 v[154:155], v[26:27], v[26:27] op_sel:[0,1]
	v_fmac_f64_e32 v[154:155], v[146:147], v[152:153]
	v_pk_mov_b32 v[152:153], v[28:29], v[28:29] op_sel:[0,1]
	;; [unrolled: 2-line block ×5, first 2 shown]
	v_fmac_f64_e32 v[146:147], v[150:151], v[152:153]
	v_frexp_mant_f64_e64 v[152:153], |v[6:7]|
	v_cmp_gt_f64_e32 vcc, s[8:9], v[152:153]
	v_cndmask_b32_e64 v11, v168, 2.0, vcc
	v_mul_f64 v[152:153], v[152:153], v[10:11]
	v_add_f64 v[154:155], v[152:153], 1.0
	v_rcp_f64_e32 v[156:157], v[154:155]
	v_add_f64 v[160:161], v[154:155], -1.0
	v_add_f64 v[158:159], v[152:153], -1.0
	v_add_f64 v[152:153], v[152:153], -v[160:161]
	v_fma_f64 v[160:161], -v[154:155], v[156:157], 1.0
	v_fmac_f64_e32 v[156:157], v[160:161], v[156:157]
	v_fma_f64 v[160:161], -v[154:155], v[156:157], 1.0
	v_fmac_f64_e32 v[156:157], v[160:161], v[156:157]
	v_mul_f64 v[160:161], v[158:159], v[156:157]
	v_mul_f64 v[162:163], v[154:155], v[160:161]
	v_fma_f64 v[154:155], v[160:161], v[154:155], -v[162:163]
	v_fmac_f64_e32 v[154:155], v[160:161], v[152:153]
	v_add_f64 v[152:153], v[162:163], v[154:155]
	v_add_f64 v[164:165], v[158:159], -v[152:153]
	v_add_f64 v[162:163], v[152:153], -v[162:163]
	;; [unrolled: 1-line block ×5, first 2 shown]
	v_add_f64 v[152:153], v[154:155], v[152:153]
	v_add_f64 v[152:153], v[164:165], v[152:153]
	v_mul_f64 v[152:153], v[156:157], v[152:153]
	v_add_f64 v[154:155], v[160:161], v[152:153]
	v_add_f64 v[156:157], v[154:155], -v[160:161]
	v_add_f64 v[152:153], v[152:153], -v[156:157]
	v_mul_f64 v[156:157], v[154:155], v[154:155]
	v_pk_mov_b32 v[158:159], v[12:13], v[12:13] op_sel:[0,1]
	v_fmac_f64_e32 v[158:159], s[10:11], v[156:157]
	v_pk_mov_b32 v[160:161], v[14:15], v[14:15] op_sel:[0,1]
	v_fmac_f64_e32 v[160:161], v[156:157], v[158:159]
	;; [unrolled: 2-line block ×6, first 2 shown]
	v_ldexp_f64 v[158:159], v[154:155], 1
	v_mul_f64 v[154:155], v[154:155], v[156:157]
	v_mul_f64 v[154:155], v[154:155], v[160:161]
	v_add_f64 v[156:157], v[158:159], v[154:155]
	v_add_f64 v[158:159], v[156:157], -v[158:159]
	v_ldexp_f64 v[152:153], v[152:153], 1
	v_add_f64 v[154:155], v[154:155], -v[158:159]
	v_add_f64 v[152:153], v[152:153], v[154:155]
	v_add_f64 v[154:155], v[156:157], v[152:153]
	v_subbrev_co_u32_e32 v11, vcc, 0, v48, vcc
	v_add_f64 v[156:157], v[154:155], -v[156:157]
	v_add_f64 v[152:153], v[152:153], -v[156:157]
	v_cvt_f64_i32_e32 v[156:157], v11
	v_mul_f64 v[158:159], v[156:157], s[14:15]
	v_fma_f64 v[160:161], v[156:157], s[14:15], -v[158:159]
	v_fmac_f64_e32 v[160:161], s[16:17], v[156:157]
	v_add_f64 v[156:157], v[158:159], v[160:161]
	v_add_f64 v[158:159], v[156:157], -v[158:159]
	v_add_f64 v[158:159], v[160:161], -v[158:159]
	v_add_f64 v[160:161], v[156:157], v[154:155]
	v_add_f64 v[162:163], v[160:161], -v[156:157]
	v_add_f64 v[164:165], v[160:161], -v[162:163]
	;; [unrolled: 1-line block ×4, first 2 shown]
	v_add_f64 v[154:155], v[154:155], v[156:157]
	v_add_f64 v[156:157], v[158:159], v[152:153]
	v_add_f64 v[162:163], v[156:157], -v[158:159]
	v_add_f64 v[164:165], v[156:157], -v[162:163]
	v_add_f64 v[154:155], v[156:157], v[154:155]
	v_add_f64 v[158:159], v[158:159], -v[164:165]
	v_add_f64 v[152:153], v[152:153], -v[162:163]
	v_add_f64 v[156:157], v[160:161], v[154:155]
	v_add_f64 v[152:153], v[152:153], v[158:159]
	v_add_f64 v[158:159], v[156:157], -v[160:161]
	v_add_f64 v[154:155], v[154:155], -v[158:159]
	v_add_f64 v[152:153], v[152:153], v[154:155]
	v_add_f64 v[152:153], v[156:157], v[152:153]
	v_cmp_class_f64_e64 vcc, v[6:7], s80
	v_cndmask_b32_e32 v149, v153, v149, vcc
	v_cndmask_b32_e32 v148, v152, v148, vcc
	v_add_f64 v[148:149], v[148:149], -1.0
	v_cmp_neq_f64_e32 vcc, 0, v[6:7]
	v_add_f64 v[150:151], |v[6:7]|, -0.5
	v_cndmask_b32_e32 v149, v169, v149, vcc
	v_cndmask_b32_e32 v148, 0, v148, vcc
	v_fmac_f64_e32 v[146:147], v[150:151], v[148:149]
.LBB12_169:                             ;   in Loop: Header=BB12_162 Depth=1
	s_or_b64 exec, exec, s[74:75]
.LBB12_170:                             ;   in Loop: Header=BB12_162 Depth=1
	s_andn2_saveexec_b64 s[72:73], s[72:73]
	s_cbranch_execz .LBB12_172
; %bb.171:                              ;   in Loop: Header=BB12_162 Depth=1
	v_cvt_i32_f64_e32 v11, v[144:145]
	v_cvt_f64_i32_e32 v[146:147], v11
	v_add_f64 v[146:147], |v[6:7]|, -v[146:147]
	v_pk_mov_b32 v[148:149], v[36:37], v[36:37] op_sel:[0,1]
	v_fmac_f64_e32 v[148:149], s[20:21], v[146:147]
	v_pk_mov_b32 v[150:151], v[38:39], v[38:39] op_sel:[0,1]
	v_fmac_f64_e32 v[150:151], v[146:147], v[148:149]
	;; [unrolled: 2-line block ×4, first 2 shown]
	v_pk_mov_b32 v[148:149], v[44:45], v[44:45] op_sel:[0,1]
	v_mov_b32_e32 v48, v46
	v_fmac_f64_e32 v[148:149], v[146:147], v[150:151]
	v_pk_mov_b32 v[150:151], v[48:49], v[48:49] op_sel:[0,1]
	v_fmac_f64_e32 v[150:151], v[146:147], v[148:149]
	v_mul_f64 v[148:149], v[146:147], v[150:151]
	v_pk_mov_b32 v[150:151], v[50:51], v[50:51] op_sel:[0,1]
	v_fmac_f64_e32 v[150:151], s[22:23], v[146:147]
	v_pk_mov_b32 v[152:153], v[52:53], v[52:53] op_sel:[0,1]
	v_fmac_f64_e32 v[152:153], v[146:147], v[150:151]
	;; [unrolled: 2-line block ×5, first 2 shown]
	v_fma_f64 v[150:151], v[146:147], v[150:151], 1.0
	v_div_scale_f64 v[152:153], s[74:75], v[150:151], v[150:151], v[148:149]
	v_rcp_f64_e32 v[154:155], v[152:153]
	v_fma_f64 v[156:157], -v[152:153], v[154:155], 1.0
	v_fmac_f64_e32 v[154:155], v[154:155], v[156:157]
	v_fma_f64 v[156:157], -v[152:153], v[154:155], 1.0
	v_fmac_f64_e32 v[154:155], v[154:155], v[156:157]
	v_div_scale_f64 v[156:157], vcc, v[148:149], v[150:151], v[148:149]
	v_mul_f64 v[158:159], v[156:157], v[154:155]
	v_fma_f64 v[152:153], -v[152:153], v[158:159], v[156:157]
	v_add_f64 v[156:157], v[146:147], s[26:27]
	s_nop 0
	v_div_fmas_f64 v[152:153], v[152:153], v[154:155], v[158:159]
	v_div_fixup_f64 v[148:149], v[152:153], v[150:151], v[148:149]
	v_add_f64 v[150:151], v[146:147], 2.0
	v_cmp_lt_i32_e32 vcc, 2, v11
	v_add_f64 v[152:153], v[146:147], s[24:25]
	v_cndmask_b32_e32 v151, v168, v151, vcc
	v_cndmask_b32_e32 v150, 0, v150, vcc
	v_cmp_lt_i32_e32 vcc, 3, v11
	v_add_f64 v[154:155], v[146:147], 4.0
	v_cndmask_b32_e32 v153, v168, v153, vcc
	v_cndmask_b32_e32 v152, 0, v152, vcc
	v_cmp_lt_i32_e32 vcc, 4, v11
	v_mul_f64 v[150:151], v[150:151], v[152:153]
	v_cndmask_b32_e32 v153, v168, v155, vcc
	v_cndmask_b32_e32 v152, 0, v154, vcc
	v_cmp_lt_i32_e32 vcc, 5, v11
	v_fmac_f64_e32 v[148:149], 0.5, v[146:147]
	v_add_f64 v[146:147], v[146:147], s[28:29]
	v_mul_f64 v[150:151], v[152:153], v[150:151]
	v_cndmask_b32_e32 v153, v168, v157, vcc
	v_cndmask_b32_e32 v152, 0, v156, vcc
	v_cmp_lt_i32_e32 vcc, 6, v11
	v_mul_f64 v[150:151], v[152:153], v[150:151]
	v_cndmask_b32_e32 v147, v168, v147, vcc
	v_cndmask_b32_e32 v146, 0, v146, vcc
	v_mul_f64 v[146:147], v[146:147], v[150:151]
	v_frexp_mant_f64_e32 v[150:151], v[146:147]
	v_cmp_gt_f64_e32 vcc, s[8:9], v[150:151]
	v_cndmask_b32_e64 v11, v168, 2.0, vcc
	v_mul_f64 v[150:151], v[150:151], v[10:11]
	v_add_f64 v[152:153], v[150:151], 1.0
	v_rcp_f64_e32 v[154:155], v[152:153]
	v_add_f64 v[158:159], v[152:153], -1.0
	v_add_f64 v[156:157], v[150:151], -1.0
	v_add_f64 v[150:151], v[150:151], -v[158:159]
	v_fma_f64 v[158:159], -v[152:153], v[154:155], 1.0
	v_fmac_f64_e32 v[154:155], v[158:159], v[154:155]
	v_fma_f64 v[158:159], -v[152:153], v[154:155], 1.0
	v_fmac_f64_e32 v[154:155], v[158:159], v[154:155]
	v_mul_f64 v[158:159], v[156:157], v[154:155]
	v_mul_f64 v[160:161], v[152:153], v[158:159]
	v_fma_f64 v[152:153], v[158:159], v[152:153], -v[160:161]
	v_fmac_f64_e32 v[152:153], v[158:159], v[150:151]
	v_add_f64 v[150:151], v[160:161], v[152:153]
	v_add_f64 v[162:163], v[156:157], -v[150:151]
	v_add_f64 v[160:161], v[150:151], -v[160:161]
	;; [unrolled: 1-line block ×5, first 2 shown]
	v_add_f64 v[150:151], v[152:153], v[150:151]
	v_add_f64 v[150:151], v[162:163], v[150:151]
	v_mul_f64 v[150:151], v[154:155], v[150:151]
	v_add_f64 v[152:153], v[158:159], v[150:151]
	v_add_f64 v[154:155], v[152:153], -v[158:159]
	v_add_f64 v[150:151], v[150:151], -v[154:155]
	v_mul_f64 v[154:155], v[152:153], v[152:153]
	v_pk_mov_b32 v[156:157], v[12:13], v[12:13] op_sel:[0,1]
	v_fmac_f64_e32 v[156:157], s[10:11], v[154:155]
	v_pk_mov_b32 v[158:159], v[14:15], v[14:15] op_sel:[0,1]
	v_fmac_f64_e32 v[158:159], v[154:155], v[156:157]
	;; [unrolled: 2-line block ×6, first 2 shown]
	v_ldexp_f64 v[156:157], v[152:153], 1
	v_mul_f64 v[152:153], v[152:153], v[154:155]
	v_mul_f64 v[152:153], v[152:153], v[158:159]
	v_add_f64 v[154:155], v[156:157], v[152:153]
	v_add_f64 v[156:157], v[154:155], -v[156:157]
	v_ldexp_f64 v[150:151], v[150:151], 1
	v_add_f64 v[152:153], v[152:153], -v[156:157]
	v_add_f64 v[150:151], v[150:151], v[152:153]
	v_frexp_exp_i32_f64_e32 v48, v[146:147]
	v_add_f64 v[152:153], v[154:155], v[150:151]
	v_subbrev_co_u32_e32 v11, vcc, 0, v48, vcc
	v_add_f64 v[154:155], v[152:153], -v[154:155]
	v_add_f64 v[150:151], v[150:151], -v[154:155]
	v_cvt_f64_i32_e32 v[154:155], v11
	v_mul_f64 v[156:157], v[154:155], s[14:15]
	v_fma_f64 v[158:159], v[154:155], s[14:15], -v[156:157]
	v_fmac_f64_e32 v[158:159], s[16:17], v[154:155]
	v_add_f64 v[154:155], v[156:157], v[158:159]
	v_add_f64 v[156:157], v[154:155], -v[156:157]
	v_add_f64 v[156:157], v[158:159], -v[156:157]
	v_add_f64 v[158:159], v[154:155], v[152:153]
	v_add_f64 v[160:161], v[158:159], -v[154:155]
	v_add_f64 v[162:163], v[158:159], -v[160:161]
	v_add_f64 v[154:155], v[154:155], -v[162:163]
	v_add_f64 v[152:153], v[152:153], -v[160:161]
	v_add_f64 v[152:153], v[152:153], v[154:155]
	v_add_f64 v[154:155], v[156:157], v[150:151]
	v_add_f64 v[160:161], v[154:155], -v[156:157]
	v_add_f64 v[162:163], v[154:155], -v[160:161]
	v_add_f64 v[152:153], v[154:155], v[152:153]
	v_add_f64 v[156:157], v[156:157], -v[162:163]
	v_add_f64 v[150:151], v[150:151], -v[160:161]
	v_add_f64 v[154:155], v[158:159], v[152:153]
	v_add_f64 v[150:151], v[150:151], v[156:157]
	v_add_f64 v[156:157], v[154:155], -v[158:159]
	v_add_f64 v[152:153], v[152:153], -v[156:157]
	v_add_f64 v[150:151], v[150:151], v[152:153]
	v_add_f64 v[150:151], v[154:155], v[150:151]
	v_cmp_class_f64_e64 vcc, v[146:147], s80
	v_cndmask_b32_e32 v11, v150, v146, vcc
	v_cndmask_b32_e32 v48, v151, v147, vcc
	v_cmp_ngt_f64_e32 vcc, 0, v[146:147]
	v_cndmask_b32_e32 v48, v170, v48, vcc
	v_cmp_nge_f64_e32 vcc, 0, v[146:147]
	v_cndmask_b32_e32 v150, 0, v11, vcc
	v_cmp_neq_f64_e32 vcc, 0, v[146:147]
	v_cndmask_b32_e32 v151, v169, v48, vcc
	v_add_f64 v[146:147], v[148:149], v[150:151]
.LBB12_172:                             ;   in Loop: Header=BB12_162 Depth=1
	s_or_b64 exec, exec, s[72:73]
.LBB12_173:                             ;   in Loop: Header=BB12_162 Depth=1
	s_andn2_saveexec_b64 s[2:3], s[2:3]
	s_cbranch_execz .LBB12_187
; %bb.174:                              ;   in Loop: Header=BB12_162 Depth=1
	v_cmp_lt_u32_e32 vcc, s81, v145
                                        ; implicit-def: $sgpr74_sgpr75
                                        ; implicit-def: $vgpr11
                                        ; implicit-def: $vgpr148_vgpr149
	s_and_saveexec_b64 s[72:73], vcc
	s_xor_b64 s[72:73], exec, s[72:73]
	s_cbranch_execz .LBB12_176
; %bb.175:                              ;   in Loop: Header=BB12_162 Depth=1
	v_add_f64 v[146:147], -|v[6:7]|, 2.0
	v_add_f64 v[148:149], |v[6:7]|, s[30:31]
	v_cmp_gt_u32_e32 vcc, s82, v145
	v_cndmask_b32_e32 v11, v146, v148, vcc
	v_cndmask_b32_e32 v48, v147, v149, vcc
	v_cndmask_b32_e64 v144, 0, 1, vcc
	v_add_f64 v[146:147], |v[6:7]|, -1.0
	v_cmp_gt_u32_e32 vcc, s83, v145
	v_cndmask_b32_e32 v149, v48, v147, vcc
	v_cndmask_b32_e32 v148, v11, v146, vcc
	v_cndmask_b32_e64 v11, v144, 2, vcc
	s_mov_b64 s[74:75], 0
.LBB12_176:                             ;   in Loop: Header=BB12_162 Depth=1
	s_or_saveexec_b64 s[72:73], s[72:73]
	v_pk_mov_b32 v[146:147], s[74:75], s[74:75] op_sel:[0,1]
	s_xor_b64 exec, exec, s[72:73]
	s_cbranch_execz .LBB12_178
; %bb.177:                              ;   in Loop: Header=BB12_162 Depth=1
	v_frexp_mant_f64_e64 v[146:147], |v[6:7]|
	v_cmp_gt_f64_e32 vcc, s[8:9], v[146:147]
	v_cndmask_b32_e64 v11, v168, 2.0, vcc
	v_mul_f64 v[146:147], v[146:147], v[10:11]
	v_add_f64 v[148:149], v[146:147], 1.0
	v_rcp_f64_e32 v[150:151], v[148:149]
	v_add_f64 v[154:155], v[148:149], -1.0
	v_add_f64 v[152:153], v[146:147], -1.0
	v_add_f64 v[146:147], v[146:147], -v[154:155]
	v_fma_f64 v[154:155], -v[148:149], v[150:151], 1.0
	v_fmac_f64_e32 v[150:151], v[154:155], v[150:151]
	v_fma_f64 v[154:155], -v[148:149], v[150:151], 1.0
	v_fmac_f64_e32 v[150:151], v[154:155], v[150:151]
	v_mul_f64 v[154:155], v[152:153], v[150:151]
	v_mul_f64 v[156:157], v[148:149], v[154:155]
	v_fma_f64 v[148:149], v[154:155], v[148:149], -v[156:157]
	v_fmac_f64_e32 v[148:149], v[154:155], v[146:147]
	v_add_f64 v[146:147], v[156:157], v[148:149]
	v_add_f64 v[158:159], v[152:153], -v[146:147]
	v_add_f64 v[156:157], v[146:147], -v[156:157]
	v_add_f64 v[152:153], v[152:153], -v[158:159]
	v_add_f64 v[146:147], v[152:153], -v[146:147]
	v_add_f64 v[148:149], v[156:157], -v[148:149]
	v_add_f64 v[146:147], v[148:149], v[146:147]
	v_add_f64 v[146:147], v[158:159], v[146:147]
	v_mul_f64 v[146:147], v[150:151], v[146:147]
	v_add_f64 v[148:149], v[154:155], v[146:147]
	v_add_f64 v[150:151], v[148:149], -v[154:155]
	v_add_f64 v[146:147], v[146:147], -v[150:151]
	v_mul_f64 v[150:151], v[148:149], v[148:149]
	v_pk_mov_b32 v[152:153], v[12:13], v[12:13] op_sel:[0,1]
	v_fmac_f64_e32 v[152:153], s[10:11], v[150:151]
	v_pk_mov_b32 v[154:155], v[14:15], v[14:15] op_sel:[0,1]
	v_fmac_f64_e32 v[154:155], v[150:151], v[152:153]
	;; [unrolled: 2-line block ×6, first 2 shown]
	v_ldexp_f64 v[152:153], v[148:149], 1
	v_mul_f64 v[148:149], v[148:149], v[150:151]
	v_mul_f64 v[148:149], v[148:149], v[154:155]
	v_add_f64 v[150:151], v[152:153], v[148:149]
	v_add_f64 v[152:153], v[150:151], -v[152:153]
	v_ldexp_f64 v[146:147], v[146:147], 1
	v_add_f64 v[148:149], v[148:149], -v[152:153]
	v_add_f64 v[146:147], v[146:147], v[148:149]
	v_frexp_exp_i32_f64_e32 v144, v[6:7]
	v_add_f64 v[148:149], v[150:151], v[146:147]
	v_subbrev_co_u32_e32 v11, vcc, 0, v144, vcc
	v_add_f64 v[150:151], v[148:149], -v[150:151]
	v_add_f64 v[146:147], v[146:147], -v[150:151]
	v_cvt_f64_i32_e32 v[150:151], v11
	v_mul_f64 v[152:153], v[150:151], s[14:15]
	v_fma_f64 v[154:155], v[150:151], s[14:15], -v[152:153]
	v_fmac_f64_e32 v[154:155], s[16:17], v[150:151]
	v_add_f64 v[150:151], v[152:153], v[154:155]
	v_add_f64 v[152:153], v[150:151], -v[152:153]
	v_add_f64 v[152:153], v[154:155], -v[152:153]
	v_add_f64 v[154:155], v[150:151], v[148:149]
	v_add_f64 v[156:157], v[154:155], -v[150:151]
	v_add_f64 v[158:159], v[154:155], -v[156:157]
	;; [unrolled: 1-line block ×4, first 2 shown]
	v_add_f64 v[148:149], v[148:149], v[150:151]
	v_add_f64 v[150:151], v[152:153], v[146:147]
	v_add_f64 v[156:157], v[150:151], -v[152:153]
	v_add_f64 v[158:159], v[150:151], -v[156:157]
	v_add_f64 v[148:149], v[150:151], v[148:149]
	v_add_f64 v[152:153], v[152:153], -v[158:159]
	v_add_f64 v[146:147], v[146:147], -v[156:157]
	v_add_f64 v[150:151], v[154:155], v[148:149]
	v_add_f64 v[146:147], v[146:147], v[152:153]
	v_add_f64 v[152:153], v[150:151], -v[154:155]
	v_add_f64 v[148:149], v[148:149], -v[152:153]
	v_add_f64 v[146:147], v[146:147], v[148:149]
	v_and_b32_e32 v48, 0x7fffffff, v7
	v_add_f64 v[146:147], v[150:151], v[146:147]
	v_cmp_class_f64_e64 vcc, v[6:7], s80
	v_cndmask_b32_e32 v11, v146, v6, vcc
	v_cndmask_b32_e64 v144, -v147, -v48, vcc
	v_cmp_neq_f64_e32 vcc, 0, v[6:7]
	v_cndmask_b32_e32 v147, v171, v144, vcc
	v_cndmask_b32_e32 v146, 0, v11, vcc
	v_add_f64 v[148:149], -|v[6:7]|, 1.0
	v_add_f64 v[150:151], |v[6:7]|, s[34:35]
	v_cmp_gt_u32_e32 vcc, s84, v145
	v_cndmask_b32_e32 v11, v148, v150, vcc
	v_cndmask_b32_e32 v144, v149, v151, vcc
	v_cndmask_b32_e64 v150, 0, 1, vcc
	v_cmp_gt_u32_e32 vcc, s85, v145
	v_cndmask_b32_e32 v149, v144, v48, vcc
	v_cndmask_b32_e32 v148, v11, v6, vcc
	v_cndmask_b32_e64 v11, v150, 2, vcc
.LBB12_178:                             ;   in Loop: Header=BB12_162 Depth=1
	s_or_b64 exec, exec, s[72:73]
	v_cmp_lt_i32_e32 vcc, 1, v11
                                        ; implicit-def: $vgpr152_vgpr153
	s_and_saveexec_b64 s[72:73], vcc
	s_xor_b64 s[72:73], exec, s[72:73]
	s_cbranch_execz .LBB12_180
; %bb.179:                              ;   in Loop: Header=BB12_162 Depth=1
	v_pk_mov_b32 v[150:151], v[60:61], v[60:61] op_sel:[0,1]
	v_fmac_f64_e32 v[150:151], s[36:37], v[148:149]
	v_pk_mov_b32 v[152:153], v[62:63], v[62:63] op_sel:[0,1]
	v_fmac_f64_e32 v[152:153], v[148:149], v[150:151]
	;; [unrolled: 2-line block ×3, first 2 shown]
	v_pk_mov_b32 v[152:153], v[66:67], v[66:67] op_sel:[0,1]
	v_mov_b32_e32 v48, v46
	v_fmac_f64_e32 v[152:153], v[148:149], v[150:151]
	v_pk_mov_b32 v[150:151], v[48:49], v[48:49] op_sel:[0,1]
	v_fmac_f64_e32 v[150:151], v[148:149], v[152:153]
	v_pk_mov_b32 v[152:153], v[68:69], v[68:69] op_sel:[0,1]
	;; [unrolled: 2-line block ×5, first 2 shown]
	v_fmac_f64_e32 v[154:155], v[148:149], v[152:153]
	v_mul_f64 v[150:151], v[148:149], v[150:151]
	v_fma_f64 v[152:153], v[148:149], v[154:155], 1.0
	v_div_scale_f64 v[154:155], s[74:75], v[152:153], v[152:153], v[150:151]
	v_rcp_f64_e32 v[156:157], v[154:155]
                                        ; implicit-def: $vgpr11
	v_fma_f64 v[158:159], -v[154:155], v[156:157], 1.0
	v_fmac_f64_e32 v[156:157], v[156:157], v[158:159]
	v_fma_f64 v[158:159], -v[154:155], v[156:157], 1.0
	v_fmac_f64_e32 v[156:157], v[156:157], v[158:159]
	v_div_scale_f64 v[158:159], vcc, v[150:151], v[152:153], v[150:151]
	v_mul_f64 v[160:161], v[158:159], v[156:157]
	v_fma_f64 v[154:155], -v[154:155], v[160:161], v[158:159]
	s_nop 1
	v_div_fmas_f64 v[154:155], v[154:155], v[156:157], v[160:161]
	v_div_fixup_f64 v[152:153], v[154:155], v[152:153], v[150:151]
	v_fmac_f64_e32 v[152:153], -0.5, v[148:149]
                                        ; implicit-def: $vgpr148_vgpr149
.LBB12_180:                             ;   in Loop: Header=BB12_162 Depth=1
	s_andn2_saveexec_b64 s[72:73], s[72:73]
	s_cbranch_execz .LBB12_186
; %bb.181:                              ;   in Loop: Header=BB12_162 Depth=1
	v_cmp_ne_u32_e32 vcc, 1, v11
	v_mul_f64 v[150:151], v[148:149], v[148:149]
                                        ; implicit-def: $vgpr152_vgpr153
	s_and_saveexec_b64 s[74:75], vcc
	s_xor_b64 s[74:75], exec, s[74:75]
	s_cbranch_execz .LBB12_183
; %bb.182:                              ;   in Loop: Header=BB12_162 Depth=1
	v_pk_mov_b32 v[152:153], v[76:77], v[76:77] op_sel:[0,1]
	v_fmac_f64_e32 v[152:153], s[40:41], v[150:151]
	v_pk_mov_b32 v[154:155], v[78:79], v[78:79] op_sel:[0,1]
	v_fmac_f64_e32 v[154:155], v[150:151], v[152:153]
	;; [unrolled: 2-line block ×4, first 2 shown]
	v_pk_mov_b32 v[156:157], v[46:47], v[46:47] op_sel:[0,1]
	v_pk_mov_b32 v[152:153], v[84:85], v[84:85] op_sel:[0,1]
	v_fmac_f64_e32 v[156:157], v[150:151], v[154:155]
	v_fmac_f64_e32 v[152:153], s[42:43], v[150:151]
	v_pk_mov_b32 v[154:155], v[86:87], v[86:87] op_sel:[0,1]
	v_fmac_f64_e32 v[154:155], v[150:151], v[152:153]
	v_pk_mov_b32 v[152:153], v[88:89], v[88:89] op_sel:[0,1]
	;; [unrolled: 2-line block ×4, first 2 shown]
	v_fmac_f64_e32 v[152:153], v[150:151], v[154:155]
	v_mul_f64 v[152:153], v[150:151], v[152:153]
	v_fmac_f64_e32 v[152:153], v[148:149], v[156:157]
	v_fmac_f64_e32 v[152:153], -0.5, v[148:149]
                                        ; implicit-def: $vgpr148_vgpr149
                                        ; implicit-def: $vgpr150_vgpr151
.LBB12_183:                             ;   in Loop: Header=BB12_162 Depth=1
	s_andn2_saveexec_b64 s[74:75], s[74:75]
	s_cbranch_execz .LBB12_185
; %bb.184:                              ;   in Loop: Header=BB12_162 Depth=1
	v_mul_f64 v[152:153], v[148:149], v[150:151]
	v_pk_mov_b32 v[154:155], v[94:95], v[94:95] op_sel:[0,1]
	v_fmac_f64_e32 v[154:155], s[44:45], v[152:153]
	v_pk_mov_b32 v[156:157], v[96:97], v[96:97] op_sel:[0,1]
	v_fmac_f64_e32 v[156:157], v[152:153], v[154:155]
	;; [unrolled: 2-line block ×12, first 2 shown]
	v_fmac_f64_e32 v[158:159], v[148:149], v[160:161]
	v_fma_f64 v[148:149], v[152:153], -v[158:159], s[50:51]
	v_fma_f64 v[148:149], v[150:151], v[156:157], -v[148:149]
	v_add_f64 v[152:153], v[148:149], s[52:53]
.LBB12_185:                             ;   in Loop: Header=BB12_162 Depth=1
	s_or_b64 exec, exec, s[74:75]
.LBB12_186:                             ;   in Loop: Header=BB12_162 Depth=1
	s_or_b64 exec, exec, s[72:73]
	v_add_f64 v[146:147], v[146:147], v[152:153]
.LBB12_187:                             ;   in Loop: Header=BB12_162 Depth=1
	s_or_b64 exec, exec, s[2:3]
.LBB12_188:                             ;   in Loop: Header=BB12_162 Depth=1
	s_andn2_saveexec_b64 s[0:1], s[0:1]
	s_cbranch_execz .LBB12_190
; %bb.189:                              ;   in Loop: Header=BB12_162 Depth=1
	v_frexp_mant_f64_e64 v[148:149], |v[6:7]|
	v_cmp_gt_f64_e32 vcc, s[8:9], v[148:149]
	v_cndmask_b32_e64 v11, v168, 2.0, vcc
	v_mul_f64 v[148:149], v[148:149], v[10:11]
	v_add_f64 v[150:151], v[148:149], 1.0
	v_rcp_f64_e32 v[152:153], v[150:151]
	v_add_f64 v[156:157], v[150:151], -1.0
	v_add_f64 v[154:155], v[148:149], -1.0
	v_add_f64 v[148:149], v[148:149], -v[156:157]
	v_fma_f64 v[156:157], -v[150:151], v[152:153], 1.0
	v_fmac_f64_e32 v[152:153], v[156:157], v[152:153]
	v_fma_f64 v[156:157], -v[150:151], v[152:153], 1.0
	v_fmac_f64_e32 v[152:153], v[156:157], v[152:153]
	v_mul_f64 v[156:157], v[154:155], v[152:153]
	v_mul_f64 v[158:159], v[150:151], v[156:157]
	v_fma_f64 v[150:151], v[156:157], v[150:151], -v[158:159]
	v_fmac_f64_e32 v[150:151], v[156:157], v[148:149]
	v_add_f64 v[148:149], v[158:159], v[150:151]
	v_add_f64 v[160:161], v[154:155], -v[148:149]
	v_add_f64 v[158:159], v[148:149], -v[158:159]
	;; [unrolled: 1-line block ×5, first 2 shown]
	v_add_f64 v[148:149], v[150:151], v[148:149]
	v_add_f64 v[148:149], v[160:161], v[148:149]
	v_mul_f64 v[148:149], v[152:153], v[148:149]
	v_add_f64 v[150:151], v[156:157], v[148:149]
	v_add_f64 v[152:153], v[150:151], -v[156:157]
	v_add_f64 v[148:149], v[148:149], -v[152:153]
	v_mul_f64 v[152:153], v[150:151], v[150:151]
	v_pk_mov_b32 v[154:155], v[12:13], v[12:13] op_sel:[0,1]
	v_fmac_f64_e32 v[154:155], s[10:11], v[152:153]
	v_pk_mov_b32 v[156:157], v[14:15], v[14:15] op_sel:[0,1]
	v_fmac_f64_e32 v[156:157], v[152:153], v[154:155]
	;; [unrolled: 2-line block ×6, first 2 shown]
	v_ldexp_f64 v[154:155], v[150:151], 1
	v_mul_f64 v[150:151], v[150:151], v[152:153]
	v_mul_f64 v[150:151], v[150:151], v[156:157]
	v_add_f64 v[152:153], v[154:155], v[150:151]
	v_add_f64 v[154:155], v[152:153], -v[154:155]
	v_ldexp_f64 v[148:149], v[148:149], 1
	v_add_f64 v[150:151], v[150:151], -v[154:155]
	v_add_f64 v[148:149], v[148:149], v[150:151]
	v_frexp_exp_i32_f64_e32 v144, v[6:7]
	v_add_f64 v[150:151], v[152:153], v[148:149]
	v_subbrev_co_u32_e32 v11, vcc, 0, v144, vcc
	v_add_f64 v[152:153], v[150:151], -v[152:153]
	v_add_f64 v[148:149], v[148:149], -v[152:153]
	v_cvt_f64_i32_e32 v[152:153], v11
	v_mul_f64 v[154:155], v[152:153], s[14:15]
	v_fma_f64 v[156:157], v[152:153], s[14:15], -v[154:155]
	v_fmac_f64_e32 v[156:157], s[16:17], v[152:153]
	v_add_f64 v[152:153], v[154:155], v[156:157]
	v_add_f64 v[154:155], v[152:153], -v[154:155]
	v_add_f64 v[154:155], v[156:157], -v[154:155]
	v_add_f64 v[156:157], v[152:153], v[150:151]
	v_add_f64 v[158:159], v[156:157], -v[152:153]
	v_add_f64 v[160:161], v[156:157], -v[158:159]
	;; [unrolled: 1-line block ×4, first 2 shown]
	v_add_f64 v[150:151], v[150:151], v[152:153]
	v_add_f64 v[152:153], v[154:155], v[148:149]
	v_add_f64 v[158:159], v[152:153], -v[154:155]
	v_add_f64 v[160:161], v[152:153], -v[158:159]
	v_add_f64 v[150:151], v[152:153], v[150:151]
	v_add_f64 v[154:155], v[154:155], -v[160:161]
	v_add_f64 v[148:149], v[148:149], -v[158:159]
	v_add_f64 v[152:153], v[156:157], v[150:151]
	v_add_f64 v[148:149], v[148:149], v[154:155]
	v_add_f64 v[154:155], v[152:153], -v[156:157]
	v_add_f64 v[150:151], v[150:151], -v[154:155]
	v_fma_f64 v[146:147], |v[6:7]|, s[54:55], v[118:119]
	v_add_f64 v[148:149], v[148:149], v[150:151]
	v_and_b32_e32 v48, 0x7fffffff, v7
	v_fma_f64 v[146:147], |v[6:7]|, v[146:147], s[56:57]
	v_add_f64 v[148:149], v[152:153], v[148:149]
	v_cmp_class_f64_e64 vcc, v[6:7], s80
	v_fma_f64 v[146:147], |v[6:7]|, v[146:147], s[58:59]
	v_cndmask_b32_e32 v11, v148, v6, vcc
	v_cndmask_b32_e64 v48, -v149, -v48, vcc
	v_cmp_neq_f64_e32 vcc, 0, v[6:7]
	v_fma_f64 v[146:147], |v[6:7]|, v[146:147], s[60:61]
	v_cndmask_b32_e32 v149, v171, v48, vcc
	v_cndmask_b32_e32 v148, 0, v11, vcc
	v_fma_f64 v[146:147], |v[6:7]|, v[146:147], v[148:149]
.LBB12_190:                             ;   in Loop: Header=BB12_162 Depth=1
	s_or_b64 exec, exec, s[0:1]
	v_cmp_le_f64_e32 vcc, 0, v[6:7]
	s_and_saveexec_b64 s[0:1], vcc
	s_xor_b64 s[2:3], exec, s[0:1]
; %bb.191:                              ;   in Loop: Header=BB12_162 Depth=1
	v_cmp_eq_f64_e32 vcc, 1.0, v[6:7]
	v_cmp_eq_f64_e64 s[0:1], 2.0, v[6:7]
	s_or_b64 s[0:1], vcc, s[0:1]
	v_cndmask_b32_e64 v147, v147, 0, s[0:1]
	v_cndmask_b32_e64 v146, v146, 0, s[0:1]
; %bb.192:                              ;   in Loop: Header=BB12_162 Depth=1
	s_andn2_saveexec_b64 s[0:1], s[2:3]
	s_cbranch_execz .LBB12_196
; %bb.193:                              ;   in Loop: Header=BB12_162 Depth=1
	v_add_u32_e32 v11, 0xc32fffff, v145
	v_cmp_gt_u32_e32 vcc, s86, v11
	s_and_saveexec_b64 s[2:3], vcc
	s_cbranch_execz .LBB12_195
; %bb.194:                              ;   in Loop: Header=BB12_162 Depth=1
	v_mul_f64 v[148:149], |v[6:7]|, 0.5
	v_fract_f64_e32 v[150:151], v[148:149]
	v_add_f64 v[150:151], v[150:151], v[150:151]
	v_cmp_neq_f64_e64 vcc, |v[148:149]|, s[62:63]
	v_and_b32_e32 v11, 0x7fffffff, v7
	v_cndmask_b32_e32 v48, 0, v150, vcc
	v_cndmask_b32_e32 v144, 0, v151, vcc
	v_cmp_gt_f64_e64 vcc, |v[6:7]|, 1.0
	v_cndmask_b32_e32 v149, v11, v144, vcc
	v_cndmask_b32_e32 v148, v6, v48, vcc
	v_add_f64 v[150:151], v[148:149], v[148:149]
	v_rndne_f64_e32 v[150:151], v[150:151]
	v_fmac_f64_e32 v[148:149], -0.5, v[150:151]
	v_cvt_i32_f64_e32 v11, v[150:151]
	v_mul_f64 v[150:151], v[148:149], v[148:149]
	v_pk_mov_b32 v[152:153], v[120:121], v[120:121] op_sel:[0,1]
	v_fmac_f64_e32 v[152:153], s[64:65], v[150:151]
	v_pk_mov_b32 v[154:155], v[122:123], v[122:123] op_sel:[0,1]
	v_fmac_f64_e32 v[154:155], v[150:151], v[152:153]
	;; [unrolled: 2-line block ×5, first 2 shown]
	v_mul_f64 v[154:155], v[148:149], v[150:151]
	v_mul_f64 v[152:153], v[154:155], v[152:153]
	v_fmac_f64_e32 v[152:153], s[66:67], v[148:149]
	v_pk_mov_b32 v[148:149], v[130:131], v[130:131] op_sel:[0,1]
	v_fmac_f64_e32 v[148:149], s[68:69], v[150:151]
	v_pk_mov_b32 v[154:155], v[132:133], v[132:133] op_sel:[0,1]
	;; [unrolled: 2-line block ×6, first 2 shown]
	v_fmac_f64_e32 v[154:155], v[150:151], v[148:149]
	v_and_b32_e32 v48, 1, v11
	v_lshlrev_b32_e32 v11, 30, v11
	v_fma_f64 v[148:149], v[150:151], v[154:155], 1.0
	v_cmp_eq_u32_e32 vcc, 0, v48
	v_xor_b32_e32 v11, v11, v7
	v_cndmask_b32_e32 v144, v149, v153, vcc
	v_and_b32_e32 v11, 0x80000000, v11
	v_cndmask_b32_e32 v48, v148, v152, vcc
	v_xor_b32_e32 v11, v144, v11
	v_cmp_class_f64_e64 vcc, v[6:7], s87
	v_cndmask_b32_e32 v148, 0, v48, vcc
	v_cndmask_b32_e32 v149, v170, v11, vcc
	v_mul_f64 v[148:149], v[6:7], v[148:149]
	v_and_b32_e32 v151, 0x7fffffff, v149
	v_mov_b32_e32 v150, v148
	v_div_scale_f64 v[152:153], s[72:73], v[150:151], v[150:151], s[66:67]
	v_rcp_f64_e32 v[154:155], v[152:153]
	v_div_scale_f64 v[150:151], vcc, s[66:67], v[150:151], s[66:67]
	v_cmp_class_f64_e64 s[72:73], v[6:7], s80
	v_fma_f64 v[156:157], -v[152:153], v[154:155], 1.0
	v_fmac_f64_e32 v[154:155], v[154:155], v[156:157]
	v_fma_f64 v[156:157], -v[152:153], v[154:155], 1.0
	v_fmac_f64_e32 v[154:155], v[154:155], v[156:157]
	v_mul_f64 v[156:157], v[150:151], v[154:155]
	v_fma_f64 v[150:151], -v[152:153], v[156:157], v[150:151]
	v_div_fmas_f64 v[150:151], v[150:151], v[154:155], v[156:157]
	v_div_fixup_f64 v[148:149], v[150:151], |v[148:149]|, s[66:67]
	v_frexp_mant_f64_e32 v[150:151], v[148:149]
	v_cmp_gt_f64_e32 vcc, s[8:9], v[150:151]
	v_cndmask_b32_e64 v11, v168, 2.0, vcc
	v_mul_f64 v[150:151], v[150:151], v[10:11]
	v_add_f64 v[152:153], v[150:151], 1.0
	v_rcp_f64_e32 v[154:155], v[152:153]
	v_add_f64 v[158:159], v[152:153], -1.0
	v_add_f64 v[156:157], v[150:151], -1.0
	v_add_f64 v[150:151], v[150:151], -v[158:159]
	v_fma_f64 v[158:159], -v[152:153], v[154:155], 1.0
	v_fmac_f64_e32 v[154:155], v[158:159], v[154:155]
	v_fma_f64 v[158:159], -v[152:153], v[154:155], 1.0
	v_fmac_f64_e32 v[154:155], v[158:159], v[154:155]
	v_mul_f64 v[158:159], v[156:157], v[154:155]
	v_mul_f64 v[160:161], v[152:153], v[158:159]
	v_fma_f64 v[152:153], v[158:159], v[152:153], -v[160:161]
	v_fmac_f64_e32 v[152:153], v[158:159], v[150:151]
	v_add_f64 v[150:151], v[160:161], v[152:153]
	v_add_f64 v[162:163], v[156:157], -v[150:151]
	v_add_f64 v[160:161], v[150:151], -v[160:161]
	;; [unrolled: 1-line block ×5, first 2 shown]
	v_add_f64 v[150:151], v[152:153], v[150:151]
	v_add_f64 v[150:151], v[162:163], v[150:151]
	v_mul_f64 v[150:151], v[154:155], v[150:151]
	v_add_f64 v[152:153], v[158:159], v[150:151]
	v_add_f64 v[154:155], v[152:153], -v[158:159]
	v_add_f64 v[150:151], v[150:151], -v[154:155]
	v_mul_f64 v[154:155], v[152:153], v[152:153]
	v_pk_mov_b32 v[156:157], v[12:13], v[12:13] op_sel:[0,1]
	v_fmac_f64_e32 v[156:157], s[10:11], v[154:155]
	v_pk_mov_b32 v[158:159], v[14:15], v[14:15] op_sel:[0,1]
	v_fmac_f64_e32 v[158:159], v[154:155], v[156:157]
	;; [unrolled: 2-line block ×6, first 2 shown]
	v_ldexp_f64 v[156:157], v[152:153], 1
	v_mul_f64 v[152:153], v[152:153], v[154:155]
	v_mul_f64 v[152:153], v[152:153], v[158:159]
	v_add_f64 v[154:155], v[156:157], v[152:153]
	v_add_f64 v[156:157], v[154:155], -v[156:157]
	v_ldexp_f64 v[150:151], v[150:151], 1
	v_add_f64 v[152:153], v[152:153], -v[156:157]
	v_add_f64 v[150:151], v[150:151], v[152:153]
	v_frexp_exp_i32_f64_e32 v48, v[148:149]
	v_add_f64 v[152:153], v[154:155], v[150:151]
	v_subbrev_co_u32_e32 v11, vcc, 0, v48, vcc
	v_add_f64 v[154:155], v[152:153], -v[154:155]
	v_add_f64 v[150:151], v[150:151], -v[154:155]
	v_cvt_f64_i32_e32 v[154:155], v11
	v_mul_f64 v[156:157], v[154:155], s[14:15]
	v_fma_f64 v[158:159], v[154:155], s[14:15], -v[156:157]
	v_fmac_f64_e32 v[158:159], s[16:17], v[154:155]
	v_add_f64 v[154:155], v[156:157], v[158:159]
	v_add_f64 v[156:157], v[154:155], -v[156:157]
	v_add_f64 v[156:157], v[158:159], -v[156:157]
	v_add_f64 v[158:159], v[154:155], v[152:153]
	v_add_f64 v[160:161], v[158:159], -v[154:155]
	v_add_f64 v[162:163], v[158:159], -v[160:161]
	;; [unrolled: 1-line block ×4, first 2 shown]
	v_add_f64 v[152:153], v[152:153], v[154:155]
	v_add_f64 v[154:155], v[156:157], v[150:151]
	v_add_f64 v[160:161], v[154:155], -v[156:157]
	v_add_f64 v[162:163], v[154:155], -v[160:161]
	v_add_f64 v[152:153], v[154:155], v[152:153]
	v_add_f64 v[156:157], v[156:157], -v[162:163]
	v_add_f64 v[150:151], v[150:151], -v[160:161]
	v_add_f64 v[154:155], v[158:159], v[152:153]
	v_add_f64 v[150:151], v[150:151], v[156:157]
	v_add_f64 v[156:157], v[154:155], -v[158:159]
	v_add_f64 v[152:153], v[152:153], -v[156:157]
	v_add_f64 v[150:151], v[150:151], v[152:153]
	v_add_f64 v[150:151], v[154:155], v[150:151]
	v_cmp_class_f64_e64 vcc, v[148:149], s80
	v_cndmask_b32_e32 v11, v150, v148, vcc
	v_cndmask_b32_e32 v48, v151, v149, vcc
	v_cmp_neq_f64_e32 vcc, 0, v[148:149]
	v_cndmask_b32_e32 v149, v169, v48, vcc
	v_cndmask_b32_e32 v148, 0, v11, vcc
	v_add_f64 v[146:147], v[148:149], -v[146:147]
	v_fract_f64_e32 v[148:149], v[6:7]
	v_cmp_eq_f64_e32 vcc, 0, v[148:149]
	s_or_b64 vcc, s[72:73], vcc
	v_cndmask_b32_e32 v147, v147, v171, vcc
	v_cndmask_b32_e64 v146, v146, 0, vcc
.LBB12_195:                             ;   in Loop: Header=BB12_162 Depth=1
	s_or_b64 exec, exec, s[2:3]
.LBB12_196:                             ;   in Loop: Header=BB12_162 Depth=1
	s_or_b64 exec, exec, s[0:1]
	v_and_b32_e32 v149, 0x7fffffff, v9
	v_mov_b32_e32 v148, v8
	v_cmp_lt_u32_e32 vcc, s76, v149
                                        ; implicit-def: $vgpr150_vgpr151
	s_and_saveexec_b64 s[0:1], vcc
	s_xor_b64 s[0:1], exec, s[0:1]
	s_cbranch_execz .LBB12_222
; %bb.197:                              ;   in Loop: Header=BB12_162 Depth=1
	v_cmp_lt_u32_e32 vcc, s77, v149
                                        ; implicit-def: $vgpr150_vgpr151
	s_and_saveexec_b64 s[2:3], vcc
	s_xor_b64 s[2:3], exec, s[2:3]
	s_cbranch_execz .LBB12_207
; %bb.198:                              ;   in Loop: Header=BB12_162 Depth=1
	;; [unrolled: 6-line block ×4, first 2 shown]
	v_frexp_mant_f64_e64 v[150:151], |v[8:9]|
	v_cmp_gt_f64_e32 vcc, s[8:9], v[150:151]
	v_cndmask_b32_e64 v11, v168, 2.0, vcc
	v_mul_f64 v[150:151], v[150:151], v[10:11]
	v_add_f64 v[152:153], v[150:151], 1.0
	v_rcp_f64_e32 v[154:155], v[152:153]
	v_add_f64 v[158:159], v[152:153], -1.0
	v_add_f64 v[156:157], v[150:151], -1.0
	v_add_f64 v[150:151], v[150:151], -v[158:159]
	v_fma_f64 v[158:159], -v[152:153], v[154:155], 1.0
	v_fmac_f64_e32 v[154:155], v[158:159], v[154:155]
	v_fma_f64 v[158:159], -v[152:153], v[154:155], 1.0
	v_fmac_f64_e32 v[154:155], v[158:159], v[154:155]
	v_mul_f64 v[158:159], v[156:157], v[154:155]
	v_mul_f64 v[160:161], v[152:153], v[158:159]
	v_fma_f64 v[152:153], v[158:159], v[152:153], -v[160:161]
	v_fmac_f64_e32 v[152:153], v[158:159], v[150:151]
	v_add_f64 v[150:151], v[160:161], v[152:153]
	v_add_f64 v[162:163], v[156:157], -v[150:151]
	v_add_f64 v[160:161], v[150:151], -v[160:161]
	;; [unrolled: 1-line block ×5, first 2 shown]
	v_add_f64 v[150:151], v[152:153], v[150:151]
	v_add_f64 v[150:151], v[162:163], v[150:151]
	v_mul_f64 v[150:151], v[154:155], v[150:151]
	v_add_f64 v[152:153], v[158:159], v[150:151]
	v_add_f64 v[154:155], v[152:153], -v[158:159]
	v_add_f64 v[150:151], v[150:151], -v[154:155]
	v_mul_f64 v[154:155], v[152:153], v[152:153]
	v_pk_mov_b32 v[156:157], v[12:13], v[12:13] op_sel:[0,1]
	v_fmac_f64_e32 v[156:157], s[10:11], v[154:155]
	v_pk_mov_b32 v[158:159], v[14:15], v[14:15] op_sel:[0,1]
	v_fmac_f64_e32 v[158:159], v[154:155], v[156:157]
	;; [unrolled: 2-line block ×6, first 2 shown]
	v_ldexp_f64 v[156:157], v[152:153], 1
	v_mul_f64 v[152:153], v[152:153], v[154:155]
	v_mul_f64 v[152:153], v[152:153], v[158:159]
	v_add_f64 v[154:155], v[156:157], v[152:153]
	v_add_f64 v[156:157], v[154:155], -v[156:157]
	v_ldexp_f64 v[150:151], v[150:151], 1
	v_add_f64 v[152:153], v[152:153], -v[156:157]
	v_add_f64 v[150:151], v[150:151], v[152:153]
	v_frexp_exp_i32_f64_e32 v144, v[8:9]
	v_add_f64 v[152:153], v[154:155], v[150:151]
	v_subbrev_co_u32_e32 v11, vcc, 0, v144, vcc
	v_add_f64 v[154:155], v[152:153], -v[154:155]
	v_add_f64 v[150:151], v[150:151], -v[154:155]
	v_cvt_f64_i32_e32 v[154:155], v11
	v_mul_f64 v[156:157], v[154:155], s[14:15]
	v_fma_f64 v[158:159], v[154:155], s[14:15], -v[156:157]
	v_fmac_f64_e32 v[158:159], s[16:17], v[154:155]
	v_add_f64 v[154:155], v[156:157], v[158:159]
	v_add_f64 v[156:157], v[154:155], -v[156:157]
	v_add_f64 v[156:157], v[158:159], -v[156:157]
	v_add_f64 v[158:159], v[154:155], v[152:153]
	v_add_f64 v[160:161], v[158:159], -v[154:155]
	v_add_f64 v[162:163], v[158:159], -v[160:161]
	;; [unrolled: 1-line block ×4, first 2 shown]
	v_add_f64 v[152:153], v[152:153], v[154:155]
	v_add_f64 v[154:155], v[156:157], v[150:151]
	v_add_f64 v[160:161], v[154:155], -v[156:157]
	v_add_f64 v[162:163], v[154:155], -v[160:161]
	v_add_f64 v[152:153], v[154:155], v[152:153]
	v_add_f64 v[156:157], v[156:157], -v[162:163]
	v_add_f64 v[150:151], v[150:151], -v[160:161]
	v_add_f64 v[154:155], v[158:159], v[152:153]
	v_add_f64 v[150:151], v[150:151], v[156:157]
	v_add_f64 v[156:157], v[154:155], -v[158:159]
	v_add_f64 v[152:153], v[152:153], -v[156:157]
	v_add_f64 v[150:151], v[150:151], v[152:153]
	v_and_b32_e32 v48, 0x7fffffff, v9
	v_add_f64 v[150:151], v[154:155], v[150:151]
	v_cmp_class_f64_e64 vcc, v[8:9], s80
	v_cndmask_b32_e32 v11, v150, v8, vcc
	v_cndmask_b32_e32 v48, v151, v48, vcc
	v_cmp_neq_f64_e32 vcc, 0, v[8:9]
	v_cndmask_b32_e32 v151, v169, v48, vcc
	v_cndmask_b32_e32 v150, 0, v11, vcc
	v_fma_f64 v[150:151], |v[8:9]|, v[150:151], -|v[8:9]|
.LBB12_201:                             ;   in Loop: Header=BB12_162 Depth=1
	s_andn2_saveexec_b64 s[74:75], s[74:75]
	s_cbranch_execz .LBB12_203
; %bb.202:                              ;   in Loop: Header=BB12_162 Depth=1
	v_and_b32_e32 v153, 0x7fffffff, v9
	v_mov_b32_e32 v152, v8
	v_div_scale_f64 v[150:151], s[90:91], v[152:153], v[152:153], 1.0
	v_rcp_f64_e32 v[154:155], v[150:151]
	v_frexp_exp_i32_f64_e32 v48, v[8:9]
	v_fma_f64 v[156:157], -v[150:151], v[154:155], 1.0
	v_fmac_f64_e32 v[154:155], v[154:155], v[156:157]
	v_fma_f64 v[156:157], -v[150:151], v[154:155], 1.0
	v_fmac_f64_e32 v[154:155], v[154:155], v[156:157]
	v_div_scale_f64 v[156:157], vcc, 1.0, v[152:153], 1.0
	v_mul_f64 v[158:159], v[156:157], v[154:155]
	v_fma_f64 v[150:151], -v[150:151], v[158:159], v[156:157]
	v_pk_mov_b32 v[156:157], v[24:25], v[24:25] op_sel:[0,1]
	s_nop 0
	v_div_fmas_f64 v[150:151], v[150:151], v[154:155], v[158:159]
	v_div_fixup_f64 v[154:155], v[150:151], |v[8:9]|, 1.0
	v_mul_f64 v[150:151], v[154:155], v[154:155]
	v_fmac_f64_e32 v[156:157], s[18:19], v[150:151]
	v_pk_mov_b32 v[158:159], v[26:27], v[26:27] op_sel:[0,1]
	v_fmac_f64_e32 v[158:159], v[150:151], v[156:157]
	v_pk_mov_b32 v[156:157], v[28:29], v[28:29] op_sel:[0,1]
	;; [unrolled: 2-line block ×5, first 2 shown]
	v_fmac_f64_e32 v[150:151], v[154:155], v[156:157]
	v_frexp_mant_f64_e64 v[156:157], |v[8:9]|
	v_cmp_gt_f64_e32 vcc, s[8:9], v[156:157]
	v_cndmask_b32_e64 v11, v168, 2.0, vcc
	v_mul_f64 v[156:157], v[156:157], v[10:11]
	v_add_f64 v[158:159], v[156:157], 1.0
	v_rcp_f64_e32 v[160:161], v[158:159]
	v_add_f64 v[164:165], v[158:159], -1.0
	v_add_f64 v[162:163], v[156:157], -1.0
	v_add_f64 v[156:157], v[156:157], -v[164:165]
	v_fma_f64 v[164:165], -v[158:159], v[160:161], 1.0
	v_fmac_f64_e32 v[160:161], v[164:165], v[160:161]
	v_fma_f64 v[164:165], -v[158:159], v[160:161], 1.0
	v_fmac_f64_e32 v[160:161], v[164:165], v[160:161]
	v_mul_f64 v[164:165], v[162:163], v[160:161]
	v_mul_f64 v[172:173], v[158:159], v[164:165]
	v_fma_f64 v[158:159], v[164:165], v[158:159], -v[172:173]
	v_fmac_f64_e32 v[158:159], v[164:165], v[156:157]
	v_add_f64 v[156:157], v[172:173], v[158:159]
	v_add_f64 v[174:175], v[162:163], -v[156:157]
	v_add_f64 v[172:173], v[156:157], -v[172:173]
	;; [unrolled: 1-line block ×5, first 2 shown]
	v_add_f64 v[156:157], v[158:159], v[156:157]
	v_add_f64 v[156:157], v[174:175], v[156:157]
	v_mul_f64 v[156:157], v[160:161], v[156:157]
	v_add_f64 v[158:159], v[164:165], v[156:157]
	v_add_f64 v[160:161], v[158:159], -v[164:165]
	v_add_f64 v[156:157], v[156:157], -v[160:161]
	v_mul_f64 v[160:161], v[158:159], v[158:159]
	v_pk_mov_b32 v[162:163], v[12:13], v[12:13] op_sel:[0,1]
	v_fmac_f64_e32 v[162:163], s[10:11], v[160:161]
	v_pk_mov_b32 v[164:165], v[14:15], v[14:15] op_sel:[0,1]
	v_fmac_f64_e32 v[164:165], v[160:161], v[162:163]
	;; [unrolled: 2-line block ×6, first 2 shown]
	v_ldexp_f64 v[162:163], v[158:159], 1
	v_mul_f64 v[158:159], v[158:159], v[160:161]
	v_mul_f64 v[158:159], v[158:159], v[164:165]
	v_add_f64 v[160:161], v[162:163], v[158:159]
	v_add_f64 v[162:163], v[160:161], -v[162:163]
	v_ldexp_f64 v[156:157], v[156:157], 1
	v_add_f64 v[158:159], v[158:159], -v[162:163]
	v_add_f64 v[156:157], v[156:157], v[158:159]
	v_add_f64 v[158:159], v[160:161], v[156:157]
	v_subbrev_co_u32_e32 v11, vcc, 0, v48, vcc
	v_add_f64 v[160:161], v[158:159], -v[160:161]
	v_add_f64 v[156:157], v[156:157], -v[160:161]
	v_cvt_f64_i32_e32 v[160:161], v11
	v_mul_f64 v[162:163], v[160:161], s[14:15]
	v_fma_f64 v[164:165], v[160:161], s[14:15], -v[162:163]
	v_fmac_f64_e32 v[164:165], s[16:17], v[160:161]
	v_add_f64 v[160:161], v[162:163], v[164:165]
	v_add_f64 v[162:163], v[160:161], -v[162:163]
	v_add_f64 v[162:163], v[164:165], -v[162:163]
	v_add_f64 v[164:165], v[160:161], v[158:159]
	v_add_f64 v[172:173], v[164:165], -v[160:161]
	v_add_f64 v[174:175], v[164:165], -v[172:173]
	;; [unrolled: 1-line block ×4, first 2 shown]
	v_add_f64 v[158:159], v[158:159], v[160:161]
	v_add_f64 v[160:161], v[162:163], v[156:157]
	v_add_f64 v[172:173], v[160:161], -v[162:163]
	v_add_f64 v[174:175], v[160:161], -v[172:173]
	v_add_f64 v[158:159], v[160:161], v[158:159]
	v_add_f64 v[162:163], v[162:163], -v[174:175]
	v_add_f64 v[156:157], v[156:157], -v[172:173]
	v_add_f64 v[160:161], v[164:165], v[158:159]
	v_add_f64 v[156:157], v[156:157], v[162:163]
	v_add_f64 v[162:163], v[160:161], -v[164:165]
	v_add_f64 v[158:159], v[158:159], -v[162:163]
	v_add_f64 v[156:157], v[156:157], v[158:159]
	v_add_f64 v[156:157], v[160:161], v[156:157]
	v_cmp_class_f64_e64 vcc, v[8:9], s80
	v_cndmask_b32_e32 v153, v157, v153, vcc
	v_cndmask_b32_e32 v152, v156, v152, vcc
	v_add_f64 v[152:153], v[152:153], -1.0
	v_cmp_neq_f64_e32 vcc, 0, v[8:9]
	v_add_f64 v[154:155], |v[8:9]|, -0.5
	v_cndmask_b32_e32 v153, v169, v153, vcc
	v_cndmask_b32_e32 v152, 0, v152, vcc
	v_fmac_f64_e32 v[150:151], v[154:155], v[152:153]
.LBB12_203:                             ;   in Loop: Header=BB12_162 Depth=1
	s_or_b64 exec, exec, s[74:75]
.LBB12_204:                             ;   in Loop: Header=BB12_162 Depth=1
	s_andn2_saveexec_b64 s[72:73], s[72:73]
	s_cbranch_execz .LBB12_206
; %bb.205:                              ;   in Loop: Header=BB12_162 Depth=1
	v_cvt_i32_f64_e32 v11, v[148:149]
	v_cvt_f64_i32_e32 v[150:151], v11
	v_add_f64 v[150:151], |v[8:9]|, -v[150:151]
	v_pk_mov_b32 v[152:153], v[36:37], v[36:37] op_sel:[0,1]
	v_fmac_f64_e32 v[152:153], s[20:21], v[150:151]
	v_pk_mov_b32 v[154:155], v[38:39], v[38:39] op_sel:[0,1]
	v_fmac_f64_e32 v[154:155], v[150:151], v[152:153]
	;; [unrolled: 2-line block ×4, first 2 shown]
	v_pk_mov_b32 v[152:153], v[44:45], v[44:45] op_sel:[0,1]
	v_mov_b32_e32 v48, v46
	v_fmac_f64_e32 v[152:153], v[150:151], v[154:155]
	v_pk_mov_b32 v[154:155], v[48:49], v[48:49] op_sel:[0,1]
	v_fmac_f64_e32 v[154:155], v[150:151], v[152:153]
	v_mul_f64 v[152:153], v[150:151], v[154:155]
	v_pk_mov_b32 v[154:155], v[50:51], v[50:51] op_sel:[0,1]
	v_fmac_f64_e32 v[154:155], s[22:23], v[150:151]
	v_pk_mov_b32 v[156:157], v[52:53], v[52:53] op_sel:[0,1]
	v_fmac_f64_e32 v[156:157], v[150:151], v[154:155]
	;; [unrolled: 2-line block ×5, first 2 shown]
	v_fma_f64 v[154:155], v[150:151], v[154:155], 1.0
	v_div_scale_f64 v[156:157], s[74:75], v[154:155], v[154:155], v[152:153]
	v_rcp_f64_e32 v[158:159], v[156:157]
	v_fma_f64 v[160:161], -v[156:157], v[158:159], 1.0
	v_fmac_f64_e32 v[158:159], v[158:159], v[160:161]
	v_fma_f64 v[160:161], -v[156:157], v[158:159], 1.0
	v_fmac_f64_e32 v[158:159], v[158:159], v[160:161]
	v_div_scale_f64 v[160:161], vcc, v[152:153], v[154:155], v[152:153]
	v_mul_f64 v[162:163], v[160:161], v[158:159]
	v_fma_f64 v[156:157], -v[156:157], v[162:163], v[160:161]
	v_add_f64 v[160:161], v[150:151], s[26:27]
	s_nop 0
	v_div_fmas_f64 v[156:157], v[156:157], v[158:159], v[162:163]
	v_div_fixup_f64 v[152:153], v[156:157], v[154:155], v[152:153]
	v_add_f64 v[154:155], v[150:151], 2.0
	v_cmp_lt_i32_e32 vcc, 2, v11
	v_add_f64 v[156:157], v[150:151], s[24:25]
	v_cndmask_b32_e32 v155, v168, v155, vcc
	v_cndmask_b32_e32 v154, 0, v154, vcc
	v_cmp_lt_i32_e32 vcc, 3, v11
	v_add_f64 v[158:159], v[150:151], 4.0
	v_cndmask_b32_e32 v157, v168, v157, vcc
	v_cndmask_b32_e32 v156, 0, v156, vcc
	v_cmp_lt_i32_e32 vcc, 4, v11
	v_mul_f64 v[154:155], v[154:155], v[156:157]
	v_cndmask_b32_e32 v157, v168, v159, vcc
	v_cndmask_b32_e32 v156, 0, v158, vcc
	v_cmp_lt_i32_e32 vcc, 5, v11
	v_fmac_f64_e32 v[152:153], 0.5, v[150:151]
	v_add_f64 v[150:151], v[150:151], s[28:29]
	v_mul_f64 v[154:155], v[156:157], v[154:155]
	v_cndmask_b32_e32 v157, v168, v161, vcc
	v_cndmask_b32_e32 v156, 0, v160, vcc
	v_cmp_lt_i32_e32 vcc, 6, v11
	v_mul_f64 v[154:155], v[156:157], v[154:155]
	v_cndmask_b32_e32 v151, v168, v151, vcc
	v_cndmask_b32_e32 v150, 0, v150, vcc
	v_mul_f64 v[150:151], v[150:151], v[154:155]
	v_frexp_mant_f64_e32 v[154:155], v[150:151]
	v_cmp_gt_f64_e32 vcc, s[8:9], v[154:155]
	v_cndmask_b32_e64 v11, v168, 2.0, vcc
	v_mul_f64 v[154:155], v[154:155], v[10:11]
	v_add_f64 v[156:157], v[154:155], 1.0
	v_rcp_f64_e32 v[158:159], v[156:157]
	v_add_f64 v[162:163], v[156:157], -1.0
	v_add_f64 v[160:161], v[154:155], -1.0
	v_add_f64 v[154:155], v[154:155], -v[162:163]
	v_fma_f64 v[162:163], -v[156:157], v[158:159], 1.0
	v_fmac_f64_e32 v[158:159], v[162:163], v[158:159]
	v_fma_f64 v[162:163], -v[156:157], v[158:159], 1.0
	v_fmac_f64_e32 v[158:159], v[162:163], v[158:159]
	v_mul_f64 v[162:163], v[160:161], v[158:159]
	v_mul_f64 v[164:165], v[156:157], v[162:163]
	v_fma_f64 v[156:157], v[162:163], v[156:157], -v[164:165]
	v_fmac_f64_e32 v[156:157], v[162:163], v[154:155]
	v_add_f64 v[154:155], v[164:165], v[156:157]
	v_add_f64 v[172:173], v[160:161], -v[154:155]
	v_add_f64 v[164:165], v[154:155], -v[164:165]
	;; [unrolled: 1-line block ×5, first 2 shown]
	v_add_f64 v[154:155], v[156:157], v[154:155]
	v_add_f64 v[154:155], v[172:173], v[154:155]
	v_mul_f64 v[154:155], v[158:159], v[154:155]
	v_add_f64 v[156:157], v[162:163], v[154:155]
	v_add_f64 v[158:159], v[156:157], -v[162:163]
	v_add_f64 v[154:155], v[154:155], -v[158:159]
	v_mul_f64 v[158:159], v[156:157], v[156:157]
	v_pk_mov_b32 v[160:161], v[12:13], v[12:13] op_sel:[0,1]
	v_fmac_f64_e32 v[160:161], s[10:11], v[158:159]
	v_pk_mov_b32 v[162:163], v[14:15], v[14:15] op_sel:[0,1]
	v_fmac_f64_e32 v[162:163], v[158:159], v[160:161]
	;; [unrolled: 2-line block ×6, first 2 shown]
	v_ldexp_f64 v[160:161], v[156:157], 1
	v_mul_f64 v[156:157], v[156:157], v[158:159]
	v_mul_f64 v[156:157], v[156:157], v[162:163]
	v_add_f64 v[158:159], v[160:161], v[156:157]
	v_add_f64 v[160:161], v[158:159], -v[160:161]
	v_ldexp_f64 v[154:155], v[154:155], 1
	v_add_f64 v[156:157], v[156:157], -v[160:161]
	v_add_f64 v[154:155], v[154:155], v[156:157]
	v_frexp_exp_i32_f64_e32 v48, v[150:151]
	v_add_f64 v[156:157], v[158:159], v[154:155]
	v_subbrev_co_u32_e32 v11, vcc, 0, v48, vcc
	v_add_f64 v[158:159], v[156:157], -v[158:159]
	v_add_f64 v[154:155], v[154:155], -v[158:159]
	v_cvt_f64_i32_e32 v[158:159], v11
	v_mul_f64 v[160:161], v[158:159], s[14:15]
	v_fma_f64 v[162:163], v[158:159], s[14:15], -v[160:161]
	v_fmac_f64_e32 v[162:163], s[16:17], v[158:159]
	v_add_f64 v[158:159], v[160:161], v[162:163]
	v_add_f64 v[160:161], v[158:159], -v[160:161]
	v_add_f64 v[160:161], v[162:163], -v[160:161]
	v_add_f64 v[162:163], v[158:159], v[156:157]
	v_add_f64 v[164:165], v[162:163], -v[158:159]
	v_add_f64 v[172:173], v[162:163], -v[164:165]
	v_add_f64 v[158:159], v[158:159], -v[172:173]
	v_add_f64 v[156:157], v[156:157], -v[164:165]
	v_add_f64 v[156:157], v[156:157], v[158:159]
	v_add_f64 v[158:159], v[160:161], v[154:155]
	v_add_f64 v[164:165], v[158:159], -v[160:161]
	v_add_f64 v[172:173], v[158:159], -v[164:165]
	v_add_f64 v[156:157], v[158:159], v[156:157]
	v_add_f64 v[160:161], v[160:161], -v[172:173]
	v_add_f64 v[154:155], v[154:155], -v[164:165]
	v_add_f64 v[158:159], v[162:163], v[156:157]
	v_add_f64 v[154:155], v[154:155], v[160:161]
	v_add_f64 v[160:161], v[158:159], -v[162:163]
	v_add_f64 v[156:157], v[156:157], -v[160:161]
	v_add_f64 v[154:155], v[154:155], v[156:157]
	v_add_f64 v[154:155], v[158:159], v[154:155]
	v_cmp_class_f64_e64 vcc, v[150:151], s80
	v_cndmask_b32_e32 v11, v154, v150, vcc
	v_cndmask_b32_e32 v48, v155, v151, vcc
	v_cmp_ngt_f64_e32 vcc, 0, v[150:151]
	v_cndmask_b32_e32 v48, v170, v48, vcc
	v_cmp_nge_f64_e32 vcc, 0, v[150:151]
	v_cndmask_b32_e32 v154, 0, v11, vcc
	v_cmp_neq_f64_e32 vcc, 0, v[150:151]
	v_cndmask_b32_e32 v155, v169, v48, vcc
	v_add_f64 v[150:151], v[152:153], v[154:155]
.LBB12_206:                             ;   in Loop: Header=BB12_162 Depth=1
	s_or_b64 exec, exec, s[72:73]
.LBB12_207:                             ;   in Loop: Header=BB12_162 Depth=1
	s_andn2_saveexec_b64 s[2:3], s[2:3]
	s_cbranch_execz .LBB12_221
; %bb.208:                              ;   in Loop: Header=BB12_162 Depth=1
	v_cmp_lt_u32_e32 vcc, s81, v149
                                        ; implicit-def: $sgpr74_sgpr75
                                        ; implicit-def: $vgpr11
                                        ; implicit-def: $vgpr152_vgpr153
	s_and_saveexec_b64 s[72:73], vcc
	s_xor_b64 s[72:73], exec, s[72:73]
	s_cbranch_execz .LBB12_210
; %bb.209:                              ;   in Loop: Header=BB12_162 Depth=1
	v_add_f64 v[150:151], -|v[8:9]|, 2.0
	v_add_f64 v[152:153], |v[8:9]|, s[30:31]
	v_cmp_gt_u32_e32 vcc, s82, v149
	v_cndmask_b32_e32 v11, v150, v152, vcc
	v_cndmask_b32_e32 v48, v151, v153, vcc
	v_cndmask_b32_e64 v144, 0, 1, vcc
	v_add_f64 v[150:151], |v[8:9]|, -1.0
	v_cmp_gt_u32_e32 vcc, s83, v149
	v_cndmask_b32_e32 v153, v48, v151, vcc
	v_cndmask_b32_e32 v152, v11, v150, vcc
	v_cndmask_b32_e64 v11, v144, 2, vcc
	s_mov_b64 s[74:75], 0
.LBB12_210:                             ;   in Loop: Header=BB12_162 Depth=1
	s_or_saveexec_b64 s[72:73], s[72:73]
	v_pk_mov_b32 v[150:151], s[74:75], s[74:75] op_sel:[0,1]
	s_xor_b64 exec, exec, s[72:73]
	s_cbranch_execz .LBB12_212
; %bb.211:                              ;   in Loop: Header=BB12_162 Depth=1
	v_frexp_mant_f64_e64 v[150:151], |v[8:9]|
	v_cmp_gt_f64_e32 vcc, s[8:9], v[150:151]
	v_cndmask_b32_e64 v11, v168, 2.0, vcc
	v_mul_f64 v[150:151], v[150:151], v[10:11]
	v_add_f64 v[152:153], v[150:151], 1.0
	v_rcp_f64_e32 v[154:155], v[152:153]
	v_add_f64 v[158:159], v[152:153], -1.0
	v_add_f64 v[156:157], v[150:151], -1.0
	v_add_f64 v[150:151], v[150:151], -v[158:159]
	v_fma_f64 v[158:159], -v[152:153], v[154:155], 1.0
	v_fmac_f64_e32 v[154:155], v[158:159], v[154:155]
	v_fma_f64 v[158:159], -v[152:153], v[154:155], 1.0
	v_fmac_f64_e32 v[154:155], v[158:159], v[154:155]
	v_mul_f64 v[158:159], v[156:157], v[154:155]
	v_mul_f64 v[160:161], v[152:153], v[158:159]
	v_fma_f64 v[152:153], v[158:159], v[152:153], -v[160:161]
	v_fmac_f64_e32 v[152:153], v[158:159], v[150:151]
	v_add_f64 v[150:151], v[160:161], v[152:153]
	v_add_f64 v[162:163], v[156:157], -v[150:151]
	v_add_f64 v[160:161], v[150:151], -v[160:161]
	;; [unrolled: 1-line block ×5, first 2 shown]
	v_add_f64 v[150:151], v[152:153], v[150:151]
	v_add_f64 v[150:151], v[162:163], v[150:151]
	v_mul_f64 v[150:151], v[154:155], v[150:151]
	v_add_f64 v[152:153], v[158:159], v[150:151]
	v_add_f64 v[154:155], v[152:153], -v[158:159]
	v_add_f64 v[150:151], v[150:151], -v[154:155]
	v_mul_f64 v[154:155], v[152:153], v[152:153]
	v_pk_mov_b32 v[156:157], v[12:13], v[12:13] op_sel:[0,1]
	v_fmac_f64_e32 v[156:157], s[10:11], v[154:155]
	v_pk_mov_b32 v[158:159], v[14:15], v[14:15] op_sel:[0,1]
	v_fmac_f64_e32 v[158:159], v[154:155], v[156:157]
	;; [unrolled: 2-line block ×6, first 2 shown]
	v_ldexp_f64 v[156:157], v[152:153], 1
	v_mul_f64 v[152:153], v[152:153], v[154:155]
	v_mul_f64 v[152:153], v[152:153], v[158:159]
	v_add_f64 v[154:155], v[156:157], v[152:153]
	v_add_f64 v[156:157], v[154:155], -v[156:157]
	v_ldexp_f64 v[150:151], v[150:151], 1
	v_add_f64 v[152:153], v[152:153], -v[156:157]
	v_add_f64 v[150:151], v[150:151], v[152:153]
	v_frexp_exp_i32_f64_e32 v144, v[8:9]
	v_add_f64 v[152:153], v[154:155], v[150:151]
	v_subbrev_co_u32_e32 v11, vcc, 0, v144, vcc
	v_add_f64 v[154:155], v[152:153], -v[154:155]
	v_add_f64 v[150:151], v[150:151], -v[154:155]
	v_cvt_f64_i32_e32 v[154:155], v11
	v_mul_f64 v[156:157], v[154:155], s[14:15]
	v_fma_f64 v[158:159], v[154:155], s[14:15], -v[156:157]
	v_fmac_f64_e32 v[158:159], s[16:17], v[154:155]
	v_add_f64 v[154:155], v[156:157], v[158:159]
	v_add_f64 v[156:157], v[154:155], -v[156:157]
	v_add_f64 v[156:157], v[158:159], -v[156:157]
	v_add_f64 v[158:159], v[154:155], v[152:153]
	v_add_f64 v[160:161], v[158:159], -v[154:155]
	v_add_f64 v[162:163], v[158:159], -v[160:161]
	;; [unrolled: 1-line block ×4, first 2 shown]
	v_add_f64 v[152:153], v[152:153], v[154:155]
	v_add_f64 v[154:155], v[156:157], v[150:151]
	v_add_f64 v[160:161], v[154:155], -v[156:157]
	v_add_f64 v[162:163], v[154:155], -v[160:161]
	v_add_f64 v[152:153], v[154:155], v[152:153]
	v_add_f64 v[156:157], v[156:157], -v[162:163]
	v_add_f64 v[150:151], v[150:151], -v[160:161]
	v_add_f64 v[154:155], v[158:159], v[152:153]
	v_add_f64 v[150:151], v[150:151], v[156:157]
	v_add_f64 v[156:157], v[154:155], -v[158:159]
	v_add_f64 v[152:153], v[152:153], -v[156:157]
	v_add_f64 v[150:151], v[150:151], v[152:153]
	v_and_b32_e32 v48, 0x7fffffff, v9
	v_add_f64 v[150:151], v[154:155], v[150:151]
	v_cmp_class_f64_e64 vcc, v[8:9], s80
	v_cndmask_b32_e32 v11, v150, v8, vcc
	v_cndmask_b32_e64 v144, -v151, -v48, vcc
	v_cmp_neq_f64_e32 vcc, 0, v[8:9]
	v_cndmask_b32_e32 v151, v171, v144, vcc
	v_cndmask_b32_e32 v150, 0, v11, vcc
	v_add_f64 v[152:153], -|v[8:9]|, 1.0
	v_add_f64 v[154:155], |v[8:9]|, s[34:35]
	v_cmp_gt_u32_e32 vcc, s84, v149
	v_cndmask_b32_e32 v11, v152, v154, vcc
	v_cndmask_b32_e32 v144, v153, v155, vcc
	v_cndmask_b32_e64 v148, 0, 1, vcc
	v_cmp_gt_u32_e32 vcc, s85, v149
	v_cndmask_b32_e32 v153, v144, v48, vcc
	v_cndmask_b32_e32 v152, v11, v8, vcc
	v_cndmask_b32_e64 v11, v148, 2, vcc
.LBB12_212:                             ;   in Loop: Header=BB12_162 Depth=1
	s_or_b64 exec, exec, s[72:73]
	v_cmp_lt_i32_e32 vcc, 1, v11
                                        ; implicit-def: $vgpr156_vgpr157
	s_and_saveexec_b64 s[72:73], vcc
	s_xor_b64 s[72:73], exec, s[72:73]
	s_cbranch_execz .LBB12_214
; %bb.213:                              ;   in Loop: Header=BB12_162 Depth=1
	v_pk_mov_b32 v[154:155], v[60:61], v[60:61] op_sel:[0,1]
	v_fmac_f64_e32 v[154:155], s[36:37], v[152:153]
	v_pk_mov_b32 v[156:157], v[62:63], v[62:63] op_sel:[0,1]
	v_fmac_f64_e32 v[156:157], v[152:153], v[154:155]
	;; [unrolled: 2-line block ×3, first 2 shown]
	v_pk_mov_b32 v[156:157], v[66:67], v[66:67] op_sel:[0,1]
	v_mov_b32_e32 v48, v46
	v_fmac_f64_e32 v[156:157], v[152:153], v[154:155]
	v_pk_mov_b32 v[154:155], v[48:49], v[48:49] op_sel:[0,1]
	v_fmac_f64_e32 v[154:155], v[152:153], v[156:157]
	v_pk_mov_b32 v[156:157], v[68:69], v[68:69] op_sel:[0,1]
	;; [unrolled: 2-line block ×5, first 2 shown]
	v_fmac_f64_e32 v[158:159], v[152:153], v[156:157]
	v_mul_f64 v[154:155], v[152:153], v[154:155]
	v_fma_f64 v[156:157], v[152:153], v[158:159], 1.0
	v_div_scale_f64 v[158:159], s[74:75], v[156:157], v[156:157], v[154:155]
	v_rcp_f64_e32 v[160:161], v[158:159]
                                        ; implicit-def: $vgpr11
	v_fma_f64 v[162:163], -v[158:159], v[160:161], 1.0
	v_fmac_f64_e32 v[160:161], v[160:161], v[162:163]
	v_fma_f64 v[162:163], -v[158:159], v[160:161], 1.0
	v_fmac_f64_e32 v[160:161], v[160:161], v[162:163]
	v_div_scale_f64 v[162:163], vcc, v[154:155], v[156:157], v[154:155]
	v_mul_f64 v[164:165], v[162:163], v[160:161]
	v_fma_f64 v[158:159], -v[158:159], v[164:165], v[162:163]
	s_nop 1
	v_div_fmas_f64 v[158:159], v[158:159], v[160:161], v[164:165]
	v_div_fixup_f64 v[156:157], v[158:159], v[156:157], v[154:155]
	v_fmac_f64_e32 v[156:157], -0.5, v[152:153]
                                        ; implicit-def: $vgpr152_vgpr153
.LBB12_214:                             ;   in Loop: Header=BB12_162 Depth=1
	s_andn2_saveexec_b64 s[72:73], s[72:73]
	s_cbranch_execz .LBB12_220
; %bb.215:                              ;   in Loop: Header=BB12_162 Depth=1
	v_cmp_ne_u32_e32 vcc, 1, v11
	v_mul_f64 v[154:155], v[152:153], v[152:153]
                                        ; implicit-def: $vgpr156_vgpr157
	s_and_saveexec_b64 s[74:75], vcc
	s_xor_b64 s[74:75], exec, s[74:75]
	s_cbranch_execz .LBB12_217
; %bb.216:                              ;   in Loop: Header=BB12_162 Depth=1
	v_pk_mov_b32 v[156:157], v[76:77], v[76:77] op_sel:[0,1]
	v_fmac_f64_e32 v[156:157], s[40:41], v[154:155]
	v_pk_mov_b32 v[158:159], v[78:79], v[78:79] op_sel:[0,1]
	v_fmac_f64_e32 v[158:159], v[154:155], v[156:157]
	;; [unrolled: 2-line block ×4, first 2 shown]
	v_pk_mov_b32 v[160:161], v[46:47], v[46:47] op_sel:[0,1]
	v_pk_mov_b32 v[156:157], v[84:85], v[84:85] op_sel:[0,1]
	v_fmac_f64_e32 v[160:161], v[154:155], v[158:159]
	v_fmac_f64_e32 v[156:157], s[42:43], v[154:155]
	v_pk_mov_b32 v[158:159], v[86:87], v[86:87] op_sel:[0,1]
	v_fmac_f64_e32 v[158:159], v[154:155], v[156:157]
	v_pk_mov_b32 v[156:157], v[88:89], v[88:89] op_sel:[0,1]
	;; [unrolled: 2-line block ×4, first 2 shown]
	v_fmac_f64_e32 v[156:157], v[154:155], v[158:159]
	v_mul_f64 v[156:157], v[154:155], v[156:157]
	v_fmac_f64_e32 v[156:157], v[152:153], v[160:161]
	v_fmac_f64_e32 v[156:157], -0.5, v[152:153]
                                        ; implicit-def: $vgpr152_vgpr153
                                        ; implicit-def: $vgpr154_vgpr155
.LBB12_217:                             ;   in Loop: Header=BB12_162 Depth=1
	s_andn2_saveexec_b64 s[74:75], s[74:75]
	s_cbranch_execz .LBB12_219
; %bb.218:                              ;   in Loop: Header=BB12_162 Depth=1
	v_mul_f64 v[156:157], v[152:153], v[154:155]
	v_pk_mov_b32 v[158:159], v[94:95], v[94:95] op_sel:[0,1]
	v_fmac_f64_e32 v[158:159], s[44:45], v[156:157]
	v_pk_mov_b32 v[160:161], v[96:97], v[96:97] op_sel:[0,1]
	v_fmac_f64_e32 v[160:161], v[156:157], v[158:159]
	;; [unrolled: 2-line block ×12, first 2 shown]
	v_fmac_f64_e32 v[162:163], v[152:153], v[164:165]
	v_fma_f64 v[152:153], v[156:157], -v[162:163], s[50:51]
	v_fma_f64 v[152:153], v[154:155], v[160:161], -v[152:153]
	v_add_f64 v[156:157], v[152:153], s[52:53]
.LBB12_219:                             ;   in Loop: Header=BB12_162 Depth=1
	s_or_b64 exec, exec, s[74:75]
.LBB12_220:                             ;   in Loop: Header=BB12_162 Depth=1
	s_or_b64 exec, exec, s[72:73]
	v_add_f64 v[150:151], v[150:151], v[156:157]
.LBB12_221:                             ;   in Loop: Header=BB12_162 Depth=1
	s_or_b64 exec, exec, s[2:3]
.LBB12_222:                             ;   in Loop: Header=BB12_162 Depth=1
	s_andn2_saveexec_b64 s[0:1], s[0:1]
	s_cbranch_execz .LBB12_224
; %bb.223:                              ;   in Loop: Header=BB12_162 Depth=1
	v_frexp_mant_f64_e64 v[152:153], |v[8:9]|
	v_cmp_gt_f64_e32 vcc, s[8:9], v[152:153]
	v_cndmask_b32_e64 v11, v168, 2.0, vcc
	v_mul_f64 v[152:153], v[152:153], v[10:11]
	v_add_f64 v[154:155], v[152:153], 1.0
	v_rcp_f64_e32 v[156:157], v[154:155]
	v_add_f64 v[160:161], v[154:155], -1.0
	v_add_f64 v[158:159], v[152:153], -1.0
	v_add_f64 v[152:153], v[152:153], -v[160:161]
	v_fma_f64 v[160:161], -v[154:155], v[156:157], 1.0
	v_fmac_f64_e32 v[156:157], v[160:161], v[156:157]
	v_fma_f64 v[160:161], -v[154:155], v[156:157], 1.0
	v_fmac_f64_e32 v[156:157], v[160:161], v[156:157]
	v_mul_f64 v[160:161], v[158:159], v[156:157]
	v_mul_f64 v[162:163], v[154:155], v[160:161]
	v_fma_f64 v[154:155], v[160:161], v[154:155], -v[162:163]
	v_fmac_f64_e32 v[154:155], v[160:161], v[152:153]
	v_add_f64 v[152:153], v[162:163], v[154:155]
	v_add_f64 v[164:165], v[158:159], -v[152:153]
	v_add_f64 v[162:163], v[152:153], -v[162:163]
	;; [unrolled: 1-line block ×5, first 2 shown]
	v_add_f64 v[152:153], v[154:155], v[152:153]
	v_add_f64 v[152:153], v[164:165], v[152:153]
	v_mul_f64 v[152:153], v[156:157], v[152:153]
	v_add_f64 v[154:155], v[160:161], v[152:153]
	v_add_f64 v[156:157], v[154:155], -v[160:161]
	v_add_f64 v[152:153], v[152:153], -v[156:157]
	v_mul_f64 v[156:157], v[154:155], v[154:155]
	v_pk_mov_b32 v[158:159], v[12:13], v[12:13] op_sel:[0,1]
	v_fmac_f64_e32 v[158:159], s[10:11], v[156:157]
	v_pk_mov_b32 v[160:161], v[14:15], v[14:15] op_sel:[0,1]
	v_fmac_f64_e32 v[160:161], v[156:157], v[158:159]
	;; [unrolled: 2-line block ×6, first 2 shown]
	v_ldexp_f64 v[158:159], v[154:155], 1
	v_mul_f64 v[154:155], v[154:155], v[156:157]
	v_mul_f64 v[154:155], v[154:155], v[160:161]
	v_add_f64 v[156:157], v[158:159], v[154:155]
	v_add_f64 v[158:159], v[156:157], -v[158:159]
	v_ldexp_f64 v[152:153], v[152:153], 1
	v_add_f64 v[154:155], v[154:155], -v[158:159]
	v_add_f64 v[152:153], v[152:153], v[154:155]
	v_frexp_exp_i32_f64_e32 v144, v[8:9]
	v_add_f64 v[154:155], v[156:157], v[152:153]
	v_subbrev_co_u32_e32 v11, vcc, 0, v144, vcc
	v_add_f64 v[156:157], v[154:155], -v[156:157]
	v_add_f64 v[152:153], v[152:153], -v[156:157]
	v_cvt_f64_i32_e32 v[156:157], v11
	v_mul_f64 v[158:159], v[156:157], s[14:15]
	v_fma_f64 v[160:161], v[156:157], s[14:15], -v[158:159]
	v_fmac_f64_e32 v[160:161], s[16:17], v[156:157]
	v_add_f64 v[156:157], v[158:159], v[160:161]
	v_add_f64 v[158:159], v[156:157], -v[158:159]
	v_add_f64 v[158:159], v[160:161], -v[158:159]
	v_add_f64 v[160:161], v[156:157], v[154:155]
	v_add_f64 v[162:163], v[160:161], -v[156:157]
	v_add_f64 v[164:165], v[160:161], -v[162:163]
	;; [unrolled: 1-line block ×4, first 2 shown]
	v_add_f64 v[154:155], v[154:155], v[156:157]
	v_add_f64 v[156:157], v[158:159], v[152:153]
	v_add_f64 v[162:163], v[156:157], -v[158:159]
	v_add_f64 v[164:165], v[156:157], -v[162:163]
	v_add_f64 v[154:155], v[156:157], v[154:155]
	v_add_f64 v[158:159], v[158:159], -v[164:165]
	v_add_f64 v[152:153], v[152:153], -v[162:163]
	v_add_f64 v[156:157], v[160:161], v[154:155]
	v_add_f64 v[152:153], v[152:153], v[158:159]
	v_add_f64 v[158:159], v[156:157], -v[160:161]
	v_add_f64 v[154:155], v[154:155], -v[158:159]
	v_fma_f64 v[150:151], |v[8:9]|, s[54:55], v[118:119]
	v_add_f64 v[152:153], v[152:153], v[154:155]
	v_and_b32_e32 v48, 0x7fffffff, v9
	v_fma_f64 v[150:151], |v[8:9]|, v[150:151], s[56:57]
	v_add_f64 v[152:153], v[156:157], v[152:153]
	v_cmp_class_f64_e64 vcc, v[8:9], s80
	v_fma_f64 v[150:151], |v[8:9]|, v[150:151], s[58:59]
	v_cndmask_b32_e32 v11, v152, v8, vcc
	v_cndmask_b32_e64 v48, -v153, -v48, vcc
	v_cmp_neq_f64_e32 vcc, 0, v[8:9]
	v_fma_f64 v[150:151], |v[8:9]|, v[150:151], s[60:61]
	v_cndmask_b32_e32 v153, v171, v48, vcc
	v_cndmask_b32_e32 v152, 0, v11, vcc
	v_fma_f64 v[150:151], |v[8:9]|, v[150:151], v[152:153]
.LBB12_224:                             ;   in Loop: Header=BB12_162 Depth=1
	s_or_b64 exec, exec, s[0:1]
	v_cmp_le_f64_e32 vcc, 0, v[8:9]
	s_and_saveexec_b64 s[0:1], vcc
	s_xor_b64 s[2:3], exec, s[0:1]
; %bb.225:                              ;   in Loop: Header=BB12_162 Depth=1
	v_cmp_eq_f64_e32 vcc, 1.0, v[8:9]
	v_cmp_eq_f64_e64 s[0:1], 2.0, v[8:9]
	s_or_b64 s[0:1], vcc, s[0:1]
	v_cndmask_b32_e64 v151, v151, 0, s[0:1]
	v_cndmask_b32_e64 v150, v150, 0, s[0:1]
; %bb.226:                              ;   in Loop: Header=BB12_162 Depth=1
	s_andn2_saveexec_b64 s[0:1], s[2:3]
	s_cbranch_execz .LBB12_230
; %bb.227:                              ;   in Loop: Header=BB12_162 Depth=1
	v_add_u32_e32 v11, 0xc32fffff, v149
	v_cmp_gt_u32_e32 vcc, s86, v11
	s_and_saveexec_b64 s[2:3], vcc
	s_cbranch_execz .LBB12_229
; %bb.228:                              ;   in Loop: Header=BB12_162 Depth=1
	v_mul_f64 v[152:153], |v[8:9]|, 0.5
	v_fract_f64_e32 v[154:155], v[152:153]
	v_add_f64 v[154:155], v[154:155], v[154:155]
	v_cmp_neq_f64_e64 vcc, |v[152:153]|, s[62:63]
	v_and_b32_e32 v11, 0x7fffffff, v9
	v_cndmask_b32_e32 v48, 0, v154, vcc
	v_cndmask_b32_e32 v144, 0, v155, vcc
	v_cmp_gt_f64_e64 vcc, |v[8:9]|, 1.0
	v_cndmask_b32_e32 v153, v11, v144, vcc
	v_cndmask_b32_e32 v152, v8, v48, vcc
	v_add_f64 v[154:155], v[152:153], v[152:153]
	v_rndne_f64_e32 v[154:155], v[154:155]
	v_fmac_f64_e32 v[152:153], -0.5, v[154:155]
	v_cvt_i32_f64_e32 v11, v[154:155]
	v_mul_f64 v[154:155], v[152:153], v[152:153]
	v_pk_mov_b32 v[156:157], v[120:121], v[120:121] op_sel:[0,1]
	v_fmac_f64_e32 v[156:157], s[64:65], v[154:155]
	v_pk_mov_b32 v[158:159], v[122:123], v[122:123] op_sel:[0,1]
	v_fmac_f64_e32 v[158:159], v[154:155], v[156:157]
	v_pk_mov_b32 v[156:157], v[124:125], v[124:125] op_sel:[0,1]
	v_fmac_f64_e32 v[156:157], v[154:155], v[158:159]
	v_pk_mov_b32 v[158:159], v[126:127], v[126:127] op_sel:[0,1]
	v_fmac_f64_e32 v[158:159], v[154:155], v[156:157]
	v_pk_mov_b32 v[156:157], v[128:129], v[128:129] op_sel:[0,1]
	v_fmac_f64_e32 v[156:157], v[154:155], v[158:159]
	v_mul_f64 v[158:159], v[152:153], v[154:155]
	v_mul_f64 v[156:157], v[158:159], v[156:157]
	v_fmac_f64_e32 v[156:157], s[66:67], v[152:153]
	v_pk_mov_b32 v[152:153], v[130:131], v[130:131] op_sel:[0,1]
	v_fmac_f64_e32 v[152:153], s[68:69], v[154:155]
	v_pk_mov_b32 v[158:159], v[132:133], v[132:133] op_sel:[0,1]
	;; [unrolled: 2-line block ×6, first 2 shown]
	v_fmac_f64_e32 v[158:159], v[154:155], v[152:153]
	v_and_b32_e32 v48, 1, v11
	v_lshlrev_b32_e32 v11, 30, v11
	v_fma_f64 v[152:153], v[154:155], v[158:159], 1.0
	v_cmp_eq_u32_e32 vcc, 0, v48
	v_xor_b32_e32 v11, v11, v9
	v_cndmask_b32_e32 v144, v153, v157, vcc
	v_and_b32_e32 v11, 0x80000000, v11
	v_cndmask_b32_e32 v48, v152, v156, vcc
	v_xor_b32_e32 v11, v144, v11
	v_cmp_class_f64_e64 vcc, v[8:9], s87
	v_cndmask_b32_e32 v152, 0, v48, vcc
	v_cndmask_b32_e32 v153, v170, v11, vcc
	v_mul_f64 v[152:153], v[8:9], v[152:153]
	v_and_b32_e32 v155, 0x7fffffff, v153
	v_mov_b32_e32 v154, v152
	v_div_scale_f64 v[156:157], s[72:73], v[154:155], v[154:155], s[66:67]
	v_rcp_f64_e32 v[158:159], v[156:157]
	v_div_scale_f64 v[154:155], vcc, s[66:67], v[154:155], s[66:67]
	v_cmp_class_f64_e64 s[72:73], v[8:9], s80
	v_fma_f64 v[160:161], -v[156:157], v[158:159], 1.0
	v_fmac_f64_e32 v[158:159], v[158:159], v[160:161]
	v_fma_f64 v[160:161], -v[156:157], v[158:159], 1.0
	v_fmac_f64_e32 v[158:159], v[158:159], v[160:161]
	v_mul_f64 v[160:161], v[154:155], v[158:159]
	v_fma_f64 v[154:155], -v[156:157], v[160:161], v[154:155]
	v_div_fmas_f64 v[154:155], v[154:155], v[158:159], v[160:161]
	v_div_fixup_f64 v[152:153], v[154:155], |v[152:153]|, s[66:67]
	v_frexp_mant_f64_e32 v[154:155], v[152:153]
	v_cmp_gt_f64_e32 vcc, s[8:9], v[154:155]
	v_cndmask_b32_e64 v11, v168, 2.0, vcc
	v_mul_f64 v[154:155], v[154:155], v[10:11]
	v_add_f64 v[156:157], v[154:155], 1.0
	v_rcp_f64_e32 v[158:159], v[156:157]
	v_add_f64 v[162:163], v[156:157], -1.0
	v_add_f64 v[160:161], v[154:155], -1.0
	v_add_f64 v[154:155], v[154:155], -v[162:163]
	v_fma_f64 v[162:163], -v[156:157], v[158:159], 1.0
	v_fmac_f64_e32 v[158:159], v[162:163], v[158:159]
	v_fma_f64 v[162:163], -v[156:157], v[158:159], 1.0
	v_fmac_f64_e32 v[158:159], v[162:163], v[158:159]
	v_mul_f64 v[162:163], v[160:161], v[158:159]
	v_mul_f64 v[164:165], v[156:157], v[162:163]
	v_fma_f64 v[156:157], v[162:163], v[156:157], -v[164:165]
	v_fmac_f64_e32 v[156:157], v[162:163], v[154:155]
	v_add_f64 v[154:155], v[164:165], v[156:157]
	v_add_f64 v[172:173], v[160:161], -v[154:155]
	v_add_f64 v[164:165], v[154:155], -v[164:165]
	;; [unrolled: 1-line block ×5, first 2 shown]
	v_add_f64 v[154:155], v[156:157], v[154:155]
	v_add_f64 v[154:155], v[172:173], v[154:155]
	v_mul_f64 v[154:155], v[158:159], v[154:155]
	v_add_f64 v[156:157], v[162:163], v[154:155]
	v_add_f64 v[158:159], v[156:157], -v[162:163]
	v_add_f64 v[154:155], v[154:155], -v[158:159]
	v_mul_f64 v[158:159], v[156:157], v[156:157]
	v_pk_mov_b32 v[160:161], v[12:13], v[12:13] op_sel:[0,1]
	v_fmac_f64_e32 v[160:161], s[10:11], v[158:159]
	v_pk_mov_b32 v[162:163], v[14:15], v[14:15] op_sel:[0,1]
	v_fmac_f64_e32 v[162:163], v[158:159], v[160:161]
	;; [unrolled: 2-line block ×6, first 2 shown]
	v_ldexp_f64 v[160:161], v[156:157], 1
	v_mul_f64 v[156:157], v[156:157], v[158:159]
	v_mul_f64 v[156:157], v[156:157], v[162:163]
	v_add_f64 v[158:159], v[160:161], v[156:157]
	v_add_f64 v[160:161], v[158:159], -v[160:161]
	v_ldexp_f64 v[154:155], v[154:155], 1
	v_add_f64 v[156:157], v[156:157], -v[160:161]
	v_add_f64 v[154:155], v[154:155], v[156:157]
	v_frexp_exp_i32_f64_e32 v48, v[152:153]
	v_add_f64 v[156:157], v[158:159], v[154:155]
	v_subbrev_co_u32_e32 v11, vcc, 0, v48, vcc
	v_add_f64 v[158:159], v[156:157], -v[158:159]
	v_add_f64 v[154:155], v[154:155], -v[158:159]
	v_cvt_f64_i32_e32 v[158:159], v11
	v_mul_f64 v[160:161], v[158:159], s[14:15]
	v_fma_f64 v[162:163], v[158:159], s[14:15], -v[160:161]
	v_fmac_f64_e32 v[162:163], s[16:17], v[158:159]
	v_add_f64 v[158:159], v[160:161], v[162:163]
	v_add_f64 v[160:161], v[158:159], -v[160:161]
	v_add_f64 v[160:161], v[162:163], -v[160:161]
	v_add_f64 v[162:163], v[158:159], v[156:157]
	v_add_f64 v[164:165], v[162:163], -v[158:159]
	v_add_f64 v[172:173], v[162:163], -v[164:165]
	;; [unrolled: 1-line block ×4, first 2 shown]
	v_add_f64 v[156:157], v[156:157], v[158:159]
	v_add_f64 v[158:159], v[160:161], v[154:155]
	v_add_f64 v[164:165], v[158:159], -v[160:161]
	v_add_f64 v[172:173], v[158:159], -v[164:165]
	v_add_f64 v[156:157], v[158:159], v[156:157]
	v_add_f64 v[160:161], v[160:161], -v[172:173]
	v_add_f64 v[154:155], v[154:155], -v[164:165]
	v_add_f64 v[158:159], v[162:163], v[156:157]
	v_add_f64 v[154:155], v[154:155], v[160:161]
	v_add_f64 v[160:161], v[158:159], -v[162:163]
	v_add_f64 v[156:157], v[156:157], -v[160:161]
	v_add_f64 v[154:155], v[154:155], v[156:157]
	v_add_f64 v[154:155], v[158:159], v[154:155]
	v_cmp_class_f64_e64 vcc, v[152:153], s80
	v_cndmask_b32_e32 v11, v154, v152, vcc
	v_cndmask_b32_e32 v48, v155, v153, vcc
	v_cmp_neq_f64_e32 vcc, 0, v[152:153]
	v_cndmask_b32_e32 v153, v169, v48, vcc
	v_cndmask_b32_e32 v152, 0, v11, vcc
	v_add_f64 v[150:151], v[152:153], -v[150:151]
	v_fract_f64_e32 v[152:153], v[8:9]
	v_cmp_eq_f64_e32 vcc, 0, v[152:153]
	s_or_b64 vcc, s[72:73], vcc
	v_cndmask_b32_e32 v151, v151, v171, vcc
	v_cndmask_b32_e64 v150, v150, 0, vcc
.LBB12_229:                             ;   in Loop: Header=BB12_162 Depth=1
	s_or_b64 exec, exec, s[2:3]
.LBB12_230:                             ;   in Loop: Header=BB12_162 Depth=1
	s_or_b64 exec, exec, s[0:1]
	s_waitcnt vmcnt(0)
	v_and_b32_e32 v153, 0x7fffffff, v3
	v_mov_b32_e32 v152, v2
	v_cmp_lt_u32_e32 vcc, s76, v153
                                        ; implicit-def: $vgpr154_vgpr155
	s_and_saveexec_b64 s[0:1], vcc
	s_xor_b64 s[0:1], exec, s[0:1]
	s_cbranch_execz .LBB12_256
; %bb.231:                              ;   in Loop: Header=BB12_162 Depth=1
	v_cmp_lt_u32_e32 vcc, s77, v153
                                        ; implicit-def: $vgpr154_vgpr155
	s_and_saveexec_b64 s[2:3], vcc
	s_xor_b64 s[2:3], exec, s[2:3]
	s_cbranch_execz .LBB12_241
; %bb.232:                              ;   in Loop: Header=BB12_162 Depth=1
	;; [unrolled: 6-line block ×4, first 2 shown]
	v_frexp_mant_f64_e64 v[154:155], |v[2:3]|
	v_cmp_gt_f64_e32 vcc, s[8:9], v[154:155]
	v_cndmask_b32_e64 v11, v168, 2.0, vcc
	v_mul_f64 v[154:155], v[154:155], v[10:11]
	v_add_f64 v[156:157], v[154:155], 1.0
	v_rcp_f64_e32 v[158:159], v[156:157]
	v_add_f64 v[162:163], v[156:157], -1.0
	v_add_f64 v[160:161], v[154:155], -1.0
	v_add_f64 v[154:155], v[154:155], -v[162:163]
	v_fma_f64 v[162:163], -v[156:157], v[158:159], 1.0
	v_fmac_f64_e32 v[158:159], v[162:163], v[158:159]
	v_fma_f64 v[162:163], -v[156:157], v[158:159], 1.0
	v_fmac_f64_e32 v[158:159], v[162:163], v[158:159]
	v_mul_f64 v[162:163], v[160:161], v[158:159]
	v_mul_f64 v[164:165], v[156:157], v[162:163]
	v_fma_f64 v[156:157], v[162:163], v[156:157], -v[164:165]
	v_fmac_f64_e32 v[156:157], v[162:163], v[154:155]
	v_add_f64 v[154:155], v[164:165], v[156:157]
	v_add_f64 v[172:173], v[160:161], -v[154:155]
	v_add_f64 v[164:165], v[154:155], -v[164:165]
	;; [unrolled: 1-line block ×5, first 2 shown]
	v_add_f64 v[154:155], v[156:157], v[154:155]
	v_add_f64 v[154:155], v[172:173], v[154:155]
	v_mul_f64 v[154:155], v[158:159], v[154:155]
	v_add_f64 v[156:157], v[162:163], v[154:155]
	v_add_f64 v[158:159], v[156:157], -v[162:163]
	v_add_f64 v[154:155], v[154:155], -v[158:159]
	v_mul_f64 v[158:159], v[156:157], v[156:157]
	v_pk_mov_b32 v[160:161], v[12:13], v[12:13] op_sel:[0,1]
	v_fmac_f64_e32 v[160:161], s[10:11], v[158:159]
	v_pk_mov_b32 v[162:163], v[14:15], v[14:15] op_sel:[0,1]
	v_fmac_f64_e32 v[162:163], v[158:159], v[160:161]
	;; [unrolled: 2-line block ×6, first 2 shown]
	v_ldexp_f64 v[160:161], v[156:157], 1
	v_mul_f64 v[156:157], v[156:157], v[158:159]
	v_mul_f64 v[156:157], v[156:157], v[162:163]
	v_add_f64 v[158:159], v[160:161], v[156:157]
	v_add_f64 v[160:161], v[158:159], -v[160:161]
	v_ldexp_f64 v[154:155], v[154:155], 1
	v_add_f64 v[156:157], v[156:157], -v[160:161]
	v_add_f64 v[154:155], v[154:155], v[156:157]
	v_frexp_exp_i32_f64_e32 v144, v[2:3]
	v_add_f64 v[156:157], v[158:159], v[154:155]
	v_subbrev_co_u32_e32 v11, vcc, 0, v144, vcc
	v_add_f64 v[158:159], v[156:157], -v[158:159]
	v_add_f64 v[154:155], v[154:155], -v[158:159]
	v_cvt_f64_i32_e32 v[158:159], v11
	v_mul_f64 v[160:161], v[158:159], s[14:15]
	v_fma_f64 v[162:163], v[158:159], s[14:15], -v[160:161]
	v_fmac_f64_e32 v[162:163], s[16:17], v[158:159]
	v_add_f64 v[158:159], v[160:161], v[162:163]
	v_add_f64 v[160:161], v[158:159], -v[160:161]
	v_add_f64 v[160:161], v[162:163], -v[160:161]
	v_add_f64 v[162:163], v[158:159], v[156:157]
	v_add_f64 v[164:165], v[162:163], -v[158:159]
	v_add_f64 v[172:173], v[162:163], -v[164:165]
	;; [unrolled: 1-line block ×4, first 2 shown]
	v_add_f64 v[156:157], v[156:157], v[158:159]
	v_add_f64 v[158:159], v[160:161], v[154:155]
	v_add_f64 v[164:165], v[158:159], -v[160:161]
	v_add_f64 v[172:173], v[158:159], -v[164:165]
	v_add_f64 v[156:157], v[158:159], v[156:157]
	v_add_f64 v[160:161], v[160:161], -v[172:173]
	v_add_f64 v[154:155], v[154:155], -v[164:165]
	v_add_f64 v[158:159], v[162:163], v[156:157]
	v_add_f64 v[154:155], v[154:155], v[160:161]
	v_add_f64 v[160:161], v[158:159], -v[162:163]
	v_add_f64 v[156:157], v[156:157], -v[160:161]
	v_add_f64 v[154:155], v[154:155], v[156:157]
	v_and_b32_e32 v48, 0x7fffffff, v3
	v_add_f64 v[154:155], v[158:159], v[154:155]
	v_cmp_class_f64_e64 vcc, v[2:3], s80
	v_cndmask_b32_e32 v11, v154, v2, vcc
	v_cndmask_b32_e32 v48, v155, v48, vcc
	v_cmp_neq_f64_e32 vcc, 0, v[2:3]
	v_cndmask_b32_e32 v155, v169, v48, vcc
	v_cndmask_b32_e32 v154, 0, v11, vcc
	v_fma_f64 v[154:155], |v[2:3]|, v[154:155], -|v[2:3]|
.LBB12_235:                             ;   in Loop: Header=BB12_162 Depth=1
	s_andn2_saveexec_b64 s[74:75], s[74:75]
	s_cbranch_execz .LBB12_237
; %bb.236:                              ;   in Loop: Header=BB12_162 Depth=1
	v_and_b32_e32 v157, 0x7fffffff, v3
	v_mov_b32_e32 v156, v2
	v_div_scale_f64 v[154:155], s[90:91], v[156:157], v[156:157], 1.0
	v_rcp_f64_e32 v[158:159], v[154:155]
	v_frexp_exp_i32_f64_e32 v48, v[2:3]
	v_fma_f64 v[160:161], -v[154:155], v[158:159], 1.0
	v_fmac_f64_e32 v[158:159], v[158:159], v[160:161]
	v_fma_f64 v[160:161], -v[154:155], v[158:159], 1.0
	v_fmac_f64_e32 v[158:159], v[158:159], v[160:161]
	v_div_scale_f64 v[160:161], vcc, 1.0, v[156:157], 1.0
	v_mul_f64 v[162:163], v[160:161], v[158:159]
	v_fma_f64 v[154:155], -v[154:155], v[162:163], v[160:161]
	v_pk_mov_b32 v[160:161], v[24:25], v[24:25] op_sel:[0,1]
	s_nop 0
	v_div_fmas_f64 v[154:155], v[154:155], v[158:159], v[162:163]
	v_div_fixup_f64 v[158:159], v[154:155], |v[2:3]|, 1.0
	v_mul_f64 v[154:155], v[158:159], v[158:159]
	v_fmac_f64_e32 v[160:161], s[18:19], v[154:155]
	v_pk_mov_b32 v[162:163], v[26:27], v[26:27] op_sel:[0,1]
	v_fmac_f64_e32 v[162:163], v[154:155], v[160:161]
	v_pk_mov_b32 v[160:161], v[28:29], v[28:29] op_sel:[0,1]
	;; [unrolled: 2-line block ×5, first 2 shown]
	v_fmac_f64_e32 v[154:155], v[158:159], v[160:161]
	v_frexp_mant_f64_e64 v[160:161], |v[2:3]|
	v_cmp_gt_f64_e32 vcc, s[8:9], v[160:161]
	v_cndmask_b32_e64 v11, v168, 2.0, vcc
	v_mul_f64 v[160:161], v[160:161], v[10:11]
	v_add_f64 v[162:163], v[160:161], 1.0
	v_rcp_f64_e32 v[164:165], v[162:163]
	v_add_f64 v[174:175], v[162:163], -1.0
	v_add_f64 v[172:173], v[160:161], -1.0
	v_add_f64 v[160:161], v[160:161], -v[174:175]
	v_fma_f64 v[174:175], -v[162:163], v[164:165], 1.0
	v_fmac_f64_e32 v[164:165], v[174:175], v[164:165]
	v_fma_f64 v[174:175], -v[162:163], v[164:165], 1.0
	v_fmac_f64_e32 v[164:165], v[174:175], v[164:165]
	v_mul_f64 v[174:175], v[172:173], v[164:165]
	v_mul_f64 v[176:177], v[162:163], v[174:175]
	v_fma_f64 v[162:163], v[174:175], v[162:163], -v[176:177]
	v_fmac_f64_e32 v[162:163], v[174:175], v[160:161]
	v_add_f64 v[160:161], v[176:177], v[162:163]
	v_add_f64 v[178:179], v[172:173], -v[160:161]
	v_add_f64 v[176:177], v[160:161], -v[176:177]
	;; [unrolled: 1-line block ×5, first 2 shown]
	v_add_f64 v[160:161], v[162:163], v[160:161]
	v_add_f64 v[160:161], v[178:179], v[160:161]
	v_mul_f64 v[160:161], v[164:165], v[160:161]
	v_add_f64 v[162:163], v[174:175], v[160:161]
	v_add_f64 v[164:165], v[162:163], -v[174:175]
	v_add_f64 v[160:161], v[160:161], -v[164:165]
	v_mul_f64 v[164:165], v[162:163], v[162:163]
	v_pk_mov_b32 v[172:173], v[12:13], v[12:13] op_sel:[0,1]
	v_fmac_f64_e32 v[172:173], s[10:11], v[164:165]
	v_pk_mov_b32 v[174:175], v[14:15], v[14:15] op_sel:[0,1]
	v_fmac_f64_e32 v[174:175], v[164:165], v[172:173]
	;; [unrolled: 2-line block ×6, first 2 shown]
	v_ldexp_f64 v[172:173], v[162:163], 1
	v_mul_f64 v[162:163], v[162:163], v[164:165]
	v_mul_f64 v[162:163], v[162:163], v[174:175]
	v_add_f64 v[164:165], v[172:173], v[162:163]
	v_add_f64 v[172:173], v[164:165], -v[172:173]
	v_ldexp_f64 v[160:161], v[160:161], 1
	v_add_f64 v[162:163], v[162:163], -v[172:173]
	v_add_f64 v[160:161], v[160:161], v[162:163]
	v_add_f64 v[162:163], v[164:165], v[160:161]
	v_subbrev_co_u32_e32 v11, vcc, 0, v48, vcc
	v_add_f64 v[164:165], v[162:163], -v[164:165]
	v_add_f64 v[160:161], v[160:161], -v[164:165]
	v_cvt_f64_i32_e32 v[164:165], v11
	v_mul_f64 v[172:173], v[164:165], s[14:15]
	v_fma_f64 v[174:175], v[164:165], s[14:15], -v[172:173]
	v_fmac_f64_e32 v[174:175], s[16:17], v[164:165]
	v_add_f64 v[164:165], v[172:173], v[174:175]
	v_add_f64 v[172:173], v[164:165], -v[172:173]
	v_add_f64 v[172:173], v[174:175], -v[172:173]
	v_add_f64 v[174:175], v[164:165], v[162:163]
	v_add_f64 v[176:177], v[174:175], -v[164:165]
	v_add_f64 v[178:179], v[174:175], -v[176:177]
	;; [unrolled: 1-line block ×4, first 2 shown]
	v_add_f64 v[162:163], v[162:163], v[164:165]
	v_add_f64 v[164:165], v[172:173], v[160:161]
	v_add_f64 v[176:177], v[164:165], -v[172:173]
	v_add_f64 v[178:179], v[164:165], -v[176:177]
	v_add_f64 v[162:163], v[164:165], v[162:163]
	v_add_f64 v[172:173], v[172:173], -v[178:179]
	v_add_f64 v[160:161], v[160:161], -v[176:177]
	v_add_f64 v[164:165], v[174:175], v[162:163]
	v_add_f64 v[160:161], v[160:161], v[172:173]
	v_add_f64 v[172:173], v[164:165], -v[174:175]
	v_add_f64 v[162:163], v[162:163], -v[172:173]
	v_add_f64 v[160:161], v[160:161], v[162:163]
	v_add_f64 v[160:161], v[164:165], v[160:161]
	v_cmp_class_f64_e64 vcc, v[2:3], s80
	v_cndmask_b32_e32 v157, v161, v157, vcc
	v_cndmask_b32_e32 v156, v160, v156, vcc
	v_add_f64 v[156:157], v[156:157], -1.0
	v_cmp_neq_f64_e32 vcc, 0, v[2:3]
	v_add_f64 v[158:159], |v[2:3]|, -0.5
	v_cndmask_b32_e32 v157, v169, v157, vcc
	v_cndmask_b32_e32 v156, 0, v156, vcc
	v_fmac_f64_e32 v[154:155], v[158:159], v[156:157]
.LBB12_237:                             ;   in Loop: Header=BB12_162 Depth=1
	s_or_b64 exec, exec, s[74:75]
.LBB12_238:                             ;   in Loop: Header=BB12_162 Depth=1
	s_andn2_saveexec_b64 s[72:73], s[72:73]
	s_cbranch_execz .LBB12_240
; %bb.239:                              ;   in Loop: Header=BB12_162 Depth=1
	v_cvt_i32_f64_e32 v11, v[152:153]
	v_cvt_f64_i32_e32 v[154:155], v11
	v_add_f64 v[154:155], |v[2:3]|, -v[154:155]
	v_pk_mov_b32 v[156:157], v[36:37], v[36:37] op_sel:[0,1]
	v_fmac_f64_e32 v[156:157], s[20:21], v[154:155]
	v_pk_mov_b32 v[158:159], v[38:39], v[38:39] op_sel:[0,1]
	v_fmac_f64_e32 v[158:159], v[154:155], v[156:157]
	;; [unrolled: 2-line block ×4, first 2 shown]
	v_pk_mov_b32 v[156:157], v[44:45], v[44:45] op_sel:[0,1]
	v_mov_b32_e32 v48, v46
	v_fmac_f64_e32 v[156:157], v[154:155], v[158:159]
	v_pk_mov_b32 v[158:159], v[48:49], v[48:49] op_sel:[0,1]
	v_fmac_f64_e32 v[158:159], v[154:155], v[156:157]
	v_mul_f64 v[156:157], v[154:155], v[158:159]
	v_pk_mov_b32 v[158:159], v[50:51], v[50:51] op_sel:[0,1]
	v_fmac_f64_e32 v[158:159], s[22:23], v[154:155]
	v_pk_mov_b32 v[160:161], v[52:53], v[52:53] op_sel:[0,1]
	v_fmac_f64_e32 v[160:161], v[154:155], v[158:159]
	;; [unrolled: 2-line block ×5, first 2 shown]
	v_fma_f64 v[158:159], v[154:155], v[158:159], 1.0
	v_div_scale_f64 v[160:161], s[74:75], v[158:159], v[158:159], v[156:157]
	v_rcp_f64_e32 v[162:163], v[160:161]
	v_fma_f64 v[164:165], -v[160:161], v[162:163], 1.0
	v_fmac_f64_e32 v[162:163], v[162:163], v[164:165]
	v_fma_f64 v[164:165], -v[160:161], v[162:163], 1.0
	v_fmac_f64_e32 v[162:163], v[162:163], v[164:165]
	v_div_scale_f64 v[164:165], vcc, v[156:157], v[158:159], v[156:157]
	v_mul_f64 v[172:173], v[164:165], v[162:163]
	v_fma_f64 v[160:161], -v[160:161], v[172:173], v[164:165]
	v_add_f64 v[164:165], v[154:155], s[26:27]
	s_nop 0
	v_div_fmas_f64 v[160:161], v[160:161], v[162:163], v[172:173]
	v_div_fixup_f64 v[156:157], v[160:161], v[158:159], v[156:157]
	v_add_f64 v[158:159], v[154:155], 2.0
	v_cmp_lt_i32_e32 vcc, 2, v11
	v_add_f64 v[160:161], v[154:155], s[24:25]
	v_cndmask_b32_e32 v159, v168, v159, vcc
	v_cndmask_b32_e32 v158, 0, v158, vcc
	v_cmp_lt_i32_e32 vcc, 3, v11
	v_add_f64 v[162:163], v[154:155], 4.0
	v_cndmask_b32_e32 v161, v168, v161, vcc
	v_cndmask_b32_e32 v160, 0, v160, vcc
	v_cmp_lt_i32_e32 vcc, 4, v11
	v_mul_f64 v[158:159], v[158:159], v[160:161]
	v_cndmask_b32_e32 v161, v168, v163, vcc
	v_cndmask_b32_e32 v160, 0, v162, vcc
	v_cmp_lt_i32_e32 vcc, 5, v11
	v_fmac_f64_e32 v[156:157], 0.5, v[154:155]
	v_add_f64 v[154:155], v[154:155], s[28:29]
	v_mul_f64 v[158:159], v[160:161], v[158:159]
	v_cndmask_b32_e32 v161, v168, v165, vcc
	v_cndmask_b32_e32 v160, 0, v164, vcc
	v_cmp_lt_i32_e32 vcc, 6, v11
	v_mul_f64 v[158:159], v[160:161], v[158:159]
	v_cndmask_b32_e32 v155, v168, v155, vcc
	v_cndmask_b32_e32 v154, 0, v154, vcc
	v_mul_f64 v[154:155], v[154:155], v[158:159]
	v_frexp_mant_f64_e32 v[158:159], v[154:155]
	v_cmp_gt_f64_e32 vcc, s[8:9], v[158:159]
	v_cndmask_b32_e64 v11, v168, 2.0, vcc
	v_mul_f64 v[158:159], v[158:159], v[10:11]
	v_add_f64 v[160:161], v[158:159], 1.0
	v_rcp_f64_e32 v[162:163], v[160:161]
	v_add_f64 v[172:173], v[160:161], -1.0
	v_add_f64 v[164:165], v[158:159], -1.0
	v_add_f64 v[158:159], v[158:159], -v[172:173]
	v_fma_f64 v[172:173], -v[160:161], v[162:163], 1.0
	v_fmac_f64_e32 v[162:163], v[172:173], v[162:163]
	v_fma_f64 v[172:173], -v[160:161], v[162:163], 1.0
	v_fmac_f64_e32 v[162:163], v[172:173], v[162:163]
	v_mul_f64 v[172:173], v[164:165], v[162:163]
	v_mul_f64 v[174:175], v[160:161], v[172:173]
	v_fma_f64 v[160:161], v[172:173], v[160:161], -v[174:175]
	v_fmac_f64_e32 v[160:161], v[172:173], v[158:159]
	v_add_f64 v[158:159], v[174:175], v[160:161]
	v_add_f64 v[176:177], v[164:165], -v[158:159]
	v_add_f64 v[174:175], v[158:159], -v[174:175]
	;; [unrolled: 1-line block ×5, first 2 shown]
	v_add_f64 v[158:159], v[160:161], v[158:159]
	v_add_f64 v[158:159], v[176:177], v[158:159]
	v_mul_f64 v[158:159], v[162:163], v[158:159]
	v_add_f64 v[160:161], v[172:173], v[158:159]
	v_add_f64 v[162:163], v[160:161], -v[172:173]
	v_add_f64 v[158:159], v[158:159], -v[162:163]
	v_mul_f64 v[162:163], v[160:161], v[160:161]
	v_pk_mov_b32 v[164:165], v[12:13], v[12:13] op_sel:[0,1]
	v_fmac_f64_e32 v[164:165], s[10:11], v[162:163]
	v_pk_mov_b32 v[172:173], v[14:15], v[14:15] op_sel:[0,1]
	v_fmac_f64_e32 v[172:173], v[162:163], v[164:165]
	;; [unrolled: 2-line block ×6, first 2 shown]
	v_ldexp_f64 v[164:165], v[160:161], 1
	v_mul_f64 v[160:161], v[160:161], v[162:163]
	v_mul_f64 v[160:161], v[160:161], v[172:173]
	v_add_f64 v[162:163], v[164:165], v[160:161]
	v_add_f64 v[164:165], v[162:163], -v[164:165]
	v_ldexp_f64 v[158:159], v[158:159], 1
	v_add_f64 v[160:161], v[160:161], -v[164:165]
	v_add_f64 v[158:159], v[158:159], v[160:161]
	v_frexp_exp_i32_f64_e32 v48, v[154:155]
	v_add_f64 v[160:161], v[162:163], v[158:159]
	v_subbrev_co_u32_e32 v11, vcc, 0, v48, vcc
	v_add_f64 v[162:163], v[160:161], -v[162:163]
	v_add_f64 v[158:159], v[158:159], -v[162:163]
	v_cvt_f64_i32_e32 v[162:163], v11
	v_mul_f64 v[164:165], v[162:163], s[14:15]
	v_fma_f64 v[172:173], v[162:163], s[14:15], -v[164:165]
	v_fmac_f64_e32 v[172:173], s[16:17], v[162:163]
	v_add_f64 v[162:163], v[164:165], v[172:173]
	v_add_f64 v[164:165], v[162:163], -v[164:165]
	v_add_f64 v[164:165], v[172:173], -v[164:165]
	v_add_f64 v[172:173], v[162:163], v[160:161]
	v_add_f64 v[174:175], v[172:173], -v[162:163]
	v_add_f64 v[176:177], v[172:173], -v[174:175]
	;; [unrolled: 1-line block ×4, first 2 shown]
	v_add_f64 v[160:161], v[160:161], v[162:163]
	v_add_f64 v[162:163], v[164:165], v[158:159]
	v_add_f64 v[174:175], v[162:163], -v[164:165]
	v_add_f64 v[176:177], v[162:163], -v[174:175]
	v_add_f64 v[160:161], v[162:163], v[160:161]
	v_add_f64 v[164:165], v[164:165], -v[176:177]
	v_add_f64 v[158:159], v[158:159], -v[174:175]
	v_add_f64 v[162:163], v[172:173], v[160:161]
	v_add_f64 v[158:159], v[158:159], v[164:165]
	v_add_f64 v[164:165], v[162:163], -v[172:173]
	v_add_f64 v[160:161], v[160:161], -v[164:165]
	v_add_f64 v[158:159], v[158:159], v[160:161]
	v_add_f64 v[158:159], v[162:163], v[158:159]
	v_cmp_class_f64_e64 vcc, v[154:155], s80
	v_cndmask_b32_e32 v11, v158, v154, vcc
	v_cndmask_b32_e32 v48, v159, v155, vcc
	v_cmp_ngt_f64_e32 vcc, 0, v[154:155]
	v_cndmask_b32_e32 v48, v170, v48, vcc
	v_cmp_nge_f64_e32 vcc, 0, v[154:155]
	v_cndmask_b32_e32 v158, 0, v11, vcc
	v_cmp_neq_f64_e32 vcc, 0, v[154:155]
	v_cndmask_b32_e32 v159, v169, v48, vcc
	v_add_f64 v[154:155], v[156:157], v[158:159]
.LBB12_240:                             ;   in Loop: Header=BB12_162 Depth=1
	s_or_b64 exec, exec, s[72:73]
.LBB12_241:                             ;   in Loop: Header=BB12_162 Depth=1
	s_andn2_saveexec_b64 s[2:3], s[2:3]
	s_cbranch_execz .LBB12_255
; %bb.242:                              ;   in Loop: Header=BB12_162 Depth=1
	v_cmp_lt_u32_e32 vcc, s81, v153
                                        ; implicit-def: $sgpr74_sgpr75
                                        ; implicit-def: $vgpr11
                                        ; implicit-def: $vgpr156_vgpr157
	s_and_saveexec_b64 s[72:73], vcc
	s_xor_b64 s[72:73], exec, s[72:73]
	s_cbranch_execz .LBB12_244
; %bb.243:                              ;   in Loop: Header=BB12_162 Depth=1
	v_add_f64 v[154:155], -|v[2:3]|, 2.0
	v_add_f64 v[156:157], |v[2:3]|, s[30:31]
	v_cmp_gt_u32_e32 vcc, s82, v153
	v_cndmask_b32_e32 v11, v154, v156, vcc
	v_cndmask_b32_e32 v48, v155, v157, vcc
	v_cndmask_b32_e64 v144, 0, 1, vcc
	v_add_f64 v[154:155], |v[2:3]|, -1.0
	v_cmp_gt_u32_e32 vcc, s83, v153
	v_cndmask_b32_e32 v157, v48, v155, vcc
	v_cndmask_b32_e32 v156, v11, v154, vcc
	v_cndmask_b32_e64 v11, v144, 2, vcc
	s_mov_b64 s[74:75], 0
.LBB12_244:                             ;   in Loop: Header=BB12_162 Depth=1
	s_or_saveexec_b64 s[72:73], s[72:73]
	v_pk_mov_b32 v[154:155], s[74:75], s[74:75] op_sel:[0,1]
	s_xor_b64 exec, exec, s[72:73]
	s_cbranch_execz .LBB12_246
; %bb.245:                              ;   in Loop: Header=BB12_162 Depth=1
	v_frexp_mant_f64_e64 v[154:155], |v[2:3]|
	v_cmp_gt_f64_e32 vcc, s[8:9], v[154:155]
	v_cndmask_b32_e64 v11, v168, 2.0, vcc
	v_mul_f64 v[154:155], v[154:155], v[10:11]
	v_add_f64 v[156:157], v[154:155], 1.0
	v_rcp_f64_e32 v[158:159], v[156:157]
	v_add_f64 v[162:163], v[156:157], -1.0
	v_add_f64 v[160:161], v[154:155], -1.0
	v_add_f64 v[154:155], v[154:155], -v[162:163]
	v_fma_f64 v[162:163], -v[156:157], v[158:159], 1.0
	v_fmac_f64_e32 v[158:159], v[162:163], v[158:159]
	v_fma_f64 v[162:163], -v[156:157], v[158:159], 1.0
	v_fmac_f64_e32 v[158:159], v[162:163], v[158:159]
	v_mul_f64 v[162:163], v[160:161], v[158:159]
	v_mul_f64 v[164:165], v[156:157], v[162:163]
	v_fma_f64 v[156:157], v[162:163], v[156:157], -v[164:165]
	v_fmac_f64_e32 v[156:157], v[162:163], v[154:155]
	v_add_f64 v[154:155], v[164:165], v[156:157]
	v_add_f64 v[172:173], v[160:161], -v[154:155]
	v_add_f64 v[164:165], v[154:155], -v[164:165]
	;; [unrolled: 1-line block ×5, first 2 shown]
	v_add_f64 v[154:155], v[156:157], v[154:155]
	v_add_f64 v[154:155], v[172:173], v[154:155]
	v_mul_f64 v[154:155], v[158:159], v[154:155]
	v_add_f64 v[156:157], v[162:163], v[154:155]
	v_add_f64 v[158:159], v[156:157], -v[162:163]
	v_add_f64 v[154:155], v[154:155], -v[158:159]
	v_mul_f64 v[158:159], v[156:157], v[156:157]
	v_pk_mov_b32 v[160:161], v[12:13], v[12:13] op_sel:[0,1]
	v_fmac_f64_e32 v[160:161], s[10:11], v[158:159]
	v_pk_mov_b32 v[162:163], v[14:15], v[14:15] op_sel:[0,1]
	v_fmac_f64_e32 v[162:163], v[158:159], v[160:161]
	;; [unrolled: 2-line block ×6, first 2 shown]
	v_ldexp_f64 v[160:161], v[156:157], 1
	v_mul_f64 v[156:157], v[156:157], v[158:159]
	v_mul_f64 v[156:157], v[156:157], v[162:163]
	v_add_f64 v[158:159], v[160:161], v[156:157]
	v_add_f64 v[160:161], v[158:159], -v[160:161]
	v_ldexp_f64 v[154:155], v[154:155], 1
	v_add_f64 v[156:157], v[156:157], -v[160:161]
	v_add_f64 v[154:155], v[154:155], v[156:157]
	v_frexp_exp_i32_f64_e32 v144, v[2:3]
	v_add_f64 v[156:157], v[158:159], v[154:155]
	v_subbrev_co_u32_e32 v11, vcc, 0, v144, vcc
	v_add_f64 v[158:159], v[156:157], -v[158:159]
	v_add_f64 v[154:155], v[154:155], -v[158:159]
	v_cvt_f64_i32_e32 v[158:159], v11
	v_mul_f64 v[160:161], v[158:159], s[14:15]
	v_fma_f64 v[162:163], v[158:159], s[14:15], -v[160:161]
	v_fmac_f64_e32 v[162:163], s[16:17], v[158:159]
	v_add_f64 v[158:159], v[160:161], v[162:163]
	v_add_f64 v[160:161], v[158:159], -v[160:161]
	v_add_f64 v[160:161], v[162:163], -v[160:161]
	v_add_f64 v[162:163], v[158:159], v[156:157]
	v_add_f64 v[164:165], v[162:163], -v[158:159]
	v_add_f64 v[172:173], v[162:163], -v[164:165]
	;; [unrolled: 1-line block ×4, first 2 shown]
	v_add_f64 v[156:157], v[156:157], v[158:159]
	v_add_f64 v[158:159], v[160:161], v[154:155]
	v_add_f64 v[164:165], v[158:159], -v[160:161]
	v_add_f64 v[172:173], v[158:159], -v[164:165]
	v_add_f64 v[156:157], v[158:159], v[156:157]
	v_add_f64 v[160:161], v[160:161], -v[172:173]
	v_add_f64 v[154:155], v[154:155], -v[164:165]
	v_add_f64 v[158:159], v[162:163], v[156:157]
	v_add_f64 v[154:155], v[154:155], v[160:161]
	v_add_f64 v[160:161], v[158:159], -v[162:163]
	v_add_f64 v[156:157], v[156:157], -v[160:161]
	v_add_f64 v[154:155], v[154:155], v[156:157]
	v_and_b32_e32 v48, 0x7fffffff, v3
	v_add_f64 v[154:155], v[158:159], v[154:155]
	v_cmp_class_f64_e64 vcc, v[2:3], s80
	v_cndmask_b32_e32 v11, v154, v2, vcc
	v_cndmask_b32_e64 v144, -v155, -v48, vcc
	v_cmp_neq_f64_e32 vcc, 0, v[2:3]
	v_cndmask_b32_e32 v155, v171, v144, vcc
	v_cndmask_b32_e32 v154, 0, v11, vcc
	v_add_f64 v[156:157], -|v[2:3]|, 1.0
	v_add_f64 v[158:159], |v[2:3]|, s[34:35]
	v_cmp_gt_u32_e32 vcc, s84, v153
	v_cndmask_b32_e32 v11, v156, v158, vcc
	v_cndmask_b32_e32 v144, v157, v159, vcc
	v_cndmask_b32_e64 v148, 0, 1, vcc
	v_cmp_gt_u32_e32 vcc, s85, v153
	v_cndmask_b32_e32 v157, v144, v48, vcc
	v_cndmask_b32_e32 v156, v11, v2, vcc
	v_cndmask_b32_e64 v11, v148, 2, vcc
.LBB12_246:                             ;   in Loop: Header=BB12_162 Depth=1
	s_or_b64 exec, exec, s[72:73]
	v_cmp_lt_i32_e32 vcc, 1, v11
                                        ; implicit-def: $vgpr160_vgpr161
	s_and_saveexec_b64 s[72:73], vcc
	s_xor_b64 s[72:73], exec, s[72:73]
	s_cbranch_execz .LBB12_248
; %bb.247:                              ;   in Loop: Header=BB12_162 Depth=1
	v_pk_mov_b32 v[158:159], v[60:61], v[60:61] op_sel:[0,1]
	v_fmac_f64_e32 v[158:159], s[36:37], v[156:157]
	v_pk_mov_b32 v[160:161], v[62:63], v[62:63] op_sel:[0,1]
	v_fmac_f64_e32 v[160:161], v[156:157], v[158:159]
	v_pk_mov_b32 v[158:159], v[64:65], v[64:65] op_sel:[0,1]
	v_fmac_f64_e32 v[158:159], v[156:157], v[160:161]
	v_pk_mov_b32 v[160:161], v[66:67], v[66:67] op_sel:[0,1]
	v_mov_b32_e32 v48, v46
	v_fmac_f64_e32 v[160:161], v[156:157], v[158:159]
	v_pk_mov_b32 v[158:159], v[48:49], v[48:49] op_sel:[0,1]
	v_fmac_f64_e32 v[158:159], v[156:157], v[160:161]
	v_pk_mov_b32 v[160:161], v[68:69], v[68:69] op_sel:[0,1]
	;; [unrolled: 2-line block ×5, first 2 shown]
	v_fmac_f64_e32 v[162:163], v[156:157], v[160:161]
	v_mul_f64 v[158:159], v[156:157], v[158:159]
	v_fma_f64 v[160:161], v[156:157], v[162:163], 1.0
	v_div_scale_f64 v[162:163], s[74:75], v[160:161], v[160:161], v[158:159]
	v_rcp_f64_e32 v[164:165], v[162:163]
                                        ; implicit-def: $vgpr11
	v_fma_f64 v[172:173], -v[162:163], v[164:165], 1.0
	v_fmac_f64_e32 v[164:165], v[164:165], v[172:173]
	v_fma_f64 v[172:173], -v[162:163], v[164:165], 1.0
	v_fmac_f64_e32 v[164:165], v[164:165], v[172:173]
	v_div_scale_f64 v[172:173], vcc, v[158:159], v[160:161], v[158:159]
	v_mul_f64 v[174:175], v[172:173], v[164:165]
	v_fma_f64 v[162:163], -v[162:163], v[174:175], v[172:173]
	s_nop 1
	v_div_fmas_f64 v[162:163], v[162:163], v[164:165], v[174:175]
	v_div_fixup_f64 v[160:161], v[162:163], v[160:161], v[158:159]
	v_fmac_f64_e32 v[160:161], -0.5, v[156:157]
                                        ; implicit-def: $vgpr156_vgpr157
.LBB12_248:                             ;   in Loop: Header=BB12_162 Depth=1
	s_andn2_saveexec_b64 s[72:73], s[72:73]
	s_cbranch_execz .LBB12_254
; %bb.249:                              ;   in Loop: Header=BB12_162 Depth=1
	v_cmp_ne_u32_e32 vcc, 1, v11
	v_mul_f64 v[158:159], v[156:157], v[156:157]
                                        ; implicit-def: $vgpr160_vgpr161
	s_and_saveexec_b64 s[74:75], vcc
	s_xor_b64 s[74:75], exec, s[74:75]
	s_cbranch_execz .LBB12_251
; %bb.250:                              ;   in Loop: Header=BB12_162 Depth=1
	v_pk_mov_b32 v[160:161], v[76:77], v[76:77] op_sel:[0,1]
	v_fmac_f64_e32 v[160:161], s[40:41], v[158:159]
	v_pk_mov_b32 v[162:163], v[78:79], v[78:79] op_sel:[0,1]
	v_fmac_f64_e32 v[162:163], v[158:159], v[160:161]
	;; [unrolled: 2-line block ×4, first 2 shown]
	v_pk_mov_b32 v[164:165], v[46:47], v[46:47] op_sel:[0,1]
	v_pk_mov_b32 v[160:161], v[84:85], v[84:85] op_sel:[0,1]
	v_fmac_f64_e32 v[164:165], v[158:159], v[162:163]
	v_fmac_f64_e32 v[160:161], s[42:43], v[158:159]
	v_pk_mov_b32 v[162:163], v[86:87], v[86:87] op_sel:[0,1]
	v_fmac_f64_e32 v[162:163], v[158:159], v[160:161]
	v_pk_mov_b32 v[160:161], v[88:89], v[88:89] op_sel:[0,1]
	;; [unrolled: 2-line block ×4, first 2 shown]
	v_fmac_f64_e32 v[160:161], v[158:159], v[162:163]
	v_mul_f64 v[160:161], v[158:159], v[160:161]
	v_fmac_f64_e32 v[160:161], v[156:157], v[164:165]
	v_fmac_f64_e32 v[160:161], -0.5, v[156:157]
                                        ; implicit-def: $vgpr156_vgpr157
                                        ; implicit-def: $vgpr158_vgpr159
.LBB12_251:                             ;   in Loop: Header=BB12_162 Depth=1
	s_andn2_saveexec_b64 s[74:75], s[74:75]
	s_cbranch_execz .LBB12_253
; %bb.252:                              ;   in Loop: Header=BB12_162 Depth=1
	v_mul_f64 v[160:161], v[156:157], v[158:159]
	v_pk_mov_b32 v[162:163], v[94:95], v[94:95] op_sel:[0,1]
	v_fmac_f64_e32 v[162:163], s[44:45], v[160:161]
	v_pk_mov_b32 v[164:165], v[96:97], v[96:97] op_sel:[0,1]
	v_fmac_f64_e32 v[164:165], v[160:161], v[162:163]
	;; [unrolled: 2-line block ×12, first 2 shown]
	v_fmac_f64_e32 v[172:173], v[156:157], v[174:175]
	v_fma_f64 v[156:157], v[160:161], -v[172:173], s[50:51]
	v_fma_f64 v[156:157], v[158:159], v[164:165], -v[156:157]
	v_add_f64 v[160:161], v[156:157], s[52:53]
.LBB12_253:                             ;   in Loop: Header=BB12_162 Depth=1
	s_or_b64 exec, exec, s[74:75]
.LBB12_254:                             ;   in Loop: Header=BB12_162 Depth=1
	s_or_b64 exec, exec, s[72:73]
	v_add_f64 v[154:155], v[154:155], v[160:161]
.LBB12_255:                             ;   in Loop: Header=BB12_162 Depth=1
	s_or_b64 exec, exec, s[2:3]
.LBB12_256:                             ;   in Loop: Header=BB12_162 Depth=1
	s_andn2_saveexec_b64 s[0:1], s[0:1]
	s_cbranch_execz .LBB12_258
; %bb.257:                              ;   in Loop: Header=BB12_162 Depth=1
	v_frexp_mant_f64_e64 v[156:157], |v[2:3]|
	v_cmp_gt_f64_e32 vcc, s[8:9], v[156:157]
	v_cndmask_b32_e64 v11, v168, 2.0, vcc
	v_mul_f64 v[156:157], v[156:157], v[10:11]
	v_add_f64 v[158:159], v[156:157], 1.0
	v_rcp_f64_e32 v[160:161], v[158:159]
	v_add_f64 v[164:165], v[158:159], -1.0
	v_add_f64 v[162:163], v[156:157], -1.0
	v_add_f64 v[156:157], v[156:157], -v[164:165]
	v_fma_f64 v[164:165], -v[158:159], v[160:161], 1.0
	v_fmac_f64_e32 v[160:161], v[164:165], v[160:161]
	v_fma_f64 v[164:165], -v[158:159], v[160:161], 1.0
	v_fmac_f64_e32 v[160:161], v[164:165], v[160:161]
	v_mul_f64 v[164:165], v[162:163], v[160:161]
	v_mul_f64 v[172:173], v[158:159], v[164:165]
	v_fma_f64 v[158:159], v[164:165], v[158:159], -v[172:173]
	v_fmac_f64_e32 v[158:159], v[164:165], v[156:157]
	v_add_f64 v[156:157], v[172:173], v[158:159]
	v_add_f64 v[174:175], v[162:163], -v[156:157]
	v_add_f64 v[172:173], v[156:157], -v[172:173]
	;; [unrolled: 1-line block ×5, first 2 shown]
	v_add_f64 v[156:157], v[158:159], v[156:157]
	v_add_f64 v[156:157], v[174:175], v[156:157]
	v_mul_f64 v[156:157], v[160:161], v[156:157]
	v_add_f64 v[158:159], v[164:165], v[156:157]
	v_add_f64 v[160:161], v[158:159], -v[164:165]
	v_add_f64 v[156:157], v[156:157], -v[160:161]
	v_mul_f64 v[160:161], v[158:159], v[158:159]
	v_pk_mov_b32 v[162:163], v[12:13], v[12:13] op_sel:[0,1]
	v_fmac_f64_e32 v[162:163], s[10:11], v[160:161]
	v_pk_mov_b32 v[164:165], v[14:15], v[14:15] op_sel:[0,1]
	v_fmac_f64_e32 v[164:165], v[160:161], v[162:163]
	;; [unrolled: 2-line block ×6, first 2 shown]
	v_ldexp_f64 v[162:163], v[158:159], 1
	v_mul_f64 v[158:159], v[158:159], v[160:161]
	v_mul_f64 v[158:159], v[158:159], v[164:165]
	v_add_f64 v[160:161], v[162:163], v[158:159]
	v_add_f64 v[162:163], v[160:161], -v[162:163]
	v_ldexp_f64 v[156:157], v[156:157], 1
	v_add_f64 v[158:159], v[158:159], -v[162:163]
	v_add_f64 v[156:157], v[156:157], v[158:159]
	v_frexp_exp_i32_f64_e32 v144, v[2:3]
	v_add_f64 v[158:159], v[160:161], v[156:157]
	v_subbrev_co_u32_e32 v11, vcc, 0, v144, vcc
	v_add_f64 v[160:161], v[158:159], -v[160:161]
	v_add_f64 v[156:157], v[156:157], -v[160:161]
	v_cvt_f64_i32_e32 v[160:161], v11
	v_mul_f64 v[162:163], v[160:161], s[14:15]
	v_fma_f64 v[164:165], v[160:161], s[14:15], -v[162:163]
	v_fmac_f64_e32 v[164:165], s[16:17], v[160:161]
	v_add_f64 v[160:161], v[162:163], v[164:165]
	v_add_f64 v[162:163], v[160:161], -v[162:163]
	v_add_f64 v[162:163], v[164:165], -v[162:163]
	v_add_f64 v[164:165], v[160:161], v[158:159]
	v_add_f64 v[172:173], v[164:165], -v[160:161]
	v_add_f64 v[174:175], v[164:165], -v[172:173]
	;; [unrolled: 1-line block ×4, first 2 shown]
	v_add_f64 v[158:159], v[158:159], v[160:161]
	v_add_f64 v[160:161], v[162:163], v[156:157]
	v_add_f64 v[172:173], v[160:161], -v[162:163]
	v_add_f64 v[174:175], v[160:161], -v[172:173]
	v_add_f64 v[158:159], v[160:161], v[158:159]
	v_add_f64 v[162:163], v[162:163], -v[174:175]
	v_add_f64 v[156:157], v[156:157], -v[172:173]
	v_add_f64 v[160:161], v[164:165], v[158:159]
	v_add_f64 v[156:157], v[156:157], v[162:163]
	v_add_f64 v[162:163], v[160:161], -v[164:165]
	v_add_f64 v[158:159], v[158:159], -v[162:163]
	v_fma_f64 v[154:155], |v[2:3]|, s[54:55], v[118:119]
	v_add_f64 v[156:157], v[156:157], v[158:159]
	v_and_b32_e32 v48, 0x7fffffff, v3
	v_fma_f64 v[154:155], |v[2:3]|, v[154:155], s[56:57]
	v_add_f64 v[156:157], v[160:161], v[156:157]
	v_cmp_class_f64_e64 vcc, v[2:3], s80
	v_fma_f64 v[154:155], |v[2:3]|, v[154:155], s[58:59]
	v_cndmask_b32_e32 v11, v156, v2, vcc
	v_cndmask_b32_e64 v48, -v157, -v48, vcc
	v_cmp_neq_f64_e32 vcc, 0, v[2:3]
	v_fma_f64 v[154:155], |v[2:3]|, v[154:155], s[60:61]
	v_cndmask_b32_e32 v157, v171, v48, vcc
	v_cndmask_b32_e32 v156, 0, v11, vcc
	v_fma_f64 v[154:155], |v[2:3]|, v[154:155], v[156:157]
.LBB12_258:                             ;   in Loop: Header=BB12_162 Depth=1
	s_or_b64 exec, exec, s[0:1]
	v_cmp_le_f64_e32 vcc, 0, v[2:3]
	s_and_saveexec_b64 s[0:1], vcc
	s_xor_b64 s[2:3], exec, s[0:1]
; %bb.259:                              ;   in Loop: Header=BB12_162 Depth=1
	v_cmp_eq_f64_e32 vcc, 1.0, v[2:3]
	v_cmp_eq_f64_e64 s[0:1], 2.0, v[2:3]
	s_or_b64 s[0:1], vcc, s[0:1]
	v_cndmask_b32_e64 v155, v155, 0, s[0:1]
	v_cndmask_b32_e64 v154, v154, 0, s[0:1]
; %bb.260:                              ;   in Loop: Header=BB12_162 Depth=1
	s_andn2_saveexec_b64 s[0:1], s[2:3]
	s_cbranch_execz .LBB12_264
; %bb.261:                              ;   in Loop: Header=BB12_162 Depth=1
	v_add_u32_e32 v11, 0xc32fffff, v153
	v_cmp_gt_u32_e32 vcc, s86, v11
	s_and_saveexec_b64 s[2:3], vcc
	s_cbranch_execz .LBB12_263
; %bb.262:                              ;   in Loop: Header=BB12_162 Depth=1
	v_mul_f64 v[156:157], |v[2:3]|, 0.5
	v_fract_f64_e32 v[158:159], v[156:157]
	v_add_f64 v[158:159], v[158:159], v[158:159]
	v_cmp_neq_f64_e64 vcc, |v[156:157]|, s[62:63]
	v_and_b32_e32 v11, 0x7fffffff, v3
	v_cndmask_b32_e32 v48, 0, v158, vcc
	v_cndmask_b32_e32 v144, 0, v159, vcc
	v_cmp_gt_f64_e64 vcc, |v[2:3]|, 1.0
	v_cndmask_b32_e32 v157, v11, v144, vcc
	v_cndmask_b32_e32 v156, v2, v48, vcc
	v_add_f64 v[158:159], v[156:157], v[156:157]
	v_rndne_f64_e32 v[158:159], v[158:159]
	v_fmac_f64_e32 v[156:157], -0.5, v[158:159]
	v_cvt_i32_f64_e32 v11, v[158:159]
	v_mul_f64 v[158:159], v[156:157], v[156:157]
	v_pk_mov_b32 v[160:161], v[120:121], v[120:121] op_sel:[0,1]
	v_fmac_f64_e32 v[160:161], s[64:65], v[158:159]
	v_pk_mov_b32 v[162:163], v[122:123], v[122:123] op_sel:[0,1]
	v_fmac_f64_e32 v[162:163], v[158:159], v[160:161]
	;; [unrolled: 2-line block ×5, first 2 shown]
	v_mul_f64 v[162:163], v[156:157], v[158:159]
	v_mul_f64 v[160:161], v[162:163], v[160:161]
	v_fmac_f64_e32 v[160:161], s[66:67], v[156:157]
	v_pk_mov_b32 v[156:157], v[130:131], v[130:131] op_sel:[0,1]
	v_fmac_f64_e32 v[156:157], s[68:69], v[158:159]
	v_pk_mov_b32 v[162:163], v[132:133], v[132:133] op_sel:[0,1]
	;; [unrolled: 2-line block ×6, first 2 shown]
	v_fmac_f64_e32 v[162:163], v[158:159], v[156:157]
	v_and_b32_e32 v48, 1, v11
	v_lshlrev_b32_e32 v11, 30, v11
	v_fma_f64 v[156:157], v[158:159], v[162:163], 1.0
	v_cmp_eq_u32_e32 vcc, 0, v48
	v_xor_b32_e32 v11, v11, v3
	v_cndmask_b32_e32 v144, v157, v161, vcc
	v_and_b32_e32 v11, 0x80000000, v11
	v_cndmask_b32_e32 v48, v156, v160, vcc
	v_xor_b32_e32 v11, v144, v11
	v_cmp_class_f64_e64 vcc, v[2:3], s87
	v_cndmask_b32_e32 v156, 0, v48, vcc
	v_cndmask_b32_e32 v157, v170, v11, vcc
	v_mul_f64 v[156:157], v[2:3], v[156:157]
	v_and_b32_e32 v159, 0x7fffffff, v157
	v_mov_b32_e32 v158, v156
	v_div_scale_f64 v[160:161], s[72:73], v[158:159], v[158:159], s[66:67]
	v_rcp_f64_e32 v[162:163], v[160:161]
	v_div_scale_f64 v[158:159], vcc, s[66:67], v[158:159], s[66:67]
	v_cmp_class_f64_e64 s[72:73], v[2:3], s80
	v_fma_f64 v[164:165], -v[160:161], v[162:163], 1.0
	v_fmac_f64_e32 v[162:163], v[162:163], v[164:165]
	v_fma_f64 v[164:165], -v[160:161], v[162:163], 1.0
	v_fmac_f64_e32 v[162:163], v[162:163], v[164:165]
	v_mul_f64 v[164:165], v[158:159], v[162:163]
	v_fma_f64 v[158:159], -v[160:161], v[164:165], v[158:159]
	v_div_fmas_f64 v[158:159], v[158:159], v[162:163], v[164:165]
	v_div_fixup_f64 v[156:157], v[158:159], |v[156:157]|, s[66:67]
	v_frexp_mant_f64_e32 v[158:159], v[156:157]
	v_cmp_gt_f64_e32 vcc, s[8:9], v[158:159]
	v_cndmask_b32_e64 v11, v168, 2.0, vcc
	v_mul_f64 v[158:159], v[158:159], v[10:11]
	v_add_f64 v[160:161], v[158:159], 1.0
	v_rcp_f64_e32 v[162:163], v[160:161]
	v_add_f64 v[172:173], v[160:161], -1.0
	v_add_f64 v[164:165], v[158:159], -1.0
	v_add_f64 v[158:159], v[158:159], -v[172:173]
	v_fma_f64 v[172:173], -v[160:161], v[162:163], 1.0
	v_fmac_f64_e32 v[162:163], v[172:173], v[162:163]
	v_fma_f64 v[172:173], -v[160:161], v[162:163], 1.0
	v_fmac_f64_e32 v[162:163], v[172:173], v[162:163]
	v_mul_f64 v[172:173], v[164:165], v[162:163]
	v_mul_f64 v[174:175], v[160:161], v[172:173]
	v_fma_f64 v[160:161], v[172:173], v[160:161], -v[174:175]
	v_fmac_f64_e32 v[160:161], v[172:173], v[158:159]
	v_add_f64 v[158:159], v[174:175], v[160:161]
	v_add_f64 v[176:177], v[164:165], -v[158:159]
	v_add_f64 v[174:175], v[158:159], -v[174:175]
	;; [unrolled: 1-line block ×5, first 2 shown]
	v_add_f64 v[158:159], v[160:161], v[158:159]
	v_add_f64 v[158:159], v[176:177], v[158:159]
	v_mul_f64 v[158:159], v[162:163], v[158:159]
	v_add_f64 v[160:161], v[172:173], v[158:159]
	v_add_f64 v[162:163], v[160:161], -v[172:173]
	v_add_f64 v[158:159], v[158:159], -v[162:163]
	v_mul_f64 v[162:163], v[160:161], v[160:161]
	v_pk_mov_b32 v[164:165], v[12:13], v[12:13] op_sel:[0,1]
	v_fmac_f64_e32 v[164:165], s[10:11], v[162:163]
	v_pk_mov_b32 v[172:173], v[14:15], v[14:15] op_sel:[0,1]
	v_fmac_f64_e32 v[172:173], v[162:163], v[164:165]
	;; [unrolled: 2-line block ×6, first 2 shown]
	v_ldexp_f64 v[164:165], v[160:161], 1
	v_mul_f64 v[160:161], v[160:161], v[162:163]
	v_mul_f64 v[160:161], v[160:161], v[172:173]
	v_add_f64 v[162:163], v[164:165], v[160:161]
	v_add_f64 v[164:165], v[162:163], -v[164:165]
	v_ldexp_f64 v[158:159], v[158:159], 1
	v_add_f64 v[160:161], v[160:161], -v[164:165]
	v_add_f64 v[158:159], v[158:159], v[160:161]
	v_frexp_exp_i32_f64_e32 v48, v[156:157]
	v_add_f64 v[160:161], v[162:163], v[158:159]
	v_subbrev_co_u32_e32 v11, vcc, 0, v48, vcc
	v_add_f64 v[162:163], v[160:161], -v[162:163]
	v_add_f64 v[158:159], v[158:159], -v[162:163]
	v_cvt_f64_i32_e32 v[162:163], v11
	v_mul_f64 v[164:165], v[162:163], s[14:15]
	v_fma_f64 v[172:173], v[162:163], s[14:15], -v[164:165]
	v_fmac_f64_e32 v[172:173], s[16:17], v[162:163]
	v_add_f64 v[162:163], v[164:165], v[172:173]
	v_add_f64 v[164:165], v[162:163], -v[164:165]
	v_add_f64 v[164:165], v[172:173], -v[164:165]
	v_add_f64 v[172:173], v[162:163], v[160:161]
	v_add_f64 v[174:175], v[172:173], -v[162:163]
	v_add_f64 v[176:177], v[172:173], -v[174:175]
	v_add_f64 v[162:163], v[162:163], -v[176:177]
	v_add_f64 v[160:161], v[160:161], -v[174:175]
	v_add_f64 v[160:161], v[160:161], v[162:163]
	v_add_f64 v[162:163], v[164:165], v[158:159]
	v_add_f64 v[174:175], v[162:163], -v[164:165]
	v_add_f64 v[176:177], v[162:163], -v[174:175]
	v_add_f64 v[160:161], v[162:163], v[160:161]
	v_add_f64 v[164:165], v[164:165], -v[176:177]
	v_add_f64 v[158:159], v[158:159], -v[174:175]
	v_add_f64 v[162:163], v[172:173], v[160:161]
	v_add_f64 v[158:159], v[158:159], v[164:165]
	v_add_f64 v[164:165], v[162:163], -v[172:173]
	v_add_f64 v[160:161], v[160:161], -v[164:165]
	v_add_f64 v[158:159], v[158:159], v[160:161]
	v_add_f64 v[158:159], v[162:163], v[158:159]
	v_cmp_class_f64_e64 vcc, v[156:157], s80
	v_cndmask_b32_e32 v11, v158, v156, vcc
	v_cndmask_b32_e32 v48, v159, v157, vcc
	v_cmp_neq_f64_e32 vcc, 0, v[156:157]
	v_cndmask_b32_e32 v157, v169, v48, vcc
	v_cndmask_b32_e32 v156, 0, v11, vcc
	v_add_f64 v[154:155], v[156:157], -v[154:155]
	v_fract_f64_e32 v[156:157], v[2:3]
	v_cmp_eq_f64_e32 vcc, 0, v[156:157]
	s_or_b64 vcc, s[72:73], vcc
	v_cndmask_b32_e32 v155, v155, v171, vcc
	v_cndmask_b32_e64 v154, v154, 0, vcc
.LBB12_263:                             ;   in Loop: Header=BB12_162 Depth=1
	s_or_b64 exec, exec, s[2:3]
.LBB12_264:                             ;   in Loop: Header=BB12_162 Depth=1
	s_or_b64 exec, exec, s[0:1]
	v_and_b32_e32 v157, 0x7fffffff, v5
	v_mov_b32_e32 v156, v4
	v_cmp_lt_u32_e32 vcc, s76, v157
                                        ; implicit-def: $vgpr158_vgpr159
	s_and_saveexec_b64 s[0:1], vcc
	s_xor_b64 s[0:1], exec, s[0:1]
	s_cbranch_execz .LBB12_290
; %bb.265:                              ;   in Loop: Header=BB12_162 Depth=1
	v_cmp_lt_u32_e32 vcc, s77, v157
                                        ; implicit-def: $vgpr158_vgpr159
	s_and_saveexec_b64 s[2:3], vcc
	s_xor_b64 s[2:3], exec, s[2:3]
	s_cbranch_execz .LBB12_275
; %bb.266:                              ;   in Loop: Header=BB12_162 Depth=1
	;; [unrolled: 6-line block ×4, first 2 shown]
	v_frexp_mant_f64_e64 v[158:159], |v[4:5]|
	v_cmp_gt_f64_e32 vcc, s[8:9], v[158:159]
	v_cndmask_b32_e64 v11, v168, 2.0, vcc
	v_mul_f64 v[158:159], v[158:159], v[10:11]
	v_add_f64 v[160:161], v[158:159], 1.0
	v_rcp_f64_e32 v[162:163], v[160:161]
	v_add_f64 v[172:173], v[160:161], -1.0
	v_add_f64 v[164:165], v[158:159], -1.0
	v_add_f64 v[158:159], v[158:159], -v[172:173]
	v_fma_f64 v[172:173], -v[160:161], v[162:163], 1.0
	v_fmac_f64_e32 v[162:163], v[172:173], v[162:163]
	v_fma_f64 v[172:173], -v[160:161], v[162:163], 1.0
	v_fmac_f64_e32 v[162:163], v[172:173], v[162:163]
	v_mul_f64 v[172:173], v[164:165], v[162:163]
	v_mul_f64 v[174:175], v[160:161], v[172:173]
	v_fma_f64 v[160:161], v[172:173], v[160:161], -v[174:175]
	v_fmac_f64_e32 v[160:161], v[172:173], v[158:159]
	v_add_f64 v[158:159], v[174:175], v[160:161]
	v_add_f64 v[176:177], v[164:165], -v[158:159]
	v_add_f64 v[174:175], v[158:159], -v[174:175]
	;; [unrolled: 1-line block ×5, first 2 shown]
	v_add_f64 v[158:159], v[160:161], v[158:159]
	v_add_f64 v[158:159], v[176:177], v[158:159]
	v_mul_f64 v[158:159], v[162:163], v[158:159]
	v_add_f64 v[160:161], v[172:173], v[158:159]
	v_add_f64 v[162:163], v[160:161], -v[172:173]
	v_add_f64 v[158:159], v[158:159], -v[162:163]
	v_mul_f64 v[162:163], v[160:161], v[160:161]
	v_pk_mov_b32 v[164:165], v[12:13], v[12:13] op_sel:[0,1]
	v_fmac_f64_e32 v[164:165], s[10:11], v[162:163]
	v_pk_mov_b32 v[172:173], v[14:15], v[14:15] op_sel:[0,1]
	v_fmac_f64_e32 v[172:173], v[162:163], v[164:165]
	;; [unrolled: 2-line block ×6, first 2 shown]
	v_ldexp_f64 v[164:165], v[160:161], 1
	v_mul_f64 v[160:161], v[160:161], v[162:163]
	v_mul_f64 v[160:161], v[160:161], v[172:173]
	v_add_f64 v[162:163], v[164:165], v[160:161]
	v_add_f64 v[164:165], v[162:163], -v[164:165]
	v_ldexp_f64 v[158:159], v[158:159], 1
	v_add_f64 v[160:161], v[160:161], -v[164:165]
	v_add_f64 v[158:159], v[158:159], v[160:161]
	v_frexp_exp_i32_f64_e32 v144, v[4:5]
	v_add_f64 v[160:161], v[162:163], v[158:159]
	v_subbrev_co_u32_e32 v11, vcc, 0, v144, vcc
	v_add_f64 v[162:163], v[160:161], -v[162:163]
	v_add_f64 v[158:159], v[158:159], -v[162:163]
	v_cvt_f64_i32_e32 v[162:163], v11
	v_mul_f64 v[164:165], v[162:163], s[14:15]
	v_fma_f64 v[172:173], v[162:163], s[14:15], -v[164:165]
	v_fmac_f64_e32 v[172:173], s[16:17], v[162:163]
	v_add_f64 v[162:163], v[164:165], v[172:173]
	v_add_f64 v[164:165], v[162:163], -v[164:165]
	v_add_f64 v[164:165], v[172:173], -v[164:165]
	v_add_f64 v[172:173], v[162:163], v[160:161]
	v_add_f64 v[174:175], v[172:173], -v[162:163]
	v_add_f64 v[176:177], v[172:173], -v[174:175]
	;; [unrolled: 1-line block ×4, first 2 shown]
	v_add_f64 v[160:161], v[160:161], v[162:163]
	v_add_f64 v[162:163], v[164:165], v[158:159]
	v_add_f64 v[174:175], v[162:163], -v[164:165]
	v_add_f64 v[176:177], v[162:163], -v[174:175]
	v_add_f64 v[160:161], v[162:163], v[160:161]
	v_add_f64 v[164:165], v[164:165], -v[176:177]
	v_add_f64 v[158:159], v[158:159], -v[174:175]
	v_add_f64 v[162:163], v[172:173], v[160:161]
	v_add_f64 v[158:159], v[158:159], v[164:165]
	v_add_f64 v[164:165], v[162:163], -v[172:173]
	v_add_f64 v[160:161], v[160:161], -v[164:165]
	v_add_f64 v[158:159], v[158:159], v[160:161]
	v_and_b32_e32 v48, 0x7fffffff, v5
	v_add_f64 v[158:159], v[162:163], v[158:159]
	v_cmp_class_f64_e64 vcc, v[4:5], s80
	v_cndmask_b32_e32 v11, v158, v4, vcc
	v_cndmask_b32_e32 v48, v159, v48, vcc
	v_cmp_neq_f64_e32 vcc, 0, v[4:5]
	v_cndmask_b32_e32 v159, v169, v48, vcc
	v_cndmask_b32_e32 v158, 0, v11, vcc
	v_fma_f64 v[158:159], |v[4:5]|, v[158:159], -|v[4:5]|
.LBB12_269:                             ;   in Loop: Header=BB12_162 Depth=1
	s_andn2_saveexec_b64 s[74:75], s[74:75]
	s_cbranch_execz .LBB12_271
; %bb.270:                              ;   in Loop: Header=BB12_162 Depth=1
	v_and_b32_e32 v161, 0x7fffffff, v5
	v_mov_b32_e32 v160, v4
	v_div_scale_f64 v[158:159], s[90:91], v[160:161], v[160:161], 1.0
	v_rcp_f64_e32 v[162:163], v[158:159]
	v_frexp_exp_i32_f64_e32 v48, v[4:5]
	v_fma_f64 v[164:165], -v[158:159], v[162:163], 1.0
	v_fmac_f64_e32 v[162:163], v[162:163], v[164:165]
	v_fma_f64 v[164:165], -v[158:159], v[162:163], 1.0
	v_fmac_f64_e32 v[162:163], v[162:163], v[164:165]
	v_div_scale_f64 v[164:165], vcc, 1.0, v[160:161], 1.0
	v_mul_f64 v[172:173], v[164:165], v[162:163]
	v_fma_f64 v[158:159], -v[158:159], v[172:173], v[164:165]
	v_pk_mov_b32 v[164:165], v[24:25], v[24:25] op_sel:[0,1]
	s_nop 0
	v_div_fmas_f64 v[158:159], v[158:159], v[162:163], v[172:173]
	v_div_fixup_f64 v[162:163], v[158:159], |v[4:5]|, 1.0
	v_mul_f64 v[158:159], v[162:163], v[162:163]
	v_fmac_f64_e32 v[164:165], s[18:19], v[158:159]
	v_pk_mov_b32 v[172:173], v[26:27], v[26:27] op_sel:[0,1]
	v_fmac_f64_e32 v[172:173], v[158:159], v[164:165]
	v_pk_mov_b32 v[164:165], v[28:29], v[28:29] op_sel:[0,1]
	;; [unrolled: 2-line block ×5, first 2 shown]
	v_fmac_f64_e32 v[158:159], v[162:163], v[164:165]
	v_frexp_mant_f64_e64 v[164:165], |v[4:5]|
	v_cmp_gt_f64_e32 vcc, s[8:9], v[164:165]
	v_cndmask_b32_e64 v11, v168, 2.0, vcc
	v_mul_f64 v[164:165], v[164:165], v[10:11]
	v_add_f64 v[172:173], v[164:165], 1.0
	v_rcp_f64_e32 v[174:175], v[172:173]
	v_add_f64 v[178:179], v[172:173], -1.0
	v_add_f64 v[176:177], v[164:165], -1.0
	v_add_f64 v[164:165], v[164:165], -v[178:179]
	v_fma_f64 v[178:179], -v[172:173], v[174:175], 1.0
	v_fmac_f64_e32 v[174:175], v[178:179], v[174:175]
	v_fma_f64 v[178:179], -v[172:173], v[174:175], 1.0
	v_fmac_f64_e32 v[174:175], v[178:179], v[174:175]
	v_mul_f64 v[178:179], v[176:177], v[174:175]
	v_mul_f64 v[180:181], v[172:173], v[178:179]
	v_fma_f64 v[172:173], v[178:179], v[172:173], -v[180:181]
	v_fmac_f64_e32 v[172:173], v[178:179], v[164:165]
	v_add_f64 v[164:165], v[180:181], v[172:173]
	v_add_f64 v[182:183], v[176:177], -v[164:165]
	v_add_f64 v[180:181], v[164:165], -v[180:181]
	;; [unrolled: 1-line block ×5, first 2 shown]
	v_add_f64 v[164:165], v[172:173], v[164:165]
	v_add_f64 v[164:165], v[182:183], v[164:165]
	v_mul_f64 v[164:165], v[174:175], v[164:165]
	v_add_f64 v[172:173], v[178:179], v[164:165]
	v_add_f64 v[174:175], v[172:173], -v[178:179]
	v_add_f64 v[164:165], v[164:165], -v[174:175]
	v_mul_f64 v[174:175], v[172:173], v[172:173]
	v_pk_mov_b32 v[176:177], v[12:13], v[12:13] op_sel:[0,1]
	v_fmac_f64_e32 v[176:177], s[10:11], v[174:175]
	v_pk_mov_b32 v[178:179], v[14:15], v[14:15] op_sel:[0,1]
	v_fmac_f64_e32 v[178:179], v[174:175], v[176:177]
	;; [unrolled: 2-line block ×6, first 2 shown]
	v_ldexp_f64 v[176:177], v[172:173], 1
	v_mul_f64 v[172:173], v[172:173], v[174:175]
	v_mul_f64 v[172:173], v[172:173], v[178:179]
	v_add_f64 v[174:175], v[176:177], v[172:173]
	v_add_f64 v[176:177], v[174:175], -v[176:177]
	v_ldexp_f64 v[164:165], v[164:165], 1
	v_add_f64 v[172:173], v[172:173], -v[176:177]
	v_add_f64 v[164:165], v[164:165], v[172:173]
	v_add_f64 v[172:173], v[174:175], v[164:165]
	v_subbrev_co_u32_e32 v11, vcc, 0, v48, vcc
	v_add_f64 v[174:175], v[172:173], -v[174:175]
	v_add_f64 v[164:165], v[164:165], -v[174:175]
	v_cvt_f64_i32_e32 v[174:175], v11
	v_mul_f64 v[176:177], v[174:175], s[14:15]
	v_fma_f64 v[178:179], v[174:175], s[14:15], -v[176:177]
	v_fmac_f64_e32 v[178:179], s[16:17], v[174:175]
	v_add_f64 v[174:175], v[176:177], v[178:179]
	v_add_f64 v[176:177], v[174:175], -v[176:177]
	v_add_f64 v[176:177], v[178:179], -v[176:177]
	v_add_f64 v[178:179], v[174:175], v[172:173]
	v_add_f64 v[180:181], v[178:179], -v[174:175]
	v_add_f64 v[182:183], v[178:179], -v[180:181]
	;; [unrolled: 1-line block ×4, first 2 shown]
	v_add_f64 v[172:173], v[172:173], v[174:175]
	v_add_f64 v[174:175], v[176:177], v[164:165]
	v_add_f64 v[180:181], v[174:175], -v[176:177]
	v_add_f64 v[182:183], v[174:175], -v[180:181]
	v_add_f64 v[172:173], v[174:175], v[172:173]
	v_add_f64 v[176:177], v[176:177], -v[182:183]
	v_add_f64 v[164:165], v[164:165], -v[180:181]
	v_add_f64 v[174:175], v[178:179], v[172:173]
	v_add_f64 v[164:165], v[164:165], v[176:177]
	v_add_f64 v[176:177], v[174:175], -v[178:179]
	v_add_f64 v[172:173], v[172:173], -v[176:177]
	v_add_f64 v[164:165], v[164:165], v[172:173]
	v_add_f64 v[164:165], v[174:175], v[164:165]
	v_cmp_class_f64_e64 vcc, v[4:5], s80
	v_cndmask_b32_e32 v161, v165, v161, vcc
	v_cndmask_b32_e32 v160, v164, v160, vcc
	v_add_f64 v[160:161], v[160:161], -1.0
	v_cmp_neq_f64_e32 vcc, 0, v[4:5]
	v_add_f64 v[162:163], |v[4:5]|, -0.5
	v_cndmask_b32_e32 v161, v169, v161, vcc
	v_cndmask_b32_e32 v160, 0, v160, vcc
	v_fmac_f64_e32 v[158:159], v[162:163], v[160:161]
.LBB12_271:                             ;   in Loop: Header=BB12_162 Depth=1
	s_or_b64 exec, exec, s[74:75]
.LBB12_272:                             ;   in Loop: Header=BB12_162 Depth=1
	s_andn2_saveexec_b64 s[72:73], s[72:73]
	s_cbranch_execz .LBB12_274
; %bb.273:                              ;   in Loop: Header=BB12_162 Depth=1
	v_cvt_i32_f64_e32 v11, v[156:157]
	v_cvt_f64_i32_e32 v[158:159], v11
	v_add_f64 v[158:159], |v[4:5]|, -v[158:159]
	v_pk_mov_b32 v[160:161], v[36:37], v[36:37] op_sel:[0,1]
	v_fmac_f64_e32 v[160:161], s[20:21], v[158:159]
	v_pk_mov_b32 v[162:163], v[38:39], v[38:39] op_sel:[0,1]
	v_fmac_f64_e32 v[162:163], v[158:159], v[160:161]
	;; [unrolled: 2-line block ×4, first 2 shown]
	v_pk_mov_b32 v[160:161], v[44:45], v[44:45] op_sel:[0,1]
	v_mov_b32_e32 v48, v46
	v_fmac_f64_e32 v[160:161], v[158:159], v[162:163]
	v_pk_mov_b32 v[162:163], v[48:49], v[48:49] op_sel:[0,1]
	v_fmac_f64_e32 v[162:163], v[158:159], v[160:161]
	v_mul_f64 v[160:161], v[158:159], v[162:163]
	v_pk_mov_b32 v[162:163], v[50:51], v[50:51] op_sel:[0,1]
	v_fmac_f64_e32 v[162:163], s[22:23], v[158:159]
	v_pk_mov_b32 v[164:165], v[52:53], v[52:53] op_sel:[0,1]
	v_fmac_f64_e32 v[164:165], v[158:159], v[162:163]
	;; [unrolled: 2-line block ×5, first 2 shown]
	v_fma_f64 v[162:163], v[158:159], v[162:163], 1.0
	v_div_scale_f64 v[164:165], s[74:75], v[162:163], v[162:163], v[160:161]
	v_rcp_f64_e32 v[172:173], v[164:165]
	v_fma_f64 v[174:175], -v[164:165], v[172:173], 1.0
	v_fmac_f64_e32 v[172:173], v[172:173], v[174:175]
	v_fma_f64 v[174:175], -v[164:165], v[172:173], 1.0
	v_fmac_f64_e32 v[172:173], v[172:173], v[174:175]
	v_div_scale_f64 v[174:175], vcc, v[160:161], v[162:163], v[160:161]
	v_mul_f64 v[176:177], v[174:175], v[172:173]
	v_fma_f64 v[164:165], -v[164:165], v[176:177], v[174:175]
	v_add_f64 v[174:175], v[158:159], s[26:27]
	s_nop 0
	v_div_fmas_f64 v[164:165], v[164:165], v[172:173], v[176:177]
	v_div_fixup_f64 v[160:161], v[164:165], v[162:163], v[160:161]
	v_add_f64 v[162:163], v[158:159], 2.0
	v_cmp_lt_i32_e32 vcc, 2, v11
	v_add_f64 v[164:165], v[158:159], s[24:25]
	v_cndmask_b32_e32 v163, v168, v163, vcc
	v_cndmask_b32_e32 v162, 0, v162, vcc
	v_cmp_lt_i32_e32 vcc, 3, v11
	v_add_f64 v[172:173], v[158:159], 4.0
	v_cndmask_b32_e32 v165, v168, v165, vcc
	v_cndmask_b32_e32 v164, 0, v164, vcc
	v_cmp_lt_i32_e32 vcc, 4, v11
	v_mul_f64 v[162:163], v[162:163], v[164:165]
	v_cndmask_b32_e32 v165, v168, v173, vcc
	v_cndmask_b32_e32 v164, 0, v172, vcc
	v_cmp_lt_i32_e32 vcc, 5, v11
	v_fmac_f64_e32 v[160:161], 0.5, v[158:159]
	v_add_f64 v[158:159], v[158:159], s[28:29]
	v_mul_f64 v[162:163], v[164:165], v[162:163]
	v_cndmask_b32_e32 v165, v168, v175, vcc
	v_cndmask_b32_e32 v164, 0, v174, vcc
	v_cmp_lt_i32_e32 vcc, 6, v11
	v_mul_f64 v[162:163], v[164:165], v[162:163]
	v_cndmask_b32_e32 v159, v168, v159, vcc
	v_cndmask_b32_e32 v158, 0, v158, vcc
	v_mul_f64 v[158:159], v[158:159], v[162:163]
	v_frexp_mant_f64_e32 v[162:163], v[158:159]
	v_cmp_gt_f64_e32 vcc, s[8:9], v[162:163]
	v_cndmask_b32_e64 v11, v168, 2.0, vcc
	v_mul_f64 v[162:163], v[162:163], v[10:11]
	v_add_f64 v[164:165], v[162:163], 1.0
	v_rcp_f64_e32 v[172:173], v[164:165]
	v_add_f64 v[176:177], v[164:165], -1.0
	v_add_f64 v[174:175], v[162:163], -1.0
	v_add_f64 v[162:163], v[162:163], -v[176:177]
	v_fma_f64 v[176:177], -v[164:165], v[172:173], 1.0
	v_fmac_f64_e32 v[172:173], v[176:177], v[172:173]
	v_fma_f64 v[176:177], -v[164:165], v[172:173], 1.0
	v_fmac_f64_e32 v[172:173], v[176:177], v[172:173]
	v_mul_f64 v[176:177], v[174:175], v[172:173]
	v_mul_f64 v[178:179], v[164:165], v[176:177]
	v_fma_f64 v[164:165], v[176:177], v[164:165], -v[178:179]
	v_fmac_f64_e32 v[164:165], v[176:177], v[162:163]
	v_add_f64 v[162:163], v[178:179], v[164:165]
	v_add_f64 v[180:181], v[174:175], -v[162:163]
	v_add_f64 v[178:179], v[162:163], -v[178:179]
	;; [unrolled: 1-line block ×5, first 2 shown]
	v_add_f64 v[162:163], v[164:165], v[162:163]
	v_add_f64 v[162:163], v[180:181], v[162:163]
	v_mul_f64 v[162:163], v[172:173], v[162:163]
	v_add_f64 v[164:165], v[176:177], v[162:163]
	v_add_f64 v[172:173], v[164:165], -v[176:177]
	v_add_f64 v[162:163], v[162:163], -v[172:173]
	v_mul_f64 v[172:173], v[164:165], v[164:165]
	v_pk_mov_b32 v[174:175], v[12:13], v[12:13] op_sel:[0,1]
	v_fmac_f64_e32 v[174:175], s[10:11], v[172:173]
	v_pk_mov_b32 v[176:177], v[14:15], v[14:15] op_sel:[0,1]
	v_fmac_f64_e32 v[176:177], v[172:173], v[174:175]
	;; [unrolled: 2-line block ×6, first 2 shown]
	v_ldexp_f64 v[174:175], v[164:165], 1
	v_mul_f64 v[164:165], v[164:165], v[172:173]
	v_mul_f64 v[164:165], v[164:165], v[176:177]
	v_add_f64 v[172:173], v[174:175], v[164:165]
	v_add_f64 v[174:175], v[172:173], -v[174:175]
	v_ldexp_f64 v[162:163], v[162:163], 1
	v_add_f64 v[164:165], v[164:165], -v[174:175]
	v_add_f64 v[162:163], v[162:163], v[164:165]
	v_frexp_exp_i32_f64_e32 v48, v[158:159]
	v_add_f64 v[164:165], v[172:173], v[162:163]
	v_subbrev_co_u32_e32 v11, vcc, 0, v48, vcc
	v_add_f64 v[172:173], v[164:165], -v[172:173]
	v_add_f64 v[162:163], v[162:163], -v[172:173]
	v_cvt_f64_i32_e32 v[172:173], v11
	v_mul_f64 v[174:175], v[172:173], s[14:15]
	v_fma_f64 v[176:177], v[172:173], s[14:15], -v[174:175]
	v_fmac_f64_e32 v[176:177], s[16:17], v[172:173]
	v_add_f64 v[172:173], v[174:175], v[176:177]
	v_add_f64 v[174:175], v[172:173], -v[174:175]
	v_add_f64 v[174:175], v[176:177], -v[174:175]
	v_add_f64 v[176:177], v[172:173], v[164:165]
	v_add_f64 v[178:179], v[176:177], -v[172:173]
	v_add_f64 v[180:181], v[176:177], -v[178:179]
	;; [unrolled: 1-line block ×4, first 2 shown]
	v_add_f64 v[164:165], v[164:165], v[172:173]
	v_add_f64 v[172:173], v[174:175], v[162:163]
	v_add_f64 v[178:179], v[172:173], -v[174:175]
	v_add_f64 v[180:181], v[172:173], -v[178:179]
	v_add_f64 v[164:165], v[172:173], v[164:165]
	v_add_f64 v[174:175], v[174:175], -v[180:181]
	v_add_f64 v[162:163], v[162:163], -v[178:179]
	v_add_f64 v[172:173], v[176:177], v[164:165]
	v_add_f64 v[162:163], v[162:163], v[174:175]
	v_add_f64 v[174:175], v[172:173], -v[176:177]
	v_add_f64 v[164:165], v[164:165], -v[174:175]
	v_add_f64 v[162:163], v[162:163], v[164:165]
	v_add_f64 v[162:163], v[172:173], v[162:163]
	v_cmp_class_f64_e64 vcc, v[158:159], s80
	v_cndmask_b32_e32 v11, v162, v158, vcc
	v_cndmask_b32_e32 v48, v163, v159, vcc
	v_cmp_ngt_f64_e32 vcc, 0, v[158:159]
	v_cndmask_b32_e32 v48, v170, v48, vcc
	v_cmp_nge_f64_e32 vcc, 0, v[158:159]
	v_cndmask_b32_e32 v162, 0, v11, vcc
	v_cmp_neq_f64_e32 vcc, 0, v[158:159]
	v_cndmask_b32_e32 v163, v169, v48, vcc
	v_add_f64 v[158:159], v[160:161], v[162:163]
.LBB12_274:                             ;   in Loop: Header=BB12_162 Depth=1
	s_or_b64 exec, exec, s[72:73]
.LBB12_275:                             ;   in Loop: Header=BB12_162 Depth=1
	s_andn2_saveexec_b64 s[2:3], s[2:3]
	s_cbranch_execz .LBB12_289
; %bb.276:                              ;   in Loop: Header=BB12_162 Depth=1
	v_cmp_lt_u32_e32 vcc, s81, v157
                                        ; implicit-def: $sgpr74_sgpr75
                                        ; implicit-def: $vgpr11
                                        ; implicit-def: $vgpr160_vgpr161
	s_and_saveexec_b64 s[72:73], vcc
	s_xor_b64 s[72:73], exec, s[72:73]
	s_cbranch_execz .LBB12_278
; %bb.277:                              ;   in Loop: Header=BB12_162 Depth=1
	v_add_f64 v[158:159], -|v[4:5]|, 2.0
	v_add_f64 v[160:161], |v[4:5]|, s[30:31]
	v_cmp_gt_u32_e32 vcc, s82, v157
	v_cndmask_b32_e32 v11, v158, v160, vcc
	v_cndmask_b32_e32 v48, v159, v161, vcc
	v_cndmask_b32_e64 v144, 0, 1, vcc
	v_add_f64 v[158:159], |v[4:5]|, -1.0
	v_cmp_gt_u32_e32 vcc, s83, v157
	v_cndmask_b32_e32 v161, v48, v159, vcc
	v_cndmask_b32_e32 v160, v11, v158, vcc
	v_cndmask_b32_e64 v11, v144, 2, vcc
	s_mov_b64 s[74:75], 0
.LBB12_278:                             ;   in Loop: Header=BB12_162 Depth=1
	s_or_saveexec_b64 s[72:73], s[72:73]
	v_pk_mov_b32 v[158:159], s[74:75], s[74:75] op_sel:[0,1]
	s_xor_b64 exec, exec, s[72:73]
	s_cbranch_execz .LBB12_280
; %bb.279:                              ;   in Loop: Header=BB12_162 Depth=1
	v_frexp_mant_f64_e64 v[158:159], |v[4:5]|
	v_cmp_gt_f64_e32 vcc, s[8:9], v[158:159]
	v_cndmask_b32_e64 v11, v168, 2.0, vcc
	v_mul_f64 v[158:159], v[158:159], v[10:11]
	v_add_f64 v[160:161], v[158:159], 1.0
	v_rcp_f64_e32 v[162:163], v[160:161]
	v_add_f64 v[172:173], v[160:161], -1.0
	v_add_f64 v[164:165], v[158:159], -1.0
	v_add_f64 v[158:159], v[158:159], -v[172:173]
	v_fma_f64 v[172:173], -v[160:161], v[162:163], 1.0
	v_fmac_f64_e32 v[162:163], v[172:173], v[162:163]
	v_fma_f64 v[172:173], -v[160:161], v[162:163], 1.0
	v_fmac_f64_e32 v[162:163], v[172:173], v[162:163]
	v_mul_f64 v[172:173], v[164:165], v[162:163]
	v_mul_f64 v[174:175], v[160:161], v[172:173]
	v_fma_f64 v[160:161], v[172:173], v[160:161], -v[174:175]
	v_fmac_f64_e32 v[160:161], v[172:173], v[158:159]
	v_add_f64 v[158:159], v[174:175], v[160:161]
	v_add_f64 v[176:177], v[164:165], -v[158:159]
	v_add_f64 v[174:175], v[158:159], -v[174:175]
	;; [unrolled: 1-line block ×5, first 2 shown]
	v_add_f64 v[158:159], v[160:161], v[158:159]
	v_add_f64 v[158:159], v[176:177], v[158:159]
	v_mul_f64 v[158:159], v[162:163], v[158:159]
	v_add_f64 v[160:161], v[172:173], v[158:159]
	v_add_f64 v[162:163], v[160:161], -v[172:173]
	v_add_f64 v[158:159], v[158:159], -v[162:163]
	v_mul_f64 v[162:163], v[160:161], v[160:161]
	v_pk_mov_b32 v[164:165], v[12:13], v[12:13] op_sel:[0,1]
	v_fmac_f64_e32 v[164:165], s[10:11], v[162:163]
	v_pk_mov_b32 v[172:173], v[14:15], v[14:15] op_sel:[0,1]
	v_fmac_f64_e32 v[172:173], v[162:163], v[164:165]
	;; [unrolled: 2-line block ×6, first 2 shown]
	v_ldexp_f64 v[164:165], v[160:161], 1
	v_mul_f64 v[160:161], v[160:161], v[162:163]
	v_mul_f64 v[160:161], v[160:161], v[172:173]
	v_add_f64 v[162:163], v[164:165], v[160:161]
	v_add_f64 v[164:165], v[162:163], -v[164:165]
	v_ldexp_f64 v[158:159], v[158:159], 1
	v_add_f64 v[160:161], v[160:161], -v[164:165]
	v_add_f64 v[158:159], v[158:159], v[160:161]
	v_frexp_exp_i32_f64_e32 v144, v[4:5]
	v_add_f64 v[160:161], v[162:163], v[158:159]
	v_subbrev_co_u32_e32 v11, vcc, 0, v144, vcc
	v_add_f64 v[162:163], v[160:161], -v[162:163]
	v_add_f64 v[158:159], v[158:159], -v[162:163]
	v_cvt_f64_i32_e32 v[162:163], v11
	v_mul_f64 v[164:165], v[162:163], s[14:15]
	v_fma_f64 v[172:173], v[162:163], s[14:15], -v[164:165]
	v_fmac_f64_e32 v[172:173], s[16:17], v[162:163]
	v_add_f64 v[162:163], v[164:165], v[172:173]
	v_add_f64 v[164:165], v[162:163], -v[164:165]
	v_add_f64 v[164:165], v[172:173], -v[164:165]
	v_add_f64 v[172:173], v[162:163], v[160:161]
	v_add_f64 v[174:175], v[172:173], -v[162:163]
	v_add_f64 v[176:177], v[172:173], -v[174:175]
	;; [unrolled: 1-line block ×4, first 2 shown]
	v_add_f64 v[160:161], v[160:161], v[162:163]
	v_add_f64 v[162:163], v[164:165], v[158:159]
	v_add_f64 v[174:175], v[162:163], -v[164:165]
	v_add_f64 v[176:177], v[162:163], -v[174:175]
	v_add_f64 v[160:161], v[162:163], v[160:161]
	v_add_f64 v[164:165], v[164:165], -v[176:177]
	v_add_f64 v[158:159], v[158:159], -v[174:175]
	v_add_f64 v[162:163], v[172:173], v[160:161]
	v_add_f64 v[158:159], v[158:159], v[164:165]
	v_add_f64 v[164:165], v[162:163], -v[172:173]
	v_add_f64 v[160:161], v[160:161], -v[164:165]
	v_add_f64 v[158:159], v[158:159], v[160:161]
	v_and_b32_e32 v48, 0x7fffffff, v5
	v_add_f64 v[158:159], v[162:163], v[158:159]
	v_cmp_class_f64_e64 vcc, v[4:5], s80
	v_cndmask_b32_e32 v11, v158, v4, vcc
	v_cndmask_b32_e64 v144, -v159, -v48, vcc
	v_cmp_neq_f64_e32 vcc, 0, v[4:5]
	v_cndmask_b32_e32 v159, v171, v144, vcc
	v_cndmask_b32_e32 v158, 0, v11, vcc
	v_add_f64 v[160:161], -|v[4:5]|, 1.0
	v_add_f64 v[162:163], |v[4:5]|, s[34:35]
	v_cmp_gt_u32_e32 vcc, s84, v157
	v_cndmask_b32_e32 v11, v160, v162, vcc
	v_cndmask_b32_e32 v144, v161, v163, vcc
	v_cndmask_b32_e64 v148, 0, 1, vcc
	v_cmp_gt_u32_e32 vcc, s85, v157
	v_cndmask_b32_e32 v161, v144, v48, vcc
	v_cndmask_b32_e32 v160, v11, v4, vcc
	v_cndmask_b32_e64 v11, v148, 2, vcc
.LBB12_280:                             ;   in Loop: Header=BB12_162 Depth=1
	s_or_b64 exec, exec, s[72:73]
	v_cmp_lt_i32_e32 vcc, 1, v11
                                        ; implicit-def: $vgpr164_vgpr165
	s_and_saveexec_b64 s[72:73], vcc
	s_xor_b64 s[72:73], exec, s[72:73]
	s_cbranch_execz .LBB12_282
; %bb.281:                              ;   in Loop: Header=BB12_162 Depth=1
	v_pk_mov_b32 v[162:163], v[60:61], v[60:61] op_sel:[0,1]
	v_fmac_f64_e32 v[162:163], s[36:37], v[160:161]
	v_pk_mov_b32 v[164:165], v[62:63], v[62:63] op_sel:[0,1]
	v_fmac_f64_e32 v[164:165], v[160:161], v[162:163]
	v_pk_mov_b32 v[162:163], v[64:65], v[64:65] op_sel:[0,1]
	v_fmac_f64_e32 v[162:163], v[160:161], v[164:165]
	v_pk_mov_b32 v[164:165], v[66:67], v[66:67] op_sel:[0,1]
	v_mov_b32_e32 v48, v46
	v_fmac_f64_e32 v[164:165], v[160:161], v[162:163]
	v_pk_mov_b32 v[162:163], v[48:49], v[48:49] op_sel:[0,1]
	v_fmac_f64_e32 v[162:163], v[160:161], v[164:165]
	v_pk_mov_b32 v[164:165], v[68:69], v[68:69] op_sel:[0,1]
	;; [unrolled: 2-line block ×5, first 2 shown]
	v_fmac_f64_e32 v[172:173], v[160:161], v[164:165]
	v_mul_f64 v[162:163], v[160:161], v[162:163]
	v_fma_f64 v[164:165], v[160:161], v[172:173], 1.0
	v_div_scale_f64 v[172:173], s[74:75], v[164:165], v[164:165], v[162:163]
	v_rcp_f64_e32 v[174:175], v[172:173]
                                        ; implicit-def: $vgpr11
	v_fma_f64 v[176:177], -v[172:173], v[174:175], 1.0
	v_fmac_f64_e32 v[174:175], v[174:175], v[176:177]
	v_fma_f64 v[176:177], -v[172:173], v[174:175], 1.0
	v_fmac_f64_e32 v[174:175], v[174:175], v[176:177]
	v_div_scale_f64 v[176:177], vcc, v[162:163], v[164:165], v[162:163]
	v_mul_f64 v[178:179], v[176:177], v[174:175]
	v_fma_f64 v[172:173], -v[172:173], v[178:179], v[176:177]
	s_nop 1
	v_div_fmas_f64 v[172:173], v[172:173], v[174:175], v[178:179]
	v_div_fixup_f64 v[164:165], v[172:173], v[164:165], v[162:163]
	v_fmac_f64_e32 v[164:165], -0.5, v[160:161]
                                        ; implicit-def: $vgpr160_vgpr161
.LBB12_282:                             ;   in Loop: Header=BB12_162 Depth=1
	s_andn2_saveexec_b64 s[72:73], s[72:73]
	s_cbranch_execz .LBB12_288
; %bb.283:                              ;   in Loop: Header=BB12_162 Depth=1
	v_cmp_ne_u32_e32 vcc, 1, v11
	v_mul_f64 v[162:163], v[160:161], v[160:161]
                                        ; implicit-def: $vgpr164_vgpr165
	s_and_saveexec_b64 s[74:75], vcc
	s_xor_b64 s[74:75], exec, s[74:75]
	s_cbranch_execz .LBB12_285
; %bb.284:                              ;   in Loop: Header=BB12_162 Depth=1
	v_pk_mov_b32 v[164:165], v[76:77], v[76:77] op_sel:[0,1]
	v_fmac_f64_e32 v[164:165], s[40:41], v[162:163]
	v_pk_mov_b32 v[172:173], v[78:79], v[78:79] op_sel:[0,1]
	v_fmac_f64_e32 v[172:173], v[162:163], v[164:165]
	v_pk_mov_b32 v[164:165], v[80:81], v[80:81] op_sel:[0,1]
	v_fmac_f64_e32 v[164:165], v[162:163], v[172:173]
	v_pk_mov_b32 v[172:173], v[82:83], v[82:83] op_sel:[0,1]
	v_fmac_f64_e32 v[172:173], v[162:163], v[164:165]
	v_pk_mov_b32 v[174:175], v[46:47], v[46:47] op_sel:[0,1]
	v_pk_mov_b32 v[164:165], v[84:85], v[84:85] op_sel:[0,1]
	v_fmac_f64_e32 v[174:175], v[162:163], v[172:173]
	v_fmac_f64_e32 v[164:165], s[42:43], v[162:163]
	v_pk_mov_b32 v[172:173], v[86:87], v[86:87] op_sel:[0,1]
	v_fmac_f64_e32 v[172:173], v[162:163], v[164:165]
	v_pk_mov_b32 v[164:165], v[88:89], v[88:89] op_sel:[0,1]
	;; [unrolled: 2-line block ×4, first 2 shown]
	v_fmac_f64_e32 v[164:165], v[162:163], v[172:173]
	v_mul_f64 v[164:165], v[162:163], v[164:165]
	v_fmac_f64_e32 v[164:165], v[160:161], v[174:175]
	v_fmac_f64_e32 v[164:165], -0.5, v[160:161]
                                        ; implicit-def: $vgpr160_vgpr161
                                        ; implicit-def: $vgpr162_vgpr163
.LBB12_285:                             ;   in Loop: Header=BB12_162 Depth=1
	s_andn2_saveexec_b64 s[74:75], s[74:75]
	s_cbranch_execz .LBB12_287
; %bb.286:                              ;   in Loop: Header=BB12_162 Depth=1
	v_mul_f64 v[164:165], v[160:161], v[162:163]
	v_pk_mov_b32 v[172:173], v[94:95], v[94:95] op_sel:[0,1]
	v_fmac_f64_e32 v[172:173], s[44:45], v[164:165]
	v_pk_mov_b32 v[174:175], v[96:97], v[96:97] op_sel:[0,1]
	v_fmac_f64_e32 v[174:175], v[164:165], v[172:173]
	;; [unrolled: 2-line block ×12, first 2 shown]
	v_fmac_f64_e32 v[176:177], v[160:161], v[178:179]
	v_fma_f64 v[160:161], v[164:165], -v[176:177], s[50:51]
	v_fma_f64 v[160:161], v[162:163], v[174:175], -v[160:161]
	v_add_f64 v[164:165], v[160:161], s[52:53]
.LBB12_287:                             ;   in Loop: Header=BB12_162 Depth=1
	s_or_b64 exec, exec, s[74:75]
.LBB12_288:                             ;   in Loop: Header=BB12_162 Depth=1
	s_or_b64 exec, exec, s[72:73]
	v_add_f64 v[158:159], v[158:159], v[164:165]
.LBB12_289:                             ;   in Loop: Header=BB12_162 Depth=1
	s_or_b64 exec, exec, s[2:3]
.LBB12_290:                             ;   in Loop: Header=BB12_162 Depth=1
	s_andn2_saveexec_b64 s[0:1], s[0:1]
	s_cbranch_execz .LBB12_292
; %bb.291:                              ;   in Loop: Header=BB12_162 Depth=1
	v_frexp_mant_f64_e64 v[160:161], |v[4:5]|
	v_cmp_gt_f64_e32 vcc, s[8:9], v[160:161]
	v_cndmask_b32_e64 v11, v168, 2.0, vcc
	v_mul_f64 v[160:161], v[160:161], v[10:11]
	v_add_f64 v[162:163], v[160:161], 1.0
	v_rcp_f64_e32 v[164:165], v[162:163]
	v_add_f64 v[174:175], v[162:163], -1.0
	v_add_f64 v[172:173], v[160:161], -1.0
	v_add_f64 v[160:161], v[160:161], -v[174:175]
	v_fma_f64 v[174:175], -v[162:163], v[164:165], 1.0
	v_fmac_f64_e32 v[164:165], v[174:175], v[164:165]
	v_fma_f64 v[174:175], -v[162:163], v[164:165], 1.0
	v_fmac_f64_e32 v[164:165], v[174:175], v[164:165]
	v_mul_f64 v[174:175], v[172:173], v[164:165]
	v_mul_f64 v[176:177], v[162:163], v[174:175]
	v_fma_f64 v[162:163], v[174:175], v[162:163], -v[176:177]
	v_fmac_f64_e32 v[162:163], v[174:175], v[160:161]
	v_add_f64 v[160:161], v[176:177], v[162:163]
	v_add_f64 v[178:179], v[172:173], -v[160:161]
	v_add_f64 v[176:177], v[160:161], -v[176:177]
	;; [unrolled: 1-line block ×5, first 2 shown]
	v_add_f64 v[160:161], v[162:163], v[160:161]
	v_add_f64 v[160:161], v[178:179], v[160:161]
	v_mul_f64 v[160:161], v[164:165], v[160:161]
	v_add_f64 v[162:163], v[174:175], v[160:161]
	v_add_f64 v[164:165], v[162:163], -v[174:175]
	v_add_f64 v[160:161], v[160:161], -v[164:165]
	v_mul_f64 v[164:165], v[162:163], v[162:163]
	v_pk_mov_b32 v[172:173], v[12:13], v[12:13] op_sel:[0,1]
	v_fmac_f64_e32 v[172:173], s[10:11], v[164:165]
	v_pk_mov_b32 v[174:175], v[14:15], v[14:15] op_sel:[0,1]
	v_fmac_f64_e32 v[174:175], v[164:165], v[172:173]
	;; [unrolled: 2-line block ×6, first 2 shown]
	v_ldexp_f64 v[172:173], v[162:163], 1
	v_mul_f64 v[162:163], v[162:163], v[164:165]
	v_mul_f64 v[162:163], v[162:163], v[174:175]
	v_add_f64 v[164:165], v[172:173], v[162:163]
	v_add_f64 v[172:173], v[164:165], -v[172:173]
	v_ldexp_f64 v[160:161], v[160:161], 1
	v_add_f64 v[162:163], v[162:163], -v[172:173]
	v_add_f64 v[160:161], v[160:161], v[162:163]
	v_frexp_exp_i32_f64_e32 v144, v[4:5]
	v_add_f64 v[162:163], v[164:165], v[160:161]
	v_subbrev_co_u32_e32 v11, vcc, 0, v144, vcc
	v_add_f64 v[164:165], v[162:163], -v[164:165]
	v_add_f64 v[160:161], v[160:161], -v[164:165]
	v_cvt_f64_i32_e32 v[164:165], v11
	v_mul_f64 v[172:173], v[164:165], s[14:15]
	v_fma_f64 v[174:175], v[164:165], s[14:15], -v[172:173]
	v_fmac_f64_e32 v[174:175], s[16:17], v[164:165]
	v_add_f64 v[164:165], v[172:173], v[174:175]
	v_add_f64 v[172:173], v[164:165], -v[172:173]
	v_add_f64 v[172:173], v[174:175], -v[172:173]
	v_add_f64 v[174:175], v[164:165], v[162:163]
	v_add_f64 v[176:177], v[174:175], -v[164:165]
	v_add_f64 v[178:179], v[174:175], -v[176:177]
	;; [unrolled: 1-line block ×4, first 2 shown]
	v_add_f64 v[162:163], v[162:163], v[164:165]
	v_add_f64 v[164:165], v[172:173], v[160:161]
	v_add_f64 v[176:177], v[164:165], -v[172:173]
	v_add_f64 v[178:179], v[164:165], -v[176:177]
	v_add_f64 v[162:163], v[164:165], v[162:163]
	v_add_f64 v[172:173], v[172:173], -v[178:179]
	v_add_f64 v[160:161], v[160:161], -v[176:177]
	v_add_f64 v[164:165], v[174:175], v[162:163]
	v_add_f64 v[160:161], v[160:161], v[172:173]
	v_add_f64 v[172:173], v[164:165], -v[174:175]
	v_add_f64 v[162:163], v[162:163], -v[172:173]
	v_fma_f64 v[158:159], |v[4:5]|, s[54:55], v[118:119]
	v_add_f64 v[160:161], v[160:161], v[162:163]
	v_and_b32_e32 v48, 0x7fffffff, v5
	v_fma_f64 v[158:159], |v[4:5]|, v[158:159], s[56:57]
	v_add_f64 v[160:161], v[164:165], v[160:161]
	v_cmp_class_f64_e64 vcc, v[4:5], s80
	v_fma_f64 v[158:159], |v[4:5]|, v[158:159], s[58:59]
	v_cndmask_b32_e32 v11, v160, v4, vcc
	v_cndmask_b32_e64 v48, -v161, -v48, vcc
	v_cmp_neq_f64_e32 vcc, 0, v[4:5]
	v_fma_f64 v[158:159], |v[4:5]|, v[158:159], s[60:61]
	v_cndmask_b32_e32 v161, v171, v48, vcc
	v_cndmask_b32_e32 v160, 0, v11, vcc
	v_fma_f64 v[158:159], |v[4:5]|, v[158:159], v[160:161]
.LBB12_292:                             ;   in Loop: Header=BB12_162 Depth=1
	s_or_b64 exec, exec, s[0:1]
	v_cmp_le_f64_e32 vcc, 0, v[4:5]
	s_and_saveexec_b64 s[0:1], vcc
	s_xor_b64 s[2:3], exec, s[0:1]
; %bb.293:                              ;   in Loop: Header=BB12_162 Depth=1
	v_cmp_eq_f64_e32 vcc, 1.0, v[4:5]
	v_cmp_eq_f64_e64 s[0:1], 2.0, v[4:5]
	s_or_b64 s[0:1], vcc, s[0:1]
	v_cndmask_b32_e64 v159, v159, 0, s[0:1]
	v_cndmask_b32_e64 v158, v158, 0, s[0:1]
; %bb.294:                              ;   in Loop: Header=BB12_162 Depth=1
	s_andn2_saveexec_b64 s[0:1], s[2:3]
	s_cbranch_execz .LBB12_161
; %bb.295:                              ;   in Loop: Header=BB12_162 Depth=1
	v_add_u32_e32 v11, 0xc32fffff, v157
	v_cmp_gt_u32_e32 vcc, s86, v11
	s_and_saveexec_b64 s[2:3], vcc
	s_cbranch_execz .LBB12_160
; %bb.296:                              ;   in Loop: Header=BB12_162 Depth=1
	v_mul_f64 v[160:161], |v[4:5]|, 0.5
	v_fract_f64_e32 v[162:163], v[160:161]
	v_add_f64 v[162:163], v[162:163], v[162:163]
	v_cmp_neq_f64_e64 vcc, |v[160:161]|, s[62:63]
	v_and_b32_e32 v11, 0x7fffffff, v5
	v_cndmask_b32_e32 v48, 0, v162, vcc
	v_cndmask_b32_e32 v144, 0, v163, vcc
	v_cmp_gt_f64_e64 vcc, |v[4:5]|, 1.0
	v_cndmask_b32_e32 v161, v11, v144, vcc
	v_cndmask_b32_e32 v160, v4, v48, vcc
	v_add_f64 v[162:163], v[160:161], v[160:161]
	v_rndne_f64_e32 v[162:163], v[162:163]
	v_fmac_f64_e32 v[160:161], -0.5, v[162:163]
	v_cvt_i32_f64_e32 v11, v[162:163]
	v_mul_f64 v[162:163], v[160:161], v[160:161]
	v_pk_mov_b32 v[164:165], v[120:121], v[120:121] op_sel:[0,1]
	v_fmac_f64_e32 v[164:165], s[64:65], v[162:163]
	v_pk_mov_b32 v[172:173], v[122:123], v[122:123] op_sel:[0,1]
	v_fmac_f64_e32 v[172:173], v[162:163], v[164:165]
	;; [unrolled: 2-line block ×5, first 2 shown]
	v_mul_f64 v[172:173], v[160:161], v[162:163]
	v_mul_f64 v[164:165], v[172:173], v[164:165]
	v_fmac_f64_e32 v[164:165], s[66:67], v[160:161]
	v_pk_mov_b32 v[160:161], v[130:131], v[130:131] op_sel:[0,1]
	v_fmac_f64_e32 v[160:161], s[68:69], v[162:163]
	v_pk_mov_b32 v[172:173], v[132:133], v[132:133] op_sel:[0,1]
	;; [unrolled: 2-line block ×6, first 2 shown]
	v_fmac_f64_e32 v[172:173], v[162:163], v[160:161]
	v_and_b32_e32 v48, 1, v11
	v_lshlrev_b32_e32 v11, 30, v11
	v_fma_f64 v[160:161], v[162:163], v[172:173], 1.0
	v_cmp_eq_u32_e32 vcc, 0, v48
	v_xor_b32_e32 v11, v11, v5
	v_cndmask_b32_e32 v144, v161, v165, vcc
	v_and_b32_e32 v11, 0x80000000, v11
	v_cndmask_b32_e32 v48, v160, v164, vcc
	v_xor_b32_e32 v11, v144, v11
	v_cmp_class_f64_e64 vcc, v[4:5], s87
	v_cndmask_b32_e32 v160, 0, v48, vcc
	v_cndmask_b32_e32 v161, v170, v11, vcc
	v_mul_f64 v[160:161], v[4:5], v[160:161]
	v_and_b32_e32 v163, 0x7fffffff, v161
	v_mov_b32_e32 v162, v160
	v_div_scale_f64 v[164:165], s[72:73], v[162:163], v[162:163], s[66:67]
	v_rcp_f64_e32 v[172:173], v[164:165]
	v_div_scale_f64 v[162:163], vcc, s[66:67], v[162:163], s[66:67]
	v_cmp_class_f64_e64 s[72:73], v[4:5], s80
	v_fma_f64 v[174:175], -v[164:165], v[172:173], 1.0
	v_fmac_f64_e32 v[172:173], v[172:173], v[174:175]
	v_fma_f64 v[174:175], -v[164:165], v[172:173], 1.0
	v_fmac_f64_e32 v[172:173], v[172:173], v[174:175]
	v_mul_f64 v[174:175], v[162:163], v[172:173]
	v_fma_f64 v[162:163], -v[164:165], v[174:175], v[162:163]
	v_div_fmas_f64 v[162:163], v[162:163], v[172:173], v[174:175]
	v_div_fixup_f64 v[160:161], v[162:163], |v[160:161]|, s[66:67]
	v_frexp_mant_f64_e32 v[162:163], v[160:161]
	v_cmp_gt_f64_e32 vcc, s[8:9], v[162:163]
	v_cndmask_b32_e64 v11, v168, 2.0, vcc
	v_mul_f64 v[162:163], v[162:163], v[10:11]
	v_add_f64 v[164:165], v[162:163], 1.0
	v_rcp_f64_e32 v[172:173], v[164:165]
	v_add_f64 v[176:177], v[164:165], -1.0
	v_add_f64 v[174:175], v[162:163], -1.0
	v_add_f64 v[162:163], v[162:163], -v[176:177]
	v_fma_f64 v[176:177], -v[164:165], v[172:173], 1.0
	v_fmac_f64_e32 v[172:173], v[176:177], v[172:173]
	v_fma_f64 v[176:177], -v[164:165], v[172:173], 1.0
	v_fmac_f64_e32 v[172:173], v[176:177], v[172:173]
	v_mul_f64 v[176:177], v[174:175], v[172:173]
	v_mul_f64 v[178:179], v[164:165], v[176:177]
	v_fma_f64 v[164:165], v[176:177], v[164:165], -v[178:179]
	v_fmac_f64_e32 v[164:165], v[176:177], v[162:163]
	v_add_f64 v[162:163], v[178:179], v[164:165]
	v_add_f64 v[180:181], v[174:175], -v[162:163]
	v_add_f64 v[178:179], v[162:163], -v[178:179]
	;; [unrolled: 1-line block ×5, first 2 shown]
	v_add_f64 v[162:163], v[164:165], v[162:163]
	v_add_f64 v[162:163], v[180:181], v[162:163]
	v_mul_f64 v[162:163], v[172:173], v[162:163]
	v_add_f64 v[164:165], v[176:177], v[162:163]
	v_add_f64 v[172:173], v[164:165], -v[176:177]
	v_add_f64 v[162:163], v[162:163], -v[172:173]
	v_mul_f64 v[172:173], v[164:165], v[164:165]
	v_pk_mov_b32 v[174:175], v[12:13], v[12:13] op_sel:[0,1]
	v_fmac_f64_e32 v[174:175], s[10:11], v[172:173]
	v_pk_mov_b32 v[176:177], v[14:15], v[14:15] op_sel:[0,1]
	v_fmac_f64_e32 v[176:177], v[172:173], v[174:175]
	;; [unrolled: 2-line block ×6, first 2 shown]
	v_ldexp_f64 v[174:175], v[164:165], 1
	v_mul_f64 v[164:165], v[164:165], v[172:173]
	v_mul_f64 v[164:165], v[164:165], v[176:177]
	v_add_f64 v[172:173], v[174:175], v[164:165]
	v_add_f64 v[174:175], v[172:173], -v[174:175]
	v_ldexp_f64 v[162:163], v[162:163], 1
	v_add_f64 v[164:165], v[164:165], -v[174:175]
	v_add_f64 v[162:163], v[162:163], v[164:165]
	v_frexp_exp_i32_f64_e32 v48, v[160:161]
	v_add_f64 v[164:165], v[172:173], v[162:163]
	v_subbrev_co_u32_e32 v11, vcc, 0, v48, vcc
	v_add_f64 v[172:173], v[164:165], -v[172:173]
	v_add_f64 v[162:163], v[162:163], -v[172:173]
	v_cvt_f64_i32_e32 v[172:173], v11
	v_mul_f64 v[174:175], v[172:173], s[14:15]
	v_fma_f64 v[176:177], v[172:173], s[14:15], -v[174:175]
	v_fmac_f64_e32 v[176:177], s[16:17], v[172:173]
	v_add_f64 v[172:173], v[174:175], v[176:177]
	v_add_f64 v[174:175], v[172:173], -v[174:175]
	v_add_f64 v[174:175], v[176:177], -v[174:175]
	v_add_f64 v[176:177], v[172:173], v[164:165]
	v_add_f64 v[178:179], v[176:177], -v[172:173]
	v_add_f64 v[180:181], v[176:177], -v[178:179]
	;; [unrolled: 1-line block ×4, first 2 shown]
	v_add_f64 v[164:165], v[164:165], v[172:173]
	v_add_f64 v[172:173], v[174:175], v[162:163]
	v_add_f64 v[178:179], v[172:173], -v[174:175]
	v_add_f64 v[180:181], v[172:173], -v[178:179]
	v_add_f64 v[164:165], v[172:173], v[164:165]
	v_add_f64 v[174:175], v[174:175], -v[180:181]
	v_add_f64 v[162:163], v[162:163], -v[178:179]
	v_add_f64 v[172:173], v[176:177], v[164:165]
	v_add_f64 v[162:163], v[162:163], v[174:175]
	v_add_f64 v[174:175], v[172:173], -v[176:177]
	v_add_f64 v[164:165], v[164:165], -v[174:175]
	v_add_f64 v[162:163], v[162:163], v[164:165]
	v_add_f64 v[162:163], v[172:173], v[162:163]
	v_cmp_class_f64_e64 vcc, v[160:161], s80
	v_cndmask_b32_e32 v11, v162, v160, vcc
	v_cndmask_b32_e32 v48, v163, v161, vcc
	v_cmp_neq_f64_e32 vcc, 0, v[160:161]
	v_cndmask_b32_e32 v161, v169, v48, vcc
	v_cndmask_b32_e32 v160, 0, v11, vcc
	v_add_f64 v[158:159], v[160:161], -v[158:159]
	v_fract_f64_e32 v[160:161], v[4:5]
	v_cmp_eq_f64_e32 vcc, 0, v[160:161]
	s_or_b64 vcc, s[72:73], vcc
	v_cndmask_b32_e32 v159, v159, v171, vcc
	v_cndmask_b32_e64 v158, v158, 0, vcc
	s_branch .LBB12_160
.LBB12_297:
	s_endpgm
	.section	.rodata,"a",@progbits
	.p2align	6, 0x0
	.amdhsa_kernel _ZN2at6native12_GLOBAL__N_125multi_tensor_apply_kernelINS1_18TensorListMetadataILi1EEENS1_14UnaryOpFunctorIdLi1ELi1ELi0EEEJNS0_6LgammaIdEEEEEvT_T0_DpT1_
		.amdhsa_group_segment_fixed_size 0
		.amdhsa_private_segment_fixed_size 0
		.amdhsa_kernarg_size 3632
		.amdhsa_user_sgpr_count 6
		.amdhsa_user_sgpr_private_segment_buffer 1
		.amdhsa_user_sgpr_dispatch_ptr 0
		.amdhsa_user_sgpr_queue_ptr 0
		.amdhsa_user_sgpr_kernarg_segment_ptr 1
		.amdhsa_user_sgpr_dispatch_id 0
		.amdhsa_user_sgpr_flat_scratch_init 0
		.amdhsa_user_sgpr_kernarg_preload_length 0
		.amdhsa_user_sgpr_kernarg_preload_offset 0
		.amdhsa_user_sgpr_private_segment_size 0
		.amdhsa_uses_dynamic_stack 0
		.amdhsa_system_sgpr_private_segment_wavefront_offset 0
		.amdhsa_system_sgpr_workgroup_id_x 1
		.amdhsa_system_sgpr_workgroup_id_y 0
		.amdhsa_system_sgpr_workgroup_id_z 0
		.amdhsa_system_sgpr_workgroup_info 0
		.amdhsa_system_vgpr_workitem_id 0
		.amdhsa_next_free_vgpr 189
		.amdhsa_next_free_sgpr 96
		.amdhsa_accum_offset 192
		.amdhsa_reserve_vcc 1
		.amdhsa_reserve_flat_scratch 0
		.amdhsa_float_round_mode_32 0
		.amdhsa_float_round_mode_16_64 0
		.amdhsa_float_denorm_mode_32 3
		.amdhsa_float_denorm_mode_16_64 3
		.amdhsa_dx10_clamp 1
		.amdhsa_ieee_mode 1
		.amdhsa_fp16_overflow 0
		.amdhsa_tg_split 0
		.amdhsa_exception_fp_ieee_invalid_op 0
		.amdhsa_exception_fp_denorm_src 0
		.amdhsa_exception_fp_ieee_div_zero 0
		.amdhsa_exception_fp_ieee_overflow 0
		.amdhsa_exception_fp_ieee_underflow 0
		.amdhsa_exception_fp_ieee_inexact 0
		.amdhsa_exception_int_div_zero 0
	.end_amdhsa_kernel
	.section	.text._ZN2at6native12_GLOBAL__N_125multi_tensor_apply_kernelINS1_18TensorListMetadataILi1EEENS1_14UnaryOpFunctorIdLi1ELi1ELi0EEEJNS0_6LgammaIdEEEEEvT_T0_DpT1_,"axG",@progbits,_ZN2at6native12_GLOBAL__N_125multi_tensor_apply_kernelINS1_18TensorListMetadataILi1EEENS1_14UnaryOpFunctorIdLi1ELi1ELi0EEEJNS0_6LgammaIdEEEEEvT_T0_DpT1_,comdat
.Lfunc_end12:
	.size	_ZN2at6native12_GLOBAL__N_125multi_tensor_apply_kernelINS1_18TensorListMetadataILi1EEENS1_14UnaryOpFunctorIdLi1ELi1ELi0EEEJNS0_6LgammaIdEEEEEvT_T0_DpT1_, .Lfunc_end12-_ZN2at6native12_GLOBAL__N_125multi_tensor_apply_kernelINS1_18TensorListMetadataILi1EEENS1_14UnaryOpFunctorIdLi1ELi1ELi0EEEJNS0_6LgammaIdEEEEEvT_T0_DpT1_
                                        ; -- End function
	.section	.AMDGPU.csdata,"",@progbits
; Kernel info:
; codeLenInByte = 50432
; NumSgprs: 100
; NumVgprs: 189
; NumAgprs: 0
; TotalNumVgprs: 189
; ScratchSize: 0
; MemoryBound: 1
; FloatMode: 240
; IeeeMode: 1
; LDSByteSize: 0 bytes/workgroup (compile time only)
; SGPRBlocks: 12
; VGPRBlocks: 23
; NumSGPRsForWavesPerEU: 100
; NumVGPRsForWavesPerEU: 189
; AccumOffset: 192
; Occupancy: 2
; WaveLimiterHint : 0
; COMPUTE_PGM_RSRC2:SCRATCH_EN: 0
; COMPUTE_PGM_RSRC2:USER_SGPR: 6
; COMPUTE_PGM_RSRC2:TRAP_HANDLER: 0
; COMPUTE_PGM_RSRC2:TGID_X_EN: 1
; COMPUTE_PGM_RSRC2:TGID_Y_EN: 0
; COMPUTE_PGM_RSRC2:TGID_Z_EN: 0
; COMPUTE_PGM_RSRC2:TIDIG_COMP_CNT: 0
; COMPUTE_PGM_RSRC3_GFX90A:ACCUM_OFFSET: 47
; COMPUTE_PGM_RSRC3_GFX90A:TG_SPLIT: 0
	.section	.text._ZN2at6native12_GLOBAL__N_125multi_tensor_apply_kernelINS1_18TensorListMetadataILi1EEENS1_14UnaryOpFunctorIfLi1ELi1ELi0EEEJNS0_6LgammaIfEEEEEvT_T0_DpT1_,"axG",@progbits,_ZN2at6native12_GLOBAL__N_125multi_tensor_apply_kernelINS1_18TensorListMetadataILi1EEENS1_14UnaryOpFunctorIfLi1ELi1ELi0EEEJNS0_6LgammaIfEEEEEvT_T0_DpT1_,comdat
	.globl	_ZN2at6native12_GLOBAL__N_125multi_tensor_apply_kernelINS1_18TensorListMetadataILi1EEENS1_14UnaryOpFunctorIfLi1ELi1ELi0EEEJNS0_6LgammaIfEEEEEvT_T0_DpT1_ ; -- Begin function _ZN2at6native12_GLOBAL__N_125multi_tensor_apply_kernelINS1_18TensorListMetadataILi1EEENS1_14UnaryOpFunctorIfLi1ELi1ELi0EEEJNS0_6LgammaIfEEEEEvT_T0_DpT1_
	.p2align	8
	.type	_ZN2at6native12_GLOBAL__N_125multi_tensor_apply_kernelINS1_18TensorListMetadataILi1EEENS1_14UnaryOpFunctorIfLi1ELi1ELi0EEEJNS0_6LgammaIfEEEEEvT_T0_DpT1_,@function
_ZN2at6native12_GLOBAL__N_125multi_tensor_apply_kernelINS1_18TensorListMetadataILi1EEENS1_14UnaryOpFunctorIfLi1ELi1ELi0EEEJNS0_6LgammaIfEEEEEvT_T0_DpT1_: ; @_ZN2at6native12_GLOBAL__N_125multi_tensor_apply_kernelINS1_18TensorListMetadataILi1EEENS1_14UnaryOpFunctorIfLi1ELi1ELi0EEEJNS0_6LgammaIfEEEEEvT_T0_DpT1_
; %bb.0:
	v_mov_b32_e32 v1, s6
	global_load_ubyte v1, v1, s[4:5] offset:1760
	s_add_u32 s0, s4, s6
	s_mul_hi_u32 s1, s6, 3
	s_mul_i32 s6, s6, 3
	s_addc_u32 s2, s5, 0
	s_add_u32 s0, s0, s6
	s_addc_u32 s1, s2, s1
	s_load_dword s0, s[0:1], 0x820
	s_mov_b32 s7, 0
	s_waitcnt vmcnt(0)
	v_readfirstlane_b32 s2, v1
	s_lshl_b32 s1, s2, 3
	s_load_dwordx2 s[2:3], s[4:5], s1 offset:0x370
	s_load_dwordx2 s[22:23], s[4:5], s1 offset:0x0
	s_waitcnt lgkmcnt(0)
	s_ashr_i32 s1, s0, 31
	s_lshl_b64 s[24:25], s[0:1], 18
	s_lshl_b64 s[0:1], s[0:1], 16
	s_and_b32 s6, s22, 15
	s_sub_u32 s20, s2, s0
	s_subb_u32 s21, s3, s1
	s_and_b32 s0, s2, 3
	s_mov_b32 s1, s7
	s_or_b64 s[0:1], s[6:7], s[0:1]
	s_cmp_eq_u64 s[0:1], 0
	s_cbranch_scc1 .LBB13_173
; %bb.1:
	v_cmp_lt_i64_e64 s[0:1], s[20:21], 1
	s_and_b64 vcc, exec, s[0:1]
	s_cbranch_vccnz .LBB13_172
; %bb.2:
	s_load_dword s0, s[4:5], 0xd3c
	v_mov_b32_e32 v2, 0x10000
	v_mov_b32_e32 v3, 0
	v_cmp_lt_u64_e32 vcc, s[20:21], v[2:3]
	v_lshlrev_b32_e32 v1, 2, v0
	s_waitcnt lgkmcnt(0)
	s_and_b32 s2, s0, 0xffff
	s_and_b64 s[0:1], vcc, exec
	s_cselect_b32 s27, s21, 0
	s_cselect_b32 s26, s20, 0x10000
	s_lshl_b32 s3, s2, 1
	s_lshl_b32 s40, s2, 2
	s_add_u32 s6, s22, s24
	s_addc_u32 s7, s23, s25
	v_mov_b32_e32 v3, s7
	v_add_co_u32_e32 v2, vcc, s6, v1
	s_mul_i32 s0, s2, 3
	v_addc_co_u32_e32 v3, vcc, 0, v3, vcc
	v_add_co_u32_e32 v1, vcc, s0, v0
	v_addc_co_u32_e64 v6, s[0:1], 0, 0, vcc
	v_add_co_u32_e32 v7, vcc, s3, v0
	v_addc_co_u32_e64 v8, s[0:1], 0, 0, vcc
	v_add_co_u32_e32 v9, vcc, s2, v0
	v_lshlrev_b32_e32 v4, 2, v9
	s_mov_b32 s33, 0
	v_addc_co_u32_e64 v10, s[0:1], 0, 0, vcc
	v_mov_b32_e32 v5, s7
	v_add_co_u32_e32 v4, vcc, s6, v4
	s_mov_b32 s30, 2.0
	s_lshl_b32 s41, s2, 4
	s_mul_i32 s42, s2, 12
	s_mov_b32 s43, s33
	s_lshl_b32 s44, s2, 3
	s_mov_b32 s45, s33
	v_addc_co_u32_e32 v5, vcc, 0, v5, vcc
	s_mov_b64 s[28:29], 0
	s_mov_b32 s46, 0x3c800000
	s_mov_b32 s31, 0x40400000
	;; [unrolled: 1-line block ×7, first 2 shown]
	v_mov_b32_e32 v11, 0xba1c065c
	v_mov_b32_e32 v12, 0x3a500cfd
	;; [unrolled: 1-line block ×14, first 2 shown]
	s_mov_b32 s52, 0x3f666666
	s_mov_b32 s53, 0x3f3b4a23
	;; [unrolled: 1-line block ×7, first 2 shown]
	v_mov_b32_e32 v25, 0x3f7a4bb2
	v_mov_b32_e32 v26, 0x3fba3ae7
	;; [unrolled: 1-line block ×15, first 2 shown]
	s_mov_b32 s59, 0xa2863e55
	v_mov_b32_e32 v40, 0x3a9c54a1
	v_mov_b32_e32 v41, 0x3bf2027e
	;; [unrolled: 1-line block ×8, first 2 shown]
	s_mov_b32 s60, 0x3e8a8991
	s_mov_b32 s61, 0x3f528d33
	;; [unrolled: 1-line block ×5, first 2 shown]
	v_mov_b32_e32 v48, 0x40234736
	v_mov_b32_e32 v49, 0xc0a55e0e
	;; [unrolled: 1-line block ×10, first 2 shown]
	s_branch .LBB13_4
.LBB13_3:                               ;   in Loop: Header=BB13_4 Depth=1
	s_or_b64 exec, exec, s[0:1]
	s_add_u32 s28, s28, s40
	s_addc_u32 s29, s29, 0
	v_pk_mov_b32 v[58:59], s[20:21], s[20:21] op_sel:[0,1]
	v_cmp_ge_i64_e32 vcc, s[28:29], v[58:59]
	v_mov_b32_e32 v58, 0xffff
	v_mov_b32_e32 v59, 0
	v_cmp_gt_u64_e64 s[0:1], s[28:29], v[58:59]
	s_or_b64 s[0:1], vcc, s[0:1]
	v_mov_b32_e32 v58, s33
	v_add_co_u32_e32 v2, vcc, s41, v2
	v_addc_co_u32_e32 v3, vcc, v3, v58, vcc
	v_add_co_u32_e32 v4, vcc, s41, v4
	v_addc_co_u32_e32 v5, vcc, v5, v58, vcc
	s_and_b64 vcc, exec, s[0:1]
	s_cbranch_vccnz .LBB13_172
.LBB13_4:                               ; =>This Inner Loop Header: Depth=1
	v_mov_b32_e32 v59, s29
	v_add_co_u32_e32 v58, vcc, s28, v0
	v_addc_co_u32_e32 v59, vcc, 0, v59, vcc
	v_cmp_gt_u64_e32 vcc, s[26:27], v[58:59]
	v_mov_b32_e32 v59, 0
	s_and_saveexec_b64 s[0:1], vcc
	s_cbranch_execz .LBB13_6
; %bb.5:                                ;   in Loop: Header=BB13_4 Depth=1
	global_load_dword v59, v[2:3], off
.LBB13_6:                               ;   in Loop: Header=BB13_4 Depth=1
	s_or_b64 exec, exec, s[0:1]
	v_mov_b32_e32 v58, s29
	v_add_co_u32_e64 v60, s[0:1], s28, v9
	v_addc_co_u32_e64 v61, s[0:1], v10, v58, s[0:1]
	v_cmp_gt_u64_e64 s[0:1], s[26:27], v[60:61]
	v_mov_b32_e32 v60, 0
	s_and_saveexec_b64 s[2:3], s[0:1]
	s_cbranch_execz .LBB13_8
; %bb.7:                                ;   in Loop: Header=BB13_4 Depth=1
	global_load_dword v60, v[4:5], off
.LBB13_8:                               ;   in Loop: Header=BB13_4 Depth=1
	s_or_b64 exec, exec, s[2:3]
	v_mov_b32_e32 v58, s29
	v_add_co_u32_e64 v62, s[2:3], s28, v7
	v_addc_co_u32_e64 v63, s[2:3], v8, v58, s[2:3]
	v_cmp_gt_u64_e64 s[2:3], s[26:27], v[62:63]
	v_mov_b32_e32 v58, 0
	v_mov_b32_e32 v61, 0
	s_and_saveexec_b64 s[8:9], s[2:3]
	s_cbranch_execz .LBB13_10
; %bb.9:                                ;   in Loop: Header=BB13_4 Depth=1
	v_mov_b32_e32 v61, s45
	v_add_co_u32_e64 v62, s[6:7], s44, v2
	v_addc_co_u32_e64 v63, s[6:7], v3, v61, s[6:7]
	global_load_dword v61, v[62:63], off
.LBB13_10:                              ;   in Loop: Header=BB13_4 Depth=1
	s_or_b64 exec, exec, s[8:9]
	v_mov_b32_e32 v63, s29
	v_add_co_u32_e64 v62, s[6:7], s28, v1
	v_addc_co_u32_e64 v63, s[6:7], v6, v63, s[6:7]
	v_cmp_gt_u64_e64 s[6:7], s[26:27], v[62:63]
	s_and_saveexec_b64 s[10:11], s[6:7]
	s_cbranch_execz .LBB13_12
; %bb.11:                               ;   in Loop: Header=BB13_4 Depth=1
	v_mov_b32_e32 v58, s43
	v_add_co_u32_e64 v62, s[8:9], s42, v2
	v_addc_co_u32_e64 v63, s[8:9], v3, v58, s[8:9]
	global_load_dword v58, v[62:63], off
.LBB13_12:                              ;   in Loop: Header=BB13_4 Depth=1
	s_or_b64 exec, exec, s[10:11]
	s_waitcnt vmcnt(0)
	v_and_b32_e32 v63, 0x7fffffff, v59
	v_cmp_nlt_f32_e64 s[8:9], |v59|, s46
                                        ; implicit-def: $vgpr62
	s_and_saveexec_b64 s[10:11], s[8:9]
	s_xor_b64 s[12:13], exec, s[10:11]
	s_cbranch_execz .LBB13_42
; %bb.13:                               ;   in Loop: Header=BB13_4 Depth=1
	v_cmp_nlt_f32_e64 s[8:9], |v59|, 2.0
                                        ; implicit-def: $vgpr62
	s_and_saveexec_b64 s[10:11], s[8:9]
	s_xor_b64 s[14:15], exec, s[10:11]
	s_cbranch_execz .LBB13_23
; %bb.14:                               ;   in Loop: Header=BB13_4 Depth=1
	v_cmp_nlt_f32_e64 s[8:9], |v59|, s47
                                        ; implicit-def: $vgpr62
	s_and_saveexec_b64 s[10:11], s[8:9]
	s_xor_b64 s[16:17], exec, s[10:11]
	s_cbranch_execz .LBB13_20
; %bb.15:                               ;   in Loop: Header=BB13_4 Depth=1
	v_cmp_nlt_f32_e64 s[8:9], |v59|, s48
                                        ; implicit-def: $vgpr62
	s_and_saveexec_b64 s[10:11], s[8:9]
	s_xor_b64 s[18:19], exec, s[10:11]
	s_cbranch_execz .LBB13_17
; %bb.16:                               ;   in Loop: Header=BB13_4 Depth=1
	v_cmp_lt_f32_e64 s[8:9], |v59|, s49
	v_cndmask_b32_e64 v62, 1.0, v54, s[8:9]
	v_mul_f32_e64 v62, |v59|, v62
	v_log_f32_e32 v62, v62
	v_mul_f32_e32 v64, 0x3f317217, v62
	v_fma_f32 v65, v62, s50, -v64
	v_fmac_f32_e32 v65, 0x3377d1cf, v62
	v_add_f32_e32 v64, v64, v65
	v_cmp_lt_f32_e64 s[10:11], |v62|, s51
	v_cndmask_b32_e64 v62, v62, v64, s[10:11]
	v_cndmask_b32_e64 v64, 0, v55, s[8:9]
	v_sub_f32_e32 v62, v62, v64
	v_fma_f32 v62, |v59|, v62, -|v59|
.LBB13_17:                              ;   in Loop: Header=BB13_4 Depth=1
	s_andn2_saveexec_b64 s[18:19], s[18:19]
	s_cbranch_execz .LBB13_19
; %bb.18:                               ;   in Loop: Header=BB13_4 Depth=1
	v_rcp_f32_e64 v62, |v59|
	v_cmp_lt_f32_e64 s[8:9], |v59|, s49
	v_cndmask_b32_e64 v65, 1.0, v54, s[8:9]
	v_mov_b32_e32 v64, 0x3a5b3dd2
	v_mul_f32_e32 v66, v62, v62
	v_mul_f32_e64 v65, |v59|, v65
	v_fmac_f32_e32 v64, 0xbad5c4e8, v66
	v_log_f32_e32 v65, v65
	v_fma_f32 v64, v66, v64, v11
	v_fma_f32 v64, v66, v64, v12
	;; [unrolled: 1-line block ×4, first 2 shown]
	v_mul_f32_e32 v66, 0x3f317217, v65
	v_fma_f32 v67, v65, s50, -v66
	v_fmac_f32_e32 v67, 0x3377d1cf, v65
	v_add_f32_e32 v66, v66, v67
	v_cmp_lt_f32_e64 s[10:11], |v65|, s51
	v_cndmask_b32_e64 v65, v65, v66, s[10:11]
	v_cndmask_b32_e64 v66, 0, v55, s[8:9]
	v_sub_f32_e32 v65, v65, v66
	v_fma_f32 v62, v62, v64, v15
	v_add_f32_e64 v64, |v59|, -0.5
	v_add_f32_e32 v65, -1.0, v65
	v_fmac_f32_e32 v62, v64, v65
.LBB13_19:                              ;   in Loop: Header=BB13_4 Depth=1
	s_or_b64 exec, exec, s[18:19]
.LBB13_20:                              ;   in Loop: Header=BB13_4 Depth=1
	s_andn2_saveexec_b64 s[16:17], s[16:17]
	s_cbranch_execz .LBB13_22
; %bb.21:                               ;   in Loop: Header=BB13_4 Depth=1
	v_cvt_i32_f32_e32 v66, v63
	v_mov_b32_e32 v65, 0x3a4beed6
	v_mov_b32_e32 v64, 0x3af135b4
	v_cvt_f32_i32_e32 v62, v66
	v_cmp_lt_i32_e64 s[8:9], 2, v66
	v_cmp_lt_i32_e64 s[10:11], 3, v66
	v_sub_f32_e64 v62, |v59|, v62
	v_fmac_f32_e32 v65, 0x36f5d7bd, v62
	v_fma_f32 v65, v62, v65, v21
	v_fma_f32 v65, v62, v65, v22
	v_fmac_f32_e32 v64, 0x3805ff67, v62
	v_fma_f32 v65, v62, v65, v23
	v_fma_f32 v64, v62, v64, v16
	;; [unrolled: 1-line block ×4, first 2 shown]
	v_fma_f32 v65, v62, v65, 1.0
	v_fma_f32 v64, v62, v64, v18
	v_rcp_f32_e32 v65, v65
	v_fma_f32 v64, v62, v64, v19
	v_fma_f32 v64, v62, v64, v20
	v_mul_f32_e32 v64, v62, v64
	v_mul_f32_e32 v67, v64, v65
	v_pk_add_f32 v[64:65], v[62:63], s[30:31] op_sel_hi:[0,1]
	v_fmac_f32_e32 v67, 0.5, v62
	v_add_f32_e32 v68, 4.0, v62
	v_add_f32_e32 v69, 0x40a00000, v62
	v_add_f32_e32 v70, 0x40c00000, v62
	v_cndmask_b32_e64 v62, 1.0, v65, s[10:11]
	v_cndmask_b32_e64 v64, 1.0, v64, s[8:9]
	v_cmp_lt_i32_e64 s[8:9], 4, v66
	v_mul_f32_e32 v62, v64, v62
	v_cndmask_b32_e64 v64, 1.0, v68, s[8:9]
	v_cmp_lt_i32_e64 s[8:9], 5, v66
	v_mul_f32_e32 v62, v64, v62
	;; [unrolled: 3-line block ×3, first 2 shown]
	v_cndmask_b32_e64 v64, 1.0, v70, s[8:9]
	v_mul_f32_e32 v62, v64, v62
	v_cmp_gt_f32_e64 s[8:9], s49, v62
	v_cndmask_b32_e64 v64, 1.0, v54, s[8:9]
	v_mul_f32_e32 v62, v62, v64
	v_log_f32_e32 v62, v62
	v_mul_f32_e32 v64, 0x3f317217, v62
	v_fma_f32 v65, v62, s50, -v64
	v_fmac_f32_e32 v65, 0x3377d1cf, v62
	v_add_f32_e32 v64, v64, v65
	v_cmp_lt_f32_e64 s[10:11], |v62|, s51
	v_cndmask_b32_e64 v62, v62, v64, s[10:11]
	v_cndmask_b32_e64 v64, 0, v55, s[8:9]
	v_sub_f32_e32 v62, v62, v64
	v_add_f32_e32 v62, v62, v67
.LBB13_22:                              ;   in Loop: Header=BB13_4 Depth=1
	s_or_b64 exec, exec, s[16:17]
.LBB13_23:                              ;   in Loop: Header=BB13_4 Depth=1
	s_andn2_saveexec_b64 s[10:11], s[14:15]
	s_cbranch_execz .LBB13_41
; %bb.24:                               ;   in Loop: Header=BB13_4 Depth=1
	v_cmp_le_f32_e64 s[8:9], |v59|, s52
                                        ; implicit-def: $vgpr62
                                        ; implicit-def: $vgpr65
                                        ; implicit-def: $vgpr64
	s_and_saveexec_b64 s[14:15], s[8:9]
	s_xor_b64 s[14:15], exec, s[14:15]
	s_cbranch_execz .LBB13_26
; %bb.25:                               ;   in Loop: Header=BB13_4 Depth=1
	v_cmp_lt_f32_e64 s[8:9], |v59|, s49
	v_cndmask_b32_e64 v62, 1.0, v54, s[8:9]
	v_mul_f32_e64 v62, |v59|, v62
	v_log_f32_e32 v62, v62
	v_cndmask_b32_e64 v64, 0, v55, s[8:9]
	v_mul_f32_e32 v65, 0x3f317217, v62
	v_fma_f32 v66, v62, s50, -v65
	v_fmac_f32_e32 v66, 0x3377d1cf, v62
	v_add_f32_e32 v65, v65, v66
	v_cmp_lt_f32_e64 s[8:9], |v62|, s51
	v_cndmask_b32_e64 v62, v62, v65, s[8:9]
	v_sub_f32_e32 v62, v62, v64
	v_sub_f32_e64 v64, 1.0, |v59|
	v_add_f32_e64 v65, |v59|, s54
	v_cmp_lt_f32_e64 s[8:9], |v59|, s53
	v_cndmask_b32_e64 v64, v64, v65, s[8:9]
	v_cndmask_b32_e64 v65, 0, 1, s[8:9]
	v_cmp_lt_f32_e64 s[8:9], |v59|, s55
	v_xor_b32_e32 v62, 0x80000000, v62
	v_cndmask_b32_e64 v64, v64, |v59|, s[8:9]
	v_cndmask_b32_e64 v65, v65, 2, s[8:9]
.LBB13_26:                              ;   in Loop: Header=BB13_4 Depth=1
	s_andn2_saveexec_b64 s[14:15], s[14:15]
; %bb.27:                               ;   in Loop: Header=BB13_4 Depth=1
	v_sub_f32_e64 v62, 2.0, |v59|
	v_add_f32_e64 v64, |v59|, s57
	v_cmp_lt_f32_e64 s[8:9], |v59|, s56
	v_cndmask_b32_e64 v64, v62, v64, s[8:9]
	v_cndmask_b32_e64 v62, v62, 1.0, s[8:9]
	v_cvt_i32_f32_e32 v62, v62
	v_add_f32_e64 v65, |v59|, -1.0
	v_cmp_lt_f32_e64 s[8:9], |v59|, s58
	v_cndmask_b32_e64 v64, v64, v65, s[8:9]
	v_cndmask_b32_e64 v65, v62, 2, s[8:9]
	v_mov_b32_e32 v62, 0
; %bb.28:                               ;   in Loop: Header=BB13_4 Depth=1
	s_or_b64 exec, exec, s[14:15]
	v_cmp_lt_i32_e64 s[8:9], 0, v65
	s_and_saveexec_b64 s[14:15], s[8:9]
	s_xor_b64 s[14:15], exec, s[14:15]
	s_cbranch_execz .LBB13_36
; %bb.29:                               ;   in Loop: Header=BB13_4 Depth=1
	v_cmp_lt_i32_e64 s[8:9], 1, v65
	s_and_saveexec_b64 s[16:17], s[8:9]
	s_xor_b64 s[16:17], exec, s[16:17]
	s_cbranch_execz .LBB13_33
; %bb.30:                               ;   in Loop: Header=BB13_4 Depth=1
	v_cmp_eq_u32_e64 s[8:9], 2, v65
	s_and_saveexec_b64 s[18:19], s[8:9]
	s_cbranch_execz .LBB13_32
; %bb.31:                               ;   in Loop: Header=BB13_4 Depth=1
	v_mov_b32_e32 v66, 0x3dd572af
	v_fmac_f32_e32 v66, 0x3b52d5db, v64
	v_fma_f32 v66, v64, v66, v28
	v_mov_b32_e32 v65, 0x3e6a7578
	v_fma_f32 v66, v64, v66, v29
	v_fmac_f32_e32 v65, 0x3c5b3c5e, v64
	v_fma_f32 v66, v64, v66, v30
	v_fma_f32 v65, v64, v65, v25
	v_fma_f32 v66, v64, v66, 1.0
	v_fma_f32 v65, v64, v65, v26
	v_rcp_f32_e32 v66, v66
	v_fma_f32 v65, v64, v65, v27
	v_fma_f32 v65, v64, v65, v20
	v_mul_f32_e32 v65, v64, v65
	v_mul_f32_e32 v65, v65, v66
	v_fmac_f32_e32 v65, -0.5, v64
	v_add_f32_e32 v62, v62, v65
.LBB13_32:                              ;   in Loop: Header=BB13_4 Depth=1
	s_or_b64 exec, exec, s[18:19]
                                        ; implicit-def: $vgpr64
.LBB13_33:                              ;   in Loop: Header=BB13_4 Depth=1
	s_andn2_saveexec_b64 s[8:9], s[16:17]
	s_cbranch_execz .LBB13_35
; %bb.34:                               ;   in Loop: Header=BB13_4 Depth=1
	v_mul_f32_e32 v65, v64, v64
	v_mul_f32_e32 v66, v64, v65
	v_mov_b32_e32 v68, 0x3a66f867
	v_mov_b32_e32 v69, 0xba0d3085
	v_fmac_f32_e32 v68, 0xb9a3f927, v66
	v_fmac_f32_e32 v69, 0x39afe9f7, v66
	v_mov_b32_e32 v67, 0xbab7f476
	v_fma_f32 v68, v66, v68, v34
	v_fma_f32 v69, v66, v69, v37
	v_fmac_f32_e32 v67, 0x39a57b6b, v66
	v_fma_f32 v68, v66, v68, v35
	v_fma_f32 v69, v66, v69, v38
	;; [unrolled: 1-line block ×6, first 2 shown]
	v_fmac_f32_e32 v68, v64, v69
	v_fma_f32 v67, v66, v67, v33
	v_fma_f32 v64, v66, -v68, s59
	v_fma_f32 v64, v65, v67, -v64
	v_add_f32_e32 v64, 0xbdf8cdce, v64
	v_add_f32_e32 v62, v62, v64
.LBB13_35:                              ;   in Loop: Header=BB13_4 Depth=1
	s_or_b64 exec, exec, s[8:9]
                                        ; implicit-def: $vgpr65
                                        ; implicit-def: $vgpr64
.LBB13_36:                              ;   in Loop: Header=BB13_4 Depth=1
	s_andn2_saveexec_b64 s[14:15], s[14:15]
	s_cbranch_execz .LBB13_40
; %bb.37:                               ;   in Loop: Header=BB13_4 Depth=1
	v_cmp_eq_u32_e64 s[8:9], 0, v65
	s_and_saveexec_b64 s[16:17], s[8:9]
	s_cbranch_execz .LBB13_39
; %bb.38:                               ;   in Loop: Header=BB13_4 Depth=1
	v_mul_f32_e32 v65, v64, v64
	v_mov_b32_e32 v67, 0x38e28445
	v_mov_b32_e32 v66, 0x39679767
	v_fmac_f32_e32 v67, 0x383c2c75, v65
	v_fmac_f32_e32 v66, 0x37d383a2, v65
	v_fma_f32 v67, v65, v67, v44
	v_fma_f32 v66, v65, v66, v40
	;; [unrolled: 1-line block ×8, first 2 shown]
	v_mul_f32_e32 v65, v65, v67
	v_fmac_f32_e32 v65, v64, v66
	v_fmac_f32_e32 v65, -0.5, v64
	v_add_f32_e32 v62, v62, v65
.LBB13_39:                              ;   in Loop: Header=BB13_4 Depth=1
	s_or_b64 exec, exec, s[16:17]
.LBB13_40:                              ;   in Loop: Header=BB13_4 Depth=1
	s_or_b64 exec, exec, s[14:15]
.LBB13_41:                              ;   in Loop: Header=BB13_4 Depth=1
	s_or_b64 exec, exec, s[10:11]
.LBB13_42:                              ;   in Loop: Header=BB13_4 Depth=1
	s_andn2_saveexec_b64 s[12:13], s[12:13]
	s_cbranch_execz .LBB13_44
; %bb.43:                               ;   in Loop: Header=BB13_4 Depth=1
	v_cmp_lt_f32_e64 s[8:9], |v59|, s49
	v_cndmask_b32_e64 v62, 1.0, v54, s[8:9]
	v_mul_f32_e64 v62, |v59|, v62
	v_log_f32_e32 v62, v62
	v_fma_f32 v64, |v59|, s60, v56
	v_fma_f32 v64, |v59|, v64, s61
	;; [unrolled: 1-line block ×3, first 2 shown]
	v_mul_f32_e32 v65, 0x3f317217, v62
	v_fma_f32 v66, v62, s50, -v65
	v_fmac_f32_e32 v66, 0x3377d1cf, v62
	v_add_f32_e32 v65, v65, v66
	v_cmp_lt_f32_e64 s[10:11], |v62|, s51
	v_cndmask_b32_e64 v62, v62, v65, s[10:11]
	v_cndmask_b32_e64 v65, 0, v55, s[8:9]
	v_sub_f32_e32 v62, v62, v65
	v_fma_f32 v62, |v59|, v64, -v62
.LBB13_44:                              ;   in Loop: Header=BB13_4 Depth=1
	s_or_b64 exec, exec, s[12:13]
	v_cmp_le_f32_e64 s[8:9], 0, v59
	v_cmp_nle_f32_e64 s[10:11], 0, v59
	s_and_saveexec_b64 s[12:13], s[10:11]
	s_xor_b64 s[14:15], exec, s[12:13]
	s_cbranch_execz .LBB13_48
; %bb.45:                               ;   in Loop: Header=BB13_4 Depth=1
	v_cmp_lt_f32_e64 s[10:11], |v59|, s63
	v_cmp_gt_f32_e64 s[12:13], |v59|, s64
	s_and_b64 s[10:11], s[10:11], s[12:13]
	s_and_saveexec_b64 s[16:17], s[10:11]
	s_cbranch_execz .LBB13_47
; %bb.46:                               ;   in Loop: Header=BB13_4 Depth=1
	v_mul_f32_e64 v64, |v59|, 0.5
	v_floor_f32_e32 v65, v64
	v_sub_f32_e32 v65, v64, v65
	v_min_f32_e32 v65, 0x3f7fffff, v65
	v_add_f32_e32 v65, v65, v65
	v_cmp_neq_f32_e64 s[10:11], s51, v64
	v_cndmask_b32_e64 v64, 0, v65, s[10:11]
	v_cmp_gt_f32_e64 s[10:11], |v59|, 1.0
	v_cndmask_b32_e64 v64, |v59|, v64, s[10:11]
	v_add_f32_e32 v65, v64, v64
	v_rndne_f32_e32 v65, v65
	v_fmac_f32_e32 v64, -0.5, v65
	v_mul_f32_e32 v66, v64, v64
	v_mov_b32_e32 v67, 0xbf1f24be
	v_fmac_f32_e32 v67, 0x3e75aa41, v66
	v_fma_f32 v67, v66, v67, v48
	v_fma_f32 v67, v66, v67, v49
	v_mul_f32_e32 v68, v64, v66
	v_mul_f32_e32 v67, v68, v67
	v_fmac_f32_e32 v67, 0x40490fdb, v64
	v_mov_b32_e32 v64, 0x3e642e9d
	v_cvt_i32_f32_e32 v65, v65
	v_fmac_f32_e32 v64, 0x3d4be544, v66
	v_fma_f32 v64, v66, v64, v50
	v_fma_f32 v64, v66, v64, v51
	;; [unrolled: 1-line block ×3, first 2 shown]
	v_fma_f32 v64, v66, v64, 1.0
	v_and_b32_e32 v66, 1, v65
	v_lshlrev_b32_e32 v65, 30, v65
	v_cmp_eq_u32_e64 s[10:11], 0, v66
	v_and_b32_e32 v65, 0x80000000, v65
	v_xor_b32_e32 v63, v63, v59
	v_cndmask_b32_e64 v64, v64, v67, s[10:11]
	v_xor_b32_e32 v63, v63, v65
	v_xor_b32_e32 v63, v63, v64
	v_mul_f32_e32 v63, v59, v63
	v_frexp_mant_f32_e64 v64, |v63|
	v_rcp_f32_e32 v64, v64
	v_frexp_exp_i32_f32_e32 v63, v63
	v_sub_u32_e32 v63, 2, v63
	v_mul_f32_e32 v64, 0x3f490fdb, v64
	v_ldexp_f32 v63, v64, v63
	v_cmp_gt_f32_e64 s[10:11], s49, v63
	v_cndmask_b32_e64 v64, 1.0, v54, s[10:11]
	v_mul_f32_e32 v63, v63, v64
	v_log_f32_e32 v63, v63
	v_mul_f32_e32 v64, 0x3f317217, v63
	v_fma_f32 v65, v63, s50, -v64
	v_fmac_f32_e32 v65, 0x3377d1cf, v63
	v_add_f32_e32 v64, v64, v65
	v_cmp_lt_f32_e64 s[12:13], |v63|, s51
	v_cndmask_b32_e64 v63, v63, v64, s[12:13]
	v_cndmask_b32_e64 v64, 0, v55, s[10:11]
	v_sub_f32_e32 v63, v63, v64
	v_sub_f32_e32 v62, v63, v62
	v_floor_f32_e32 v63, v59
	v_sub_f32_e32 v63, v59, v63
	v_min_f32_e32 v63, 0x3f7fffff, v63
	v_cmp_neq_f32_e64 s[10:11], 0, v63
	v_cndmask_b32_e64 v62, v57, v62, s[10:11]
.LBB13_47:                              ;   in Loop: Header=BB13_4 Depth=1
	s_or_b64 exec, exec, s[16:17]
.LBB13_48:                              ;   in Loop: Header=BB13_4 Depth=1
	s_andn2_saveexec_b64 s[14:15], s[14:15]
; %bb.49:                               ;   in Loop: Header=BB13_4 Depth=1
	v_cmp_eq_f32_e64 s[10:11], 1.0, v59
	v_cmp_eq_f32_e64 s[12:13], 2.0, v59
	s_or_b64 s[10:11], s[10:11], s[12:13]
	v_cndmask_b32_e64 v62, v62, 0, s[10:11]
; %bb.50:                               ;   in Loop: Header=BB13_4 Depth=1
	s_or_b64 exec, exec, s[14:15]
	v_and_b32_e32 v64, 0x7fffffff, v60
	v_cmp_nlt_f32_e64 s[10:11], |v60|, s46
                                        ; implicit-def: $vgpr63
	s_and_saveexec_b64 s[12:13], s[10:11]
	s_xor_b64 s[14:15], exec, s[12:13]
	s_cbranch_execz .LBB13_80
; %bb.51:                               ;   in Loop: Header=BB13_4 Depth=1
	v_cmp_nlt_f32_e64 s[10:11], |v60|, 2.0
                                        ; implicit-def: $vgpr63
	s_and_saveexec_b64 s[12:13], s[10:11]
	s_xor_b64 s[16:17], exec, s[12:13]
	s_cbranch_execz .LBB13_61
; %bb.52:                               ;   in Loop: Header=BB13_4 Depth=1
	v_cmp_nlt_f32_e64 s[10:11], |v60|, s47
                                        ; implicit-def: $vgpr63
	s_and_saveexec_b64 s[12:13], s[10:11]
	s_xor_b64 s[18:19], exec, s[12:13]
	s_cbranch_execz .LBB13_58
; %bb.53:                               ;   in Loop: Header=BB13_4 Depth=1
	v_cmp_nlt_f32_e64 s[10:11], |v60|, s48
                                        ; implicit-def: $vgpr63
	s_and_saveexec_b64 s[12:13], s[10:11]
	s_xor_b64 s[34:35], exec, s[12:13]
	s_cbranch_execz .LBB13_55
; %bb.54:                               ;   in Loop: Header=BB13_4 Depth=1
	v_cmp_lt_f32_e64 s[10:11], |v60|, s49
	v_cndmask_b32_e64 v63, 1.0, v54, s[10:11]
	v_mul_f32_e64 v63, |v60|, v63
	v_log_f32_e32 v63, v63
	v_mul_f32_e32 v65, 0x3f317217, v63
	v_fma_f32 v66, v63, s50, -v65
	v_fmac_f32_e32 v66, 0x3377d1cf, v63
	v_add_f32_e32 v65, v65, v66
	v_cmp_lt_f32_e64 s[12:13], |v63|, s51
	v_cndmask_b32_e64 v63, v63, v65, s[12:13]
	v_cndmask_b32_e64 v65, 0, v55, s[10:11]
	v_sub_f32_e32 v63, v63, v65
	v_fma_f32 v63, |v60|, v63, -|v60|
.LBB13_55:                              ;   in Loop: Header=BB13_4 Depth=1
	s_andn2_saveexec_b64 s[34:35], s[34:35]
	s_cbranch_execz .LBB13_57
; %bb.56:                               ;   in Loop: Header=BB13_4 Depth=1
	v_rcp_f32_e64 v63, |v60|
	v_cmp_lt_f32_e64 s[10:11], |v60|, s49
	v_cndmask_b32_e64 v66, 1.0, v54, s[10:11]
	v_mov_b32_e32 v65, 0x3a5b3dd2
	v_mul_f32_e32 v67, v63, v63
	v_mul_f32_e64 v66, |v60|, v66
	v_fmac_f32_e32 v65, 0xbad5c4e8, v67
	v_log_f32_e32 v66, v66
	v_fma_f32 v65, v67, v65, v11
	v_fma_f32 v65, v67, v65, v12
	;; [unrolled: 1-line block ×4, first 2 shown]
	v_mul_f32_e32 v67, 0x3f317217, v66
	v_fma_f32 v68, v66, s50, -v67
	v_fmac_f32_e32 v68, 0x3377d1cf, v66
	v_add_f32_e32 v67, v67, v68
	v_cmp_lt_f32_e64 s[12:13], |v66|, s51
	v_cndmask_b32_e64 v66, v66, v67, s[12:13]
	v_cndmask_b32_e64 v67, 0, v55, s[10:11]
	v_sub_f32_e32 v66, v66, v67
	v_fma_f32 v63, v63, v65, v15
	v_add_f32_e64 v65, |v60|, -0.5
	v_add_f32_e32 v66, -1.0, v66
	v_fmac_f32_e32 v63, v65, v66
.LBB13_57:                              ;   in Loop: Header=BB13_4 Depth=1
	s_or_b64 exec, exec, s[34:35]
.LBB13_58:                              ;   in Loop: Header=BB13_4 Depth=1
	s_andn2_saveexec_b64 s[18:19], s[18:19]
	s_cbranch_execz .LBB13_60
; %bb.59:                               ;   in Loop: Header=BB13_4 Depth=1
	v_cvt_i32_f32_e32 v63, v64
	v_mov_b32_e32 v67, 0x3a4beed6
	v_cvt_f32_i32_e32 v65, v63
	v_cmp_lt_i32_e64 s[10:11], 2, v63
	v_cmp_lt_i32_e64 s[12:13], 3, v63
	v_sub_f32_e64 v66, |v60|, v65
	v_fmac_f32_e32 v67, 0x36f5d7bd, v66
	v_fma_f32 v67, v66, v67, v21
	v_mov_b32_e32 v65, 0x3af135b4
	v_fma_f32 v67, v66, v67, v22
	v_fmac_f32_e32 v65, 0x3805ff67, v66
	v_fma_f32 v67, v66, v67, v23
	v_fma_f32 v65, v66, v65, v16
	;; [unrolled: 1-line block ×4, first 2 shown]
	v_fma_f32 v67, v66, v67, 1.0
	v_fma_f32 v65, v66, v65, v18
	v_rcp_f32_e32 v67, v67
	v_fma_f32 v65, v66, v65, v19
	v_fma_f32 v65, v66, v65, v20
	v_mul_f32_e32 v65, v66, v65
	v_mul_f32_e32 v65, v65, v67
	v_fmac_f32_e32 v65, 0.5, v66
	v_add_f32_e32 v68, 4.0, v66
	v_add_f32_e32 v69, 0x40a00000, v66
	v_add_f32_e32 v70, 0x40c00000, v66
	v_pk_add_f32 v[66:67], v[66:67], s[30:31] op_sel_hi:[0,1]
	v_cndmask_b32_e64 v67, 1.0, v67, s[12:13]
	v_cndmask_b32_e64 v66, 1.0, v66, s[10:11]
	v_cmp_lt_i32_e64 s[10:11], 4, v63
	v_mul_f32_e32 v66, v66, v67
	v_cndmask_b32_e64 v67, 1.0, v68, s[10:11]
	v_cmp_lt_i32_e64 s[10:11], 5, v63
	v_mul_f32_e32 v66, v67, v66
	;; [unrolled: 3-line block ×3, first 2 shown]
	v_cndmask_b32_e64 v63, 1.0, v70, s[10:11]
	v_mul_f32_e32 v63, v63, v66
	v_cmp_gt_f32_e64 s[10:11], s49, v63
	v_cndmask_b32_e64 v66, 1.0, v54, s[10:11]
	v_mul_f32_e32 v63, v63, v66
	v_log_f32_e32 v63, v63
	v_mul_f32_e32 v66, 0x3f317217, v63
	v_fma_f32 v67, v63, s50, -v66
	v_fmac_f32_e32 v67, 0x3377d1cf, v63
	v_add_f32_e32 v66, v66, v67
	v_cmp_lt_f32_e64 s[12:13], |v63|, s51
	v_cndmask_b32_e64 v63, v63, v66, s[12:13]
	v_cndmask_b32_e64 v66, 0, v55, s[10:11]
	v_sub_f32_e32 v63, v63, v66
	v_add_f32_e32 v63, v63, v65
.LBB13_60:                              ;   in Loop: Header=BB13_4 Depth=1
	s_or_b64 exec, exec, s[18:19]
.LBB13_61:                              ;   in Loop: Header=BB13_4 Depth=1
	s_andn2_saveexec_b64 s[12:13], s[16:17]
	s_cbranch_execz .LBB13_79
; %bb.62:                               ;   in Loop: Header=BB13_4 Depth=1
	v_cmp_le_f32_e64 s[10:11], |v60|, s52
                                        ; implicit-def: $vgpr63
                                        ; implicit-def: $vgpr66
                                        ; implicit-def: $vgpr65
	s_and_saveexec_b64 s[16:17], s[10:11]
	s_xor_b64 s[16:17], exec, s[16:17]
	s_cbranch_execz .LBB13_64
; %bb.63:                               ;   in Loop: Header=BB13_4 Depth=1
	v_cmp_lt_f32_e64 s[10:11], |v60|, s49
	v_cndmask_b32_e64 v63, 1.0, v54, s[10:11]
	v_mul_f32_e64 v63, |v60|, v63
	v_log_f32_e32 v63, v63
	v_cndmask_b32_e64 v65, 0, v55, s[10:11]
	v_mul_f32_e32 v66, 0x3f317217, v63
	v_fma_f32 v67, v63, s50, -v66
	v_fmac_f32_e32 v67, 0x3377d1cf, v63
	v_add_f32_e32 v66, v66, v67
	v_cmp_lt_f32_e64 s[10:11], |v63|, s51
	v_cndmask_b32_e64 v63, v63, v66, s[10:11]
	v_sub_f32_e32 v63, v63, v65
	v_sub_f32_e64 v65, 1.0, |v60|
	v_add_f32_e64 v66, |v60|, s54
	v_cmp_lt_f32_e64 s[10:11], |v60|, s53
	v_cndmask_b32_e64 v65, v65, v66, s[10:11]
	v_cndmask_b32_e64 v66, 0, 1, s[10:11]
	v_cmp_lt_f32_e64 s[10:11], |v60|, s55
	v_xor_b32_e32 v63, 0x80000000, v63
	v_cndmask_b32_e64 v65, v65, |v60|, s[10:11]
	v_cndmask_b32_e64 v66, v66, 2, s[10:11]
.LBB13_64:                              ;   in Loop: Header=BB13_4 Depth=1
	s_andn2_saveexec_b64 s[16:17], s[16:17]
; %bb.65:                               ;   in Loop: Header=BB13_4 Depth=1
	v_sub_f32_e64 v63, 2.0, |v60|
	v_add_f32_e64 v65, |v60|, s57
	v_cmp_lt_f32_e64 s[10:11], |v60|, s56
	v_cndmask_b32_e64 v65, v63, v65, s[10:11]
	v_cndmask_b32_e64 v63, v63, 1.0, s[10:11]
	v_cvt_i32_f32_e32 v63, v63
	v_add_f32_e64 v66, |v60|, -1.0
	v_cmp_lt_f32_e64 s[10:11], |v60|, s58
	v_cndmask_b32_e64 v65, v65, v66, s[10:11]
	v_cndmask_b32_e64 v66, v63, 2, s[10:11]
	v_mov_b32_e32 v63, 0
; %bb.66:                               ;   in Loop: Header=BB13_4 Depth=1
	s_or_b64 exec, exec, s[16:17]
	v_cmp_lt_i32_e64 s[10:11], 0, v66
	s_and_saveexec_b64 s[16:17], s[10:11]
	s_xor_b64 s[16:17], exec, s[16:17]
	s_cbranch_execz .LBB13_74
; %bb.67:                               ;   in Loop: Header=BB13_4 Depth=1
	v_cmp_lt_i32_e64 s[10:11], 1, v66
	s_and_saveexec_b64 s[18:19], s[10:11]
	s_xor_b64 s[18:19], exec, s[18:19]
	s_cbranch_execz .LBB13_71
; %bb.68:                               ;   in Loop: Header=BB13_4 Depth=1
	v_cmp_eq_u32_e64 s[10:11], 2, v66
	s_and_saveexec_b64 s[34:35], s[10:11]
	s_cbranch_execz .LBB13_70
; %bb.69:                               ;   in Loop: Header=BB13_4 Depth=1
	v_mov_b32_e32 v67, 0x3dd572af
	v_fmac_f32_e32 v67, 0x3b52d5db, v65
	v_fma_f32 v67, v65, v67, v28
	v_mov_b32_e32 v66, 0x3e6a7578
	v_fma_f32 v67, v65, v67, v29
	v_fmac_f32_e32 v66, 0x3c5b3c5e, v65
	v_fma_f32 v67, v65, v67, v30
	v_fma_f32 v66, v65, v66, v25
	v_fma_f32 v67, v65, v67, 1.0
	v_fma_f32 v66, v65, v66, v26
	v_rcp_f32_e32 v67, v67
	v_fma_f32 v66, v65, v66, v27
	v_fma_f32 v66, v65, v66, v20
	v_mul_f32_e32 v66, v65, v66
	v_mul_f32_e32 v66, v66, v67
	v_fmac_f32_e32 v66, -0.5, v65
	v_add_f32_e32 v63, v63, v66
.LBB13_70:                              ;   in Loop: Header=BB13_4 Depth=1
	s_or_b64 exec, exec, s[34:35]
                                        ; implicit-def: $vgpr65
.LBB13_71:                              ;   in Loop: Header=BB13_4 Depth=1
	s_andn2_saveexec_b64 s[10:11], s[18:19]
	s_cbranch_execz .LBB13_73
; %bb.72:                               ;   in Loop: Header=BB13_4 Depth=1
	v_mul_f32_e32 v66, v65, v65
	v_mul_f32_e32 v67, v65, v66
	v_mov_b32_e32 v69, 0x3a66f867
	v_mov_b32_e32 v70, 0xba0d3085
	v_fmac_f32_e32 v69, 0xb9a3f927, v67
	v_fmac_f32_e32 v70, 0x39afe9f7, v67
	v_mov_b32_e32 v68, 0xbab7f476
	v_fma_f32 v69, v67, v69, v34
	v_fma_f32 v70, v67, v70, v37
	v_fmac_f32_e32 v68, 0x39a57b6b, v67
	v_fma_f32 v69, v67, v69, v35
	v_fma_f32 v70, v67, v70, v38
	;; [unrolled: 1-line block ×6, first 2 shown]
	v_fmac_f32_e32 v69, v65, v70
	v_fma_f32 v68, v67, v68, v33
	v_fma_f32 v65, v67, -v69, s59
	v_fma_f32 v65, v66, v68, -v65
	v_add_f32_e32 v65, 0xbdf8cdce, v65
	v_add_f32_e32 v63, v63, v65
.LBB13_73:                              ;   in Loop: Header=BB13_4 Depth=1
	s_or_b64 exec, exec, s[10:11]
                                        ; implicit-def: $vgpr66
                                        ; implicit-def: $vgpr65
.LBB13_74:                              ;   in Loop: Header=BB13_4 Depth=1
	s_andn2_saveexec_b64 s[16:17], s[16:17]
	s_cbranch_execz .LBB13_78
; %bb.75:                               ;   in Loop: Header=BB13_4 Depth=1
	v_cmp_eq_u32_e64 s[10:11], 0, v66
	s_and_saveexec_b64 s[18:19], s[10:11]
	s_cbranch_execz .LBB13_77
; %bb.76:                               ;   in Loop: Header=BB13_4 Depth=1
	v_mul_f32_e32 v66, v65, v65
	v_mov_b32_e32 v68, 0x38e28445
	v_mov_b32_e32 v67, 0x39679767
	v_fmac_f32_e32 v68, 0x383c2c75, v66
	v_fmac_f32_e32 v67, 0x37d383a2, v66
	v_fma_f32 v68, v66, v68, v44
	v_fma_f32 v67, v66, v67, v40
	;; [unrolled: 1-line block ×8, first 2 shown]
	v_mul_f32_e32 v66, v66, v68
	v_fmac_f32_e32 v66, v65, v67
	v_fmac_f32_e32 v66, -0.5, v65
	v_add_f32_e32 v63, v63, v66
.LBB13_77:                              ;   in Loop: Header=BB13_4 Depth=1
	s_or_b64 exec, exec, s[18:19]
.LBB13_78:                              ;   in Loop: Header=BB13_4 Depth=1
	s_or_b64 exec, exec, s[16:17]
.LBB13_79:                              ;   in Loop: Header=BB13_4 Depth=1
	s_or_b64 exec, exec, s[12:13]
.LBB13_80:                              ;   in Loop: Header=BB13_4 Depth=1
	s_andn2_saveexec_b64 s[14:15], s[14:15]
	s_cbranch_execz .LBB13_82
; %bb.81:                               ;   in Loop: Header=BB13_4 Depth=1
	v_cmp_lt_f32_e64 s[10:11], |v60|, s49
	v_cndmask_b32_e64 v63, 1.0, v54, s[10:11]
	v_mul_f32_e64 v63, |v60|, v63
	v_log_f32_e32 v63, v63
	v_fma_f32 v65, |v60|, s60, v56
	v_fma_f32 v65, |v60|, v65, s61
	;; [unrolled: 1-line block ×3, first 2 shown]
	v_mul_f32_e32 v66, 0x3f317217, v63
	v_fma_f32 v67, v63, s50, -v66
	v_fmac_f32_e32 v67, 0x3377d1cf, v63
	v_add_f32_e32 v66, v66, v67
	v_cmp_lt_f32_e64 s[12:13], |v63|, s51
	v_cndmask_b32_e64 v63, v63, v66, s[12:13]
	v_cndmask_b32_e64 v66, 0, v55, s[10:11]
	v_sub_f32_e32 v63, v63, v66
	v_fma_f32 v63, |v60|, v65, -v63
.LBB13_82:                              ;   in Loop: Header=BB13_4 Depth=1
	s_or_b64 exec, exec, s[14:15]
	v_cmp_le_f32_e64 s[10:11], 0, v60
	v_cmp_nle_f32_e64 s[12:13], 0, v60
	s_and_saveexec_b64 s[14:15], s[12:13]
	s_xor_b64 s[16:17], exec, s[14:15]
	s_cbranch_execz .LBB13_86
; %bb.83:                               ;   in Loop: Header=BB13_4 Depth=1
	v_cmp_lt_f32_e64 s[12:13], |v60|, s63
	v_cmp_gt_f32_e64 s[14:15], |v60|, s64
	s_and_b64 s[12:13], s[12:13], s[14:15]
	s_and_saveexec_b64 s[18:19], s[12:13]
	s_cbranch_execz .LBB13_85
; %bb.84:                               ;   in Loop: Header=BB13_4 Depth=1
	v_mul_f32_e64 v65, |v60|, 0.5
	v_floor_f32_e32 v66, v65
	v_sub_f32_e32 v66, v65, v66
	v_min_f32_e32 v66, 0x3f7fffff, v66
	v_add_f32_e32 v66, v66, v66
	v_cmp_neq_f32_e64 s[12:13], s51, v65
	v_cndmask_b32_e64 v65, 0, v66, s[12:13]
	v_cmp_gt_f32_e64 s[12:13], |v60|, 1.0
	v_cndmask_b32_e64 v65, |v60|, v65, s[12:13]
	v_add_f32_e32 v66, v65, v65
	v_rndne_f32_e32 v66, v66
	v_fmac_f32_e32 v65, -0.5, v66
	v_mul_f32_e32 v67, v65, v65
	v_mov_b32_e32 v68, 0xbf1f24be
	v_fmac_f32_e32 v68, 0x3e75aa41, v67
	v_fma_f32 v68, v67, v68, v48
	v_fma_f32 v68, v67, v68, v49
	v_mul_f32_e32 v69, v65, v67
	v_mul_f32_e32 v68, v69, v68
	v_fmac_f32_e32 v68, 0x40490fdb, v65
	v_mov_b32_e32 v65, 0x3e642e9d
	v_cvt_i32_f32_e32 v66, v66
	v_fmac_f32_e32 v65, 0x3d4be544, v67
	v_fma_f32 v65, v67, v65, v50
	v_fma_f32 v65, v67, v65, v51
	;; [unrolled: 1-line block ×3, first 2 shown]
	v_fma_f32 v65, v67, v65, 1.0
	v_and_b32_e32 v67, 1, v66
	v_lshlrev_b32_e32 v66, 30, v66
	v_cmp_eq_u32_e64 s[12:13], 0, v67
	v_and_b32_e32 v66, 0x80000000, v66
	v_xor_b32_e32 v64, v64, v60
	v_cndmask_b32_e64 v65, v65, v68, s[12:13]
	v_xor_b32_e32 v64, v64, v66
	v_xor_b32_e32 v64, v64, v65
	v_mul_f32_e32 v64, v60, v64
	v_frexp_mant_f32_e64 v65, |v64|
	v_rcp_f32_e32 v65, v65
	v_frexp_exp_i32_f32_e32 v64, v64
	v_sub_u32_e32 v64, 2, v64
	v_mul_f32_e32 v65, 0x3f490fdb, v65
	v_ldexp_f32 v64, v65, v64
	v_cmp_gt_f32_e64 s[12:13], s49, v64
	v_cndmask_b32_e64 v65, 1.0, v54, s[12:13]
	v_mul_f32_e32 v64, v64, v65
	v_log_f32_e32 v64, v64
	v_mul_f32_e32 v65, 0x3f317217, v64
	v_fma_f32 v66, v64, s50, -v65
	v_fmac_f32_e32 v66, 0x3377d1cf, v64
	v_add_f32_e32 v65, v65, v66
	v_cmp_lt_f32_e64 s[14:15], |v64|, s51
	v_cndmask_b32_e64 v64, v64, v65, s[14:15]
	v_cndmask_b32_e64 v65, 0, v55, s[12:13]
	v_sub_f32_e32 v64, v64, v65
	v_sub_f32_e32 v63, v64, v63
	v_floor_f32_e32 v64, v60
	v_sub_f32_e32 v64, v60, v64
	v_min_f32_e32 v64, 0x3f7fffff, v64
	v_cmp_neq_f32_e64 s[12:13], 0, v64
	v_cndmask_b32_e64 v63, v57, v63, s[12:13]
.LBB13_85:                              ;   in Loop: Header=BB13_4 Depth=1
	s_or_b64 exec, exec, s[18:19]
.LBB13_86:                              ;   in Loop: Header=BB13_4 Depth=1
	s_andn2_saveexec_b64 s[16:17], s[16:17]
; %bb.87:                               ;   in Loop: Header=BB13_4 Depth=1
	v_cmp_eq_f32_e64 s[12:13], 1.0, v60
	v_cmp_eq_f32_e64 s[14:15], 2.0, v60
	s_or_b64 s[12:13], s[12:13], s[14:15]
	v_cndmask_b32_e64 v63, v63, 0, s[12:13]
; %bb.88:                               ;   in Loop: Header=BB13_4 Depth=1
	s_or_b64 exec, exec, s[16:17]
	v_and_b32_e32 v65, 0x7fffffff, v61
	v_cmp_nlt_f32_e64 s[12:13], |v61|, s46
                                        ; implicit-def: $vgpr64
	s_and_saveexec_b64 s[14:15], s[12:13]
	s_xor_b64 s[16:17], exec, s[14:15]
	s_cbranch_execz .LBB13_118
; %bb.89:                               ;   in Loop: Header=BB13_4 Depth=1
	v_cmp_nlt_f32_e64 s[12:13], |v61|, 2.0
                                        ; implicit-def: $vgpr64
	s_and_saveexec_b64 s[14:15], s[12:13]
	s_xor_b64 s[18:19], exec, s[14:15]
	s_cbranch_execz .LBB13_99
; %bb.90:                               ;   in Loop: Header=BB13_4 Depth=1
	v_cmp_nlt_f32_e64 s[12:13], |v61|, s47
                                        ; implicit-def: $vgpr64
	s_and_saveexec_b64 s[14:15], s[12:13]
	s_xor_b64 s[34:35], exec, s[14:15]
	s_cbranch_execz .LBB13_96
; %bb.91:                               ;   in Loop: Header=BB13_4 Depth=1
	v_cmp_nlt_f32_e64 s[12:13], |v61|, s48
                                        ; implicit-def: $vgpr64
	s_and_saveexec_b64 s[14:15], s[12:13]
	s_xor_b64 s[36:37], exec, s[14:15]
	s_cbranch_execz .LBB13_93
; %bb.92:                               ;   in Loop: Header=BB13_4 Depth=1
	v_cmp_lt_f32_e64 s[12:13], |v61|, s49
	v_cndmask_b32_e64 v64, 1.0, v54, s[12:13]
	v_mul_f32_e64 v64, |v61|, v64
	v_log_f32_e32 v64, v64
	v_mul_f32_e32 v66, 0x3f317217, v64
	v_fma_f32 v67, v64, s50, -v66
	v_fmac_f32_e32 v67, 0x3377d1cf, v64
	v_add_f32_e32 v66, v66, v67
	v_cmp_lt_f32_e64 s[14:15], |v64|, s51
	v_cndmask_b32_e64 v64, v64, v66, s[14:15]
	v_cndmask_b32_e64 v66, 0, v55, s[12:13]
	v_sub_f32_e32 v64, v64, v66
	v_fma_f32 v64, |v61|, v64, -|v61|
.LBB13_93:                              ;   in Loop: Header=BB13_4 Depth=1
	s_andn2_saveexec_b64 s[36:37], s[36:37]
	s_cbranch_execz .LBB13_95
; %bb.94:                               ;   in Loop: Header=BB13_4 Depth=1
	v_rcp_f32_e64 v64, |v61|
	v_cmp_lt_f32_e64 s[12:13], |v61|, s49
	v_cndmask_b32_e64 v67, 1.0, v54, s[12:13]
	v_mov_b32_e32 v66, 0x3a5b3dd2
	v_mul_f32_e32 v68, v64, v64
	v_mul_f32_e64 v67, |v61|, v67
	v_fmac_f32_e32 v66, 0xbad5c4e8, v68
	v_log_f32_e32 v67, v67
	v_fma_f32 v66, v68, v66, v11
	v_fma_f32 v66, v68, v66, v12
	;; [unrolled: 1-line block ×4, first 2 shown]
	v_mul_f32_e32 v68, 0x3f317217, v67
	v_fma_f32 v69, v67, s50, -v68
	v_fmac_f32_e32 v69, 0x3377d1cf, v67
	v_add_f32_e32 v68, v68, v69
	v_cmp_lt_f32_e64 s[14:15], |v67|, s51
	v_cndmask_b32_e64 v67, v67, v68, s[14:15]
	v_cndmask_b32_e64 v68, 0, v55, s[12:13]
	v_sub_f32_e32 v67, v67, v68
	v_fma_f32 v64, v64, v66, v15
	v_add_f32_e64 v66, |v61|, -0.5
	v_add_f32_e32 v67, -1.0, v67
	v_fmac_f32_e32 v64, v66, v67
.LBB13_95:                              ;   in Loop: Header=BB13_4 Depth=1
	s_or_b64 exec, exec, s[36:37]
.LBB13_96:                              ;   in Loop: Header=BB13_4 Depth=1
	s_andn2_saveexec_b64 s[34:35], s[34:35]
	s_cbranch_execz .LBB13_98
; %bb.97:                               ;   in Loop: Header=BB13_4 Depth=1
	v_cvt_i32_f32_e32 v68, v65
	v_mov_b32_e32 v66, 0x3af135b4
	v_mov_b32_e32 v67, 0x3a4beed6
	v_cvt_f32_i32_e32 v64, v68
	v_cmp_lt_i32_e64 s[12:13], 3, v68
	v_sub_f32_e64 v64, |v61|, v64
	v_fmac_f32_e32 v66, 0x3805ff67, v64
	v_fmac_f32_e32 v67, 0x36f5d7bd, v64
	v_fma_f32 v66, v64, v66, v16
	v_fma_f32 v67, v64, v67, v21
	;; [unrolled: 1-line block ×9, first 2 shown]
	v_fma_f32 v66, v64, v66, 1.0
	v_rcp_f32_e32 v70, v66
	v_pk_add_f32 v[66:67], v[64:65], s[30:31] op_sel_hi:[0,1]
	v_cndmask_b32_e64 v67, 1.0, v67, s[12:13]
	v_cmp_lt_i32_e64 s[12:13], 2, v68
	v_add_f32_e32 v71, 4.0, v64
	v_cndmask_b32_e64 v66, 1.0, v66, s[12:13]
	v_cmp_lt_i32_e64 s[12:13], 4, v68
	v_add_f32_e32 v72, 0x40a00000, v64
	v_mul_f32_e32 v66, v66, v67
	v_cndmask_b32_e64 v67, 1.0, v71, s[12:13]
	v_cmp_lt_i32_e64 s[12:13], 5, v68
	v_add_f32_e32 v73, 0x40c00000, v64
	v_mul_f32_e32 v66, v67, v66
	v_cndmask_b32_e64 v67, 1.0, v72, s[12:13]
	v_cmp_lt_i32_e64 s[12:13], 6, v68
	v_mul_f32_e32 v66, v67, v66
	v_cndmask_b32_e64 v67, 1.0, v73, s[12:13]
	v_mul_f32_e32 v66, v67, v66
	v_cmp_gt_f32_e64 s[12:13], s49, v66
	v_cndmask_b32_e64 v67, 1.0, v54, s[12:13]
	v_mul_f32_e32 v66, v66, v67
	v_log_f32_e32 v66, v66
	v_mul_f32_e32 v67, v64, v69
	v_mul_f32_e32 v67, v67, v70
	v_fmac_f32_e32 v67, 0.5, v64
	v_mul_f32_e32 v64, 0x3f317217, v66
	v_fma_f32 v68, v66, s50, -v64
	v_fmac_f32_e32 v68, 0x3377d1cf, v66
	v_add_f32_e32 v64, v64, v68
	v_cmp_lt_f32_e64 s[14:15], |v66|, s51
	v_cndmask_b32_e64 v64, v66, v64, s[14:15]
	v_cndmask_b32_e64 v66, 0, v55, s[12:13]
	v_sub_f32_e32 v64, v64, v66
	v_add_f32_e32 v64, v64, v67
.LBB13_98:                              ;   in Loop: Header=BB13_4 Depth=1
	s_or_b64 exec, exec, s[34:35]
.LBB13_99:                              ;   in Loop: Header=BB13_4 Depth=1
	s_andn2_saveexec_b64 s[14:15], s[18:19]
	s_cbranch_execz .LBB13_117
; %bb.100:                              ;   in Loop: Header=BB13_4 Depth=1
	v_cmp_le_f32_e64 s[12:13], |v61|, s52
                                        ; implicit-def: $vgpr64
                                        ; implicit-def: $vgpr67
                                        ; implicit-def: $vgpr66
	s_and_saveexec_b64 s[18:19], s[12:13]
	s_xor_b64 s[18:19], exec, s[18:19]
	s_cbranch_execz .LBB13_102
; %bb.101:                              ;   in Loop: Header=BB13_4 Depth=1
	v_cmp_lt_f32_e64 s[12:13], |v61|, s49
	v_cndmask_b32_e64 v64, 1.0, v54, s[12:13]
	v_mul_f32_e64 v64, |v61|, v64
	v_log_f32_e32 v64, v64
	v_cndmask_b32_e64 v66, 0, v55, s[12:13]
	v_mul_f32_e32 v67, 0x3f317217, v64
	v_fma_f32 v68, v64, s50, -v67
	v_fmac_f32_e32 v68, 0x3377d1cf, v64
	v_add_f32_e32 v67, v67, v68
	v_cmp_lt_f32_e64 s[12:13], |v64|, s51
	v_cndmask_b32_e64 v64, v64, v67, s[12:13]
	v_sub_f32_e32 v64, v64, v66
	v_sub_f32_e64 v66, 1.0, |v61|
	v_add_f32_e64 v67, |v61|, s54
	v_cmp_lt_f32_e64 s[12:13], |v61|, s53
	v_cndmask_b32_e64 v66, v66, v67, s[12:13]
	v_cndmask_b32_e64 v67, 0, 1, s[12:13]
	v_cmp_lt_f32_e64 s[12:13], |v61|, s55
	v_xor_b32_e32 v64, 0x80000000, v64
	v_cndmask_b32_e64 v66, v66, |v61|, s[12:13]
	v_cndmask_b32_e64 v67, v67, 2, s[12:13]
.LBB13_102:                             ;   in Loop: Header=BB13_4 Depth=1
	s_andn2_saveexec_b64 s[18:19], s[18:19]
; %bb.103:                              ;   in Loop: Header=BB13_4 Depth=1
	v_sub_f32_e64 v64, 2.0, |v61|
	v_add_f32_e64 v66, |v61|, s57
	v_cmp_lt_f32_e64 s[12:13], |v61|, s56
	v_cndmask_b32_e64 v66, v64, v66, s[12:13]
	v_cndmask_b32_e64 v64, v64, 1.0, s[12:13]
	v_cvt_i32_f32_e32 v64, v64
	v_add_f32_e64 v67, |v61|, -1.0
	v_cmp_lt_f32_e64 s[12:13], |v61|, s58
	v_cndmask_b32_e64 v66, v66, v67, s[12:13]
	v_cndmask_b32_e64 v67, v64, 2, s[12:13]
	v_mov_b32_e32 v64, 0
; %bb.104:                              ;   in Loop: Header=BB13_4 Depth=1
	s_or_b64 exec, exec, s[18:19]
	v_cmp_lt_i32_e64 s[12:13], 0, v67
	s_and_saveexec_b64 s[18:19], s[12:13]
	s_xor_b64 s[18:19], exec, s[18:19]
	s_cbranch_execz .LBB13_112
; %bb.105:                              ;   in Loop: Header=BB13_4 Depth=1
	v_cmp_lt_i32_e64 s[12:13], 1, v67
	s_and_saveexec_b64 s[34:35], s[12:13]
	s_xor_b64 s[34:35], exec, s[34:35]
	s_cbranch_execz .LBB13_109
; %bb.106:                              ;   in Loop: Header=BB13_4 Depth=1
	v_cmp_eq_u32_e64 s[12:13], 2, v67
	s_and_saveexec_b64 s[36:37], s[12:13]
	s_cbranch_execz .LBB13_108
; %bb.107:                              ;   in Loop: Header=BB13_4 Depth=1
	v_mov_b32_e32 v68, 0x3dd572af
	v_fmac_f32_e32 v68, 0x3b52d5db, v66
	v_fma_f32 v68, v66, v68, v28
	v_mov_b32_e32 v67, 0x3e6a7578
	v_fma_f32 v68, v66, v68, v29
	v_fmac_f32_e32 v67, 0x3c5b3c5e, v66
	v_fma_f32 v68, v66, v68, v30
	v_fma_f32 v67, v66, v67, v25
	v_fma_f32 v68, v66, v68, 1.0
	v_fma_f32 v67, v66, v67, v26
	v_rcp_f32_e32 v68, v68
	v_fma_f32 v67, v66, v67, v27
	v_fma_f32 v67, v66, v67, v20
	v_mul_f32_e32 v67, v66, v67
	v_mul_f32_e32 v67, v67, v68
	v_fmac_f32_e32 v67, -0.5, v66
	v_add_f32_e32 v64, v64, v67
.LBB13_108:                             ;   in Loop: Header=BB13_4 Depth=1
	s_or_b64 exec, exec, s[36:37]
                                        ; implicit-def: $vgpr66
.LBB13_109:                             ;   in Loop: Header=BB13_4 Depth=1
	s_andn2_saveexec_b64 s[12:13], s[34:35]
	s_cbranch_execz .LBB13_111
; %bb.110:                              ;   in Loop: Header=BB13_4 Depth=1
	v_mul_f32_e32 v67, v66, v66
	v_mul_f32_e32 v68, v66, v67
	v_mov_b32_e32 v70, 0x3a66f867
	v_mov_b32_e32 v71, 0xba0d3085
	v_fmac_f32_e32 v70, 0xb9a3f927, v68
	v_fmac_f32_e32 v71, 0x39afe9f7, v68
	v_mov_b32_e32 v69, 0xbab7f476
	v_fma_f32 v70, v68, v70, v34
	v_fma_f32 v71, v68, v71, v37
	v_fmac_f32_e32 v69, 0x39a57b6b, v68
	v_fma_f32 v70, v68, v70, v35
	v_fma_f32 v71, v68, v71, v38
	;; [unrolled: 1-line block ×6, first 2 shown]
	v_fmac_f32_e32 v70, v66, v71
	v_fma_f32 v69, v68, v69, v33
	v_fma_f32 v66, v68, -v70, s59
	v_fma_f32 v66, v67, v69, -v66
	v_add_f32_e32 v66, 0xbdf8cdce, v66
	v_add_f32_e32 v64, v64, v66
.LBB13_111:                             ;   in Loop: Header=BB13_4 Depth=1
	s_or_b64 exec, exec, s[12:13]
                                        ; implicit-def: $vgpr67
                                        ; implicit-def: $vgpr66
.LBB13_112:                             ;   in Loop: Header=BB13_4 Depth=1
	s_andn2_saveexec_b64 s[18:19], s[18:19]
	s_cbranch_execz .LBB13_116
; %bb.113:                              ;   in Loop: Header=BB13_4 Depth=1
	v_cmp_eq_u32_e64 s[12:13], 0, v67
	s_and_saveexec_b64 s[34:35], s[12:13]
	s_cbranch_execz .LBB13_115
; %bb.114:                              ;   in Loop: Header=BB13_4 Depth=1
	v_mul_f32_e32 v67, v66, v66
	v_mov_b32_e32 v69, 0x38e28445
	v_mov_b32_e32 v68, 0x39679767
	v_fmac_f32_e32 v69, 0x383c2c75, v67
	v_fmac_f32_e32 v68, 0x37d383a2, v67
	v_fma_f32 v69, v67, v69, v44
	v_fma_f32 v68, v67, v68, v40
	v_fma_f32 v69, v67, v69, v45
	v_fma_f32 v68, v67, v68, v41
	v_fma_f32 v69, v67, v69, v46
	v_fma_f32 v68, v67, v68, v42
	v_fma_f32 v69, v67, v69, v47
	v_fma_f32 v68, v67, v68, v43
	v_mul_f32_e32 v67, v67, v69
	v_fmac_f32_e32 v67, v66, v68
	v_fmac_f32_e32 v67, -0.5, v66
	v_add_f32_e32 v64, v64, v67
.LBB13_115:                             ;   in Loop: Header=BB13_4 Depth=1
	s_or_b64 exec, exec, s[34:35]
.LBB13_116:                             ;   in Loop: Header=BB13_4 Depth=1
	s_or_b64 exec, exec, s[18:19]
.LBB13_117:                             ;   in Loop: Header=BB13_4 Depth=1
	s_or_b64 exec, exec, s[14:15]
.LBB13_118:                             ;   in Loop: Header=BB13_4 Depth=1
	s_andn2_saveexec_b64 s[16:17], s[16:17]
	s_cbranch_execz .LBB13_120
; %bb.119:                              ;   in Loop: Header=BB13_4 Depth=1
	v_cmp_lt_f32_e64 s[12:13], |v61|, s49
	v_cndmask_b32_e64 v64, 1.0, v54, s[12:13]
	v_mul_f32_e64 v64, |v61|, v64
	v_log_f32_e32 v64, v64
	v_fma_f32 v66, |v61|, s60, v56
	v_fma_f32 v66, |v61|, v66, s61
	;; [unrolled: 1-line block ×3, first 2 shown]
	v_mul_f32_e32 v67, 0x3f317217, v64
	v_fma_f32 v68, v64, s50, -v67
	v_fmac_f32_e32 v68, 0x3377d1cf, v64
	v_add_f32_e32 v67, v67, v68
	v_cmp_lt_f32_e64 s[14:15], |v64|, s51
	v_cndmask_b32_e64 v64, v64, v67, s[14:15]
	v_cndmask_b32_e64 v67, 0, v55, s[12:13]
	v_sub_f32_e32 v64, v64, v67
	v_fma_f32 v64, |v61|, v66, -v64
.LBB13_120:                             ;   in Loop: Header=BB13_4 Depth=1
	s_or_b64 exec, exec, s[16:17]
	v_cmp_le_f32_e64 s[12:13], 0, v61
	v_cmp_nle_f32_e64 s[14:15], 0, v61
	s_and_saveexec_b64 s[16:17], s[14:15]
	s_xor_b64 s[18:19], exec, s[16:17]
	s_cbranch_execz .LBB13_124
; %bb.121:                              ;   in Loop: Header=BB13_4 Depth=1
	v_cmp_lt_f32_e64 s[14:15], |v61|, s63
	v_cmp_gt_f32_e64 s[16:17], |v61|, s64
	s_and_b64 s[14:15], s[14:15], s[16:17]
	s_and_saveexec_b64 s[34:35], s[14:15]
	s_cbranch_execz .LBB13_123
; %bb.122:                              ;   in Loop: Header=BB13_4 Depth=1
	v_mul_f32_e64 v66, |v61|, 0.5
	v_floor_f32_e32 v67, v66
	v_sub_f32_e32 v67, v66, v67
	v_min_f32_e32 v67, 0x3f7fffff, v67
	v_add_f32_e32 v67, v67, v67
	v_cmp_neq_f32_e64 s[14:15], s51, v66
	v_cndmask_b32_e64 v66, 0, v67, s[14:15]
	v_cmp_gt_f32_e64 s[14:15], |v61|, 1.0
	v_cndmask_b32_e64 v66, |v61|, v66, s[14:15]
	v_add_f32_e32 v67, v66, v66
	v_rndne_f32_e32 v67, v67
	v_fmac_f32_e32 v66, -0.5, v67
	v_mul_f32_e32 v68, v66, v66
	v_mov_b32_e32 v69, 0xbf1f24be
	v_fmac_f32_e32 v69, 0x3e75aa41, v68
	v_fma_f32 v69, v68, v69, v48
	v_fma_f32 v69, v68, v69, v49
	v_mul_f32_e32 v70, v66, v68
	v_mul_f32_e32 v69, v70, v69
	v_fmac_f32_e32 v69, 0x40490fdb, v66
	v_mov_b32_e32 v66, 0x3e642e9d
	v_cvt_i32_f32_e32 v67, v67
	v_fmac_f32_e32 v66, 0x3d4be544, v68
	v_fma_f32 v66, v68, v66, v50
	v_fma_f32 v66, v68, v66, v51
	;; [unrolled: 1-line block ×3, first 2 shown]
	v_fma_f32 v66, v68, v66, 1.0
	v_and_b32_e32 v68, 1, v67
	v_lshlrev_b32_e32 v67, 30, v67
	v_cmp_eq_u32_e64 s[14:15], 0, v68
	v_and_b32_e32 v67, 0x80000000, v67
	v_xor_b32_e32 v65, v65, v61
	v_cndmask_b32_e64 v66, v66, v69, s[14:15]
	v_xor_b32_e32 v65, v65, v67
	v_xor_b32_e32 v65, v65, v66
	v_mul_f32_e32 v65, v61, v65
	v_frexp_mant_f32_e64 v66, |v65|
	v_rcp_f32_e32 v66, v66
	v_frexp_exp_i32_f32_e32 v65, v65
	v_sub_u32_e32 v65, 2, v65
	v_mul_f32_e32 v66, 0x3f490fdb, v66
	v_ldexp_f32 v65, v66, v65
	v_cmp_gt_f32_e64 s[14:15], s49, v65
	v_cndmask_b32_e64 v66, 1.0, v54, s[14:15]
	v_mul_f32_e32 v65, v65, v66
	v_log_f32_e32 v65, v65
	v_mul_f32_e32 v66, 0x3f317217, v65
	v_fma_f32 v67, v65, s50, -v66
	v_fmac_f32_e32 v67, 0x3377d1cf, v65
	v_add_f32_e32 v66, v66, v67
	v_cmp_lt_f32_e64 s[16:17], |v65|, s51
	v_cndmask_b32_e64 v65, v65, v66, s[16:17]
	v_cndmask_b32_e64 v66, 0, v55, s[14:15]
	v_sub_f32_e32 v65, v65, v66
	v_sub_f32_e32 v64, v65, v64
	v_floor_f32_e32 v65, v61
	v_sub_f32_e32 v65, v61, v65
	v_min_f32_e32 v65, 0x3f7fffff, v65
	v_cmp_neq_f32_e64 s[14:15], 0, v65
	v_cndmask_b32_e64 v64, v57, v64, s[14:15]
.LBB13_123:                             ;   in Loop: Header=BB13_4 Depth=1
	s_or_b64 exec, exec, s[34:35]
.LBB13_124:                             ;   in Loop: Header=BB13_4 Depth=1
	s_andn2_saveexec_b64 s[18:19], s[18:19]
; %bb.125:                              ;   in Loop: Header=BB13_4 Depth=1
	v_cmp_eq_f32_e64 s[14:15], 1.0, v61
	v_cmp_eq_f32_e64 s[16:17], 2.0, v61
	s_or_b64 s[14:15], s[14:15], s[16:17]
	v_cndmask_b32_e64 v64, v64, 0, s[14:15]
; %bb.126:                              ;   in Loop: Header=BB13_4 Depth=1
	s_or_b64 exec, exec, s[18:19]
	v_and_b32_e32 v65, 0x7fffffff, v58
	v_cmp_nlt_f32_e64 s[14:15], |v58|, s46
                                        ; implicit-def: $vgpr66
	s_and_saveexec_b64 s[16:17], s[14:15]
	s_xor_b64 s[18:19], exec, s[16:17]
	s_cbranch_execz .LBB13_156
; %bb.127:                              ;   in Loop: Header=BB13_4 Depth=1
	v_cmp_nlt_f32_e64 s[14:15], |v58|, 2.0
                                        ; implicit-def: $vgpr66
	s_and_saveexec_b64 s[16:17], s[14:15]
	s_xor_b64 s[34:35], exec, s[16:17]
	s_cbranch_execz .LBB13_137
; %bb.128:                              ;   in Loop: Header=BB13_4 Depth=1
	v_cmp_nlt_f32_e64 s[14:15], |v58|, s47
                                        ; implicit-def: $vgpr66
	s_and_saveexec_b64 s[16:17], s[14:15]
	s_xor_b64 s[36:37], exec, s[16:17]
	s_cbranch_execz .LBB13_134
; %bb.129:                              ;   in Loop: Header=BB13_4 Depth=1
	v_cmp_nlt_f32_e64 s[14:15], |v58|, s48
                                        ; implicit-def: $vgpr66
	s_and_saveexec_b64 s[16:17], s[14:15]
	s_xor_b64 s[38:39], exec, s[16:17]
	s_cbranch_execz .LBB13_131
; %bb.130:                              ;   in Loop: Header=BB13_4 Depth=1
	v_cmp_lt_f32_e64 s[14:15], |v58|, s49
	v_cndmask_b32_e64 v66, 1.0, v54, s[14:15]
	v_mul_f32_e64 v66, |v58|, v66
	v_log_f32_e32 v66, v66
	v_mul_f32_e32 v67, 0x3f317217, v66
	v_fma_f32 v68, v66, s50, -v67
	v_fmac_f32_e32 v68, 0x3377d1cf, v66
	v_add_f32_e32 v67, v67, v68
	v_cmp_lt_f32_e64 s[16:17], |v66|, s51
	v_cndmask_b32_e64 v66, v66, v67, s[16:17]
	v_cndmask_b32_e64 v67, 0, v55, s[14:15]
	v_sub_f32_e32 v66, v66, v67
	v_fma_f32 v66, |v58|, v66, -|v58|
.LBB13_131:                             ;   in Loop: Header=BB13_4 Depth=1
	s_andn2_saveexec_b64 s[38:39], s[38:39]
	s_cbranch_execz .LBB13_133
; %bb.132:                              ;   in Loop: Header=BB13_4 Depth=1
	v_rcp_f32_e64 v66, |v58|
	v_cmp_lt_f32_e64 s[14:15], |v58|, s49
	v_cndmask_b32_e64 v68, 1.0, v54, s[14:15]
	v_mov_b32_e32 v67, 0x3a5b3dd2
	v_mul_f32_e32 v69, v66, v66
	v_mul_f32_e64 v68, |v58|, v68
	v_fmac_f32_e32 v67, 0xbad5c4e8, v69
	v_log_f32_e32 v68, v68
	v_fma_f32 v67, v69, v67, v11
	v_fma_f32 v67, v69, v67, v12
	v_fma_f32 v67, v69, v67, v13
	v_fma_f32 v67, v69, v67, v14
	v_mul_f32_e32 v69, 0x3f317217, v68
	v_fma_f32 v70, v68, s50, -v69
	v_fmac_f32_e32 v70, 0x3377d1cf, v68
	v_add_f32_e32 v69, v69, v70
	v_cmp_lt_f32_e64 s[16:17], |v68|, s51
	v_cndmask_b32_e64 v68, v68, v69, s[16:17]
	v_cndmask_b32_e64 v69, 0, v55, s[14:15]
	v_sub_f32_e32 v68, v68, v69
	v_fma_f32 v66, v66, v67, v15
	v_add_f32_e64 v67, |v58|, -0.5
	v_add_f32_e32 v68, -1.0, v68
	v_fmac_f32_e32 v66, v67, v68
.LBB13_133:                             ;   in Loop: Header=BB13_4 Depth=1
	s_or_b64 exec, exec, s[38:39]
.LBB13_134:                             ;   in Loop: Header=BB13_4 Depth=1
	s_andn2_saveexec_b64 s[36:37], s[36:37]
	s_cbranch_execz .LBB13_136
; %bb.135:                              ;   in Loop: Header=BB13_4 Depth=1
	v_cvt_i32_f32_e32 v67, v65
	v_mov_b32_e32 v68, 0x3af135b4
	v_mov_b32_e32 v69, 0x3a4beed6
	v_cvt_f32_i32_e32 v66, v67
	v_cmp_lt_i32_e64 s[14:15], 3, v67
	v_sub_f32_e64 v66, |v58|, v66
	v_fmac_f32_e32 v68, 0x3805ff67, v66
	v_fmac_f32_e32 v69, 0x36f5d7bd, v66
	v_fma_f32 v68, v66, v68, v16
	v_fma_f32 v69, v66, v69, v21
	;; [unrolled: 1-line block ×9, first 2 shown]
	v_fma_f32 v68, v66, v68, 1.0
	v_rcp_f32_e32 v71, v68
	v_pk_add_f32 v[68:69], v[66:67], s[30:31] op_sel_hi:[0,1]
	v_cndmask_b32_e64 v69, 1.0, v69, s[14:15]
	v_cmp_lt_i32_e64 s[14:15], 2, v67
	v_add_f32_e32 v72, 4.0, v66
	v_cndmask_b32_e64 v68, 1.0, v68, s[14:15]
	v_cmp_lt_i32_e64 s[14:15], 4, v67
	v_add_f32_e32 v73, 0x40a00000, v66
	v_mul_f32_e32 v68, v68, v69
	v_cndmask_b32_e64 v69, 1.0, v72, s[14:15]
	v_cmp_lt_i32_e64 s[14:15], 5, v67
	v_add_f32_e32 v74, 0x40c00000, v66
	v_mul_f32_e32 v68, v69, v68
	v_cndmask_b32_e64 v69, 1.0, v73, s[14:15]
	v_cmp_lt_i32_e64 s[14:15], 6, v67
	v_mul_f32_e32 v68, v69, v68
	v_cndmask_b32_e64 v67, 1.0, v74, s[14:15]
	v_mul_f32_e32 v67, v67, v68
	v_cmp_gt_f32_e64 s[14:15], s49, v67
	v_cndmask_b32_e64 v68, 1.0, v54, s[14:15]
	v_mul_f32_e32 v67, v67, v68
	v_log_f32_e32 v67, v67
	v_mul_f32_e32 v68, v66, v70
	v_mul_f32_e32 v68, v68, v71
	v_fmac_f32_e32 v68, 0.5, v66
	v_mul_f32_e32 v66, 0x3f317217, v67
	v_fma_f32 v69, v67, s50, -v66
	v_fmac_f32_e32 v69, 0x3377d1cf, v67
	v_add_f32_e32 v66, v66, v69
	v_cmp_lt_f32_e64 s[16:17], |v67|, s51
	v_cndmask_b32_e64 v66, v67, v66, s[16:17]
	v_cndmask_b32_e64 v67, 0, v55, s[14:15]
	v_sub_f32_e32 v66, v66, v67
	v_add_f32_e32 v66, v66, v68
.LBB13_136:                             ;   in Loop: Header=BB13_4 Depth=1
	s_or_b64 exec, exec, s[36:37]
.LBB13_137:                             ;   in Loop: Header=BB13_4 Depth=1
	s_andn2_saveexec_b64 s[16:17], s[34:35]
	s_cbranch_execz .LBB13_155
; %bb.138:                              ;   in Loop: Header=BB13_4 Depth=1
	v_cmp_le_f32_e64 s[14:15], |v58|, s52
                                        ; implicit-def: $vgpr66
                                        ; implicit-def: $vgpr68
                                        ; implicit-def: $vgpr67
	s_and_saveexec_b64 s[34:35], s[14:15]
	s_xor_b64 s[34:35], exec, s[34:35]
	s_cbranch_execz .LBB13_140
; %bb.139:                              ;   in Loop: Header=BB13_4 Depth=1
	v_cmp_lt_f32_e64 s[14:15], |v58|, s49
	v_cndmask_b32_e64 v66, 1.0, v54, s[14:15]
	v_mul_f32_e64 v66, |v58|, v66
	v_log_f32_e32 v66, v66
	v_cndmask_b32_e64 v67, 0, v55, s[14:15]
	v_mul_f32_e32 v68, 0x3f317217, v66
	v_fma_f32 v69, v66, s50, -v68
	v_fmac_f32_e32 v69, 0x3377d1cf, v66
	v_add_f32_e32 v68, v68, v69
	v_cmp_lt_f32_e64 s[14:15], |v66|, s51
	v_cndmask_b32_e64 v66, v66, v68, s[14:15]
	v_sub_f32_e32 v66, v66, v67
	v_sub_f32_e64 v67, 1.0, |v58|
	v_add_f32_e64 v68, |v58|, s54
	v_cmp_lt_f32_e64 s[14:15], |v58|, s53
	v_cndmask_b32_e64 v67, v67, v68, s[14:15]
	v_cndmask_b32_e64 v68, 0, 1, s[14:15]
	v_cmp_lt_f32_e64 s[14:15], |v58|, s55
	v_xor_b32_e32 v66, 0x80000000, v66
	v_cndmask_b32_e64 v67, v67, |v58|, s[14:15]
	v_cndmask_b32_e64 v68, v68, 2, s[14:15]
.LBB13_140:                             ;   in Loop: Header=BB13_4 Depth=1
	s_andn2_saveexec_b64 s[34:35], s[34:35]
; %bb.141:                              ;   in Loop: Header=BB13_4 Depth=1
	v_sub_f32_e64 v66, 2.0, |v58|
	v_add_f32_e64 v67, |v58|, s57
	v_cmp_lt_f32_e64 s[14:15], |v58|, s56
	v_cndmask_b32_e64 v67, v66, v67, s[14:15]
	v_cndmask_b32_e64 v66, v66, 1.0, s[14:15]
	v_cvt_i32_f32_e32 v66, v66
	v_add_f32_e64 v68, |v58|, -1.0
	v_cmp_lt_f32_e64 s[14:15], |v58|, s58
	v_cndmask_b32_e64 v67, v67, v68, s[14:15]
	v_cndmask_b32_e64 v68, v66, 2, s[14:15]
	v_mov_b32_e32 v66, 0
; %bb.142:                              ;   in Loop: Header=BB13_4 Depth=1
	s_or_b64 exec, exec, s[34:35]
	v_cmp_lt_i32_e64 s[14:15], 0, v68
	s_and_saveexec_b64 s[34:35], s[14:15]
	s_xor_b64 s[34:35], exec, s[34:35]
	s_cbranch_execz .LBB13_150
; %bb.143:                              ;   in Loop: Header=BB13_4 Depth=1
	v_cmp_lt_i32_e64 s[14:15], 1, v68
	s_and_saveexec_b64 s[36:37], s[14:15]
	s_xor_b64 s[36:37], exec, s[36:37]
	s_cbranch_execz .LBB13_147
; %bb.144:                              ;   in Loop: Header=BB13_4 Depth=1
	v_cmp_eq_u32_e64 s[14:15], 2, v68
	s_and_saveexec_b64 s[38:39], s[14:15]
	s_cbranch_execz .LBB13_146
; %bb.145:                              ;   in Loop: Header=BB13_4 Depth=1
	v_mov_b32_e32 v69, 0x3dd572af
	v_fmac_f32_e32 v69, 0x3b52d5db, v67
	v_fma_f32 v69, v67, v69, v28
	v_mov_b32_e32 v68, 0x3e6a7578
	v_fma_f32 v69, v67, v69, v29
	v_fmac_f32_e32 v68, 0x3c5b3c5e, v67
	v_fma_f32 v69, v67, v69, v30
	v_fma_f32 v68, v67, v68, v25
	v_fma_f32 v69, v67, v69, 1.0
	v_fma_f32 v68, v67, v68, v26
	v_rcp_f32_e32 v69, v69
	v_fma_f32 v68, v67, v68, v27
	v_fma_f32 v68, v67, v68, v20
	v_mul_f32_e32 v68, v67, v68
	v_mul_f32_e32 v68, v68, v69
	v_fmac_f32_e32 v68, -0.5, v67
	v_add_f32_e32 v66, v66, v68
.LBB13_146:                             ;   in Loop: Header=BB13_4 Depth=1
	s_or_b64 exec, exec, s[38:39]
                                        ; implicit-def: $vgpr67
.LBB13_147:                             ;   in Loop: Header=BB13_4 Depth=1
	s_andn2_saveexec_b64 s[14:15], s[36:37]
	s_cbranch_execz .LBB13_149
; %bb.148:                              ;   in Loop: Header=BB13_4 Depth=1
	v_mul_f32_e32 v68, v67, v67
	v_mul_f32_e32 v69, v67, v68
	v_mov_b32_e32 v71, 0x3a66f867
	v_mov_b32_e32 v72, 0xba0d3085
	v_fmac_f32_e32 v71, 0xb9a3f927, v69
	v_fmac_f32_e32 v72, 0x39afe9f7, v69
	v_mov_b32_e32 v70, 0xbab7f476
	v_fma_f32 v71, v69, v71, v34
	v_fma_f32 v72, v69, v72, v37
	v_fmac_f32_e32 v70, 0x39a57b6b, v69
	v_fma_f32 v71, v69, v71, v35
	v_fma_f32 v72, v69, v72, v38
	;; [unrolled: 1-line block ×6, first 2 shown]
	v_fmac_f32_e32 v71, v67, v72
	v_fma_f32 v70, v69, v70, v33
	v_fma_f32 v67, v69, -v71, s59
	v_fma_f32 v67, v68, v70, -v67
	v_add_f32_e32 v67, 0xbdf8cdce, v67
	v_add_f32_e32 v66, v66, v67
.LBB13_149:                             ;   in Loop: Header=BB13_4 Depth=1
	s_or_b64 exec, exec, s[14:15]
                                        ; implicit-def: $vgpr68
                                        ; implicit-def: $vgpr67
.LBB13_150:                             ;   in Loop: Header=BB13_4 Depth=1
	s_andn2_saveexec_b64 s[34:35], s[34:35]
	s_cbranch_execz .LBB13_154
; %bb.151:                              ;   in Loop: Header=BB13_4 Depth=1
	v_cmp_eq_u32_e64 s[14:15], 0, v68
	s_and_saveexec_b64 s[36:37], s[14:15]
	s_cbranch_execz .LBB13_153
; %bb.152:                              ;   in Loop: Header=BB13_4 Depth=1
	v_mul_f32_e32 v68, v67, v67
	v_mov_b32_e32 v70, 0x38e28445
	v_mov_b32_e32 v69, 0x39679767
	v_fmac_f32_e32 v70, 0x383c2c75, v68
	v_fmac_f32_e32 v69, 0x37d383a2, v68
	v_fma_f32 v70, v68, v70, v44
	v_fma_f32 v69, v68, v69, v40
	;; [unrolled: 1-line block ×8, first 2 shown]
	v_mul_f32_e32 v68, v68, v70
	v_fmac_f32_e32 v68, v67, v69
	v_fmac_f32_e32 v68, -0.5, v67
	v_add_f32_e32 v66, v66, v68
.LBB13_153:                             ;   in Loop: Header=BB13_4 Depth=1
	s_or_b64 exec, exec, s[36:37]
.LBB13_154:                             ;   in Loop: Header=BB13_4 Depth=1
	s_or_b64 exec, exec, s[34:35]
.LBB13_155:                             ;   in Loop: Header=BB13_4 Depth=1
	s_or_b64 exec, exec, s[16:17]
.LBB13_156:                             ;   in Loop: Header=BB13_4 Depth=1
	s_andn2_saveexec_b64 s[18:19], s[18:19]
	s_cbranch_execz .LBB13_158
; %bb.157:                              ;   in Loop: Header=BB13_4 Depth=1
	v_cmp_lt_f32_e64 s[14:15], |v58|, s49
	v_cndmask_b32_e64 v66, 1.0, v54, s[14:15]
	v_mul_f32_e64 v66, |v58|, v66
	v_log_f32_e32 v66, v66
	v_fma_f32 v67, |v58|, s60, v56
	v_fma_f32 v67, |v58|, v67, s61
	;; [unrolled: 1-line block ×3, first 2 shown]
	v_mul_f32_e32 v68, 0x3f317217, v66
	v_fma_f32 v69, v66, s50, -v68
	v_fmac_f32_e32 v69, 0x3377d1cf, v66
	v_add_f32_e32 v68, v68, v69
	v_cmp_lt_f32_e64 s[16:17], |v66|, s51
	v_cndmask_b32_e64 v66, v66, v68, s[16:17]
	v_cndmask_b32_e64 v68, 0, v55, s[14:15]
	v_sub_f32_e32 v66, v66, v68
	v_fma_f32 v66, |v58|, v67, -v66
.LBB13_158:                             ;   in Loop: Header=BB13_4 Depth=1
	s_or_b64 exec, exec, s[18:19]
	v_cmp_le_f32_e64 s[14:15], 0, v58
	v_cmp_nle_f32_e64 s[16:17], 0, v58
	s_and_saveexec_b64 s[18:19], s[16:17]
	s_xor_b64 s[34:35], exec, s[18:19]
	s_cbranch_execnz .LBB13_164
; %bb.159:                              ;   in Loop: Header=BB13_4 Depth=1
	s_andn2_saveexec_b64 s[34:35], s[34:35]
	s_cbranch_execnz .LBB13_167
.LBB13_160:                             ;   in Loop: Header=BB13_4 Depth=1
	s_or_b64 exec, exec, s[34:35]
	s_and_saveexec_b64 s[16:17], vcc
	s_xor_b64 s[16:17], exec, s[16:17]
	s_cbranch_execnz .LBB13_168
.LBB13_161:                             ;   in Loop: Header=BB13_4 Depth=1
	s_or_b64 exec, exec, s[16:17]
	s_and_saveexec_b64 s[8:9], s[0:1]
	s_cbranch_execnz .LBB13_169
.LBB13_162:                             ;   in Loop: Header=BB13_4 Depth=1
	s_or_b64 exec, exec, s[8:9]
	s_and_saveexec_b64 s[0:1], s[2:3]
	s_cbranch_execnz .LBB13_170
.LBB13_163:                             ;   in Loop: Header=BB13_4 Depth=1
	s_or_b64 exec, exec, s[0:1]
	s_and_saveexec_b64 s[0:1], s[6:7]
	s_cbranch_execz .LBB13_3
	s_branch .LBB13_171
.LBB13_164:                             ;   in Loop: Header=BB13_4 Depth=1
	v_cmp_lt_f32_e64 s[16:17], |v58|, s63
	v_cmp_gt_f32_e64 s[18:19], |v58|, s64
	s_and_b64 s[16:17], s[16:17], s[18:19]
	s_and_saveexec_b64 s[36:37], s[16:17]
	s_cbranch_execz .LBB13_166
; %bb.165:                              ;   in Loop: Header=BB13_4 Depth=1
	v_mul_f32_e64 v67, |v58|, 0.5
	v_floor_f32_e32 v68, v67
	v_sub_f32_e32 v68, v67, v68
	v_min_f32_e32 v68, 0x3f7fffff, v68
	v_add_f32_e32 v68, v68, v68
	v_cmp_neq_f32_e64 s[16:17], s51, v67
	v_cndmask_b32_e64 v67, 0, v68, s[16:17]
	v_cmp_gt_f32_e64 s[16:17], |v58|, 1.0
	v_cndmask_b32_e64 v67, |v58|, v67, s[16:17]
	v_add_f32_e32 v68, v67, v67
	v_rndne_f32_e32 v68, v68
	v_fmac_f32_e32 v67, -0.5, v68
	v_mul_f32_e32 v69, v67, v67
	v_mov_b32_e32 v70, 0xbf1f24be
	v_fmac_f32_e32 v70, 0x3e75aa41, v69
	v_fma_f32 v70, v69, v70, v48
	v_fma_f32 v70, v69, v70, v49
	v_mul_f32_e32 v71, v67, v69
	v_mul_f32_e32 v70, v71, v70
	v_fmac_f32_e32 v70, 0x40490fdb, v67
	v_mov_b32_e32 v67, 0x3e642e9d
	v_cvt_i32_f32_e32 v68, v68
	v_fmac_f32_e32 v67, 0x3d4be544, v69
	v_fma_f32 v67, v69, v67, v50
	v_fma_f32 v67, v69, v67, v51
	;; [unrolled: 1-line block ×3, first 2 shown]
	v_fma_f32 v67, v69, v67, 1.0
	v_and_b32_e32 v69, 1, v68
	v_lshlrev_b32_e32 v68, 30, v68
	v_cmp_eq_u32_e64 s[16:17], 0, v69
	v_and_b32_e32 v68, 0x80000000, v68
	v_xor_b32_e32 v65, v65, v58
	v_cndmask_b32_e64 v67, v67, v70, s[16:17]
	v_xor_b32_e32 v65, v65, v68
	v_xor_b32_e32 v65, v65, v67
	v_mul_f32_e32 v65, v58, v65
	v_frexp_mant_f32_e64 v67, |v65|
	v_rcp_f32_e32 v67, v67
	v_frexp_exp_i32_f32_e32 v65, v65
	v_sub_u32_e32 v65, 2, v65
	v_mul_f32_e32 v67, 0x3f490fdb, v67
	v_ldexp_f32 v65, v67, v65
	v_cmp_gt_f32_e64 s[16:17], s49, v65
	v_cndmask_b32_e64 v67, 1.0, v54, s[16:17]
	v_mul_f32_e32 v65, v65, v67
	v_log_f32_e32 v65, v65
	v_mul_f32_e32 v67, 0x3f317217, v65
	v_fma_f32 v68, v65, s50, -v67
	v_fmac_f32_e32 v68, 0x3377d1cf, v65
	v_add_f32_e32 v67, v67, v68
	v_cmp_lt_f32_e64 s[18:19], |v65|, s51
	v_cndmask_b32_e64 v65, v65, v67, s[18:19]
	v_cndmask_b32_e64 v67, 0, v55, s[16:17]
	v_sub_f32_e32 v65, v65, v67
	v_sub_f32_e32 v65, v65, v66
	v_floor_f32_e32 v66, v58
	v_sub_f32_e32 v66, v58, v66
	v_min_f32_e32 v66, 0x3f7fffff, v66
	v_cmp_neq_f32_e64 s[16:17], 0, v66
	v_cndmask_b32_e64 v66, v57, v65, s[16:17]
.LBB13_166:                             ;   in Loop: Header=BB13_4 Depth=1
	s_or_b64 exec, exec, s[36:37]
	s_andn2_saveexec_b64 s[34:35], s[34:35]
	s_cbranch_execz .LBB13_160
.LBB13_167:                             ;   in Loop: Header=BB13_4 Depth=1
	v_cmp_eq_f32_e64 s[16:17], 1.0, v58
	v_cmp_eq_f32_e64 s[18:19], 2.0, v58
	s_or_b64 s[16:17], s[16:17], s[18:19]
	v_cndmask_b32_e64 v66, v66, 0, s[16:17]
	s_or_b64 exec, exec, s[34:35]
	s_and_saveexec_b64 s[16:17], vcc
	s_xor_b64 s[16:17], exec, s[16:17]
	s_cbranch_execz .LBB13_161
.LBB13_168:                             ;   in Loop: Header=BB13_4 Depth=1
	v_cmp_lt_f32_e64 s[18:19], |v59|, s63
	s_or_b64 vcc, s[8:9], s[18:19]
	v_cndmask_b32_e32 v62, v57, v62, vcc
	v_cmp_class_f32_e32 vcc, v59, v53
	v_cndmask_b32_e32 v62, v62, v57, vcc
	v_cmp_u_f32_e32 vcc, v59, v59
	v_cndmask_b32_e32 v59, v62, v59, vcc
	global_store_dword v[2:3], v59, off
	s_or_b64 exec, exec, s[16:17]
	s_and_saveexec_b64 s[8:9], s[0:1]
	s_cbranch_execz .LBB13_162
.LBB13_169:                             ;   in Loop: Header=BB13_4 Depth=1
	v_cmp_lt_f32_e64 s[0:1], |v60|, s63
	s_or_b64 vcc, s[10:11], s[0:1]
	v_cndmask_b32_e32 v59, v57, v63, vcc
	v_cmp_class_f32_e32 vcc, v60, v53
	v_cndmask_b32_e32 v59, v59, v57, vcc
	v_cmp_u_f32_e32 vcc, v60, v60
	v_cndmask_b32_e32 v59, v59, v60, vcc
	global_store_dword v[4:5], v59, off
	s_or_b64 exec, exec, s[8:9]
	s_and_saveexec_b64 s[0:1], s[2:3]
	s_cbranch_execz .LBB13_163
.LBB13_170:                             ;   in Loop: Header=BB13_4 Depth=1
	v_cmp_lt_f32_e64 s[2:3], |v61|, s63
	s_or_b64 vcc, s[12:13], s[2:3]
	v_cndmask_b32_e32 v59, v57, v64, vcc
	v_cmp_class_f32_e32 vcc, v61, v53
	v_cndmask_b32_e32 v59, v59, v57, vcc
	v_cmp_u_f32_e32 vcc, v61, v61
	v_cndmask_b32_e32 v59, v59, v61, vcc
	v_mov_b32_e32 v61, s45
	v_add_co_u32_e32 v60, vcc, s44, v2
	v_addc_co_u32_e32 v61, vcc, v3, v61, vcc
	global_store_dword v[60:61], v59, off
	s_or_b64 exec, exec, s[0:1]
	s_and_saveexec_b64 s[0:1], s[6:7]
	s_cbranch_execz .LBB13_3
.LBB13_171:                             ;   in Loop: Header=BB13_4 Depth=1
	v_cmp_lt_f32_e64 s[2:3], |v58|, s63
	s_or_b64 vcc, s[14:15], s[2:3]
	v_cndmask_b32_e32 v59, v57, v66, vcc
	v_cmp_class_f32_e32 vcc, v58, v53
	v_cndmask_b32_e32 v59, v59, v57, vcc
	v_cmp_u_f32_e32 vcc, v58, v58
	v_cndmask_b32_e32 v60, v59, v58, vcc
	v_mov_b32_e32 v59, s43
	v_add_co_u32_e32 v58, vcc, s42, v2
	v_addc_co_u32_e32 v59, vcc, v3, v59, vcc
	global_store_dword v[58:59], v60, off
	s_branch .LBB13_3
.LBB13_172:
	s_cbranch_execz .LBB13_174
	s_branch .LBB13_329
.LBB13_173:
.LBB13_174:
	v_mov_b32_e32 v5, 0
	v_lshlrev_b32_e32 v4, 2, v0
	s_mov_b32 s26, 0
	v_cmp_gt_i64_e32 vcc, s[20:21], v[4:5]
	s_and_saveexec_b64 s[0:1], vcc
	s_cbranch_execz .LBB13_329
; %bb.175:
	s_load_dword s0, s[4:5], 0xd3c
	v_lshlrev_b32_e32 v1, 4, v0
	s_mov_b32 s12, 2.0
	s_mov_b64 s[10:11], 0
	s_mov_b32 s28, 0x3c800000
	s_waitcnt lgkmcnt(0)
	s_and_b32 s0, s0, 0xffff
	s_lshl_b32 s27, s0, 2
	s_add_u32 s1, s22, s24
	s_addc_u32 s2, s23, s25
	v_add_lshl_u32 v4, v0, s0, 2
	v_mov_b32_e32 v0, s2
	v_add_co_u32_e32 v1, vcc, s1, v1
	v_addc_co_u32_e32 v0, vcc, 0, v0, vcc
	v_add_co_u32_e32 v6, vcc, 8, v1
	v_addc_co_u32_e32 v7, vcc, 0, v0, vcc
	s_lshl_b32 s24, s0, 4
	s_mov_b32 s25, s26
	s_mov_b32 s13, 0x40400000
	;; [unrolled: 1-line block ×7, first 2 shown]
	v_mov_b32_e32 v8, 0xba1c065c
	v_mov_b32_e32 v9, 0x3a500cfd
	;; [unrolled: 1-line block ×14, first 2 shown]
	s_mov_b32 s35, 0x3f666666
	s_mov_b32 s36, 0x3f3b4a23
	s_mov_b32 s37, 0xbeec5b0c
	s_mov_b32 s38, 0x3e6d3309
	s_mov_b32 s39, 0x3fdda512
	s_mov_b32 s40, 0xbfbb16c3
	s_mov_b32 s41, 0x3f9d70a4
	v_mov_b32_e32 v22, 0x3f7a4bb2
	v_mov_b32_e32 v23, 0x3fba3ae7
	;; [unrolled: 1-line block ×15, first 2 shown]
	s_mov_b32 s42, 0xa2863e55
	v_mov_b32_e32 v37, 0x3a9c54a1
	v_mov_b32_e32 v38, 0x3bf2027e
	;; [unrolled: 1-line block ×8, first 2 shown]
	s_mov_b32 s43, 0x3e8a8991
	s_mov_b32 s44, 0x3f528d33
	s_mov_b32 s45, 0xbf13c468
	s_mov_b32 s46, 0x4b000000
	s_mov_b32 s47, 0x35000000
	v_mov_b32_e32 v45, 0x40234736
	v_mov_b32_e32 v46, 0xc0a55e0e
	;; [unrolled: 1-line block ×6, first 2 shown]
	s_mov_b64 s[14:15], 0xffff
	v_mov_b32_e32 v51, 0x4f800000
	v_mov_b32_e32 v52, 0x41b17218
	;; [unrolled: 1-line block ×4, first 2 shown]
	s_branch .LBB13_177
.LBB13_176:                             ;   in Loop: Header=BB13_177 Depth=1
	s_or_b64 exec, exec, s[16:17]
	v_cmp_lt_f32_e64 s[6:7], |v2|, s46
	s_or_b64 s[2:3], s[2:3], s[6:7]
	v_cndmask_b32_e64 v57, v54, v57, s[2:3]
	v_cmp_class_f32_e64 s[2:3], v2, v50
	v_cndmask_b32_e64 v57, v57, v54, s[2:3]
	v_cmp_u_f32_e64 s[2:3], v2, v2
	v_cndmask_b32_e64 v2, v57, v2, s[2:3]
	v_cmp_lt_f32_e64 s[2:3], |v1|, s46
	s_or_b64 s[0:1], s[0:1], s[2:3]
	v_cndmask_b32_e64 v56, v54, v56, s[0:1]
	v_cmp_class_f32_e64 s[0:1], v1, v50
	v_cndmask_b32_e64 v56, v56, v54, s[0:1]
	v_cmp_u_f32_e64 s[0:1], v1, v1
	v_cndmask_b32_e64 v1, v56, v1, s[0:1]
	v_cmp_lt_f32_e64 s[0:1], |v0|, s46
	s_or_b64 vcc, vcc, s[0:1]
	v_cndmask_b32_e32 v55, v54, v55, vcc
	v_cmp_class_f32_e32 vcc, v0, v50
	v_cndmask_b32_e32 v55, v55, v54, vcc
	v_cmp_u_f32_e32 vcc, v0, v0
	v_cmp_lt_f32_e64 s[0:1], |v3|, s46
	v_cndmask_b32_e32 v0, v55, v0, vcc
	s_or_b64 vcc, s[4:5], s[0:1]
	v_cndmask_b32_e32 v55, v54, v59, vcc
	v_cmp_class_f32_e32 vcc, v3, v50
	v_cndmask_b32_e32 v55, v55, v54, vcc
	v_cmp_u_f32_e32 vcc, v3, v3
	v_cndmask_b32_e32 v3, v55, v3, vcc
	v_cmp_le_i64_e32 vcc, s[20:21], v[4:5]
	v_cmp_lt_u64_e64 s[0:1], s[14:15], v[4:5]
	global_store_dwordx4 v[6:7], v[0:3], off offset:-8
	s_or_b64 s[0:1], vcc, s[0:1]
	v_mov_b32_e32 v0, s26
	v_add_co_u32_e32 v4, vcc, s27, v4
	v_addc_co_u32_e32 v5, vcc, v5, v0, vcc
	v_mov_b32_e32 v0, s25
	s_and_b64 s[0:1], exec, s[0:1]
	v_add_co_u32_e32 v6, vcc, s24, v6
	s_or_b64 s[10:11], s[0:1], s[10:11]
	v_addc_co_u32_e32 v7, vcc, v7, v0, vcc
	s_andn2_b64 exec, exec, s[10:11]
	s_cbranch_execz .LBB13_329
.LBB13_177:                             ; =>This Inner Loop Header: Depth=1
	global_load_dwordx4 v[0:3], v[6:7], off offset:-8
                                        ; implicit-def: $vgpr55
	s_waitcnt vmcnt(0)
	v_and_b32_e32 v56, 0x7fffffff, v0
	v_cmp_nlt_f32_e64 s[0:1], |v0|, s28
	s_and_saveexec_b64 s[2:3], s[0:1]
	s_xor_b64 s[2:3], exec, s[2:3]
	s_cbranch_execz .LBB13_207
; %bb.178:                              ;   in Loop: Header=BB13_177 Depth=1
	v_cmp_nlt_f32_e64 s[0:1], |v0|, 2.0
                                        ; implicit-def: $vgpr55
	s_and_saveexec_b64 s[4:5], s[0:1]
	s_xor_b64 s[4:5], exec, s[4:5]
	s_cbranch_execz .LBB13_188
; %bb.179:                              ;   in Loop: Header=BB13_177 Depth=1
	v_cmp_nlt_f32_e64 s[0:1], |v0|, s29
                                        ; implicit-def: $vgpr55
	s_and_saveexec_b64 s[6:7], s[0:1]
	s_xor_b64 s[6:7], exec, s[6:7]
	s_cbranch_execz .LBB13_185
; %bb.180:                              ;   in Loop: Header=BB13_177 Depth=1
	v_cmp_nlt_f32_e64 s[0:1], |v0|, s30
                                        ; implicit-def: $vgpr55
	s_and_saveexec_b64 s[8:9], s[0:1]
	s_xor_b64 s[8:9], exec, s[8:9]
	s_cbranch_execz .LBB13_182
; %bb.181:                              ;   in Loop: Header=BB13_177 Depth=1
	v_cmp_lt_f32_e64 vcc, |v0|, s31
	v_cndmask_b32_e32 v55, 1.0, v51, vcc
	v_mul_f32_e64 v55, |v0|, v55
	v_log_f32_e32 v55, v55
	v_mul_f32_e32 v57, 0x3f317217, v55
	v_fma_f32 v58, v55, s33, -v57
	v_fmac_f32_e32 v58, 0x3377d1cf, v55
	v_add_f32_e32 v57, v57, v58
	v_cmp_lt_f32_e64 s[0:1], |v55|, s34
	v_cndmask_b32_e64 v55, v55, v57, s[0:1]
	v_cndmask_b32_e32 v57, 0, v52, vcc
	v_sub_f32_e32 v55, v55, v57
	v_fma_f32 v55, |v0|, v55, -|v0|
.LBB13_182:                             ;   in Loop: Header=BB13_177 Depth=1
	s_andn2_saveexec_b64 s[8:9], s[8:9]
	s_cbranch_execz .LBB13_184
; %bb.183:                              ;   in Loop: Header=BB13_177 Depth=1
	v_rcp_f32_e64 v55, |v0|
	v_cmp_lt_f32_e64 vcc, |v0|, s31
	v_cndmask_b32_e32 v58, 1.0, v51, vcc
	v_mov_b32_e32 v57, 0x3a5b3dd2
	v_mul_f32_e32 v59, v55, v55
	v_mul_f32_e64 v58, |v0|, v58
	v_fmac_f32_e32 v57, 0xbad5c4e8, v59
	v_log_f32_e32 v58, v58
	v_fma_f32 v57, v59, v57, v8
	v_fma_f32 v57, v59, v57, v9
	;; [unrolled: 1-line block ×4, first 2 shown]
	v_mul_f32_e32 v59, 0x3f317217, v58
	v_fma_f32 v60, v58, s33, -v59
	v_fmac_f32_e32 v60, 0x3377d1cf, v58
	v_add_f32_e32 v59, v59, v60
	v_cmp_lt_f32_e64 s[0:1], |v58|, s34
	v_cndmask_b32_e64 v58, v58, v59, s[0:1]
	v_cndmask_b32_e32 v59, 0, v52, vcc
	v_sub_f32_e32 v58, v58, v59
	v_fma_f32 v55, v55, v57, v12
	v_add_f32_e64 v57, |v0|, -0.5
	v_add_f32_e32 v58, -1.0, v58
	v_fmac_f32_e32 v55, v57, v58
.LBB13_184:                             ;   in Loop: Header=BB13_177 Depth=1
	s_or_b64 exec, exec, s[8:9]
.LBB13_185:                             ;   in Loop: Header=BB13_177 Depth=1
	s_andn2_saveexec_b64 s[6:7], s[6:7]
	s_cbranch_execz .LBB13_187
; %bb.186:                              ;   in Loop: Header=BB13_177 Depth=1
	v_cvt_i32_f32_e32 v55, v56
	v_mov_b32_e32 v59, 0x3a4beed6
	v_cvt_f32_i32_e32 v57, v55
	v_cmp_lt_i32_e32 vcc, 2, v55
	v_cmp_lt_i32_e64 s[0:1], 3, v55
	v_sub_f32_e64 v58, |v0|, v57
	v_fmac_f32_e32 v59, 0x36f5d7bd, v58
	v_fma_f32 v59, v58, v59, v18
	v_mov_b32_e32 v57, 0x3af135b4
	v_fma_f32 v59, v58, v59, v19
	v_fmac_f32_e32 v57, 0x3805ff67, v58
	v_fma_f32 v59, v58, v59, v20
	v_fma_f32 v57, v58, v57, v13
	;; [unrolled: 1-line block ×4, first 2 shown]
	v_fma_f32 v59, v58, v59, 1.0
	v_fma_f32 v57, v58, v57, v15
	v_rcp_f32_e32 v59, v59
	v_fma_f32 v57, v58, v57, v16
	v_fma_f32 v57, v58, v57, v17
	v_mul_f32_e32 v57, v58, v57
	v_mul_f32_e32 v57, v57, v59
	v_fmac_f32_e32 v57, 0.5, v58
	v_add_f32_e32 v60, 4.0, v58
	v_add_f32_e32 v61, 0x40a00000, v58
	v_add_f32_e32 v62, 0x40c00000, v58
	v_pk_add_f32 v[58:59], v[58:59], s[12:13] op_sel_hi:[0,1]
	v_cndmask_b32_e64 v59, 1.0, v59, s[0:1]
	v_cndmask_b32_e32 v58, 1.0, v58, vcc
	v_cmp_lt_i32_e32 vcc, 4, v55
	v_mul_f32_e32 v58, v58, v59
	v_cndmask_b32_e32 v59, 1.0, v60, vcc
	v_cmp_lt_i32_e32 vcc, 5, v55
	v_mul_f32_e32 v58, v59, v58
	;; [unrolled: 3-line block ×3, first 2 shown]
	v_cndmask_b32_e32 v55, 1.0, v62, vcc
	v_mul_f32_e32 v55, v55, v58
	v_cmp_gt_f32_e32 vcc, s31, v55
	v_cndmask_b32_e32 v58, 1.0, v51, vcc
	v_mul_f32_e32 v55, v55, v58
	v_log_f32_e32 v55, v55
	v_mul_f32_e32 v58, 0x3f317217, v55
	v_fma_f32 v59, v55, s33, -v58
	v_fmac_f32_e32 v59, 0x3377d1cf, v55
	v_add_f32_e32 v58, v58, v59
	v_cmp_lt_f32_e64 s[0:1], |v55|, s34
	v_cndmask_b32_e64 v55, v55, v58, s[0:1]
	v_cndmask_b32_e32 v58, 0, v52, vcc
	v_sub_f32_e32 v55, v55, v58
	v_add_f32_e32 v55, v55, v57
.LBB13_187:                             ;   in Loop: Header=BB13_177 Depth=1
	s_or_b64 exec, exec, s[6:7]
.LBB13_188:                             ;   in Loop: Header=BB13_177 Depth=1
	s_andn2_saveexec_b64 s[0:1], s[4:5]
	s_cbranch_execz .LBB13_206
; %bb.189:                              ;   in Loop: Header=BB13_177 Depth=1
	v_cmp_le_f32_e64 s[4:5], |v0|, s35
                                        ; implicit-def: $vgpr55
                                        ; implicit-def: $vgpr58
                                        ; implicit-def: $vgpr57
	s_and_saveexec_b64 s[6:7], s[4:5]
	s_xor_b64 s[4:5], exec, s[6:7]
	s_cbranch_execz .LBB13_191
; %bb.190:                              ;   in Loop: Header=BB13_177 Depth=1
	v_cmp_lt_f32_e64 vcc, |v0|, s31
	v_cndmask_b32_e32 v55, 1.0, v51, vcc
	v_mul_f32_e64 v55, |v0|, v55
	v_log_f32_e32 v55, v55
	v_cndmask_b32_e32 v57, 0, v52, vcc
	v_cmp_lt_f32_e64 s[6:7], |v0|, s38
	v_mul_f32_e32 v58, 0x3f317217, v55
	v_fma_f32 v59, v55, s33, -v58
	v_fmac_f32_e32 v59, 0x3377d1cf, v55
	v_add_f32_e32 v58, v58, v59
	v_cmp_lt_f32_e64 vcc, |v55|, s34
	v_cndmask_b32_e32 v55, v55, v58, vcc
	v_sub_f32_e32 v55, v55, v57
	v_sub_f32_e64 v57, 1.0, |v0|
	v_add_f32_e64 v58, |v0|, s37
	v_cmp_lt_f32_e64 vcc, |v0|, s36
	v_cndmask_b32_e32 v57, v57, v58, vcc
	v_cndmask_b32_e64 v58, 0, 1, vcc
	v_xor_b32_e32 v55, 0x80000000, v55
	v_cndmask_b32_e64 v57, v57, |v0|, s[6:7]
	v_cndmask_b32_e64 v58, v58, 2, s[6:7]
.LBB13_191:                             ;   in Loop: Header=BB13_177 Depth=1
	s_andn2_saveexec_b64 s[4:5], s[4:5]
; %bb.192:                              ;   in Loop: Header=BB13_177 Depth=1
	v_sub_f32_e64 v55, 2.0, |v0|
	v_add_f32_e64 v57, |v0|, s40
	v_cmp_lt_f32_e64 vcc, |v0|, s39
	v_cndmask_b32_e32 v57, v55, v57, vcc
	v_cndmask_b32_e64 v55, v55, 1.0, vcc
	v_cvt_i32_f32_e32 v55, v55
	v_add_f32_e64 v58, |v0|, -1.0
	v_cmp_lt_f32_e64 vcc, |v0|, s41
	v_cndmask_b32_e32 v57, v57, v58, vcc
	v_cndmask_b32_e64 v58, v55, 2, vcc
	v_mov_b32_e32 v55, 0
; %bb.193:                              ;   in Loop: Header=BB13_177 Depth=1
	s_or_b64 exec, exec, s[4:5]
	v_cmp_lt_i32_e32 vcc, 0, v58
	s_and_saveexec_b64 s[4:5], vcc
	s_xor_b64 s[4:5], exec, s[4:5]
	s_cbranch_execz .LBB13_201
; %bb.194:                              ;   in Loop: Header=BB13_177 Depth=1
	v_cmp_lt_i32_e32 vcc, 1, v58
	s_and_saveexec_b64 s[6:7], vcc
	s_xor_b64 s[6:7], exec, s[6:7]
	s_cbranch_execz .LBB13_198
; %bb.195:                              ;   in Loop: Header=BB13_177 Depth=1
	v_cmp_eq_u32_e32 vcc, 2, v58
	s_and_saveexec_b64 s[8:9], vcc
	s_cbranch_execz .LBB13_197
; %bb.196:                              ;   in Loop: Header=BB13_177 Depth=1
	v_mov_b32_e32 v59, 0x3dd572af
	v_fmac_f32_e32 v59, 0x3b52d5db, v57
	v_fma_f32 v59, v57, v59, v25
	v_mov_b32_e32 v58, 0x3e6a7578
	v_fma_f32 v59, v57, v59, v26
	v_fmac_f32_e32 v58, 0x3c5b3c5e, v57
	v_fma_f32 v59, v57, v59, v27
	v_fma_f32 v58, v57, v58, v22
	v_fma_f32 v59, v57, v59, 1.0
	v_fma_f32 v58, v57, v58, v23
	v_rcp_f32_e32 v59, v59
	v_fma_f32 v58, v57, v58, v24
	v_fma_f32 v58, v57, v58, v17
	v_mul_f32_e32 v58, v57, v58
	v_mul_f32_e32 v58, v58, v59
	v_fmac_f32_e32 v58, -0.5, v57
	v_add_f32_e32 v55, v55, v58
.LBB13_197:                             ;   in Loop: Header=BB13_177 Depth=1
	s_or_b64 exec, exec, s[8:9]
                                        ; implicit-def: $vgpr57
.LBB13_198:                             ;   in Loop: Header=BB13_177 Depth=1
	s_andn2_saveexec_b64 s[6:7], s[6:7]
	s_cbranch_execz .LBB13_200
; %bb.199:                              ;   in Loop: Header=BB13_177 Depth=1
	v_mul_f32_e32 v58, v57, v57
	v_mul_f32_e32 v59, v57, v58
	v_mov_b32_e32 v61, 0x3a66f867
	v_mov_b32_e32 v62, 0xba0d3085
	v_fmac_f32_e32 v61, 0xb9a3f927, v59
	v_fmac_f32_e32 v62, 0x39afe9f7, v59
	v_mov_b32_e32 v60, 0xbab7f476
	v_fma_f32 v61, v59, v61, v31
	v_fma_f32 v62, v59, v62, v34
	v_fmac_f32_e32 v60, 0x39a57b6b, v59
	v_fma_f32 v61, v59, v61, v32
	v_fma_f32 v62, v59, v62, v35
	;; [unrolled: 1-line block ×6, first 2 shown]
	v_fmac_f32_e32 v61, v57, v62
	v_fma_f32 v60, v59, v60, v30
	v_fma_f32 v57, v59, -v61, s42
	v_fma_f32 v57, v58, v60, -v57
	v_add_f32_e32 v57, 0xbdf8cdce, v57
	v_add_f32_e32 v55, v55, v57
.LBB13_200:                             ;   in Loop: Header=BB13_177 Depth=1
	s_or_b64 exec, exec, s[6:7]
                                        ; implicit-def: $vgpr58
                                        ; implicit-def: $vgpr57
.LBB13_201:                             ;   in Loop: Header=BB13_177 Depth=1
	s_andn2_saveexec_b64 s[4:5], s[4:5]
	s_cbranch_execz .LBB13_205
; %bb.202:                              ;   in Loop: Header=BB13_177 Depth=1
	v_cmp_eq_u32_e32 vcc, 0, v58
	s_and_saveexec_b64 s[6:7], vcc
	s_cbranch_execz .LBB13_204
; %bb.203:                              ;   in Loop: Header=BB13_177 Depth=1
	v_mul_f32_e32 v58, v57, v57
	v_mov_b32_e32 v60, 0x38e28445
	v_mov_b32_e32 v59, 0x39679767
	v_fmac_f32_e32 v60, 0x383c2c75, v58
	v_fmac_f32_e32 v59, 0x37d383a2, v58
	v_fma_f32 v60, v58, v60, v41
	v_fma_f32 v59, v58, v59, v37
	;; [unrolled: 1-line block ×8, first 2 shown]
	v_mul_f32_e32 v58, v58, v60
	v_fmac_f32_e32 v58, v57, v59
	v_fmac_f32_e32 v58, -0.5, v57
	v_add_f32_e32 v55, v55, v58
.LBB13_204:                             ;   in Loop: Header=BB13_177 Depth=1
	s_or_b64 exec, exec, s[6:7]
.LBB13_205:                             ;   in Loop: Header=BB13_177 Depth=1
	s_or_b64 exec, exec, s[4:5]
.LBB13_206:                             ;   in Loop: Header=BB13_177 Depth=1
	s_or_b64 exec, exec, s[0:1]
.LBB13_207:                             ;   in Loop: Header=BB13_177 Depth=1
	s_andn2_saveexec_b64 s[2:3], s[2:3]
	s_cbranch_execz .LBB13_209
; %bb.208:                              ;   in Loop: Header=BB13_177 Depth=1
	v_cmp_lt_f32_e64 vcc, |v0|, s31
	v_cndmask_b32_e32 v55, 1.0, v51, vcc
	v_mul_f32_e64 v55, |v0|, v55
	v_log_f32_e32 v55, v55
	v_fma_f32 v57, |v0|, s43, v53
	v_fma_f32 v57, |v0|, v57, s44
	;; [unrolled: 1-line block ×3, first 2 shown]
	v_mul_f32_e32 v58, 0x3f317217, v55
	v_fma_f32 v59, v55, s33, -v58
	v_fmac_f32_e32 v59, 0x3377d1cf, v55
	v_add_f32_e32 v58, v58, v59
	v_cmp_lt_f32_e64 s[0:1], |v55|, s34
	v_cndmask_b32_e64 v55, v55, v58, s[0:1]
	v_cndmask_b32_e32 v58, 0, v52, vcc
	v_sub_f32_e32 v55, v55, v58
	v_fma_f32 v55, |v0|, v57, -v55
.LBB13_209:                             ;   in Loop: Header=BB13_177 Depth=1
	s_or_b64 exec, exec, s[2:3]
	v_cmp_le_f32_e32 vcc, 0, v0
	v_cmp_nle_f32_e64 s[0:1], 0, v0
	s_and_saveexec_b64 s[2:3], s[0:1]
	s_xor_b64 s[4:5], exec, s[2:3]
	s_cbranch_execz .LBB13_213
; %bb.210:                              ;   in Loop: Header=BB13_177 Depth=1
	v_cmp_lt_f32_e64 s[0:1], |v0|, s46
	v_cmp_gt_f32_e64 s[2:3], |v0|, s47
	s_and_b64 s[0:1], s[0:1], s[2:3]
	s_and_saveexec_b64 s[6:7], s[0:1]
	s_cbranch_execz .LBB13_212
; %bb.211:                              ;   in Loop: Header=BB13_177 Depth=1
	v_mul_f32_e64 v57, |v0|, 0.5
	v_floor_f32_e32 v58, v57
	v_sub_f32_e32 v58, v57, v58
	v_min_f32_e32 v58, 0x3f7fffff, v58
	v_add_f32_e32 v58, v58, v58
	v_cmp_neq_f32_e64 s[0:1], s34, v57
	v_cndmask_b32_e64 v57, 0, v58, s[0:1]
	v_cmp_gt_f32_e64 s[0:1], |v0|, 1.0
	v_cndmask_b32_e64 v57, |v0|, v57, s[0:1]
	v_add_f32_e32 v58, v57, v57
	v_rndne_f32_e32 v58, v58
	v_fmac_f32_e32 v57, -0.5, v58
	v_mul_f32_e32 v59, v57, v57
	v_mov_b32_e32 v60, 0xbf1f24be
	v_fmac_f32_e32 v60, 0x3e75aa41, v59
	v_fma_f32 v60, v59, v60, v45
	v_fma_f32 v60, v59, v60, v46
	v_mul_f32_e32 v61, v57, v59
	v_mul_f32_e32 v60, v61, v60
	v_fmac_f32_e32 v60, 0x40490fdb, v57
	v_mov_b32_e32 v57, 0x3e642e9d
	v_cvt_i32_f32_e32 v58, v58
	v_fmac_f32_e32 v57, 0x3d4be544, v59
	v_fma_f32 v57, v59, v57, v47
	v_fma_f32 v57, v59, v57, v48
	;; [unrolled: 1-line block ×3, first 2 shown]
	v_fma_f32 v57, v59, v57, 1.0
	v_and_b32_e32 v59, 1, v58
	v_lshlrev_b32_e32 v58, 30, v58
	v_cmp_eq_u32_e64 s[0:1], 0, v59
	v_and_b32_e32 v58, 0x80000000, v58
	v_xor_b32_e32 v56, v56, v0
	v_cndmask_b32_e64 v57, v57, v60, s[0:1]
	v_xor_b32_e32 v56, v56, v58
	v_xor_b32_e32 v56, v56, v57
	v_mul_f32_e32 v56, v0, v56
	v_frexp_mant_f32_e64 v57, |v56|
	v_rcp_f32_e32 v57, v57
	v_frexp_exp_i32_f32_e32 v56, v56
	v_sub_u32_e32 v56, 2, v56
	v_mul_f32_e32 v57, 0x3f490fdb, v57
	v_ldexp_f32 v56, v57, v56
	v_cmp_gt_f32_e64 s[0:1], s31, v56
	v_cndmask_b32_e64 v57, 1.0, v51, s[0:1]
	v_mul_f32_e32 v56, v56, v57
	v_log_f32_e32 v56, v56
	v_mul_f32_e32 v57, 0x3f317217, v56
	v_fma_f32 v58, v56, s33, -v57
	v_fmac_f32_e32 v58, 0x3377d1cf, v56
	v_add_f32_e32 v57, v57, v58
	v_cmp_lt_f32_e64 s[2:3], |v56|, s34
	v_cndmask_b32_e64 v56, v56, v57, s[2:3]
	v_cndmask_b32_e64 v57, 0, v52, s[0:1]
	v_sub_f32_e32 v56, v56, v57
	v_sub_f32_e32 v55, v56, v55
	v_floor_f32_e32 v56, v0
	v_sub_f32_e32 v56, v0, v56
	v_min_f32_e32 v56, 0x3f7fffff, v56
	v_cmp_neq_f32_e64 s[0:1], 0, v56
	v_cndmask_b32_e64 v55, v54, v55, s[0:1]
.LBB13_212:                             ;   in Loop: Header=BB13_177 Depth=1
	s_or_b64 exec, exec, s[6:7]
.LBB13_213:                             ;   in Loop: Header=BB13_177 Depth=1
	s_andn2_saveexec_b64 s[4:5], s[4:5]
; %bb.214:                              ;   in Loop: Header=BB13_177 Depth=1
	v_cmp_eq_f32_e64 s[0:1], 1.0, v0
	v_cmp_eq_f32_e64 s[2:3], 2.0, v0
	s_or_b64 s[0:1], s[0:1], s[2:3]
	v_cndmask_b32_e64 v55, v55, 0, s[0:1]
; %bb.215:                              ;   in Loop: Header=BB13_177 Depth=1
	s_or_b64 exec, exec, s[4:5]
	v_and_b32_e32 v57, 0x7fffffff, v1
	v_cmp_nlt_f32_e64 s[0:1], |v1|, s28
                                        ; implicit-def: $vgpr56
	s_and_saveexec_b64 s[2:3], s[0:1]
	s_xor_b64 s[4:5], exec, s[2:3]
	s_cbranch_execz .LBB13_245
; %bb.216:                              ;   in Loop: Header=BB13_177 Depth=1
	v_cmp_nlt_f32_e64 s[0:1], |v1|, 2.0
                                        ; implicit-def: $vgpr56
	s_and_saveexec_b64 s[2:3], s[0:1]
	s_xor_b64 s[6:7], exec, s[2:3]
	s_cbranch_execz .LBB13_226
; %bb.217:                              ;   in Loop: Header=BB13_177 Depth=1
	v_cmp_nlt_f32_e64 s[0:1], |v1|, s29
                                        ; implicit-def: $vgpr56
	s_and_saveexec_b64 s[2:3], s[0:1]
	s_xor_b64 s[8:9], exec, s[2:3]
	s_cbranch_execz .LBB13_223
; %bb.218:                              ;   in Loop: Header=BB13_177 Depth=1
	v_cmp_nlt_f32_e64 s[0:1], |v1|, s30
                                        ; implicit-def: $vgpr56
	s_and_saveexec_b64 s[2:3], s[0:1]
	s_xor_b64 s[16:17], exec, s[2:3]
	s_cbranch_execz .LBB13_220
; %bb.219:                              ;   in Loop: Header=BB13_177 Depth=1
	v_cmp_lt_f32_e64 s[0:1], |v1|, s31
	v_cndmask_b32_e64 v56, 1.0, v51, s[0:1]
	v_mul_f32_e64 v56, |v1|, v56
	v_log_f32_e32 v56, v56
	v_mul_f32_e32 v58, 0x3f317217, v56
	v_fma_f32 v59, v56, s33, -v58
	v_fmac_f32_e32 v59, 0x3377d1cf, v56
	v_add_f32_e32 v58, v58, v59
	v_cmp_lt_f32_e64 s[2:3], |v56|, s34
	v_cndmask_b32_e64 v56, v56, v58, s[2:3]
	v_cndmask_b32_e64 v58, 0, v52, s[0:1]
	v_sub_f32_e32 v56, v56, v58
	v_fma_f32 v56, |v1|, v56, -|v1|
.LBB13_220:                             ;   in Loop: Header=BB13_177 Depth=1
	s_andn2_saveexec_b64 s[16:17], s[16:17]
	s_cbranch_execz .LBB13_222
; %bb.221:                              ;   in Loop: Header=BB13_177 Depth=1
	v_rcp_f32_e64 v56, |v1|
	v_cmp_lt_f32_e64 s[0:1], |v1|, s31
	v_cndmask_b32_e64 v59, 1.0, v51, s[0:1]
	v_mov_b32_e32 v58, 0x3a5b3dd2
	v_mul_f32_e32 v60, v56, v56
	v_mul_f32_e64 v59, |v1|, v59
	v_fmac_f32_e32 v58, 0xbad5c4e8, v60
	v_log_f32_e32 v59, v59
	v_fma_f32 v58, v60, v58, v8
	v_fma_f32 v58, v60, v58, v9
	;; [unrolled: 1-line block ×4, first 2 shown]
	v_mul_f32_e32 v60, 0x3f317217, v59
	v_fma_f32 v61, v59, s33, -v60
	v_fmac_f32_e32 v61, 0x3377d1cf, v59
	v_add_f32_e32 v60, v60, v61
	v_cmp_lt_f32_e64 s[2:3], |v59|, s34
	v_cndmask_b32_e64 v59, v59, v60, s[2:3]
	v_cndmask_b32_e64 v60, 0, v52, s[0:1]
	v_sub_f32_e32 v59, v59, v60
	v_fma_f32 v56, v56, v58, v12
	v_add_f32_e64 v58, |v1|, -0.5
	v_add_f32_e32 v59, -1.0, v59
	v_fmac_f32_e32 v56, v58, v59
.LBB13_222:                             ;   in Loop: Header=BB13_177 Depth=1
	s_or_b64 exec, exec, s[16:17]
.LBB13_223:                             ;   in Loop: Header=BB13_177 Depth=1
	s_andn2_saveexec_b64 s[8:9], s[8:9]
	s_cbranch_execz .LBB13_225
; %bb.224:                              ;   in Loop: Header=BB13_177 Depth=1
	v_cvt_i32_f32_e32 v60, v57
	v_mov_b32_e32 v58, 0x3af135b4
	v_mov_b32_e32 v59, 0x3a4beed6
	v_cvt_f32_i32_e32 v56, v60
	v_cmp_lt_i32_e64 s[0:1], 3, v60
	v_sub_f32_e64 v56, |v1|, v56
	v_fmac_f32_e32 v58, 0x3805ff67, v56
	v_fmac_f32_e32 v59, 0x36f5d7bd, v56
	v_fma_f32 v58, v56, v58, v13
	v_fma_f32 v59, v56, v59, v18
	v_fma_f32 v58, v56, v58, v14
	v_fma_f32 v59, v56, v59, v19
	v_fma_f32 v58, v56, v58, v15
	v_fma_f32 v59, v56, v59, v20
	v_fma_f32 v58, v56, v58, v16
	v_fma_f32 v61, v56, v58, v17
	v_fma_f32 v58, v56, v59, v21
	v_fma_f32 v58, v56, v58, 1.0
	v_rcp_f32_e32 v62, v58
	v_pk_add_f32 v[58:59], v[56:57], s[12:13] op_sel_hi:[0,1]
	v_cndmask_b32_e64 v59, 1.0, v59, s[0:1]
	v_cmp_lt_i32_e64 s[0:1], 2, v60
	v_add_f32_e32 v63, 4.0, v56
	v_cndmask_b32_e64 v58, 1.0, v58, s[0:1]
	v_cmp_lt_i32_e64 s[0:1], 4, v60
	v_add_f32_e32 v64, 0x40a00000, v56
	v_mul_f32_e32 v58, v58, v59
	v_cndmask_b32_e64 v59, 1.0, v63, s[0:1]
	v_cmp_lt_i32_e64 s[0:1], 5, v60
	v_add_f32_e32 v65, 0x40c00000, v56
	v_mul_f32_e32 v58, v59, v58
	v_cndmask_b32_e64 v59, 1.0, v64, s[0:1]
	v_cmp_lt_i32_e64 s[0:1], 6, v60
	v_mul_f32_e32 v58, v59, v58
	v_cndmask_b32_e64 v59, 1.0, v65, s[0:1]
	v_mul_f32_e32 v58, v59, v58
	v_cmp_gt_f32_e64 s[0:1], s31, v58
	v_cndmask_b32_e64 v59, 1.0, v51, s[0:1]
	v_mul_f32_e32 v58, v58, v59
	v_log_f32_e32 v58, v58
	v_mul_f32_e32 v59, v56, v61
	v_mul_f32_e32 v59, v59, v62
	v_fmac_f32_e32 v59, 0.5, v56
	v_mul_f32_e32 v56, 0x3f317217, v58
	v_fma_f32 v60, v58, s33, -v56
	v_fmac_f32_e32 v60, 0x3377d1cf, v58
	v_add_f32_e32 v56, v56, v60
	v_cmp_lt_f32_e64 s[2:3], |v58|, s34
	v_cndmask_b32_e64 v56, v58, v56, s[2:3]
	v_cndmask_b32_e64 v58, 0, v52, s[0:1]
	v_sub_f32_e32 v56, v56, v58
	v_add_f32_e32 v56, v56, v59
.LBB13_225:                             ;   in Loop: Header=BB13_177 Depth=1
	s_or_b64 exec, exec, s[8:9]
.LBB13_226:                             ;   in Loop: Header=BB13_177 Depth=1
	s_andn2_saveexec_b64 s[2:3], s[6:7]
	s_cbranch_execz .LBB13_244
; %bb.227:                              ;   in Loop: Header=BB13_177 Depth=1
	v_cmp_le_f32_e64 s[0:1], |v1|, s35
                                        ; implicit-def: $vgpr56
                                        ; implicit-def: $vgpr59
                                        ; implicit-def: $vgpr58
	s_and_saveexec_b64 s[6:7], s[0:1]
	s_xor_b64 s[6:7], exec, s[6:7]
	s_cbranch_execz .LBB13_229
; %bb.228:                              ;   in Loop: Header=BB13_177 Depth=1
	v_cmp_lt_f32_e64 s[0:1], |v1|, s31
	v_cndmask_b32_e64 v56, 1.0, v51, s[0:1]
	v_mul_f32_e64 v56, |v1|, v56
	v_log_f32_e32 v56, v56
	v_cndmask_b32_e64 v58, 0, v52, s[0:1]
	v_mul_f32_e32 v59, 0x3f317217, v56
	v_fma_f32 v60, v56, s33, -v59
	v_fmac_f32_e32 v60, 0x3377d1cf, v56
	v_add_f32_e32 v59, v59, v60
	v_cmp_lt_f32_e64 s[0:1], |v56|, s34
	v_cndmask_b32_e64 v56, v56, v59, s[0:1]
	v_sub_f32_e32 v56, v56, v58
	v_sub_f32_e64 v58, 1.0, |v1|
	v_add_f32_e64 v59, |v1|, s37
	v_cmp_lt_f32_e64 s[0:1], |v1|, s36
	v_cndmask_b32_e64 v58, v58, v59, s[0:1]
	v_cndmask_b32_e64 v59, 0, 1, s[0:1]
	v_cmp_lt_f32_e64 s[0:1], |v1|, s38
	v_xor_b32_e32 v56, 0x80000000, v56
	v_cndmask_b32_e64 v58, v58, |v1|, s[0:1]
	v_cndmask_b32_e64 v59, v59, 2, s[0:1]
.LBB13_229:                             ;   in Loop: Header=BB13_177 Depth=1
	s_andn2_saveexec_b64 s[6:7], s[6:7]
; %bb.230:                              ;   in Loop: Header=BB13_177 Depth=1
	v_sub_f32_e64 v56, 2.0, |v1|
	v_add_f32_e64 v58, |v1|, s40
	v_cmp_lt_f32_e64 s[0:1], |v1|, s39
	v_cndmask_b32_e64 v58, v56, v58, s[0:1]
	v_cndmask_b32_e64 v56, v56, 1.0, s[0:1]
	v_cvt_i32_f32_e32 v56, v56
	v_add_f32_e64 v59, |v1|, -1.0
	v_cmp_lt_f32_e64 s[0:1], |v1|, s41
	v_cndmask_b32_e64 v58, v58, v59, s[0:1]
	v_cndmask_b32_e64 v59, v56, 2, s[0:1]
	v_mov_b32_e32 v56, 0
; %bb.231:                              ;   in Loop: Header=BB13_177 Depth=1
	s_or_b64 exec, exec, s[6:7]
	v_cmp_lt_i32_e64 s[0:1], 0, v59
	s_and_saveexec_b64 s[6:7], s[0:1]
	s_xor_b64 s[6:7], exec, s[6:7]
	s_cbranch_execz .LBB13_239
; %bb.232:                              ;   in Loop: Header=BB13_177 Depth=1
	v_cmp_lt_i32_e64 s[0:1], 1, v59
	s_and_saveexec_b64 s[8:9], s[0:1]
	s_xor_b64 s[8:9], exec, s[8:9]
	s_cbranch_execz .LBB13_236
; %bb.233:                              ;   in Loop: Header=BB13_177 Depth=1
	v_cmp_eq_u32_e64 s[0:1], 2, v59
	s_and_saveexec_b64 s[16:17], s[0:1]
	s_cbranch_execz .LBB13_235
; %bb.234:                              ;   in Loop: Header=BB13_177 Depth=1
	v_mov_b32_e32 v60, 0x3dd572af
	v_fmac_f32_e32 v60, 0x3b52d5db, v58
	v_fma_f32 v60, v58, v60, v25
	v_mov_b32_e32 v59, 0x3e6a7578
	v_fma_f32 v60, v58, v60, v26
	v_fmac_f32_e32 v59, 0x3c5b3c5e, v58
	v_fma_f32 v60, v58, v60, v27
	v_fma_f32 v59, v58, v59, v22
	v_fma_f32 v60, v58, v60, 1.0
	v_fma_f32 v59, v58, v59, v23
	v_rcp_f32_e32 v60, v60
	v_fma_f32 v59, v58, v59, v24
	v_fma_f32 v59, v58, v59, v17
	v_mul_f32_e32 v59, v58, v59
	v_mul_f32_e32 v59, v59, v60
	v_fmac_f32_e32 v59, -0.5, v58
	v_add_f32_e32 v56, v56, v59
.LBB13_235:                             ;   in Loop: Header=BB13_177 Depth=1
	s_or_b64 exec, exec, s[16:17]
                                        ; implicit-def: $vgpr58
.LBB13_236:                             ;   in Loop: Header=BB13_177 Depth=1
	s_andn2_saveexec_b64 s[0:1], s[8:9]
	s_cbranch_execz .LBB13_238
; %bb.237:                              ;   in Loop: Header=BB13_177 Depth=1
	v_mul_f32_e32 v59, v58, v58
	v_mul_f32_e32 v60, v58, v59
	v_mov_b32_e32 v62, 0x3a66f867
	v_mov_b32_e32 v63, 0xba0d3085
	v_fmac_f32_e32 v62, 0xb9a3f927, v60
	v_fmac_f32_e32 v63, 0x39afe9f7, v60
	v_mov_b32_e32 v61, 0xbab7f476
	v_fma_f32 v62, v60, v62, v31
	v_fma_f32 v63, v60, v63, v34
	v_fmac_f32_e32 v61, 0x39a57b6b, v60
	v_fma_f32 v62, v60, v62, v32
	v_fma_f32 v63, v60, v63, v35
	;; [unrolled: 1-line block ×6, first 2 shown]
	v_fmac_f32_e32 v62, v58, v63
	v_fma_f32 v61, v60, v61, v30
	v_fma_f32 v58, v60, -v62, s42
	v_fma_f32 v58, v59, v61, -v58
	v_add_f32_e32 v58, 0xbdf8cdce, v58
	v_add_f32_e32 v56, v56, v58
.LBB13_238:                             ;   in Loop: Header=BB13_177 Depth=1
	s_or_b64 exec, exec, s[0:1]
                                        ; implicit-def: $vgpr59
                                        ; implicit-def: $vgpr58
.LBB13_239:                             ;   in Loop: Header=BB13_177 Depth=1
	s_andn2_saveexec_b64 s[6:7], s[6:7]
	s_cbranch_execz .LBB13_243
; %bb.240:                              ;   in Loop: Header=BB13_177 Depth=1
	v_cmp_eq_u32_e64 s[0:1], 0, v59
	s_and_saveexec_b64 s[8:9], s[0:1]
	s_cbranch_execz .LBB13_242
; %bb.241:                              ;   in Loop: Header=BB13_177 Depth=1
	v_mul_f32_e32 v59, v58, v58
	v_mov_b32_e32 v61, 0x38e28445
	v_mov_b32_e32 v60, 0x39679767
	v_fmac_f32_e32 v61, 0x383c2c75, v59
	v_fmac_f32_e32 v60, 0x37d383a2, v59
	v_fma_f32 v61, v59, v61, v41
	v_fma_f32 v60, v59, v60, v37
	;; [unrolled: 1-line block ×8, first 2 shown]
	v_mul_f32_e32 v59, v59, v61
	v_fmac_f32_e32 v59, v58, v60
	v_fmac_f32_e32 v59, -0.5, v58
	v_add_f32_e32 v56, v56, v59
.LBB13_242:                             ;   in Loop: Header=BB13_177 Depth=1
	s_or_b64 exec, exec, s[8:9]
.LBB13_243:                             ;   in Loop: Header=BB13_177 Depth=1
	s_or_b64 exec, exec, s[6:7]
.LBB13_244:                             ;   in Loop: Header=BB13_177 Depth=1
	s_or_b64 exec, exec, s[2:3]
.LBB13_245:                             ;   in Loop: Header=BB13_177 Depth=1
	s_andn2_saveexec_b64 s[4:5], s[4:5]
	s_cbranch_execz .LBB13_247
; %bb.246:                              ;   in Loop: Header=BB13_177 Depth=1
	v_cmp_lt_f32_e64 s[0:1], |v1|, s31
	v_cndmask_b32_e64 v56, 1.0, v51, s[0:1]
	v_mul_f32_e64 v56, |v1|, v56
	v_log_f32_e32 v56, v56
	v_fma_f32 v58, |v1|, s43, v53
	v_fma_f32 v58, |v1|, v58, s44
	;; [unrolled: 1-line block ×3, first 2 shown]
	v_mul_f32_e32 v59, 0x3f317217, v56
	v_fma_f32 v60, v56, s33, -v59
	v_fmac_f32_e32 v60, 0x3377d1cf, v56
	v_add_f32_e32 v59, v59, v60
	v_cmp_lt_f32_e64 s[2:3], |v56|, s34
	v_cndmask_b32_e64 v56, v56, v59, s[2:3]
	v_cndmask_b32_e64 v59, 0, v52, s[0:1]
	v_sub_f32_e32 v56, v56, v59
	v_fma_f32 v56, |v1|, v58, -v56
.LBB13_247:                             ;   in Loop: Header=BB13_177 Depth=1
	s_or_b64 exec, exec, s[4:5]
	v_cmp_le_f32_e64 s[0:1], 0, v1
	v_cmp_nle_f32_e64 s[2:3], 0, v1
	s_and_saveexec_b64 s[4:5], s[2:3]
	s_xor_b64 s[6:7], exec, s[4:5]
	s_cbranch_execz .LBB13_251
; %bb.248:                              ;   in Loop: Header=BB13_177 Depth=1
	v_cmp_lt_f32_e64 s[2:3], |v1|, s46
	v_cmp_gt_f32_e64 s[4:5], |v1|, s47
	s_and_b64 s[2:3], s[2:3], s[4:5]
	s_and_saveexec_b64 s[8:9], s[2:3]
	s_cbranch_execz .LBB13_250
; %bb.249:                              ;   in Loop: Header=BB13_177 Depth=1
	v_mul_f32_e64 v58, |v1|, 0.5
	v_floor_f32_e32 v59, v58
	v_sub_f32_e32 v59, v58, v59
	v_min_f32_e32 v59, 0x3f7fffff, v59
	v_add_f32_e32 v59, v59, v59
	v_cmp_neq_f32_e64 s[2:3], s34, v58
	v_cndmask_b32_e64 v58, 0, v59, s[2:3]
	v_cmp_gt_f32_e64 s[2:3], |v1|, 1.0
	v_cndmask_b32_e64 v58, |v1|, v58, s[2:3]
	v_add_f32_e32 v59, v58, v58
	v_rndne_f32_e32 v59, v59
	v_fmac_f32_e32 v58, -0.5, v59
	v_mul_f32_e32 v60, v58, v58
	v_mov_b32_e32 v61, 0xbf1f24be
	v_fmac_f32_e32 v61, 0x3e75aa41, v60
	v_fma_f32 v61, v60, v61, v45
	v_fma_f32 v61, v60, v61, v46
	v_mul_f32_e32 v62, v58, v60
	v_mul_f32_e32 v61, v62, v61
	v_fmac_f32_e32 v61, 0x40490fdb, v58
	v_mov_b32_e32 v58, 0x3e642e9d
	v_cvt_i32_f32_e32 v59, v59
	v_fmac_f32_e32 v58, 0x3d4be544, v60
	v_fma_f32 v58, v60, v58, v47
	v_fma_f32 v58, v60, v58, v48
	v_fma_f32 v58, v60, v58, v49
	v_fma_f32 v58, v60, v58, 1.0
	v_and_b32_e32 v60, 1, v59
	v_lshlrev_b32_e32 v59, 30, v59
	v_cmp_eq_u32_e64 s[2:3], 0, v60
	v_and_b32_e32 v59, 0x80000000, v59
	v_xor_b32_e32 v57, v57, v1
	v_cndmask_b32_e64 v58, v58, v61, s[2:3]
	v_xor_b32_e32 v57, v57, v59
	v_xor_b32_e32 v57, v57, v58
	v_mul_f32_e32 v57, v1, v57
	v_frexp_mant_f32_e64 v58, |v57|
	v_rcp_f32_e32 v58, v58
	v_frexp_exp_i32_f32_e32 v57, v57
	v_sub_u32_e32 v57, 2, v57
	v_mul_f32_e32 v58, 0x3f490fdb, v58
	v_ldexp_f32 v57, v58, v57
	v_cmp_gt_f32_e64 s[2:3], s31, v57
	v_cndmask_b32_e64 v58, 1.0, v51, s[2:3]
	v_mul_f32_e32 v57, v57, v58
	v_log_f32_e32 v57, v57
	v_mul_f32_e32 v58, 0x3f317217, v57
	v_fma_f32 v59, v57, s33, -v58
	v_fmac_f32_e32 v59, 0x3377d1cf, v57
	v_add_f32_e32 v58, v58, v59
	v_cmp_lt_f32_e64 s[4:5], |v57|, s34
	v_cndmask_b32_e64 v57, v57, v58, s[4:5]
	v_cndmask_b32_e64 v58, 0, v52, s[2:3]
	v_sub_f32_e32 v57, v57, v58
	v_sub_f32_e32 v56, v57, v56
	v_floor_f32_e32 v57, v1
	v_sub_f32_e32 v57, v1, v57
	v_min_f32_e32 v57, 0x3f7fffff, v57
	v_cmp_neq_f32_e64 s[2:3], 0, v57
	v_cndmask_b32_e64 v56, v54, v56, s[2:3]
.LBB13_250:                             ;   in Loop: Header=BB13_177 Depth=1
	s_or_b64 exec, exec, s[8:9]
.LBB13_251:                             ;   in Loop: Header=BB13_177 Depth=1
	s_andn2_saveexec_b64 s[6:7], s[6:7]
; %bb.252:                              ;   in Loop: Header=BB13_177 Depth=1
	v_cmp_eq_f32_e64 s[2:3], 1.0, v1
	v_cmp_eq_f32_e64 s[4:5], 2.0, v1
	s_or_b64 s[2:3], s[2:3], s[4:5]
	v_cndmask_b32_e64 v56, v56, 0, s[2:3]
; %bb.253:                              ;   in Loop: Header=BB13_177 Depth=1
	s_or_b64 exec, exec, s[6:7]
	v_and_b32_e32 v58, 0x7fffffff, v2
	v_cmp_nlt_f32_e64 s[2:3], |v2|, s28
                                        ; implicit-def: $vgpr57
	s_and_saveexec_b64 s[4:5], s[2:3]
	s_xor_b64 s[6:7], exec, s[4:5]
	s_cbranch_execz .LBB13_283
; %bb.254:                              ;   in Loop: Header=BB13_177 Depth=1
	v_cmp_nlt_f32_e64 s[2:3], |v2|, 2.0
                                        ; implicit-def: $vgpr57
	s_and_saveexec_b64 s[4:5], s[2:3]
	s_xor_b64 s[8:9], exec, s[4:5]
	s_cbranch_execz .LBB13_264
; %bb.255:                              ;   in Loop: Header=BB13_177 Depth=1
	v_cmp_nlt_f32_e64 s[2:3], |v2|, s29
                                        ; implicit-def: $vgpr57
	s_and_saveexec_b64 s[4:5], s[2:3]
	s_xor_b64 s[16:17], exec, s[4:5]
	s_cbranch_execz .LBB13_261
; %bb.256:                              ;   in Loop: Header=BB13_177 Depth=1
	v_cmp_nlt_f32_e64 s[2:3], |v2|, s30
                                        ; implicit-def: $vgpr57
	s_and_saveexec_b64 s[4:5], s[2:3]
	s_xor_b64 s[18:19], exec, s[4:5]
	s_cbranch_execz .LBB13_258
; %bb.257:                              ;   in Loop: Header=BB13_177 Depth=1
	v_cmp_lt_f32_e64 s[2:3], |v2|, s31
	v_cndmask_b32_e64 v57, 1.0, v51, s[2:3]
	v_mul_f32_e64 v57, |v2|, v57
	v_log_f32_e32 v57, v57
	v_mul_f32_e32 v59, 0x3f317217, v57
	v_fma_f32 v60, v57, s33, -v59
	v_fmac_f32_e32 v60, 0x3377d1cf, v57
	v_add_f32_e32 v59, v59, v60
	v_cmp_lt_f32_e64 s[4:5], |v57|, s34
	v_cndmask_b32_e64 v57, v57, v59, s[4:5]
	v_cndmask_b32_e64 v59, 0, v52, s[2:3]
	v_sub_f32_e32 v57, v57, v59
	v_fma_f32 v57, |v2|, v57, -|v2|
.LBB13_258:                             ;   in Loop: Header=BB13_177 Depth=1
	s_andn2_saveexec_b64 s[18:19], s[18:19]
	s_cbranch_execz .LBB13_260
; %bb.259:                              ;   in Loop: Header=BB13_177 Depth=1
	v_rcp_f32_e64 v57, |v2|
	v_cmp_lt_f32_e64 s[2:3], |v2|, s31
	v_cndmask_b32_e64 v60, 1.0, v51, s[2:3]
	v_mov_b32_e32 v59, 0x3a5b3dd2
	v_mul_f32_e32 v61, v57, v57
	v_mul_f32_e64 v60, |v2|, v60
	v_fmac_f32_e32 v59, 0xbad5c4e8, v61
	v_log_f32_e32 v60, v60
	v_fma_f32 v59, v61, v59, v8
	v_fma_f32 v59, v61, v59, v9
	;; [unrolled: 1-line block ×4, first 2 shown]
	v_mul_f32_e32 v61, 0x3f317217, v60
	v_fma_f32 v62, v60, s33, -v61
	v_fmac_f32_e32 v62, 0x3377d1cf, v60
	v_add_f32_e32 v61, v61, v62
	v_cmp_lt_f32_e64 s[4:5], |v60|, s34
	v_cndmask_b32_e64 v60, v60, v61, s[4:5]
	v_cndmask_b32_e64 v61, 0, v52, s[2:3]
	v_sub_f32_e32 v60, v60, v61
	v_fma_f32 v57, v57, v59, v12
	v_add_f32_e64 v59, |v2|, -0.5
	v_add_f32_e32 v60, -1.0, v60
	v_fmac_f32_e32 v57, v59, v60
.LBB13_260:                             ;   in Loop: Header=BB13_177 Depth=1
	s_or_b64 exec, exec, s[18:19]
.LBB13_261:                             ;   in Loop: Header=BB13_177 Depth=1
	s_andn2_saveexec_b64 s[16:17], s[16:17]
	s_cbranch_execz .LBB13_263
; %bb.262:                              ;   in Loop: Header=BB13_177 Depth=1
	v_cvt_i32_f32_e32 v57, v58
	v_mov_b32_e32 v61, 0x3af135b4
	v_mov_b32_e32 v62, 0x3a4beed6
	v_cvt_f32_i32_e32 v59, v57
	v_cmp_lt_i32_e64 s[2:3], 3, v57
	v_sub_f32_e64 v60, |v2|, v59
	v_fmac_f32_e32 v61, 0x3805ff67, v60
	v_fmac_f32_e32 v62, 0x36f5d7bd, v60
	v_fma_f32 v59, v60, v61, v13
	v_fma_f32 v61, v60, v62, v18
	;; [unrolled: 1-line block ×5, first 2 shown]
	v_fma_f32 v61, v60, v61, 1.0
	v_rcp_f32_e32 v61, v61
	v_add_f32_e32 v64, 4.0, v60
	v_add_f32_e32 v65, 0x40a00000, v60
	v_add_f32_e32 v66, 0x40c00000, v60
	v_pk_add_f32 v[62:63], v[60:61], s[12:13] op_sel_hi:[0,1]
	v_cndmask_b32_e64 v63, 1.0, v63, s[2:3]
	v_cmp_lt_i32_e64 s[2:3], 2, v57
	v_cndmask_b32_e64 v62, 1.0, v62, s[2:3]
	v_cmp_lt_i32_e64 s[2:3], 4, v57
	v_mul_f32_e32 v62, v62, v63
	v_cndmask_b32_e64 v63, 1.0, v64, s[2:3]
	v_cmp_lt_i32_e64 s[2:3], 5, v57
	v_mul_f32_e32 v62, v63, v62
	;; [unrolled: 3-line block ×3, first 2 shown]
	v_cndmask_b32_e64 v57, 1.0, v66, s[2:3]
	v_mul_f32_e32 v57, v57, v62
	v_cmp_gt_f32_e64 s[2:3], s31, v57
	v_fma_f32 v59, v60, v59, v14
	v_cndmask_b32_e64 v62, 1.0, v51, s[2:3]
	v_fma_f32 v59, v60, v59, v15
	v_mul_f32_e32 v57, v57, v62
	v_fma_f32 v59, v60, v59, v16
	v_log_f32_e32 v57, v57
	v_fma_f32 v59, v60, v59, v17
	v_mul_f32_e32 v59, v60, v59
	v_mul_f32_e32 v59, v59, v61
	v_fmac_f32_e32 v59, 0.5, v60
	v_mul_f32_e32 v60, 0x3f317217, v57
	v_fma_f32 v61, v57, s33, -v60
	v_fmac_f32_e32 v61, 0x3377d1cf, v57
	v_add_f32_e32 v60, v60, v61
	v_cmp_lt_f32_e64 s[4:5], |v57|, s34
	v_cndmask_b32_e64 v57, v57, v60, s[4:5]
	v_cndmask_b32_e64 v60, 0, v52, s[2:3]
	v_sub_f32_e32 v57, v57, v60
	v_add_f32_e32 v57, v57, v59
.LBB13_263:                             ;   in Loop: Header=BB13_177 Depth=1
	s_or_b64 exec, exec, s[16:17]
.LBB13_264:                             ;   in Loop: Header=BB13_177 Depth=1
	s_andn2_saveexec_b64 s[4:5], s[8:9]
	s_cbranch_execz .LBB13_282
; %bb.265:                              ;   in Loop: Header=BB13_177 Depth=1
	v_cmp_le_f32_e64 s[2:3], |v2|, s35
                                        ; implicit-def: $vgpr57
                                        ; implicit-def: $vgpr60
                                        ; implicit-def: $vgpr59
	s_and_saveexec_b64 s[8:9], s[2:3]
	s_xor_b64 s[8:9], exec, s[8:9]
	s_cbranch_execz .LBB13_267
; %bb.266:                              ;   in Loop: Header=BB13_177 Depth=1
	v_cmp_lt_f32_e64 s[2:3], |v2|, s31
	v_cndmask_b32_e64 v57, 1.0, v51, s[2:3]
	v_mul_f32_e64 v57, |v2|, v57
	v_log_f32_e32 v57, v57
	v_cndmask_b32_e64 v59, 0, v52, s[2:3]
	v_mul_f32_e32 v60, 0x3f317217, v57
	v_fma_f32 v61, v57, s33, -v60
	v_fmac_f32_e32 v61, 0x3377d1cf, v57
	v_add_f32_e32 v60, v60, v61
	v_cmp_lt_f32_e64 s[2:3], |v57|, s34
	v_cndmask_b32_e64 v57, v57, v60, s[2:3]
	v_sub_f32_e32 v57, v57, v59
	v_sub_f32_e64 v59, 1.0, |v2|
	v_add_f32_e64 v60, |v2|, s37
	v_cmp_lt_f32_e64 s[2:3], |v2|, s36
	v_cndmask_b32_e64 v59, v59, v60, s[2:3]
	v_cndmask_b32_e64 v60, 0, 1, s[2:3]
	v_cmp_lt_f32_e64 s[2:3], |v2|, s38
	v_xor_b32_e32 v57, 0x80000000, v57
	v_cndmask_b32_e64 v59, v59, |v2|, s[2:3]
	v_cndmask_b32_e64 v60, v60, 2, s[2:3]
.LBB13_267:                             ;   in Loop: Header=BB13_177 Depth=1
	s_andn2_saveexec_b64 s[8:9], s[8:9]
; %bb.268:                              ;   in Loop: Header=BB13_177 Depth=1
	v_sub_f32_e64 v57, 2.0, |v2|
	v_add_f32_e64 v59, |v2|, s40
	v_cmp_lt_f32_e64 s[2:3], |v2|, s39
	v_cndmask_b32_e64 v59, v57, v59, s[2:3]
	v_cndmask_b32_e64 v57, v57, 1.0, s[2:3]
	v_cvt_i32_f32_e32 v57, v57
	v_add_f32_e64 v60, |v2|, -1.0
	v_cmp_lt_f32_e64 s[2:3], |v2|, s41
	v_cndmask_b32_e64 v59, v59, v60, s[2:3]
	v_cndmask_b32_e64 v60, v57, 2, s[2:3]
	v_mov_b32_e32 v57, 0
; %bb.269:                              ;   in Loop: Header=BB13_177 Depth=1
	s_or_b64 exec, exec, s[8:9]
	v_cmp_lt_i32_e64 s[2:3], 0, v60
	s_and_saveexec_b64 s[8:9], s[2:3]
	s_xor_b64 s[8:9], exec, s[8:9]
	s_cbranch_execz .LBB13_277
; %bb.270:                              ;   in Loop: Header=BB13_177 Depth=1
	v_cmp_lt_i32_e64 s[2:3], 1, v60
	s_and_saveexec_b64 s[16:17], s[2:3]
	s_xor_b64 s[16:17], exec, s[16:17]
	s_cbranch_execz .LBB13_274
; %bb.271:                              ;   in Loop: Header=BB13_177 Depth=1
	v_cmp_eq_u32_e64 s[2:3], 2, v60
	s_and_saveexec_b64 s[18:19], s[2:3]
	s_cbranch_execz .LBB13_273
; %bb.272:                              ;   in Loop: Header=BB13_177 Depth=1
	v_mov_b32_e32 v61, 0x3dd572af
	v_fmac_f32_e32 v61, 0x3b52d5db, v59
	v_fma_f32 v61, v59, v61, v25
	v_mov_b32_e32 v60, 0x3e6a7578
	v_fma_f32 v61, v59, v61, v26
	v_fmac_f32_e32 v60, 0x3c5b3c5e, v59
	v_fma_f32 v61, v59, v61, v27
	v_fma_f32 v60, v59, v60, v22
	v_fma_f32 v61, v59, v61, 1.0
	v_fma_f32 v60, v59, v60, v23
	v_rcp_f32_e32 v61, v61
	v_fma_f32 v60, v59, v60, v24
	v_fma_f32 v60, v59, v60, v17
	v_mul_f32_e32 v60, v59, v60
	v_mul_f32_e32 v60, v60, v61
	v_fmac_f32_e32 v60, -0.5, v59
	v_add_f32_e32 v57, v57, v60
.LBB13_273:                             ;   in Loop: Header=BB13_177 Depth=1
	s_or_b64 exec, exec, s[18:19]
                                        ; implicit-def: $vgpr59
.LBB13_274:                             ;   in Loop: Header=BB13_177 Depth=1
	s_andn2_saveexec_b64 s[2:3], s[16:17]
	s_cbranch_execz .LBB13_276
; %bb.275:                              ;   in Loop: Header=BB13_177 Depth=1
	v_mul_f32_e32 v60, v59, v59
	v_mul_f32_e32 v61, v59, v60
	v_mov_b32_e32 v63, 0x3a66f867
	v_mov_b32_e32 v64, 0xba0d3085
	v_fmac_f32_e32 v63, 0xb9a3f927, v61
	v_fmac_f32_e32 v64, 0x39afe9f7, v61
	v_mov_b32_e32 v62, 0xbab7f476
	v_fma_f32 v63, v61, v63, v31
	v_fma_f32 v64, v61, v64, v34
	v_fmac_f32_e32 v62, 0x39a57b6b, v61
	v_fma_f32 v63, v61, v63, v32
	v_fma_f32 v64, v61, v64, v35
	;; [unrolled: 1-line block ×6, first 2 shown]
	v_fmac_f32_e32 v63, v59, v64
	v_fma_f32 v62, v61, v62, v30
	v_fma_f32 v59, v61, -v63, s42
	v_fma_f32 v59, v60, v62, -v59
	v_add_f32_e32 v59, 0xbdf8cdce, v59
	v_add_f32_e32 v57, v57, v59
.LBB13_276:                             ;   in Loop: Header=BB13_177 Depth=1
	s_or_b64 exec, exec, s[2:3]
                                        ; implicit-def: $vgpr60
                                        ; implicit-def: $vgpr59
.LBB13_277:                             ;   in Loop: Header=BB13_177 Depth=1
	s_andn2_saveexec_b64 s[8:9], s[8:9]
	s_cbranch_execz .LBB13_281
; %bb.278:                              ;   in Loop: Header=BB13_177 Depth=1
	v_cmp_eq_u32_e64 s[2:3], 0, v60
	s_and_saveexec_b64 s[16:17], s[2:3]
	s_cbranch_execz .LBB13_280
; %bb.279:                              ;   in Loop: Header=BB13_177 Depth=1
	v_mul_f32_e32 v60, v59, v59
	v_mov_b32_e32 v62, 0x38e28445
	v_mov_b32_e32 v61, 0x39679767
	v_fmac_f32_e32 v62, 0x383c2c75, v60
	v_fmac_f32_e32 v61, 0x37d383a2, v60
	v_fma_f32 v62, v60, v62, v41
	v_fma_f32 v61, v60, v61, v37
	;; [unrolled: 1-line block ×8, first 2 shown]
	v_mul_f32_e32 v60, v60, v62
	v_fmac_f32_e32 v60, v59, v61
	v_fmac_f32_e32 v60, -0.5, v59
	v_add_f32_e32 v57, v57, v60
.LBB13_280:                             ;   in Loop: Header=BB13_177 Depth=1
	s_or_b64 exec, exec, s[16:17]
.LBB13_281:                             ;   in Loop: Header=BB13_177 Depth=1
	s_or_b64 exec, exec, s[8:9]
.LBB13_282:                             ;   in Loop: Header=BB13_177 Depth=1
	s_or_b64 exec, exec, s[4:5]
.LBB13_283:                             ;   in Loop: Header=BB13_177 Depth=1
	s_andn2_saveexec_b64 s[6:7], s[6:7]
	s_cbranch_execz .LBB13_285
; %bb.284:                              ;   in Loop: Header=BB13_177 Depth=1
	v_cmp_lt_f32_e64 s[2:3], |v2|, s31
	v_cndmask_b32_e64 v57, 1.0, v51, s[2:3]
	v_mul_f32_e64 v57, |v2|, v57
	v_log_f32_e32 v57, v57
	v_fma_f32 v59, |v2|, s43, v53
	v_fma_f32 v59, |v2|, v59, s44
	;; [unrolled: 1-line block ×3, first 2 shown]
	v_mul_f32_e32 v60, 0x3f317217, v57
	v_fma_f32 v61, v57, s33, -v60
	v_fmac_f32_e32 v61, 0x3377d1cf, v57
	v_add_f32_e32 v60, v60, v61
	v_cmp_lt_f32_e64 s[4:5], |v57|, s34
	v_cndmask_b32_e64 v57, v57, v60, s[4:5]
	v_cndmask_b32_e64 v60, 0, v52, s[2:3]
	v_sub_f32_e32 v57, v57, v60
	v_fma_f32 v57, |v2|, v59, -v57
.LBB13_285:                             ;   in Loop: Header=BB13_177 Depth=1
	s_or_b64 exec, exec, s[6:7]
	v_cmp_le_f32_e64 s[2:3], 0, v2
	v_cmp_nle_f32_e64 s[4:5], 0, v2
	s_and_saveexec_b64 s[6:7], s[4:5]
	s_xor_b64 s[8:9], exec, s[6:7]
	s_cbranch_execz .LBB13_289
; %bb.286:                              ;   in Loop: Header=BB13_177 Depth=1
	v_cmp_lt_f32_e64 s[4:5], |v2|, s46
	v_cmp_gt_f32_e64 s[6:7], |v2|, s47
	s_and_b64 s[4:5], s[4:5], s[6:7]
	s_and_saveexec_b64 s[16:17], s[4:5]
	s_cbranch_execz .LBB13_288
; %bb.287:                              ;   in Loop: Header=BB13_177 Depth=1
	v_mul_f32_e64 v59, |v2|, 0.5
	v_floor_f32_e32 v60, v59
	v_sub_f32_e32 v60, v59, v60
	v_min_f32_e32 v60, 0x3f7fffff, v60
	v_add_f32_e32 v60, v60, v60
	v_cmp_neq_f32_e64 s[4:5], s34, v59
	v_cndmask_b32_e64 v59, 0, v60, s[4:5]
	v_cmp_gt_f32_e64 s[4:5], |v2|, 1.0
	v_cndmask_b32_e64 v59, |v2|, v59, s[4:5]
	v_add_f32_e32 v60, v59, v59
	v_rndne_f32_e32 v60, v60
	v_fmac_f32_e32 v59, -0.5, v60
	v_mul_f32_e32 v61, v59, v59
	v_mov_b32_e32 v62, 0xbf1f24be
	v_fmac_f32_e32 v62, 0x3e75aa41, v61
	v_fma_f32 v62, v61, v62, v45
	v_fma_f32 v62, v61, v62, v46
	v_mul_f32_e32 v63, v59, v61
	v_mul_f32_e32 v62, v63, v62
	v_fmac_f32_e32 v62, 0x40490fdb, v59
	v_mov_b32_e32 v59, 0x3e642e9d
	v_cvt_i32_f32_e32 v60, v60
	v_fmac_f32_e32 v59, 0x3d4be544, v61
	v_fma_f32 v59, v61, v59, v47
	v_fma_f32 v59, v61, v59, v48
	;; [unrolled: 1-line block ×3, first 2 shown]
	v_fma_f32 v59, v61, v59, 1.0
	v_and_b32_e32 v61, 1, v60
	v_lshlrev_b32_e32 v60, 30, v60
	v_cmp_eq_u32_e64 s[4:5], 0, v61
	v_and_b32_e32 v60, 0x80000000, v60
	v_xor_b32_e32 v58, v58, v2
	v_cndmask_b32_e64 v59, v59, v62, s[4:5]
	v_xor_b32_e32 v58, v58, v60
	v_xor_b32_e32 v58, v58, v59
	v_mul_f32_e32 v58, v2, v58
	v_frexp_mant_f32_e64 v59, |v58|
	v_rcp_f32_e32 v59, v59
	v_frexp_exp_i32_f32_e32 v58, v58
	v_sub_u32_e32 v58, 2, v58
	v_mul_f32_e32 v59, 0x3f490fdb, v59
	v_ldexp_f32 v58, v59, v58
	v_cmp_gt_f32_e64 s[4:5], s31, v58
	v_cndmask_b32_e64 v59, 1.0, v51, s[4:5]
	v_mul_f32_e32 v58, v58, v59
	v_log_f32_e32 v58, v58
	v_mul_f32_e32 v59, 0x3f317217, v58
	v_fma_f32 v60, v58, s33, -v59
	v_fmac_f32_e32 v60, 0x3377d1cf, v58
	v_add_f32_e32 v59, v59, v60
	v_cmp_lt_f32_e64 s[6:7], |v58|, s34
	v_cndmask_b32_e64 v58, v58, v59, s[6:7]
	v_cndmask_b32_e64 v59, 0, v52, s[4:5]
	v_sub_f32_e32 v58, v58, v59
	v_sub_f32_e32 v57, v58, v57
	v_floor_f32_e32 v58, v2
	v_sub_f32_e32 v58, v2, v58
	v_min_f32_e32 v58, 0x3f7fffff, v58
	v_cmp_neq_f32_e64 s[4:5], 0, v58
	v_cndmask_b32_e64 v57, v54, v57, s[4:5]
.LBB13_288:                             ;   in Loop: Header=BB13_177 Depth=1
	s_or_b64 exec, exec, s[16:17]
.LBB13_289:                             ;   in Loop: Header=BB13_177 Depth=1
	s_andn2_saveexec_b64 s[8:9], s[8:9]
; %bb.290:                              ;   in Loop: Header=BB13_177 Depth=1
	v_cmp_eq_f32_e64 s[4:5], 1.0, v2
	v_cmp_eq_f32_e64 s[6:7], 2.0, v2
	s_or_b64 s[4:5], s[4:5], s[6:7]
	v_cndmask_b32_e64 v57, v57, 0, s[4:5]
; %bb.291:                              ;   in Loop: Header=BB13_177 Depth=1
	s_or_b64 exec, exec, s[8:9]
	v_and_b32_e32 v58, 0x7fffffff, v3
	v_cmp_nlt_f32_e64 s[4:5], |v3|, s28
                                        ; implicit-def: $vgpr59
	s_and_saveexec_b64 s[6:7], s[4:5]
	s_xor_b64 s[8:9], exec, s[6:7]
	s_cbranch_execz .LBB13_321
; %bb.292:                              ;   in Loop: Header=BB13_177 Depth=1
	v_cmp_nlt_f32_e64 s[4:5], |v3|, 2.0
                                        ; implicit-def: $vgpr59
	s_and_saveexec_b64 s[6:7], s[4:5]
	s_xor_b64 s[16:17], exec, s[6:7]
	s_cbranch_execz .LBB13_302
; %bb.293:                              ;   in Loop: Header=BB13_177 Depth=1
	v_cmp_nlt_f32_e64 s[4:5], |v3|, s29
                                        ; implicit-def: $vgpr59
	s_and_saveexec_b64 s[6:7], s[4:5]
	s_xor_b64 s[18:19], exec, s[6:7]
	s_cbranch_execz .LBB13_299
; %bb.294:                              ;   in Loop: Header=BB13_177 Depth=1
	v_cmp_nlt_f32_e64 s[4:5], |v3|, s30
                                        ; implicit-def: $vgpr59
	s_and_saveexec_b64 s[6:7], s[4:5]
	s_xor_b64 s[22:23], exec, s[6:7]
	s_cbranch_execz .LBB13_296
; %bb.295:                              ;   in Loop: Header=BB13_177 Depth=1
	v_cmp_lt_f32_e64 s[4:5], |v3|, s31
	v_cndmask_b32_e64 v59, 1.0, v51, s[4:5]
	v_mul_f32_e64 v59, |v3|, v59
	v_log_f32_e32 v59, v59
	v_mul_f32_e32 v60, 0x3f317217, v59
	v_fma_f32 v61, v59, s33, -v60
	v_fmac_f32_e32 v61, 0x3377d1cf, v59
	v_add_f32_e32 v60, v60, v61
	v_cmp_lt_f32_e64 s[6:7], |v59|, s34
	v_cndmask_b32_e64 v59, v59, v60, s[6:7]
	v_cndmask_b32_e64 v60, 0, v52, s[4:5]
	v_sub_f32_e32 v59, v59, v60
	v_fma_f32 v59, |v3|, v59, -|v3|
.LBB13_296:                             ;   in Loop: Header=BB13_177 Depth=1
	s_andn2_saveexec_b64 s[22:23], s[22:23]
	s_cbranch_execz .LBB13_298
; %bb.297:                              ;   in Loop: Header=BB13_177 Depth=1
	v_rcp_f32_e64 v59, |v3|
	v_cmp_lt_f32_e64 s[4:5], |v3|, s31
	v_cndmask_b32_e64 v61, 1.0, v51, s[4:5]
	v_mov_b32_e32 v60, 0x3a5b3dd2
	v_mul_f32_e32 v62, v59, v59
	v_mul_f32_e64 v61, |v3|, v61
	v_fmac_f32_e32 v60, 0xbad5c4e8, v62
	v_log_f32_e32 v61, v61
	v_fma_f32 v60, v62, v60, v8
	v_fma_f32 v60, v62, v60, v9
	;; [unrolled: 1-line block ×4, first 2 shown]
	v_mul_f32_e32 v62, 0x3f317217, v61
	v_fma_f32 v63, v61, s33, -v62
	v_fmac_f32_e32 v63, 0x3377d1cf, v61
	v_add_f32_e32 v62, v62, v63
	v_cmp_lt_f32_e64 s[6:7], |v61|, s34
	v_cndmask_b32_e64 v61, v61, v62, s[6:7]
	v_cndmask_b32_e64 v62, 0, v52, s[4:5]
	v_sub_f32_e32 v61, v61, v62
	v_fma_f32 v59, v59, v60, v12
	v_add_f32_e64 v60, |v3|, -0.5
	v_add_f32_e32 v61, -1.0, v61
	v_fmac_f32_e32 v59, v60, v61
.LBB13_298:                             ;   in Loop: Header=BB13_177 Depth=1
	s_or_b64 exec, exec, s[22:23]
.LBB13_299:                             ;   in Loop: Header=BB13_177 Depth=1
	s_andn2_saveexec_b64 s[18:19], s[18:19]
	s_cbranch_execz .LBB13_301
; %bb.300:                              ;   in Loop: Header=BB13_177 Depth=1
	v_cvt_i32_f32_e32 v59, v58
	v_mov_b32_e32 v61, 0x3af135b4
	v_mov_b32_e32 v62, 0x3a4beed6
	v_cvt_f32_i32_e32 v60, v59
	v_cmp_lt_i32_e64 s[4:5], 3, v59
	v_sub_f32_e64 v60, |v3|, v60
	v_fmac_f32_e32 v61, 0x3805ff67, v60
	v_fmac_f32_e32 v62, 0x36f5d7bd, v60
	v_fma_f32 v61, v60, v61, v13
	v_fma_f32 v62, v60, v62, v18
	v_fma_f32 v61, v60, v61, v14
	v_fma_f32 v62, v60, v62, v19
	v_fma_f32 v61, v60, v61, v15
	v_fma_f32 v62, v60, v62, v20
	v_fma_f32 v61, v60, v61, v16
	v_fma_f32 v62, v60, v62, v21
	v_fma_f32 v61, v60, v61, v17
	v_fma_f32 v62, v60, v62, 1.0
	v_rcp_f32_e32 v64, v62
	v_pk_add_f32 v[62:63], v[60:61], s[12:13] op_sel_hi:[0,1]
	v_cndmask_b32_e64 v63, 1.0, v63, s[4:5]
	v_cmp_lt_i32_e64 s[4:5], 2, v59
	v_add_f32_e32 v65, 4.0, v60
	v_cndmask_b32_e64 v62, 1.0, v62, s[4:5]
	v_cmp_lt_i32_e64 s[4:5], 4, v59
	v_add_f32_e32 v66, 0x40a00000, v60
	v_mul_f32_e32 v62, v62, v63
	v_cndmask_b32_e64 v63, 1.0, v65, s[4:5]
	v_cmp_lt_i32_e64 s[4:5], 5, v59
	v_add_f32_e32 v67, 0x40c00000, v60
	v_mul_f32_e32 v62, v63, v62
	v_cndmask_b32_e64 v63, 1.0, v66, s[4:5]
	v_cmp_lt_i32_e64 s[4:5], 6, v59
	v_mul_f32_e32 v62, v63, v62
	v_cndmask_b32_e64 v59, 1.0, v67, s[4:5]
	v_mul_f32_e32 v59, v59, v62
	v_cmp_gt_f32_e64 s[4:5], s31, v59
	v_cndmask_b32_e64 v62, 1.0, v51, s[4:5]
	v_mul_f32_e32 v59, v59, v62
	v_log_f32_e32 v59, v59
	v_mul_f32_e32 v61, v60, v61
	v_mul_f32_e32 v61, v61, v64
	v_fmac_f32_e32 v61, 0.5, v60
	v_mul_f32_e32 v60, 0x3f317217, v59
	v_fma_f32 v62, v59, s33, -v60
	v_fmac_f32_e32 v62, 0x3377d1cf, v59
	v_add_f32_e32 v60, v60, v62
	v_cmp_lt_f32_e64 s[6:7], |v59|, s34
	v_cndmask_b32_e64 v59, v59, v60, s[6:7]
	v_cndmask_b32_e64 v60, 0, v52, s[4:5]
	v_sub_f32_e32 v59, v59, v60
	v_add_f32_e32 v59, v59, v61
.LBB13_301:                             ;   in Loop: Header=BB13_177 Depth=1
	s_or_b64 exec, exec, s[18:19]
.LBB13_302:                             ;   in Loop: Header=BB13_177 Depth=1
	s_andn2_saveexec_b64 s[6:7], s[16:17]
	s_cbranch_execz .LBB13_320
; %bb.303:                              ;   in Loop: Header=BB13_177 Depth=1
	v_cmp_le_f32_e64 s[4:5], |v3|, s35
                                        ; implicit-def: $vgpr59
                                        ; implicit-def: $vgpr61
                                        ; implicit-def: $vgpr60
	s_and_saveexec_b64 s[16:17], s[4:5]
	s_xor_b64 s[16:17], exec, s[16:17]
	s_cbranch_execz .LBB13_305
; %bb.304:                              ;   in Loop: Header=BB13_177 Depth=1
	v_cmp_lt_f32_e64 s[4:5], |v3|, s31
	v_cndmask_b32_e64 v59, 1.0, v51, s[4:5]
	v_mul_f32_e64 v59, |v3|, v59
	v_log_f32_e32 v59, v59
	v_cndmask_b32_e64 v60, 0, v52, s[4:5]
	v_mul_f32_e32 v61, 0x3f317217, v59
	v_fma_f32 v62, v59, s33, -v61
	v_fmac_f32_e32 v62, 0x3377d1cf, v59
	v_add_f32_e32 v61, v61, v62
	v_cmp_lt_f32_e64 s[4:5], |v59|, s34
	v_cndmask_b32_e64 v59, v59, v61, s[4:5]
	v_sub_f32_e32 v59, v59, v60
	v_sub_f32_e64 v60, 1.0, |v3|
	v_add_f32_e64 v61, |v3|, s37
	v_cmp_lt_f32_e64 s[4:5], |v3|, s36
	v_cndmask_b32_e64 v60, v60, v61, s[4:5]
	v_cndmask_b32_e64 v61, 0, 1, s[4:5]
	v_cmp_lt_f32_e64 s[4:5], |v3|, s38
	v_xor_b32_e32 v59, 0x80000000, v59
	v_cndmask_b32_e64 v60, v60, |v3|, s[4:5]
	v_cndmask_b32_e64 v61, v61, 2, s[4:5]
.LBB13_305:                             ;   in Loop: Header=BB13_177 Depth=1
	s_andn2_saveexec_b64 s[16:17], s[16:17]
; %bb.306:                              ;   in Loop: Header=BB13_177 Depth=1
	v_sub_f32_e64 v59, 2.0, |v3|
	v_add_f32_e64 v60, |v3|, s40
	v_cmp_lt_f32_e64 s[4:5], |v3|, s39
	v_cndmask_b32_e64 v60, v59, v60, s[4:5]
	v_cndmask_b32_e64 v59, v59, 1.0, s[4:5]
	v_cvt_i32_f32_e32 v59, v59
	v_add_f32_e64 v61, |v3|, -1.0
	v_cmp_lt_f32_e64 s[4:5], |v3|, s41
	v_cndmask_b32_e64 v60, v60, v61, s[4:5]
	v_cndmask_b32_e64 v61, v59, 2, s[4:5]
	v_mov_b32_e32 v59, 0
; %bb.307:                              ;   in Loop: Header=BB13_177 Depth=1
	s_or_b64 exec, exec, s[16:17]
	v_cmp_lt_i32_e64 s[4:5], 0, v61
	s_and_saveexec_b64 s[16:17], s[4:5]
	s_xor_b64 s[16:17], exec, s[16:17]
	s_cbranch_execz .LBB13_315
; %bb.308:                              ;   in Loop: Header=BB13_177 Depth=1
	v_cmp_lt_i32_e64 s[4:5], 1, v61
	s_and_saveexec_b64 s[18:19], s[4:5]
	s_xor_b64 s[18:19], exec, s[18:19]
	s_cbranch_execz .LBB13_312
; %bb.309:                              ;   in Loop: Header=BB13_177 Depth=1
	v_cmp_eq_u32_e64 s[4:5], 2, v61
	s_and_saveexec_b64 s[22:23], s[4:5]
	s_cbranch_execz .LBB13_311
; %bb.310:                              ;   in Loop: Header=BB13_177 Depth=1
	v_mov_b32_e32 v62, 0x3dd572af
	v_fmac_f32_e32 v62, 0x3b52d5db, v60
	v_fma_f32 v62, v60, v62, v25
	v_mov_b32_e32 v61, 0x3e6a7578
	v_fma_f32 v62, v60, v62, v26
	v_fmac_f32_e32 v61, 0x3c5b3c5e, v60
	v_fma_f32 v62, v60, v62, v27
	v_fma_f32 v61, v60, v61, v22
	v_fma_f32 v62, v60, v62, 1.0
	v_fma_f32 v61, v60, v61, v23
	v_rcp_f32_e32 v62, v62
	v_fma_f32 v61, v60, v61, v24
	v_fma_f32 v61, v60, v61, v17
	v_mul_f32_e32 v61, v60, v61
	v_mul_f32_e32 v61, v61, v62
	v_fmac_f32_e32 v61, -0.5, v60
	v_add_f32_e32 v59, v59, v61
.LBB13_311:                             ;   in Loop: Header=BB13_177 Depth=1
	s_or_b64 exec, exec, s[22:23]
                                        ; implicit-def: $vgpr60
.LBB13_312:                             ;   in Loop: Header=BB13_177 Depth=1
	s_andn2_saveexec_b64 s[4:5], s[18:19]
	s_cbranch_execz .LBB13_314
; %bb.313:                              ;   in Loop: Header=BB13_177 Depth=1
	v_mul_f32_e32 v61, v60, v60
	v_mul_f32_e32 v62, v60, v61
	v_mov_b32_e32 v64, 0x3a66f867
	v_mov_b32_e32 v65, 0xba0d3085
	v_fmac_f32_e32 v64, 0xb9a3f927, v62
	v_fmac_f32_e32 v65, 0x39afe9f7, v62
	v_mov_b32_e32 v63, 0xbab7f476
	v_fma_f32 v64, v62, v64, v31
	v_fma_f32 v65, v62, v65, v34
	v_fmac_f32_e32 v63, 0x39a57b6b, v62
	v_fma_f32 v64, v62, v64, v32
	v_fma_f32 v65, v62, v65, v35
	;; [unrolled: 1-line block ×6, first 2 shown]
	v_fmac_f32_e32 v64, v60, v65
	v_fma_f32 v63, v62, v63, v30
	v_fma_f32 v60, v62, -v64, s42
	v_fma_f32 v60, v61, v63, -v60
	v_add_f32_e32 v60, 0xbdf8cdce, v60
	v_add_f32_e32 v59, v59, v60
.LBB13_314:                             ;   in Loop: Header=BB13_177 Depth=1
	s_or_b64 exec, exec, s[4:5]
                                        ; implicit-def: $vgpr61
                                        ; implicit-def: $vgpr60
.LBB13_315:                             ;   in Loop: Header=BB13_177 Depth=1
	s_andn2_saveexec_b64 s[16:17], s[16:17]
	s_cbranch_execz .LBB13_319
; %bb.316:                              ;   in Loop: Header=BB13_177 Depth=1
	v_cmp_eq_u32_e64 s[4:5], 0, v61
	s_and_saveexec_b64 s[18:19], s[4:5]
	s_cbranch_execz .LBB13_318
; %bb.317:                              ;   in Loop: Header=BB13_177 Depth=1
	v_mul_f32_e32 v61, v60, v60
	v_mov_b32_e32 v63, 0x38e28445
	v_mov_b32_e32 v62, 0x39679767
	v_fmac_f32_e32 v63, 0x383c2c75, v61
	v_fmac_f32_e32 v62, 0x37d383a2, v61
	v_fma_f32 v63, v61, v63, v41
	v_fma_f32 v62, v61, v62, v37
	;; [unrolled: 1-line block ×8, first 2 shown]
	v_mul_f32_e32 v61, v61, v63
	v_fmac_f32_e32 v61, v60, v62
	v_fmac_f32_e32 v61, -0.5, v60
	v_add_f32_e32 v59, v59, v61
.LBB13_318:                             ;   in Loop: Header=BB13_177 Depth=1
	s_or_b64 exec, exec, s[18:19]
.LBB13_319:                             ;   in Loop: Header=BB13_177 Depth=1
	s_or_b64 exec, exec, s[16:17]
.LBB13_320:                             ;   in Loop: Header=BB13_177 Depth=1
	s_or_b64 exec, exec, s[6:7]
.LBB13_321:                             ;   in Loop: Header=BB13_177 Depth=1
	s_andn2_saveexec_b64 s[8:9], s[8:9]
	s_cbranch_execz .LBB13_323
; %bb.322:                              ;   in Loop: Header=BB13_177 Depth=1
	v_cmp_lt_f32_e64 s[4:5], |v3|, s31
	v_cndmask_b32_e64 v59, 1.0, v51, s[4:5]
	v_mul_f32_e64 v59, |v3|, v59
	v_log_f32_e32 v59, v59
	v_fma_f32 v60, |v3|, s43, v53
	v_fma_f32 v60, |v3|, v60, s44
	;; [unrolled: 1-line block ×3, first 2 shown]
	v_mul_f32_e32 v61, 0x3f317217, v59
	v_fma_f32 v62, v59, s33, -v61
	v_fmac_f32_e32 v62, 0x3377d1cf, v59
	v_add_f32_e32 v61, v61, v62
	v_cmp_lt_f32_e64 s[6:7], |v59|, s34
	v_cndmask_b32_e64 v59, v59, v61, s[6:7]
	v_cndmask_b32_e64 v61, 0, v52, s[4:5]
	v_sub_f32_e32 v59, v59, v61
	v_fma_f32 v59, |v3|, v60, -v59
.LBB13_323:                             ;   in Loop: Header=BB13_177 Depth=1
	s_or_b64 exec, exec, s[8:9]
	v_cmp_le_f32_e64 s[4:5], 0, v3
	v_cmp_nle_f32_e64 s[6:7], 0, v3
	s_and_saveexec_b64 s[8:9], s[6:7]
	s_xor_b64 s[16:17], exec, s[8:9]
	s_cbranch_execz .LBB13_327
; %bb.324:                              ;   in Loop: Header=BB13_177 Depth=1
	v_cmp_lt_f32_e64 s[6:7], |v3|, s46
	v_cmp_gt_f32_e64 s[8:9], |v3|, s47
	s_and_b64 s[6:7], s[6:7], s[8:9]
	s_and_saveexec_b64 s[18:19], s[6:7]
	s_cbranch_execz .LBB13_326
; %bb.325:                              ;   in Loop: Header=BB13_177 Depth=1
	v_mul_f32_e64 v60, |v3|, 0.5
	v_floor_f32_e32 v61, v60
	v_sub_f32_e32 v61, v60, v61
	v_min_f32_e32 v61, 0x3f7fffff, v61
	v_add_f32_e32 v61, v61, v61
	v_cmp_neq_f32_e64 s[6:7], s34, v60
	v_cndmask_b32_e64 v60, 0, v61, s[6:7]
	v_cmp_gt_f32_e64 s[6:7], |v3|, 1.0
	v_cndmask_b32_e64 v60, |v3|, v60, s[6:7]
	v_add_f32_e32 v61, v60, v60
	v_rndne_f32_e32 v61, v61
	v_fmac_f32_e32 v60, -0.5, v61
	v_mul_f32_e32 v62, v60, v60
	v_mov_b32_e32 v63, 0xbf1f24be
	v_fmac_f32_e32 v63, 0x3e75aa41, v62
	v_fma_f32 v63, v62, v63, v45
	v_fma_f32 v63, v62, v63, v46
	v_mul_f32_e32 v64, v60, v62
	v_mul_f32_e32 v63, v64, v63
	v_fmac_f32_e32 v63, 0x40490fdb, v60
	v_mov_b32_e32 v60, 0x3e642e9d
	v_cvt_i32_f32_e32 v61, v61
	v_fmac_f32_e32 v60, 0x3d4be544, v62
	v_fma_f32 v60, v62, v60, v47
	v_fma_f32 v60, v62, v60, v48
	;; [unrolled: 1-line block ×3, first 2 shown]
	v_fma_f32 v60, v62, v60, 1.0
	v_and_b32_e32 v62, 1, v61
	v_lshlrev_b32_e32 v61, 30, v61
	v_cmp_eq_u32_e64 s[6:7], 0, v62
	v_and_b32_e32 v61, 0x80000000, v61
	v_xor_b32_e32 v58, v58, v3
	v_cndmask_b32_e64 v60, v60, v63, s[6:7]
	v_xor_b32_e32 v58, v58, v61
	v_xor_b32_e32 v58, v58, v60
	v_mul_f32_e32 v58, v3, v58
	v_frexp_mant_f32_e64 v60, |v58|
	v_rcp_f32_e32 v60, v60
	v_frexp_exp_i32_f32_e32 v58, v58
	v_sub_u32_e32 v58, 2, v58
	v_mul_f32_e32 v60, 0x3f490fdb, v60
	v_ldexp_f32 v58, v60, v58
	v_cmp_gt_f32_e64 s[6:7], s31, v58
	v_cndmask_b32_e64 v60, 1.0, v51, s[6:7]
	v_mul_f32_e32 v58, v58, v60
	v_log_f32_e32 v58, v58
	v_mul_f32_e32 v60, 0x3f317217, v58
	v_fma_f32 v61, v58, s33, -v60
	v_fmac_f32_e32 v61, 0x3377d1cf, v58
	v_add_f32_e32 v60, v60, v61
	v_cmp_lt_f32_e64 s[8:9], |v58|, s34
	v_cndmask_b32_e64 v58, v58, v60, s[8:9]
	v_cndmask_b32_e64 v60, 0, v52, s[6:7]
	v_sub_f32_e32 v58, v58, v60
	v_sub_f32_e32 v58, v58, v59
	v_floor_f32_e32 v59, v3
	v_sub_f32_e32 v59, v3, v59
	v_min_f32_e32 v59, 0x3f7fffff, v59
	v_cmp_neq_f32_e64 s[6:7], 0, v59
	v_cndmask_b32_e64 v59, v54, v58, s[6:7]
.LBB13_326:                             ;   in Loop: Header=BB13_177 Depth=1
	s_or_b64 exec, exec, s[18:19]
.LBB13_327:                             ;   in Loop: Header=BB13_177 Depth=1
	s_andn2_saveexec_b64 s[16:17], s[16:17]
	s_cbranch_execz .LBB13_176
; %bb.328:                              ;   in Loop: Header=BB13_177 Depth=1
	v_cmp_eq_f32_e64 s[6:7], 1.0, v3
	v_cmp_eq_f32_e64 s[8:9], 2.0, v3
	s_or_b64 s[6:7], s[6:7], s[8:9]
	v_cndmask_b32_e64 v59, v59, 0, s[6:7]
	s_branch .LBB13_176
.LBB13_329:
	s_endpgm
	.section	.rodata,"a",@progbits
	.p2align	6, 0x0
	.amdhsa_kernel _ZN2at6native12_GLOBAL__N_125multi_tensor_apply_kernelINS1_18TensorListMetadataILi1EEENS1_14UnaryOpFunctorIfLi1ELi1ELi0EEEJNS0_6LgammaIfEEEEEvT_T0_DpT1_
		.amdhsa_group_segment_fixed_size 0
		.amdhsa_private_segment_fixed_size 0
		.amdhsa_kernarg_size 3632
		.amdhsa_user_sgpr_count 6
		.amdhsa_user_sgpr_private_segment_buffer 1
		.amdhsa_user_sgpr_dispatch_ptr 0
		.amdhsa_user_sgpr_queue_ptr 0
		.amdhsa_user_sgpr_kernarg_segment_ptr 1
		.amdhsa_user_sgpr_dispatch_id 0
		.amdhsa_user_sgpr_flat_scratch_init 0
		.amdhsa_user_sgpr_kernarg_preload_length 0
		.amdhsa_user_sgpr_kernarg_preload_offset 0
		.amdhsa_user_sgpr_private_segment_size 0
		.amdhsa_uses_dynamic_stack 0
		.amdhsa_system_sgpr_private_segment_wavefront_offset 0
		.amdhsa_system_sgpr_workgroup_id_x 1
		.amdhsa_system_sgpr_workgroup_id_y 0
		.amdhsa_system_sgpr_workgroup_id_z 0
		.amdhsa_system_sgpr_workgroup_info 0
		.amdhsa_system_vgpr_workitem_id 0
		.amdhsa_next_free_vgpr 75
		.amdhsa_next_free_sgpr 65
		.amdhsa_accum_offset 76
		.amdhsa_reserve_vcc 1
		.amdhsa_reserve_flat_scratch 0
		.amdhsa_float_round_mode_32 0
		.amdhsa_float_round_mode_16_64 0
		.amdhsa_float_denorm_mode_32 3
		.amdhsa_float_denorm_mode_16_64 3
		.amdhsa_dx10_clamp 1
		.amdhsa_ieee_mode 1
		.amdhsa_fp16_overflow 0
		.amdhsa_tg_split 0
		.amdhsa_exception_fp_ieee_invalid_op 0
		.amdhsa_exception_fp_denorm_src 0
		.amdhsa_exception_fp_ieee_div_zero 0
		.amdhsa_exception_fp_ieee_overflow 0
		.amdhsa_exception_fp_ieee_underflow 0
		.amdhsa_exception_fp_ieee_inexact 0
		.amdhsa_exception_int_div_zero 0
	.end_amdhsa_kernel
	.section	.text._ZN2at6native12_GLOBAL__N_125multi_tensor_apply_kernelINS1_18TensorListMetadataILi1EEENS1_14UnaryOpFunctorIfLi1ELi1ELi0EEEJNS0_6LgammaIfEEEEEvT_T0_DpT1_,"axG",@progbits,_ZN2at6native12_GLOBAL__N_125multi_tensor_apply_kernelINS1_18TensorListMetadataILi1EEENS1_14UnaryOpFunctorIfLi1ELi1ELi0EEEJNS0_6LgammaIfEEEEEvT_T0_DpT1_,comdat
.Lfunc_end13:
	.size	_ZN2at6native12_GLOBAL__N_125multi_tensor_apply_kernelINS1_18TensorListMetadataILi1EEENS1_14UnaryOpFunctorIfLi1ELi1ELi0EEEJNS0_6LgammaIfEEEEEvT_T0_DpT1_, .Lfunc_end13-_ZN2at6native12_GLOBAL__N_125multi_tensor_apply_kernelINS1_18TensorListMetadataILi1EEENS1_14UnaryOpFunctorIfLi1ELi1ELi0EEEJNS0_6LgammaIfEEEEEvT_T0_DpT1_
                                        ; -- End function
	.section	.AMDGPU.csdata,"",@progbits
; Kernel info:
; codeLenInByte = 19044
; NumSgprs: 69
; NumVgprs: 75
; NumAgprs: 0
; TotalNumVgprs: 75
; ScratchSize: 0
; MemoryBound: 0
; FloatMode: 240
; IeeeMode: 1
; LDSByteSize: 0 bytes/workgroup (compile time only)
; SGPRBlocks: 8
; VGPRBlocks: 9
; NumSGPRsForWavesPerEU: 69
; NumVGPRsForWavesPerEU: 75
; AccumOffset: 76
; Occupancy: 6
; WaveLimiterHint : 0
; COMPUTE_PGM_RSRC2:SCRATCH_EN: 0
; COMPUTE_PGM_RSRC2:USER_SGPR: 6
; COMPUTE_PGM_RSRC2:TRAP_HANDLER: 0
; COMPUTE_PGM_RSRC2:TGID_X_EN: 1
; COMPUTE_PGM_RSRC2:TGID_Y_EN: 0
; COMPUTE_PGM_RSRC2:TGID_Z_EN: 0
; COMPUTE_PGM_RSRC2:TIDIG_COMP_CNT: 0
; COMPUTE_PGM_RSRC3_GFX90A:ACCUM_OFFSET: 18
; COMPUTE_PGM_RSRC3_GFX90A:TG_SPLIT: 0
	.section	.text._ZN2at6native12_GLOBAL__N_125multi_tensor_apply_kernelINS1_18TensorListMetadataILi1EEENS1_14UnaryOpFunctorIN3c104HalfELi1ELi1ELi0EEEJNS0_6LgammaIfEEEEEvT_T0_DpT1_,"axG",@progbits,_ZN2at6native12_GLOBAL__N_125multi_tensor_apply_kernelINS1_18TensorListMetadataILi1EEENS1_14UnaryOpFunctorIN3c104HalfELi1ELi1ELi0EEEJNS0_6LgammaIfEEEEEvT_T0_DpT1_,comdat
	.globl	_ZN2at6native12_GLOBAL__N_125multi_tensor_apply_kernelINS1_18TensorListMetadataILi1EEENS1_14UnaryOpFunctorIN3c104HalfELi1ELi1ELi0EEEJNS0_6LgammaIfEEEEEvT_T0_DpT1_ ; -- Begin function _ZN2at6native12_GLOBAL__N_125multi_tensor_apply_kernelINS1_18TensorListMetadataILi1EEENS1_14UnaryOpFunctorIN3c104HalfELi1ELi1ELi0EEEJNS0_6LgammaIfEEEEEvT_T0_DpT1_
	.p2align	8
	.type	_ZN2at6native12_GLOBAL__N_125multi_tensor_apply_kernelINS1_18TensorListMetadataILi1EEENS1_14UnaryOpFunctorIN3c104HalfELi1ELi1ELi0EEEJNS0_6LgammaIfEEEEEvT_T0_DpT1_,@function
_ZN2at6native12_GLOBAL__N_125multi_tensor_apply_kernelINS1_18TensorListMetadataILi1EEENS1_14UnaryOpFunctorIN3c104HalfELi1ELi1ELi0EEEJNS0_6LgammaIfEEEEEvT_T0_DpT1_: ; @_ZN2at6native12_GLOBAL__N_125multi_tensor_apply_kernelINS1_18TensorListMetadataILi1EEENS1_14UnaryOpFunctorIN3c104HalfELi1ELi1ELi0EEEJNS0_6LgammaIfEEEEEvT_T0_DpT1_
; %bb.0:
	v_mov_b32_e32 v1, s6
	global_load_ubyte v1, v1, s[4:5] offset:1760
	s_add_u32 s0, s4, s6
	s_mul_hi_u32 s1, s6, 3
	s_mul_i32 s6, s6, 3
	s_addc_u32 s2, s5, 0
	s_add_u32 s0, s0, s6
	s_addc_u32 s1, s2, s1
	s_load_dword s0, s[0:1], 0x820
	s_mov_b32 s7, 0
	s_waitcnt vmcnt(0)
	v_readfirstlane_b32 s2, v1
	s_lshl_b32 s1, s2, 3
	s_load_dwordx2 s[2:3], s[4:5], s1 offset:0x370
	s_load_dwordx2 s[22:23], s[4:5], s1 offset:0x0
	s_waitcnt lgkmcnt(0)
	s_ashr_i32 s1, s0, 31
	s_lshl_b64 s[24:25], s[0:1], 17
	s_lshl_b64 s[0:1], s[0:1], 16
	s_and_b32 s6, s22, 7
	s_sub_u32 s20, s2, s0
	s_subb_u32 s21, s3, s1
	s_and_b32 s0, s2, 3
	s_mov_b32 s1, s7
	s_or_b64 s[0:1], s[6:7], s[0:1]
	s_cmp_eq_u64 s[0:1], 0
	s_cbranch_scc1 .LBB14_173
; %bb.1:
	v_cmp_lt_i64_e64 s[0:1], s[20:21], 1
	s_and_b64 vcc, exec, s[0:1]
	s_cbranch_vccnz .LBB14_172
; %bb.2:
	s_load_dword s0, s[4:5], 0xd3c
	v_mov_b32_e32 v2, 0x10000
	v_mov_b32_e32 v3, 0
	v_cmp_lt_u64_e32 vcc, s[20:21], v[2:3]
	v_lshlrev_b32_e32 v1, 1, v0
	s_waitcnt lgkmcnt(0)
	s_and_b32 s2, s0, 0xffff
	s_and_b64 s[0:1], vcc, exec
	s_cselect_b32 s27, s21, 0
	s_cselect_b32 s26, s20, 0x10000
	s_lshl_b32 s3, s2, 1
	s_lshl_b32 s40, s2, 2
	s_add_u32 s6, s22, s24
	s_addc_u32 s7, s23, s25
	v_mov_b32_e32 v3, s7
	v_add_co_u32_e32 v2, vcc, s6, v1
	s_mul_i32 s0, s2, 3
	v_addc_co_u32_e32 v3, vcc, 0, v3, vcc
	v_add_co_u32_e32 v1, vcc, s0, v0
	v_addc_co_u32_e64 v6, s[0:1], 0, 0, vcc
	v_add_co_u32_e32 v7, vcc, s3, v0
	v_addc_co_u32_e64 v8, s[0:1], 0, 0, vcc
	v_add_co_u32_e32 v9, vcc, s2, v0
	v_lshlrev_b32_e32 v4, 1, v9
	s_mov_b32 s33, 0
	v_addc_co_u32_e64 v10, s[0:1], 0, 0, vcc
	v_mov_b32_e32 v5, s7
	v_add_co_u32_e32 v4, vcc, s6, v4
	s_mov_b32 s30, 2.0
	s_lshl_b32 s41, s2, 3
	s_mov_b32 s42, s33
	s_mul_i32 s43, s2, 6
	s_mov_b32 s44, s33
	v_addc_co_u32_e32 v5, vcc, 0, v5, vcc
	s_mov_b64 s[28:29], 0
	s_mov_b32 s45, 0x3c800000
	s_mov_b32 s31, 0x40400000
	;; [unrolled: 1-line block ×7, first 2 shown]
	v_mov_b32_e32 v11, 0xba1c065c
	v_mov_b32_e32 v12, 0x3a500cfd
	;; [unrolled: 1-line block ×14, first 2 shown]
	s_mov_b32 s51, 0x3f666666
	s_mov_b32 s52, 0x3f3b4a23
	;; [unrolled: 1-line block ×7, first 2 shown]
	v_mov_b32_e32 v25, 0x3f7a4bb2
	v_mov_b32_e32 v26, 0x3fba3ae7
	;; [unrolled: 1-line block ×15, first 2 shown]
	s_mov_b32 s58, 0xa2863e55
	v_mov_b32_e32 v40, 0x3a9c54a1
	v_mov_b32_e32 v41, 0x3bf2027e
	;; [unrolled: 1-line block ×8, first 2 shown]
	s_mov_b32 s59, 0x3e8a8991
	s_mov_b32 s60, 0x3f528d33
	;; [unrolled: 1-line block ×5, first 2 shown]
	v_mov_b32_e32 v48, 0x40234736
	v_mov_b32_e32 v49, 0xc0a55e0e
	;; [unrolled: 1-line block ×11, first 2 shown]
	s_branch .LBB14_4
.LBB14_3:                               ;   in Loop: Header=BB14_4 Depth=1
	s_or_b64 exec, exec, s[0:1]
	s_add_u32 s28, s28, s40
	s_addc_u32 s29, s29, 0
	v_pk_mov_b32 v[60:61], s[20:21], s[20:21] op_sel:[0,1]
	v_cmp_ge_i64_e32 vcc, s[28:29], v[60:61]
	v_mov_b32_e32 v60, 0xffff
	v_mov_b32_e32 v61, 0
	v_cmp_gt_u64_e64 s[0:1], s[28:29], v[60:61]
	s_or_b64 s[0:1], vcc, s[0:1]
	v_mov_b32_e32 v59, s42
	v_add_co_u32_e32 v2, vcc, s41, v2
	v_addc_co_u32_e32 v3, vcc, v3, v59, vcc
	v_add_co_u32_e32 v4, vcc, s41, v4
	v_addc_co_u32_e32 v5, vcc, v5, v59, vcc
	s_and_b64 vcc, exec, s[0:1]
	s_cbranch_vccnz .LBB14_172
.LBB14_4:                               ; =>This Inner Loop Header: Depth=1
	v_mov_b32_e32 v59, s29
	v_add_co_u32_e32 v60, vcc, s28, v0
	v_addc_co_u32_e32 v61, vcc, 0, v59, vcc
	v_cmp_gt_u64_e64 s[6:7], s[26:27], v[60:61]
	v_mov_b32_e32 v61, 0
	s_and_saveexec_b64 s[0:1], s[6:7]
	s_cbranch_execz .LBB14_6
; %bb.5:                                ;   in Loop: Header=BB14_4 Depth=1
	global_load_ushort v61, v[2:3], off
.LBB14_6:                               ;   in Loop: Header=BB14_4 Depth=1
	s_or_b64 exec, exec, s[0:1]
	v_mov_b32_e32 v59, s29
	v_add_co_u32_e32 v62, vcc, s28, v9
	v_addc_co_u32_e32 v63, vcc, v10, v59, vcc
	v_cmp_gt_u64_e64 s[2:3], s[26:27], v[62:63]
	v_mov_b32_e32 v60, 0
	s_and_saveexec_b64 s[0:1], s[2:3]
	s_cbranch_execz .LBB14_8
; %bb.7:                                ;   in Loop: Header=BB14_4 Depth=1
	global_load_ushort v60, v[4:5], off
.LBB14_8:                               ;   in Loop: Header=BB14_4 Depth=1
	s_or_b64 exec, exec, s[0:1]
	v_mov_b32_e32 v59, s29
	v_add_co_u32_e32 v62, vcc, s28, v7
	v_addc_co_u32_e32 v63, vcc, v8, v59, vcc
	v_cmp_gt_u64_e64 s[0:1], s[26:27], v[62:63]
	v_mov_b32_e32 v59, 0
	v_mov_b32_e32 v62, 0
	s_and_saveexec_b64 s[8:9], s[0:1]
	s_cbranch_execz .LBB14_10
; %bb.9:                                ;   in Loop: Header=BB14_4 Depth=1
	v_mov_b32_e32 v63, s33
	v_add_co_u32_e32 v62, vcc, s40, v2
	v_addc_co_u32_e32 v63, vcc, v3, v63, vcc
	global_load_ushort v62, v[62:63], off
.LBB14_10:                              ;   in Loop: Header=BB14_4 Depth=1
	s_or_b64 exec, exec, s[8:9]
	v_mov_b32_e32 v63, s29
	v_add_co_u32_e32 v64, vcc, s28, v1
	v_addc_co_u32_e32 v65, vcc, v6, v63, vcc
	v_cmp_gt_u64_e32 vcc, s[26:27], v[64:65]
	s_and_saveexec_b64 s[10:11], vcc
	s_cbranch_execz .LBB14_12
; %bb.11:                               ;   in Loop: Header=BB14_4 Depth=1
	v_mov_b32_e32 v59, s44
	v_add_co_u32_e64 v64, s[8:9], s43, v2
	v_addc_co_u32_e64 v65, s[8:9], v3, v59, s[8:9]
	global_load_ushort v59, v[64:65], off
.LBB14_12:                              ;   in Loop: Header=BB14_4 Depth=1
	s_or_b64 exec, exec, s[10:11]
	s_waitcnt vmcnt(0)
	v_cvt_f32_f16_e32 v63, v61
                                        ; implicit-def: $vgpr64
	v_and_b32_e32 v65, 0x7fffffff, v63
	v_cmp_nlt_f32_e64 s[8:9], |v63|, s45
	s_and_saveexec_b64 s[10:11], s[8:9]
	s_xor_b64 s[12:13], exec, s[10:11]
	s_cbranch_execz .LBB14_42
; %bb.13:                               ;   in Loop: Header=BB14_4 Depth=1
	v_cmp_nlt_f32_e64 s[8:9], |v63|, 2.0
                                        ; implicit-def: $vgpr64
	s_and_saveexec_b64 s[10:11], s[8:9]
	s_xor_b64 s[14:15], exec, s[10:11]
	s_cbranch_execz .LBB14_23
; %bb.14:                               ;   in Loop: Header=BB14_4 Depth=1
	v_cmp_nlt_f32_e64 s[8:9], |v63|, s46
                                        ; implicit-def: $vgpr64
	s_and_saveexec_b64 s[10:11], s[8:9]
	s_xor_b64 s[16:17], exec, s[10:11]
	s_cbranch_execz .LBB14_20
; %bb.15:                               ;   in Loop: Header=BB14_4 Depth=1
	v_cmp_nlt_f32_e64 s[8:9], |v63|, s47
                                        ; implicit-def: $vgpr64
	s_and_saveexec_b64 s[10:11], s[8:9]
	s_xor_b64 s[18:19], exec, s[10:11]
	s_cbranch_execz .LBB14_17
; %bb.16:                               ;   in Loop: Header=BB14_4 Depth=1
	v_cmp_lt_f32_e64 s[8:9], |v63|, s48
	v_cndmask_b32_e64 v64, 1.0, v54, s[8:9]
	v_mul_f32_e64 v64, |v63|, v64
	v_log_f32_e32 v64, v64
	v_mul_f32_e32 v66, 0x3f317217, v64
	v_fma_f32 v67, v64, s49, -v66
	v_fmac_f32_e32 v67, 0x3377d1cf, v64
	v_add_f32_e32 v66, v66, v67
	v_cmp_lt_f32_e64 s[10:11], |v64|, s50
	v_cndmask_b32_e64 v64, v64, v66, s[10:11]
	v_cndmask_b32_e64 v66, 0, v55, s[8:9]
	v_sub_f32_e32 v64, v64, v66
	v_fma_f32 v64, |v63|, v64, -|v63|
.LBB14_17:                              ;   in Loop: Header=BB14_4 Depth=1
	s_andn2_saveexec_b64 s[18:19], s[18:19]
	s_cbranch_execz .LBB14_19
; %bb.18:                               ;   in Loop: Header=BB14_4 Depth=1
	v_rcp_f32_e64 v64, |v63|
	v_cmp_lt_f32_e64 s[8:9], |v63|, s48
	v_cndmask_b32_e64 v67, 1.0, v54, s[8:9]
	v_mov_b32_e32 v66, 0x3a5b3dd2
	v_mul_f32_e32 v68, v64, v64
	v_mul_f32_e64 v67, |v63|, v67
	v_fmac_f32_e32 v66, 0xbad5c4e8, v68
	v_log_f32_e32 v67, v67
	v_fma_f32 v66, v68, v66, v11
	v_fma_f32 v66, v68, v66, v12
	v_fma_f32 v66, v68, v66, v13
	v_fma_f32 v66, v68, v66, v14
	v_mul_f32_e32 v68, 0x3f317217, v67
	v_fma_f32 v69, v67, s49, -v68
	v_fmac_f32_e32 v69, 0x3377d1cf, v67
	v_add_f32_e32 v68, v68, v69
	v_cmp_lt_f32_e64 s[10:11], |v67|, s50
	v_cndmask_b32_e64 v67, v67, v68, s[10:11]
	v_cndmask_b32_e64 v68, 0, v55, s[8:9]
	v_sub_f32_e32 v67, v67, v68
	v_fma_f32 v64, v64, v66, v15
	v_add_f32_e64 v66, |v63|, -0.5
	v_add_f32_e32 v67, -1.0, v67
	v_fmac_f32_e32 v64, v66, v67
.LBB14_19:                              ;   in Loop: Header=BB14_4 Depth=1
	s_or_b64 exec, exec, s[18:19]
.LBB14_20:                              ;   in Loop: Header=BB14_4 Depth=1
	s_andn2_saveexec_b64 s[16:17], s[16:17]
	s_cbranch_execz .LBB14_22
; %bb.21:                               ;   in Loop: Header=BB14_4 Depth=1
	v_cvt_i32_f32_e32 v68, v65
	v_mov_b32_e32 v66, 0x3af135b4
	v_mov_b32_e32 v67, 0x3a4beed6
	v_cvt_f32_i32_e32 v64, v68
	v_cmp_lt_i32_e64 s[8:9], 3, v68
	v_sub_f32_e64 v64, |v63|, v64
	v_fmac_f32_e32 v66, 0x3805ff67, v64
	v_fmac_f32_e32 v67, 0x36f5d7bd, v64
	v_fma_f32 v66, v64, v66, v16
	v_fma_f32 v67, v64, v67, v21
	;; [unrolled: 1-line block ×9, first 2 shown]
	v_fma_f32 v66, v64, v66, 1.0
	v_rcp_f32_e32 v70, v66
	v_pk_add_f32 v[66:67], v[64:65], s[30:31] op_sel_hi:[0,1]
	v_cndmask_b32_e64 v67, 1.0, v67, s[8:9]
	v_cmp_lt_i32_e64 s[8:9], 2, v68
	v_add_f32_e32 v71, 4.0, v64
	v_cndmask_b32_e64 v66, 1.0, v66, s[8:9]
	v_cmp_lt_i32_e64 s[8:9], 4, v68
	v_add_f32_e32 v72, 0x40a00000, v64
	v_mul_f32_e32 v66, v66, v67
	v_cndmask_b32_e64 v67, 1.0, v71, s[8:9]
	v_cmp_lt_i32_e64 s[8:9], 5, v68
	v_add_f32_e32 v73, 0x40c00000, v64
	v_mul_f32_e32 v66, v67, v66
	v_cndmask_b32_e64 v67, 1.0, v72, s[8:9]
	v_cmp_lt_i32_e64 s[8:9], 6, v68
	v_mul_f32_e32 v66, v67, v66
	v_cndmask_b32_e64 v67, 1.0, v73, s[8:9]
	v_mul_f32_e32 v66, v67, v66
	v_cmp_gt_f32_e64 s[8:9], s48, v66
	v_cndmask_b32_e64 v67, 1.0, v54, s[8:9]
	v_mul_f32_e32 v66, v66, v67
	v_log_f32_e32 v66, v66
	v_mul_f32_e32 v67, v64, v69
	v_mul_f32_e32 v67, v67, v70
	v_fmac_f32_e32 v67, 0.5, v64
	v_mul_f32_e32 v64, 0x3f317217, v66
	v_fma_f32 v68, v66, s49, -v64
	v_fmac_f32_e32 v68, 0x3377d1cf, v66
	v_add_f32_e32 v64, v64, v68
	v_cmp_lt_f32_e64 s[10:11], |v66|, s50
	v_cndmask_b32_e64 v64, v66, v64, s[10:11]
	v_cndmask_b32_e64 v66, 0, v55, s[8:9]
	v_sub_f32_e32 v64, v64, v66
	v_add_f32_e32 v64, v64, v67
.LBB14_22:                              ;   in Loop: Header=BB14_4 Depth=1
	s_or_b64 exec, exec, s[16:17]
.LBB14_23:                              ;   in Loop: Header=BB14_4 Depth=1
	s_andn2_saveexec_b64 s[10:11], s[14:15]
	s_cbranch_execz .LBB14_41
; %bb.24:                               ;   in Loop: Header=BB14_4 Depth=1
	v_cmp_le_f32_e64 s[8:9], |v63|, s51
                                        ; implicit-def: $vgpr64
                                        ; implicit-def: $vgpr67
                                        ; implicit-def: $vgpr66
	s_and_saveexec_b64 s[14:15], s[8:9]
	s_xor_b64 s[14:15], exec, s[14:15]
	s_cbranch_execz .LBB14_26
; %bb.25:                               ;   in Loop: Header=BB14_4 Depth=1
	v_cmp_lt_f32_e64 s[8:9], |v63|, s48
	v_cndmask_b32_e64 v64, 1.0, v54, s[8:9]
	v_mul_f32_e64 v64, |v63|, v64
	v_log_f32_e32 v64, v64
	v_cndmask_b32_e64 v66, 0, v55, s[8:9]
	v_mul_f32_e32 v67, 0x3f317217, v64
	v_fma_f32 v68, v64, s49, -v67
	v_fmac_f32_e32 v68, 0x3377d1cf, v64
	v_add_f32_e32 v67, v67, v68
	v_cmp_lt_f32_e64 s[8:9], |v64|, s50
	v_cndmask_b32_e64 v64, v64, v67, s[8:9]
	v_sub_f32_e32 v64, v64, v66
	v_sub_f32_e64 v66, 1.0, |v63|
	v_add_f32_e64 v67, |v63|, s53
	v_cmp_lt_f32_e64 s[8:9], |v63|, s52
	v_cndmask_b32_e64 v66, v66, v67, s[8:9]
	v_cndmask_b32_e64 v67, 0, 1, s[8:9]
	v_cmp_lt_f32_e64 s[8:9], |v63|, s54
	v_xor_b32_e32 v64, 0x80000000, v64
	v_cndmask_b32_e64 v66, v66, |v63|, s[8:9]
	v_cndmask_b32_e64 v67, v67, 2, s[8:9]
.LBB14_26:                              ;   in Loop: Header=BB14_4 Depth=1
	s_andn2_saveexec_b64 s[14:15], s[14:15]
; %bb.27:                               ;   in Loop: Header=BB14_4 Depth=1
	v_sub_f32_e64 v64, 2.0, |v63|
	v_add_f32_e64 v66, |v63|, s56
	v_cmp_lt_f32_e64 s[8:9], |v63|, s55
	v_cndmask_b32_e64 v66, v64, v66, s[8:9]
	v_cndmask_b32_e64 v64, v64, 1.0, s[8:9]
	v_cvt_i32_f32_e32 v64, v64
	v_add_f32_e64 v67, |v63|, -1.0
	v_cmp_lt_f32_e64 s[8:9], |v63|, s57
	v_cndmask_b32_e64 v66, v66, v67, s[8:9]
	v_cndmask_b32_e64 v67, v64, 2, s[8:9]
	v_mov_b32_e32 v64, 0
; %bb.28:                               ;   in Loop: Header=BB14_4 Depth=1
	s_or_b64 exec, exec, s[14:15]
	v_cmp_lt_i32_e64 s[8:9], 0, v67
	s_and_saveexec_b64 s[14:15], s[8:9]
	s_xor_b64 s[14:15], exec, s[14:15]
	s_cbranch_execz .LBB14_36
; %bb.29:                               ;   in Loop: Header=BB14_4 Depth=1
	v_cmp_lt_i32_e64 s[8:9], 1, v67
	s_and_saveexec_b64 s[16:17], s[8:9]
	s_xor_b64 s[16:17], exec, s[16:17]
	s_cbranch_execz .LBB14_33
; %bb.30:                               ;   in Loop: Header=BB14_4 Depth=1
	v_cmp_eq_u32_e64 s[8:9], 2, v67
	s_and_saveexec_b64 s[18:19], s[8:9]
	s_cbranch_execz .LBB14_32
; %bb.31:                               ;   in Loop: Header=BB14_4 Depth=1
	v_mov_b32_e32 v68, 0x3dd572af
	v_fmac_f32_e32 v68, 0x3b52d5db, v66
	v_fma_f32 v68, v66, v68, v28
	v_mov_b32_e32 v67, 0x3e6a7578
	v_fma_f32 v68, v66, v68, v29
	v_fmac_f32_e32 v67, 0x3c5b3c5e, v66
	v_fma_f32 v68, v66, v68, v30
	v_fma_f32 v67, v66, v67, v25
	v_fma_f32 v68, v66, v68, 1.0
	v_fma_f32 v67, v66, v67, v26
	v_rcp_f32_e32 v68, v68
	v_fma_f32 v67, v66, v67, v27
	v_fma_f32 v67, v66, v67, v20
	v_mul_f32_e32 v67, v66, v67
	v_mul_f32_e32 v67, v67, v68
	v_fmac_f32_e32 v67, -0.5, v66
	v_add_f32_e32 v64, v64, v67
.LBB14_32:                              ;   in Loop: Header=BB14_4 Depth=1
	s_or_b64 exec, exec, s[18:19]
                                        ; implicit-def: $vgpr66
.LBB14_33:                              ;   in Loop: Header=BB14_4 Depth=1
	s_andn2_saveexec_b64 s[8:9], s[16:17]
	s_cbranch_execz .LBB14_35
; %bb.34:                               ;   in Loop: Header=BB14_4 Depth=1
	v_mul_f32_e32 v67, v66, v66
	v_mul_f32_e32 v68, v66, v67
	v_mov_b32_e32 v70, 0x3a66f867
	v_mov_b32_e32 v71, 0xba0d3085
	v_fmac_f32_e32 v70, 0xb9a3f927, v68
	v_fmac_f32_e32 v71, 0x39afe9f7, v68
	v_mov_b32_e32 v69, 0xbab7f476
	v_fma_f32 v70, v68, v70, v34
	v_fma_f32 v71, v68, v71, v37
	v_fmac_f32_e32 v69, 0x39a57b6b, v68
	v_fma_f32 v70, v68, v70, v35
	v_fma_f32 v71, v68, v71, v38
	;; [unrolled: 1-line block ×6, first 2 shown]
	v_fmac_f32_e32 v70, v66, v71
	v_fma_f32 v69, v68, v69, v33
	v_fma_f32 v66, v68, -v70, s58
	v_fma_f32 v66, v67, v69, -v66
	v_add_f32_e32 v66, 0xbdf8cdce, v66
	v_add_f32_e32 v64, v64, v66
.LBB14_35:                              ;   in Loop: Header=BB14_4 Depth=1
	s_or_b64 exec, exec, s[8:9]
                                        ; implicit-def: $vgpr67
                                        ; implicit-def: $vgpr66
.LBB14_36:                              ;   in Loop: Header=BB14_4 Depth=1
	s_andn2_saveexec_b64 s[14:15], s[14:15]
	s_cbranch_execz .LBB14_40
; %bb.37:                               ;   in Loop: Header=BB14_4 Depth=1
	v_cmp_eq_u32_e64 s[8:9], 0, v67
	s_and_saveexec_b64 s[16:17], s[8:9]
	s_cbranch_execz .LBB14_39
; %bb.38:                               ;   in Loop: Header=BB14_4 Depth=1
	v_mul_f32_e32 v67, v66, v66
	v_mov_b32_e32 v69, 0x38e28445
	v_mov_b32_e32 v68, 0x39679767
	v_fmac_f32_e32 v69, 0x383c2c75, v67
	v_fmac_f32_e32 v68, 0x37d383a2, v67
	v_fma_f32 v69, v67, v69, v44
	v_fma_f32 v68, v67, v68, v40
	;; [unrolled: 1-line block ×8, first 2 shown]
	v_mul_f32_e32 v67, v67, v69
	v_fmac_f32_e32 v67, v66, v68
	v_fmac_f32_e32 v67, -0.5, v66
	v_add_f32_e32 v64, v64, v67
.LBB14_39:                              ;   in Loop: Header=BB14_4 Depth=1
	s_or_b64 exec, exec, s[16:17]
.LBB14_40:                              ;   in Loop: Header=BB14_4 Depth=1
	s_or_b64 exec, exec, s[14:15]
.LBB14_41:                              ;   in Loop: Header=BB14_4 Depth=1
	s_or_b64 exec, exec, s[10:11]
.LBB14_42:                              ;   in Loop: Header=BB14_4 Depth=1
	s_andn2_saveexec_b64 s[12:13], s[12:13]
	s_cbranch_execz .LBB14_44
; %bb.43:                               ;   in Loop: Header=BB14_4 Depth=1
	v_cmp_lt_f32_e64 s[8:9], |v63|, s48
	v_cndmask_b32_e64 v64, 1.0, v54, s[8:9]
	v_mul_f32_e64 v64, |v63|, v64
	v_log_f32_e32 v64, v64
	v_fma_f32 v66, |v63|, s59, v56
	v_fma_f32 v66, |v63|, v66, s60
	;; [unrolled: 1-line block ×3, first 2 shown]
	v_mul_f32_e32 v67, 0x3f317217, v64
	v_fma_f32 v68, v64, s49, -v67
	v_fmac_f32_e32 v68, 0x3377d1cf, v64
	v_add_f32_e32 v67, v67, v68
	v_cmp_lt_f32_e64 s[10:11], |v64|, s50
	v_cndmask_b32_e64 v64, v64, v67, s[10:11]
	v_cndmask_b32_e64 v67, 0, v55, s[8:9]
	v_sub_f32_e32 v64, v64, v67
	v_fma_f32 v64, |v63|, v66, -v64
.LBB14_44:                              ;   in Loop: Header=BB14_4 Depth=1
	s_or_b64 exec, exec, s[12:13]
	v_cmp_le_f16_e64 s[8:9], 0, v61
	v_cmp_nle_f16_e64 s[10:11], 0, v61
	s_and_saveexec_b64 s[12:13], s[10:11]
	s_xor_b64 s[14:15], exec, s[12:13]
	s_cbranch_execz .LBB14_48
; %bb.45:                               ;   in Loop: Header=BB14_4 Depth=1
	v_cmp_lt_f32_e64 s[10:11], |v63|, s62
	v_cmp_gt_f32_e64 s[12:13], |v63|, s63
	s_and_b64 s[10:11], s[10:11], s[12:13]
	s_and_saveexec_b64 s[16:17], s[10:11]
	s_cbranch_execz .LBB14_47
; %bb.46:                               ;   in Loop: Header=BB14_4 Depth=1
	v_mul_f32_e64 v66, |v63|, 0.5
	v_floor_f32_e32 v67, v66
	v_sub_f32_e32 v67, v66, v67
	v_min_f32_e32 v67, 0x3f7fffff, v67
	v_add_f32_e32 v67, v67, v67
	v_cmp_neq_f32_e64 s[10:11], s50, v66
	v_cndmask_b32_e64 v66, 0, v67, s[10:11]
	v_cmp_gt_f32_e64 s[10:11], |v63|, 1.0
	v_cndmask_b32_e64 v66, |v63|, v66, s[10:11]
	v_add_f32_e32 v67, v66, v66
	v_rndne_f32_e32 v67, v67
	v_fmac_f32_e32 v66, -0.5, v67
	v_mul_f32_e32 v68, v66, v66
	v_mov_b32_e32 v69, 0xbf1f24be
	v_fmac_f32_e32 v69, 0x3e75aa41, v68
	v_fma_f32 v69, v68, v69, v48
	v_fma_f32 v69, v68, v69, v49
	v_mul_f32_e32 v70, v66, v68
	v_mul_f32_e32 v69, v70, v69
	v_fmac_f32_e32 v69, 0x40490fdb, v66
	v_mov_b32_e32 v66, 0x3e642e9d
	v_cvt_i32_f32_e32 v67, v67
	v_fmac_f32_e32 v66, 0x3d4be544, v68
	v_fma_f32 v66, v68, v66, v50
	v_fma_f32 v66, v68, v66, v51
	;; [unrolled: 1-line block ×3, first 2 shown]
	v_fma_f32 v66, v68, v66, 1.0
	v_and_b32_e32 v68, 1, v67
	v_lshlrev_b32_e32 v67, 30, v67
	v_cmp_eq_u32_e64 s[10:11], 0, v68
	v_and_b32_e32 v67, 0x80000000, v67
	v_xor_b32_e32 v65, v65, v63
	v_cndmask_b32_e64 v66, v66, v69, s[10:11]
	v_xor_b32_e32 v65, v65, v67
	v_xor_b32_e32 v65, v65, v66
	v_mul_f32_e32 v65, v63, v65
	v_frexp_mant_f32_e64 v66, |v65|
	v_rcp_f32_e32 v66, v66
	v_frexp_exp_i32_f32_e32 v65, v65
	v_sub_u32_e32 v65, 2, v65
	v_mul_f32_e32 v66, 0x3f490fdb, v66
	v_ldexp_f32 v65, v66, v65
	v_cmp_gt_f32_e64 s[10:11], s48, v65
	v_cndmask_b32_e64 v66, 1.0, v54, s[10:11]
	v_mul_f32_e32 v65, v65, v66
	v_log_f32_e32 v65, v65
	v_mul_f32_e32 v66, 0x3f317217, v65
	v_fma_f32 v67, v65, s49, -v66
	v_fmac_f32_e32 v67, 0x3377d1cf, v65
	v_add_f32_e32 v66, v66, v67
	v_cmp_lt_f32_e64 s[12:13], |v65|, s50
	v_cndmask_b32_e64 v65, v65, v66, s[12:13]
	v_cndmask_b32_e64 v66, 0, v55, s[10:11]
	v_sub_f32_e32 v65, v65, v66
	v_sub_f32_e32 v64, v65, v64
	v_floor_f32_e32 v65, v63
	v_sub_f32_e32 v65, v63, v65
	v_min_f32_e32 v65, 0x3f7fffff, v65
	v_cmp_neq_f32_e64 s[10:11], 0, v65
	v_cndmask_b32_e64 v64, v57, v64, s[10:11]
.LBB14_47:                              ;   in Loop: Header=BB14_4 Depth=1
	s_or_b64 exec, exec, s[16:17]
.LBB14_48:                              ;   in Loop: Header=BB14_4 Depth=1
	s_andn2_saveexec_b64 s[14:15], s[14:15]
; %bb.49:                               ;   in Loop: Header=BB14_4 Depth=1
	v_cmp_eq_f16_e64 s[10:11], 1.0, v61
	v_cmp_eq_f16_e64 s[12:13], 2.0, v61
	s_or_b64 s[10:11], s[10:11], s[12:13]
	v_cndmask_b32_e64 v64, v64, 0, s[10:11]
; %bb.50:                               ;   in Loop: Header=BB14_4 Depth=1
	s_or_b64 exec, exec, s[14:15]
	v_cvt_f32_f16_e32 v65, v60
                                        ; implicit-def: $vgpr66
	v_and_b32_e32 v67, 0x7fffffff, v65
	v_cmp_nlt_f32_e64 s[10:11], |v65|, s45
	s_and_saveexec_b64 s[12:13], s[10:11]
	s_xor_b64 s[14:15], exec, s[12:13]
	s_cbranch_execz .LBB14_80
; %bb.51:                               ;   in Loop: Header=BB14_4 Depth=1
	v_cmp_nlt_f32_e64 s[10:11], |v65|, 2.0
                                        ; implicit-def: $vgpr66
	s_and_saveexec_b64 s[12:13], s[10:11]
	s_xor_b64 s[16:17], exec, s[12:13]
	s_cbranch_execz .LBB14_61
; %bb.52:                               ;   in Loop: Header=BB14_4 Depth=1
	v_cmp_nlt_f32_e64 s[10:11], |v65|, s46
                                        ; implicit-def: $vgpr66
	s_and_saveexec_b64 s[12:13], s[10:11]
	s_xor_b64 s[18:19], exec, s[12:13]
	s_cbranch_execz .LBB14_58
; %bb.53:                               ;   in Loop: Header=BB14_4 Depth=1
	v_cmp_nlt_f32_e64 s[10:11], |v65|, s47
                                        ; implicit-def: $vgpr66
	s_and_saveexec_b64 s[12:13], s[10:11]
	s_xor_b64 s[34:35], exec, s[12:13]
	s_cbranch_execz .LBB14_55
; %bb.54:                               ;   in Loop: Header=BB14_4 Depth=1
	v_cmp_lt_f32_e64 s[10:11], |v65|, s48
	v_cndmask_b32_e64 v66, 1.0, v54, s[10:11]
	v_mul_f32_e64 v66, |v65|, v66
	v_log_f32_e32 v66, v66
	v_mul_f32_e32 v68, 0x3f317217, v66
	v_fma_f32 v69, v66, s49, -v68
	v_fmac_f32_e32 v69, 0x3377d1cf, v66
	v_add_f32_e32 v68, v68, v69
	v_cmp_lt_f32_e64 s[12:13], |v66|, s50
	v_cndmask_b32_e64 v66, v66, v68, s[12:13]
	v_cndmask_b32_e64 v68, 0, v55, s[10:11]
	v_sub_f32_e32 v66, v66, v68
	v_fma_f32 v66, |v65|, v66, -|v65|
.LBB14_55:                              ;   in Loop: Header=BB14_4 Depth=1
	s_andn2_saveexec_b64 s[34:35], s[34:35]
	s_cbranch_execz .LBB14_57
; %bb.56:                               ;   in Loop: Header=BB14_4 Depth=1
	v_rcp_f32_e64 v66, |v65|
	v_cmp_lt_f32_e64 s[10:11], |v65|, s48
	v_cndmask_b32_e64 v69, 1.0, v54, s[10:11]
	v_mov_b32_e32 v68, 0x3a5b3dd2
	v_mul_f32_e32 v70, v66, v66
	v_mul_f32_e64 v69, |v65|, v69
	v_fmac_f32_e32 v68, 0xbad5c4e8, v70
	v_log_f32_e32 v69, v69
	v_fma_f32 v68, v70, v68, v11
	v_fma_f32 v68, v70, v68, v12
	v_fma_f32 v68, v70, v68, v13
	v_fma_f32 v68, v70, v68, v14
	v_mul_f32_e32 v70, 0x3f317217, v69
	v_fma_f32 v71, v69, s49, -v70
	v_fmac_f32_e32 v71, 0x3377d1cf, v69
	v_add_f32_e32 v70, v70, v71
	v_cmp_lt_f32_e64 s[12:13], |v69|, s50
	v_cndmask_b32_e64 v69, v69, v70, s[12:13]
	v_cndmask_b32_e64 v70, 0, v55, s[10:11]
	v_sub_f32_e32 v69, v69, v70
	v_fma_f32 v66, v66, v68, v15
	v_add_f32_e64 v68, |v65|, -0.5
	v_add_f32_e32 v69, -1.0, v69
	v_fmac_f32_e32 v66, v68, v69
.LBB14_57:                              ;   in Loop: Header=BB14_4 Depth=1
	s_or_b64 exec, exec, s[34:35]
.LBB14_58:                              ;   in Loop: Header=BB14_4 Depth=1
	s_andn2_saveexec_b64 s[18:19], s[18:19]
	s_cbranch_execz .LBB14_60
; %bb.59:                               ;   in Loop: Header=BB14_4 Depth=1
	v_cvt_i32_f32_e32 v70, v67
	v_mov_b32_e32 v68, 0x3af135b4
	v_mov_b32_e32 v69, 0x3a4beed6
	v_cvt_f32_i32_e32 v66, v70
	v_cmp_lt_i32_e64 s[10:11], 3, v70
	v_sub_f32_e64 v66, |v65|, v66
	v_fmac_f32_e32 v68, 0x3805ff67, v66
	v_fmac_f32_e32 v69, 0x36f5d7bd, v66
	v_fma_f32 v68, v66, v68, v16
	v_fma_f32 v69, v66, v69, v21
	;; [unrolled: 1-line block ×9, first 2 shown]
	v_fma_f32 v68, v66, v68, 1.0
	v_rcp_f32_e32 v72, v68
	v_pk_add_f32 v[68:69], v[66:67], s[30:31] op_sel_hi:[0,1]
	v_cndmask_b32_e64 v69, 1.0, v69, s[10:11]
	v_cmp_lt_i32_e64 s[10:11], 2, v70
	v_add_f32_e32 v73, 4.0, v66
	v_cndmask_b32_e64 v68, 1.0, v68, s[10:11]
	v_cmp_lt_i32_e64 s[10:11], 4, v70
	v_add_f32_e32 v74, 0x40a00000, v66
	v_mul_f32_e32 v68, v68, v69
	v_cndmask_b32_e64 v69, 1.0, v73, s[10:11]
	v_cmp_lt_i32_e64 s[10:11], 5, v70
	v_add_f32_e32 v75, 0x40c00000, v66
	v_mul_f32_e32 v68, v69, v68
	v_cndmask_b32_e64 v69, 1.0, v74, s[10:11]
	v_cmp_lt_i32_e64 s[10:11], 6, v70
	v_mul_f32_e32 v68, v69, v68
	v_cndmask_b32_e64 v69, 1.0, v75, s[10:11]
	v_mul_f32_e32 v68, v69, v68
	v_cmp_gt_f32_e64 s[10:11], s48, v68
	v_cndmask_b32_e64 v69, 1.0, v54, s[10:11]
	v_mul_f32_e32 v68, v68, v69
	v_log_f32_e32 v68, v68
	v_mul_f32_e32 v69, v66, v71
	v_mul_f32_e32 v69, v69, v72
	v_fmac_f32_e32 v69, 0.5, v66
	v_mul_f32_e32 v66, 0x3f317217, v68
	v_fma_f32 v70, v68, s49, -v66
	v_fmac_f32_e32 v70, 0x3377d1cf, v68
	v_add_f32_e32 v66, v66, v70
	v_cmp_lt_f32_e64 s[12:13], |v68|, s50
	v_cndmask_b32_e64 v66, v68, v66, s[12:13]
	v_cndmask_b32_e64 v68, 0, v55, s[10:11]
	v_sub_f32_e32 v66, v66, v68
	v_add_f32_e32 v66, v66, v69
.LBB14_60:                              ;   in Loop: Header=BB14_4 Depth=1
	s_or_b64 exec, exec, s[18:19]
.LBB14_61:                              ;   in Loop: Header=BB14_4 Depth=1
	s_andn2_saveexec_b64 s[12:13], s[16:17]
	s_cbranch_execz .LBB14_79
; %bb.62:                               ;   in Loop: Header=BB14_4 Depth=1
	v_cmp_le_f32_e64 s[10:11], |v65|, s51
                                        ; implicit-def: $vgpr66
                                        ; implicit-def: $vgpr69
                                        ; implicit-def: $vgpr68
	s_and_saveexec_b64 s[16:17], s[10:11]
	s_xor_b64 s[16:17], exec, s[16:17]
	s_cbranch_execz .LBB14_64
; %bb.63:                               ;   in Loop: Header=BB14_4 Depth=1
	v_cmp_lt_f32_e64 s[10:11], |v65|, s48
	v_cndmask_b32_e64 v66, 1.0, v54, s[10:11]
	v_mul_f32_e64 v66, |v65|, v66
	v_log_f32_e32 v66, v66
	v_cndmask_b32_e64 v68, 0, v55, s[10:11]
	v_mul_f32_e32 v69, 0x3f317217, v66
	v_fma_f32 v70, v66, s49, -v69
	v_fmac_f32_e32 v70, 0x3377d1cf, v66
	v_add_f32_e32 v69, v69, v70
	v_cmp_lt_f32_e64 s[10:11], |v66|, s50
	v_cndmask_b32_e64 v66, v66, v69, s[10:11]
	v_sub_f32_e32 v66, v66, v68
	v_sub_f32_e64 v68, 1.0, |v65|
	v_add_f32_e64 v69, |v65|, s53
	v_cmp_lt_f32_e64 s[10:11], |v65|, s52
	v_cndmask_b32_e64 v68, v68, v69, s[10:11]
	v_cndmask_b32_e64 v69, 0, 1, s[10:11]
	v_cmp_lt_f32_e64 s[10:11], |v65|, s54
	v_xor_b32_e32 v66, 0x80000000, v66
	v_cndmask_b32_e64 v68, v68, |v65|, s[10:11]
	v_cndmask_b32_e64 v69, v69, 2, s[10:11]
.LBB14_64:                              ;   in Loop: Header=BB14_4 Depth=1
	s_andn2_saveexec_b64 s[16:17], s[16:17]
; %bb.65:                               ;   in Loop: Header=BB14_4 Depth=1
	v_sub_f32_e64 v66, 2.0, |v65|
	v_add_f32_e64 v68, |v65|, s56
	v_cmp_lt_f32_e64 s[10:11], |v65|, s55
	v_cndmask_b32_e64 v68, v66, v68, s[10:11]
	v_cndmask_b32_e64 v66, v66, 1.0, s[10:11]
	v_cvt_i32_f32_e32 v66, v66
	v_add_f32_e64 v69, |v65|, -1.0
	v_cmp_lt_f32_e64 s[10:11], |v65|, s57
	v_cndmask_b32_e64 v68, v68, v69, s[10:11]
	v_cndmask_b32_e64 v69, v66, 2, s[10:11]
	v_mov_b32_e32 v66, 0
; %bb.66:                               ;   in Loop: Header=BB14_4 Depth=1
	s_or_b64 exec, exec, s[16:17]
	v_cmp_lt_i32_e64 s[10:11], 0, v69
	s_and_saveexec_b64 s[16:17], s[10:11]
	s_xor_b64 s[16:17], exec, s[16:17]
	s_cbranch_execz .LBB14_74
; %bb.67:                               ;   in Loop: Header=BB14_4 Depth=1
	v_cmp_lt_i32_e64 s[10:11], 1, v69
	s_and_saveexec_b64 s[18:19], s[10:11]
	s_xor_b64 s[18:19], exec, s[18:19]
	s_cbranch_execz .LBB14_71
; %bb.68:                               ;   in Loop: Header=BB14_4 Depth=1
	v_cmp_eq_u32_e64 s[10:11], 2, v69
	s_and_saveexec_b64 s[34:35], s[10:11]
	s_cbranch_execz .LBB14_70
; %bb.69:                               ;   in Loop: Header=BB14_4 Depth=1
	v_mov_b32_e32 v70, 0x3dd572af
	v_fmac_f32_e32 v70, 0x3b52d5db, v68
	v_fma_f32 v70, v68, v70, v28
	v_mov_b32_e32 v69, 0x3e6a7578
	v_fma_f32 v70, v68, v70, v29
	v_fmac_f32_e32 v69, 0x3c5b3c5e, v68
	v_fma_f32 v70, v68, v70, v30
	v_fma_f32 v69, v68, v69, v25
	v_fma_f32 v70, v68, v70, 1.0
	v_fma_f32 v69, v68, v69, v26
	v_rcp_f32_e32 v70, v70
	v_fma_f32 v69, v68, v69, v27
	v_fma_f32 v69, v68, v69, v20
	v_mul_f32_e32 v69, v68, v69
	v_mul_f32_e32 v69, v69, v70
	v_fmac_f32_e32 v69, -0.5, v68
	v_add_f32_e32 v66, v66, v69
.LBB14_70:                              ;   in Loop: Header=BB14_4 Depth=1
	s_or_b64 exec, exec, s[34:35]
                                        ; implicit-def: $vgpr68
.LBB14_71:                              ;   in Loop: Header=BB14_4 Depth=1
	s_andn2_saveexec_b64 s[10:11], s[18:19]
	s_cbranch_execz .LBB14_73
; %bb.72:                               ;   in Loop: Header=BB14_4 Depth=1
	v_mul_f32_e32 v69, v68, v68
	v_mul_f32_e32 v70, v68, v69
	v_mov_b32_e32 v72, 0x3a66f867
	v_mov_b32_e32 v73, 0xba0d3085
	v_fmac_f32_e32 v72, 0xb9a3f927, v70
	v_fmac_f32_e32 v73, 0x39afe9f7, v70
	v_mov_b32_e32 v71, 0xbab7f476
	v_fma_f32 v72, v70, v72, v34
	v_fma_f32 v73, v70, v73, v37
	v_fmac_f32_e32 v71, 0x39a57b6b, v70
	v_fma_f32 v72, v70, v72, v35
	v_fma_f32 v73, v70, v73, v38
	;; [unrolled: 1-line block ×6, first 2 shown]
	v_fmac_f32_e32 v72, v68, v73
	v_fma_f32 v71, v70, v71, v33
	v_fma_f32 v68, v70, -v72, s58
	v_fma_f32 v68, v69, v71, -v68
	v_add_f32_e32 v68, 0xbdf8cdce, v68
	v_add_f32_e32 v66, v66, v68
.LBB14_73:                              ;   in Loop: Header=BB14_4 Depth=1
	s_or_b64 exec, exec, s[10:11]
                                        ; implicit-def: $vgpr69
                                        ; implicit-def: $vgpr68
.LBB14_74:                              ;   in Loop: Header=BB14_4 Depth=1
	s_andn2_saveexec_b64 s[16:17], s[16:17]
	s_cbranch_execz .LBB14_78
; %bb.75:                               ;   in Loop: Header=BB14_4 Depth=1
	v_cmp_eq_u32_e64 s[10:11], 0, v69
	s_and_saveexec_b64 s[18:19], s[10:11]
	s_cbranch_execz .LBB14_77
; %bb.76:                               ;   in Loop: Header=BB14_4 Depth=1
	v_mul_f32_e32 v69, v68, v68
	v_mov_b32_e32 v71, 0x38e28445
	v_mov_b32_e32 v70, 0x39679767
	v_fmac_f32_e32 v71, 0x383c2c75, v69
	v_fmac_f32_e32 v70, 0x37d383a2, v69
	v_fma_f32 v71, v69, v71, v44
	v_fma_f32 v70, v69, v70, v40
	;; [unrolled: 1-line block ×8, first 2 shown]
	v_mul_f32_e32 v69, v69, v71
	v_fmac_f32_e32 v69, v68, v70
	v_fmac_f32_e32 v69, -0.5, v68
	v_add_f32_e32 v66, v66, v69
.LBB14_77:                              ;   in Loop: Header=BB14_4 Depth=1
	s_or_b64 exec, exec, s[18:19]
.LBB14_78:                              ;   in Loop: Header=BB14_4 Depth=1
	s_or_b64 exec, exec, s[16:17]
.LBB14_79:                              ;   in Loop: Header=BB14_4 Depth=1
	s_or_b64 exec, exec, s[12:13]
.LBB14_80:                              ;   in Loop: Header=BB14_4 Depth=1
	s_andn2_saveexec_b64 s[14:15], s[14:15]
	s_cbranch_execz .LBB14_82
; %bb.81:                               ;   in Loop: Header=BB14_4 Depth=1
	v_cmp_lt_f32_e64 s[10:11], |v65|, s48
	v_cndmask_b32_e64 v66, 1.0, v54, s[10:11]
	v_mul_f32_e64 v66, |v65|, v66
	v_log_f32_e32 v66, v66
	v_fma_f32 v68, |v65|, s59, v56
	v_fma_f32 v68, |v65|, v68, s60
	;; [unrolled: 1-line block ×3, first 2 shown]
	v_mul_f32_e32 v69, 0x3f317217, v66
	v_fma_f32 v70, v66, s49, -v69
	v_fmac_f32_e32 v70, 0x3377d1cf, v66
	v_add_f32_e32 v69, v69, v70
	v_cmp_lt_f32_e64 s[12:13], |v66|, s50
	v_cndmask_b32_e64 v66, v66, v69, s[12:13]
	v_cndmask_b32_e64 v69, 0, v55, s[10:11]
	v_sub_f32_e32 v66, v66, v69
	v_fma_f32 v66, |v65|, v68, -v66
.LBB14_82:                              ;   in Loop: Header=BB14_4 Depth=1
	s_or_b64 exec, exec, s[14:15]
	v_cmp_le_f16_e64 s[10:11], 0, v60
	v_cmp_nle_f16_e64 s[12:13], 0, v60
	s_and_saveexec_b64 s[14:15], s[12:13]
	s_xor_b64 s[16:17], exec, s[14:15]
	s_cbranch_execz .LBB14_86
; %bb.83:                               ;   in Loop: Header=BB14_4 Depth=1
	v_cmp_lt_f32_e64 s[12:13], |v65|, s62
	v_cmp_gt_f32_e64 s[14:15], |v65|, s63
	s_and_b64 s[12:13], s[12:13], s[14:15]
	s_and_saveexec_b64 s[18:19], s[12:13]
	s_cbranch_execz .LBB14_85
; %bb.84:                               ;   in Loop: Header=BB14_4 Depth=1
	v_mul_f32_e64 v68, |v65|, 0.5
	v_floor_f32_e32 v69, v68
	v_sub_f32_e32 v69, v68, v69
	v_min_f32_e32 v69, 0x3f7fffff, v69
	v_add_f32_e32 v69, v69, v69
	v_cmp_neq_f32_e64 s[12:13], s50, v68
	v_cndmask_b32_e64 v68, 0, v69, s[12:13]
	v_cmp_gt_f32_e64 s[12:13], |v65|, 1.0
	v_cndmask_b32_e64 v68, |v65|, v68, s[12:13]
	v_add_f32_e32 v69, v68, v68
	v_rndne_f32_e32 v69, v69
	v_fmac_f32_e32 v68, -0.5, v69
	v_mul_f32_e32 v70, v68, v68
	v_mov_b32_e32 v71, 0xbf1f24be
	v_fmac_f32_e32 v71, 0x3e75aa41, v70
	v_fma_f32 v71, v70, v71, v48
	v_fma_f32 v71, v70, v71, v49
	v_mul_f32_e32 v72, v68, v70
	v_mul_f32_e32 v71, v72, v71
	v_fmac_f32_e32 v71, 0x40490fdb, v68
	v_mov_b32_e32 v68, 0x3e642e9d
	v_cvt_i32_f32_e32 v69, v69
	v_fmac_f32_e32 v68, 0x3d4be544, v70
	v_fma_f32 v68, v70, v68, v50
	v_fma_f32 v68, v70, v68, v51
	;; [unrolled: 1-line block ×3, first 2 shown]
	v_fma_f32 v68, v70, v68, 1.0
	v_and_b32_e32 v70, 1, v69
	v_lshlrev_b32_e32 v69, 30, v69
	v_cmp_eq_u32_e64 s[12:13], 0, v70
	v_and_b32_e32 v69, 0x80000000, v69
	v_xor_b32_e32 v67, v67, v65
	v_cndmask_b32_e64 v68, v68, v71, s[12:13]
	v_xor_b32_e32 v67, v67, v69
	v_xor_b32_e32 v67, v67, v68
	v_mul_f32_e32 v67, v65, v67
	v_frexp_mant_f32_e64 v68, |v67|
	v_rcp_f32_e32 v68, v68
	v_frexp_exp_i32_f32_e32 v67, v67
	v_sub_u32_e32 v67, 2, v67
	v_mul_f32_e32 v68, 0x3f490fdb, v68
	v_ldexp_f32 v67, v68, v67
	v_cmp_gt_f32_e64 s[12:13], s48, v67
	v_cndmask_b32_e64 v68, 1.0, v54, s[12:13]
	v_mul_f32_e32 v67, v67, v68
	v_log_f32_e32 v67, v67
	v_mul_f32_e32 v68, 0x3f317217, v67
	v_fma_f32 v69, v67, s49, -v68
	v_fmac_f32_e32 v69, 0x3377d1cf, v67
	v_add_f32_e32 v68, v68, v69
	v_cmp_lt_f32_e64 s[14:15], |v67|, s50
	v_cndmask_b32_e64 v67, v67, v68, s[14:15]
	v_cndmask_b32_e64 v68, 0, v55, s[12:13]
	v_sub_f32_e32 v67, v67, v68
	v_sub_f32_e32 v66, v67, v66
	v_floor_f32_e32 v67, v65
	v_sub_f32_e32 v67, v65, v67
	v_min_f32_e32 v67, 0x3f7fffff, v67
	v_cmp_neq_f32_e64 s[12:13], 0, v67
	v_cndmask_b32_e64 v66, v57, v66, s[12:13]
.LBB14_85:                              ;   in Loop: Header=BB14_4 Depth=1
	s_or_b64 exec, exec, s[18:19]
.LBB14_86:                              ;   in Loop: Header=BB14_4 Depth=1
	s_andn2_saveexec_b64 s[16:17], s[16:17]
; %bb.87:                               ;   in Loop: Header=BB14_4 Depth=1
	v_cmp_eq_f16_e64 s[12:13], 1.0, v60
	v_cmp_eq_f16_e64 s[14:15], 2.0, v60
	s_or_b64 s[12:13], s[12:13], s[14:15]
	v_cndmask_b32_e64 v66, v66, 0, s[12:13]
; %bb.88:                               ;   in Loop: Header=BB14_4 Depth=1
	s_or_b64 exec, exec, s[16:17]
	v_cvt_f32_f16_e32 v67, v62
                                        ; implicit-def: $vgpr68
	v_and_b32_e32 v69, 0x7fffffff, v67
	v_cmp_nlt_f32_e64 s[12:13], |v67|, s45
	s_and_saveexec_b64 s[14:15], s[12:13]
	s_xor_b64 s[16:17], exec, s[14:15]
	s_cbranch_execz .LBB14_118
; %bb.89:                               ;   in Loop: Header=BB14_4 Depth=1
	v_cmp_nlt_f32_e64 s[12:13], |v67|, 2.0
                                        ; implicit-def: $vgpr68
	s_and_saveexec_b64 s[14:15], s[12:13]
	s_xor_b64 s[18:19], exec, s[14:15]
	s_cbranch_execz .LBB14_99
; %bb.90:                               ;   in Loop: Header=BB14_4 Depth=1
	v_cmp_nlt_f32_e64 s[12:13], |v67|, s46
                                        ; implicit-def: $vgpr68
	s_and_saveexec_b64 s[14:15], s[12:13]
	s_xor_b64 s[34:35], exec, s[14:15]
	s_cbranch_execz .LBB14_96
; %bb.91:                               ;   in Loop: Header=BB14_4 Depth=1
	v_cmp_nlt_f32_e64 s[12:13], |v67|, s47
                                        ; implicit-def: $vgpr68
	s_and_saveexec_b64 s[14:15], s[12:13]
	s_xor_b64 s[36:37], exec, s[14:15]
	s_cbranch_execz .LBB14_93
; %bb.92:                               ;   in Loop: Header=BB14_4 Depth=1
	v_cmp_lt_f32_e64 s[12:13], |v67|, s48
	v_cndmask_b32_e64 v68, 1.0, v54, s[12:13]
	v_mul_f32_e64 v68, |v67|, v68
	v_log_f32_e32 v68, v68
	v_mul_f32_e32 v70, 0x3f317217, v68
	v_fma_f32 v71, v68, s49, -v70
	v_fmac_f32_e32 v71, 0x3377d1cf, v68
	v_add_f32_e32 v70, v70, v71
	v_cmp_lt_f32_e64 s[14:15], |v68|, s50
	v_cndmask_b32_e64 v68, v68, v70, s[14:15]
	v_cndmask_b32_e64 v70, 0, v55, s[12:13]
	v_sub_f32_e32 v68, v68, v70
	v_fma_f32 v68, |v67|, v68, -|v67|
.LBB14_93:                              ;   in Loop: Header=BB14_4 Depth=1
	s_andn2_saveexec_b64 s[36:37], s[36:37]
	s_cbranch_execz .LBB14_95
; %bb.94:                               ;   in Loop: Header=BB14_4 Depth=1
	v_rcp_f32_e64 v68, |v67|
	v_cmp_lt_f32_e64 s[12:13], |v67|, s48
	v_cndmask_b32_e64 v71, 1.0, v54, s[12:13]
	v_mov_b32_e32 v70, 0x3a5b3dd2
	v_mul_f32_e32 v72, v68, v68
	v_mul_f32_e64 v71, |v67|, v71
	v_fmac_f32_e32 v70, 0xbad5c4e8, v72
	v_log_f32_e32 v71, v71
	v_fma_f32 v70, v72, v70, v11
	v_fma_f32 v70, v72, v70, v12
	;; [unrolled: 1-line block ×4, first 2 shown]
	v_mul_f32_e32 v72, 0x3f317217, v71
	v_fma_f32 v73, v71, s49, -v72
	v_fmac_f32_e32 v73, 0x3377d1cf, v71
	v_add_f32_e32 v72, v72, v73
	v_cmp_lt_f32_e64 s[14:15], |v71|, s50
	v_cndmask_b32_e64 v71, v71, v72, s[14:15]
	v_cndmask_b32_e64 v72, 0, v55, s[12:13]
	v_sub_f32_e32 v71, v71, v72
	v_fma_f32 v68, v68, v70, v15
	v_add_f32_e64 v70, |v67|, -0.5
	v_add_f32_e32 v71, -1.0, v71
	v_fmac_f32_e32 v68, v70, v71
.LBB14_95:                              ;   in Loop: Header=BB14_4 Depth=1
	s_or_b64 exec, exec, s[36:37]
.LBB14_96:                              ;   in Loop: Header=BB14_4 Depth=1
	s_andn2_saveexec_b64 s[34:35], s[34:35]
	s_cbranch_execz .LBB14_98
; %bb.97:                               ;   in Loop: Header=BB14_4 Depth=1
	v_cvt_i32_f32_e32 v72, v69
	v_mov_b32_e32 v70, 0x3af135b4
	v_mov_b32_e32 v71, 0x3a4beed6
	v_cvt_f32_i32_e32 v68, v72
	v_cmp_lt_i32_e64 s[12:13], 3, v72
	v_sub_f32_e64 v68, |v67|, v68
	v_fmac_f32_e32 v70, 0x3805ff67, v68
	v_fmac_f32_e32 v71, 0x36f5d7bd, v68
	v_fma_f32 v70, v68, v70, v16
	v_fma_f32 v71, v68, v71, v21
	;; [unrolled: 1-line block ×9, first 2 shown]
	v_fma_f32 v70, v68, v70, 1.0
	v_rcp_f32_e32 v74, v70
	v_pk_add_f32 v[70:71], v[68:69], s[30:31] op_sel_hi:[0,1]
	v_cndmask_b32_e64 v71, 1.0, v71, s[12:13]
	v_cmp_lt_i32_e64 s[12:13], 2, v72
	v_add_f32_e32 v75, 4.0, v68
	v_cndmask_b32_e64 v70, 1.0, v70, s[12:13]
	v_cmp_lt_i32_e64 s[12:13], 4, v72
	v_add_f32_e32 v76, 0x40a00000, v68
	v_mul_f32_e32 v70, v70, v71
	v_cndmask_b32_e64 v71, 1.0, v75, s[12:13]
	v_cmp_lt_i32_e64 s[12:13], 5, v72
	v_add_f32_e32 v77, 0x40c00000, v68
	v_mul_f32_e32 v70, v71, v70
	v_cndmask_b32_e64 v71, 1.0, v76, s[12:13]
	v_cmp_lt_i32_e64 s[12:13], 6, v72
	v_mul_f32_e32 v70, v71, v70
	v_cndmask_b32_e64 v71, 1.0, v77, s[12:13]
	v_mul_f32_e32 v70, v71, v70
	v_cmp_gt_f32_e64 s[12:13], s48, v70
	v_cndmask_b32_e64 v71, 1.0, v54, s[12:13]
	v_mul_f32_e32 v70, v70, v71
	v_log_f32_e32 v70, v70
	v_mul_f32_e32 v71, v68, v73
	v_mul_f32_e32 v71, v71, v74
	v_fmac_f32_e32 v71, 0.5, v68
	v_mul_f32_e32 v68, 0x3f317217, v70
	v_fma_f32 v72, v70, s49, -v68
	v_fmac_f32_e32 v72, 0x3377d1cf, v70
	v_add_f32_e32 v68, v68, v72
	v_cmp_lt_f32_e64 s[14:15], |v70|, s50
	v_cndmask_b32_e64 v68, v70, v68, s[14:15]
	v_cndmask_b32_e64 v70, 0, v55, s[12:13]
	v_sub_f32_e32 v68, v68, v70
	v_add_f32_e32 v68, v68, v71
.LBB14_98:                              ;   in Loop: Header=BB14_4 Depth=1
	s_or_b64 exec, exec, s[34:35]
.LBB14_99:                              ;   in Loop: Header=BB14_4 Depth=1
	s_andn2_saveexec_b64 s[14:15], s[18:19]
	s_cbranch_execz .LBB14_117
; %bb.100:                              ;   in Loop: Header=BB14_4 Depth=1
	v_cmp_le_f32_e64 s[12:13], |v67|, s51
                                        ; implicit-def: $vgpr68
                                        ; implicit-def: $vgpr71
                                        ; implicit-def: $vgpr70
	s_and_saveexec_b64 s[18:19], s[12:13]
	s_xor_b64 s[18:19], exec, s[18:19]
	s_cbranch_execz .LBB14_102
; %bb.101:                              ;   in Loop: Header=BB14_4 Depth=1
	v_cmp_lt_f32_e64 s[12:13], |v67|, s48
	v_cndmask_b32_e64 v68, 1.0, v54, s[12:13]
	v_mul_f32_e64 v68, |v67|, v68
	v_log_f32_e32 v68, v68
	v_cndmask_b32_e64 v70, 0, v55, s[12:13]
	v_mul_f32_e32 v71, 0x3f317217, v68
	v_fma_f32 v72, v68, s49, -v71
	v_fmac_f32_e32 v72, 0x3377d1cf, v68
	v_add_f32_e32 v71, v71, v72
	v_cmp_lt_f32_e64 s[12:13], |v68|, s50
	v_cndmask_b32_e64 v68, v68, v71, s[12:13]
	v_sub_f32_e32 v68, v68, v70
	v_sub_f32_e64 v70, 1.0, |v67|
	v_add_f32_e64 v71, |v67|, s53
	v_cmp_lt_f32_e64 s[12:13], |v67|, s52
	v_cndmask_b32_e64 v70, v70, v71, s[12:13]
	v_cndmask_b32_e64 v71, 0, 1, s[12:13]
	v_cmp_lt_f32_e64 s[12:13], |v67|, s54
	v_xor_b32_e32 v68, 0x80000000, v68
	v_cndmask_b32_e64 v70, v70, |v67|, s[12:13]
	v_cndmask_b32_e64 v71, v71, 2, s[12:13]
.LBB14_102:                             ;   in Loop: Header=BB14_4 Depth=1
	s_andn2_saveexec_b64 s[18:19], s[18:19]
; %bb.103:                              ;   in Loop: Header=BB14_4 Depth=1
	v_sub_f32_e64 v68, 2.0, |v67|
	v_add_f32_e64 v70, |v67|, s56
	v_cmp_lt_f32_e64 s[12:13], |v67|, s55
	v_cndmask_b32_e64 v70, v68, v70, s[12:13]
	v_cndmask_b32_e64 v68, v68, 1.0, s[12:13]
	v_cvt_i32_f32_e32 v68, v68
	v_add_f32_e64 v71, |v67|, -1.0
	v_cmp_lt_f32_e64 s[12:13], |v67|, s57
	v_cndmask_b32_e64 v70, v70, v71, s[12:13]
	v_cndmask_b32_e64 v71, v68, 2, s[12:13]
	v_mov_b32_e32 v68, 0
; %bb.104:                              ;   in Loop: Header=BB14_4 Depth=1
	s_or_b64 exec, exec, s[18:19]
	v_cmp_lt_i32_e64 s[12:13], 0, v71
	s_and_saveexec_b64 s[18:19], s[12:13]
	s_xor_b64 s[18:19], exec, s[18:19]
	s_cbranch_execz .LBB14_112
; %bb.105:                              ;   in Loop: Header=BB14_4 Depth=1
	v_cmp_lt_i32_e64 s[12:13], 1, v71
	s_and_saveexec_b64 s[34:35], s[12:13]
	s_xor_b64 s[34:35], exec, s[34:35]
	s_cbranch_execz .LBB14_109
; %bb.106:                              ;   in Loop: Header=BB14_4 Depth=1
	v_cmp_eq_u32_e64 s[12:13], 2, v71
	s_and_saveexec_b64 s[36:37], s[12:13]
	s_cbranch_execz .LBB14_108
; %bb.107:                              ;   in Loop: Header=BB14_4 Depth=1
	v_mov_b32_e32 v72, 0x3dd572af
	v_fmac_f32_e32 v72, 0x3b52d5db, v70
	v_fma_f32 v72, v70, v72, v28
	v_mov_b32_e32 v71, 0x3e6a7578
	v_fma_f32 v72, v70, v72, v29
	v_fmac_f32_e32 v71, 0x3c5b3c5e, v70
	v_fma_f32 v72, v70, v72, v30
	v_fma_f32 v71, v70, v71, v25
	v_fma_f32 v72, v70, v72, 1.0
	v_fma_f32 v71, v70, v71, v26
	v_rcp_f32_e32 v72, v72
	v_fma_f32 v71, v70, v71, v27
	v_fma_f32 v71, v70, v71, v20
	v_mul_f32_e32 v71, v70, v71
	v_mul_f32_e32 v71, v71, v72
	v_fmac_f32_e32 v71, -0.5, v70
	v_add_f32_e32 v68, v68, v71
.LBB14_108:                             ;   in Loop: Header=BB14_4 Depth=1
	s_or_b64 exec, exec, s[36:37]
                                        ; implicit-def: $vgpr70
.LBB14_109:                             ;   in Loop: Header=BB14_4 Depth=1
	s_andn2_saveexec_b64 s[12:13], s[34:35]
	s_cbranch_execz .LBB14_111
; %bb.110:                              ;   in Loop: Header=BB14_4 Depth=1
	v_mul_f32_e32 v71, v70, v70
	v_mul_f32_e32 v72, v70, v71
	v_mov_b32_e32 v74, 0x3a66f867
	v_mov_b32_e32 v75, 0xba0d3085
	v_fmac_f32_e32 v74, 0xb9a3f927, v72
	v_fmac_f32_e32 v75, 0x39afe9f7, v72
	v_mov_b32_e32 v73, 0xbab7f476
	v_fma_f32 v74, v72, v74, v34
	v_fma_f32 v75, v72, v75, v37
	v_fmac_f32_e32 v73, 0x39a57b6b, v72
	v_fma_f32 v74, v72, v74, v35
	v_fma_f32 v75, v72, v75, v38
	;; [unrolled: 1-line block ×6, first 2 shown]
	v_fmac_f32_e32 v74, v70, v75
	v_fma_f32 v73, v72, v73, v33
	v_fma_f32 v70, v72, -v74, s58
	v_fma_f32 v70, v71, v73, -v70
	v_add_f32_e32 v70, 0xbdf8cdce, v70
	v_add_f32_e32 v68, v68, v70
.LBB14_111:                             ;   in Loop: Header=BB14_4 Depth=1
	s_or_b64 exec, exec, s[12:13]
                                        ; implicit-def: $vgpr71
                                        ; implicit-def: $vgpr70
.LBB14_112:                             ;   in Loop: Header=BB14_4 Depth=1
	s_andn2_saveexec_b64 s[18:19], s[18:19]
	s_cbranch_execz .LBB14_116
; %bb.113:                              ;   in Loop: Header=BB14_4 Depth=1
	v_cmp_eq_u32_e64 s[12:13], 0, v71
	s_and_saveexec_b64 s[34:35], s[12:13]
	s_cbranch_execz .LBB14_115
; %bb.114:                              ;   in Loop: Header=BB14_4 Depth=1
	v_mul_f32_e32 v71, v70, v70
	v_mov_b32_e32 v73, 0x38e28445
	v_mov_b32_e32 v72, 0x39679767
	v_fmac_f32_e32 v73, 0x383c2c75, v71
	v_fmac_f32_e32 v72, 0x37d383a2, v71
	v_fma_f32 v73, v71, v73, v44
	v_fma_f32 v72, v71, v72, v40
	v_fma_f32 v73, v71, v73, v45
	v_fma_f32 v72, v71, v72, v41
	v_fma_f32 v73, v71, v73, v46
	v_fma_f32 v72, v71, v72, v42
	v_fma_f32 v73, v71, v73, v47
	v_fma_f32 v72, v71, v72, v43
	v_mul_f32_e32 v71, v71, v73
	v_fmac_f32_e32 v71, v70, v72
	v_fmac_f32_e32 v71, -0.5, v70
	v_add_f32_e32 v68, v68, v71
.LBB14_115:                             ;   in Loop: Header=BB14_4 Depth=1
	s_or_b64 exec, exec, s[34:35]
.LBB14_116:                             ;   in Loop: Header=BB14_4 Depth=1
	s_or_b64 exec, exec, s[18:19]
.LBB14_117:                             ;   in Loop: Header=BB14_4 Depth=1
	s_or_b64 exec, exec, s[14:15]
.LBB14_118:                             ;   in Loop: Header=BB14_4 Depth=1
	s_andn2_saveexec_b64 s[16:17], s[16:17]
	s_cbranch_execz .LBB14_120
; %bb.119:                              ;   in Loop: Header=BB14_4 Depth=1
	v_cmp_lt_f32_e64 s[12:13], |v67|, s48
	v_cndmask_b32_e64 v68, 1.0, v54, s[12:13]
	v_mul_f32_e64 v68, |v67|, v68
	v_log_f32_e32 v68, v68
	v_fma_f32 v70, |v67|, s59, v56
	v_fma_f32 v70, |v67|, v70, s60
	;; [unrolled: 1-line block ×3, first 2 shown]
	v_mul_f32_e32 v71, 0x3f317217, v68
	v_fma_f32 v72, v68, s49, -v71
	v_fmac_f32_e32 v72, 0x3377d1cf, v68
	v_add_f32_e32 v71, v71, v72
	v_cmp_lt_f32_e64 s[14:15], |v68|, s50
	v_cndmask_b32_e64 v68, v68, v71, s[14:15]
	v_cndmask_b32_e64 v71, 0, v55, s[12:13]
	v_sub_f32_e32 v68, v68, v71
	v_fma_f32 v68, |v67|, v70, -v68
.LBB14_120:                             ;   in Loop: Header=BB14_4 Depth=1
	s_or_b64 exec, exec, s[16:17]
	v_cmp_le_f16_e64 s[12:13], 0, v62
	v_cmp_nle_f16_e64 s[14:15], 0, v62
	s_and_saveexec_b64 s[16:17], s[14:15]
	s_xor_b64 s[18:19], exec, s[16:17]
	s_cbranch_execz .LBB14_124
; %bb.121:                              ;   in Loop: Header=BB14_4 Depth=1
	v_cmp_lt_f32_e64 s[14:15], |v67|, s62
	v_cmp_gt_f32_e64 s[16:17], |v67|, s63
	s_and_b64 s[14:15], s[14:15], s[16:17]
	s_and_saveexec_b64 s[34:35], s[14:15]
	s_cbranch_execz .LBB14_123
; %bb.122:                              ;   in Loop: Header=BB14_4 Depth=1
	v_mul_f32_e64 v70, |v67|, 0.5
	v_floor_f32_e32 v71, v70
	v_sub_f32_e32 v71, v70, v71
	v_min_f32_e32 v71, 0x3f7fffff, v71
	v_add_f32_e32 v71, v71, v71
	v_cmp_neq_f32_e64 s[14:15], s50, v70
	v_cndmask_b32_e64 v70, 0, v71, s[14:15]
	v_cmp_gt_f32_e64 s[14:15], |v67|, 1.0
	v_cndmask_b32_e64 v70, |v67|, v70, s[14:15]
	v_add_f32_e32 v71, v70, v70
	v_rndne_f32_e32 v71, v71
	v_fmac_f32_e32 v70, -0.5, v71
	v_mul_f32_e32 v72, v70, v70
	v_mov_b32_e32 v73, 0xbf1f24be
	v_fmac_f32_e32 v73, 0x3e75aa41, v72
	v_fma_f32 v73, v72, v73, v48
	v_fma_f32 v73, v72, v73, v49
	v_mul_f32_e32 v74, v70, v72
	v_mul_f32_e32 v73, v74, v73
	v_fmac_f32_e32 v73, 0x40490fdb, v70
	v_mov_b32_e32 v70, 0x3e642e9d
	v_cvt_i32_f32_e32 v71, v71
	v_fmac_f32_e32 v70, 0x3d4be544, v72
	v_fma_f32 v70, v72, v70, v50
	v_fma_f32 v70, v72, v70, v51
	;; [unrolled: 1-line block ×3, first 2 shown]
	v_fma_f32 v70, v72, v70, 1.0
	v_and_b32_e32 v72, 1, v71
	v_lshlrev_b32_e32 v71, 30, v71
	v_cmp_eq_u32_e64 s[14:15], 0, v72
	v_and_b32_e32 v71, 0x80000000, v71
	v_xor_b32_e32 v69, v69, v67
	v_cndmask_b32_e64 v70, v70, v73, s[14:15]
	v_xor_b32_e32 v69, v69, v71
	v_xor_b32_e32 v69, v69, v70
	v_mul_f32_e32 v69, v67, v69
	v_frexp_mant_f32_e64 v70, |v69|
	v_rcp_f32_e32 v70, v70
	v_frexp_exp_i32_f32_e32 v69, v69
	v_sub_u32_e32 v69, 2, v69
	v_mul_f32_e32 v70, 0x3f490fdb, v70
	v_ldexp_f32 v69, v70, v69
	v_cmp_gt_f32_e64 s[14:15], s48, v69
	v_cndmask_b32_e64 v70, 1.0, v54, s[14:15]
	v_mul_f32_e32 v69, v69, v70
	v_log_f32_e32 v69, v69
	v_mul_f32_e32 v70, 0x3f317217, v69
	v_fma_f32 v71, v69, s49, -v70
	v_fmac_f32_e32 v71, 0x3377d1cf, v69
	v_add_f32_e32 v70, v70, v71
	v_cmp_lt_f32_e64 s[16:17], |v69|, s50
	v_cndmask_b32_e64 v69, v69, v70, s[16:17]
	v_cndmask_b32_e64 v70, 0, v55, s[14:15]
	v_sub_f32_e32 v69, v69, v70
	v_sub_f32_e32 v68, v69, v68
	v_floor_f32_e32 v69, v67
	v_sub_f32_e32 v69, v67, v69
	v_min_f32_e32 v69, 0x3f7fffff, v69
	v_cmp_neq_f32_e64 s[14:15], 0, v69
	v_cndmask_b32_e64 v68, v57, v68, s[14:15]
.LBB14_123:                             ;   in Loop: Header=BB14_4 Depth=1
	s_or_b64 exec, exec, s[34:35]
.LBB14_124:                             ;   in Loop: Header=BB14_4 Depth=1
	s_andn2_saveexec_b64 s[18:19], s[18:19]
; %bb.125:                              ;   in Loop: Header=BB14_4 Depth=1
	v_cmp_eq_f16_e64 s[14:15], 1.0, v62
	v_cmp_eq_f16_e64 s[16:17], 2.0, v62
	s_or_b64 s[14:15], s[14:15], s[16:17]
	v_cndmask_b32_e64 v68, v68, 0, s[14:15]
; %bb.126:                              ;   in Loop: Header=BB14_4 Depth=1
	s_or_b64 exec, exec, s[18:19]
	v_cvt_f32_f16_e32 v69, v59
                                        ; implicit-def: $vgpr71
	v_and_b32_e32 v70, 0x7fffffff, v69
	v_cmp_nlt_f32_e64 s[14:15], |v69|, s45
	s_and_saveexec_b64 s[16:17], s[14:15]
	s_xor_b64 s[18:19], exec, s[16:17]
	s_cbranch_execz .LBB14_156
; %bb.127:                              ;   in Loop: Header=BB14_4 Depth=1
	v_cmp_nlt_f32_e64 s[14:15], |v69|, 2.0
                                        ; implicit-def: $vgpr71
	s_and_saveexec_b64 s[16:17], s[14:15]
	s_xor_b64 s[34:35], exec, s[16:17]
	s_cbranch_execz .LBB14_137
; %bb.128:                              ;   in Loop: Header=BB14_4 Depth=1
	v_cmp_nlt_f32_e64 s[14:15], |v69|, s46
                                        ; implicit-def: $vgpr71
	s_and_saveexec_b64 s[16:17], s[14:15]
	s_xor_b64 s[36:37], exec, s[16:17]
	s_cbranch_execz .LBB14_134
; %bb.129:                              ;   in Loop: Header=BB14_4 Depth=1
	v_cmp_nlt_f32_e64 s[14:15], |v69|, s47
                                        ; implicit-def: $vgpr71
	s_and_saveexec_b64 s[16:17], s[14:15]
	s_xor_b64 s[38:39], exec, s[16:17]
	s_cbranch_execz .LBB14_131
; %bb.130:                              ;   in Loop: Header=BB14_4 Depth=1
	v_cmp_lt_f32_e64 s[14:15], |v69|, s48
	v_cndmask_b32_e64 v71, 1.0, v54, s[14:15]
	v_mul_f32_e64 v71, |v69|, v71
	v_log_f32_e32 v71, v71
	v_mul_f32_e32 v72, 0x3f317217, v71
	v_fma_f32 v73, v71, s49, -v72
	v_fmac_f32_e32 v73, 0x3377d1cf, v71
	v_add_f32_e32 v72, v72, v73
	v_cmp_lt_f32_e64 s[16:17], |v71|, s50
	v_cndmask_b32_e64 v71, v71, v72, s[16:17]
	v_cndmask_b32_e64 v72, 0, v55, s[14:15]
	v_sub_f32_e32 v71, v71, v72
	v_fma_f32 v71, |v69|, v71, -|v69|
.LBB14_131:                             ;   in Loop: Header=BB14_4 Depth=1
	s_andn2_saveexec_b64 s[38:39], s[38:39]
	s_cbranch_execz .LBB14_133
; %bb.132:                              ;   in Loop: Header=BB14_4 Depth=1
	v_rcp_f32_e64 v71, |v69|
	v_cmp_lt_f32_e64 s[14:15], |v69|, s48
	v_cndmask_b32_e64 v73, 1.0, v54, s[14:15]
	v_mov_b32_e32 v72, 0x3a5b3dd2
	v_mul_f32_e32 v74, v71, v71
	v_mul_f32_e64 v73, |v69|, v73
	v_fmac_f32_e32 v72, 0xbad5c4e8, v74
	v_log_f32_e32 v73, v73
	v_fma_f32 v72, v74, v72, v11
	v_fma_f32 v72, v74, v72, v12
	;; [unrolled: 1-line block ×4, first 2 shown]
	v_mul_f32_e32 v74, 0x3f317217, v73
	v_fma_f32 v75, v73, s49, -v74
	v_fmac_f32_e32 v75, 0x3377d1cf, v73
	v_add_f32_e32 v74, v74, v75
	v_cmp_lt_f32_e64 s[16:17], |v73|, s50
	v_cndmask_b32_e64 v73, v73, v74, s[16:17]
	v_cndmask_b32_e64 v74, 0, v55, s[14:15]
	v_sub_f32_e32 v73, v73, v74
	v_fma_f32 v71, v71, v72, v15
	v_add_f32_e64 v72, |v69|, -0.5
	v_add_f32_e32 v73, -1.0, v73
	v_fmac_f32_e32 v71, v72, v73
.LBB14_133:                             ;   in Loop: Header=BB14_4 Depth=1
	s_or_b64 exec, exec, s[38:39]
.LBB14_134:                             ;   in Loop: Header=BB14_4 Depth=1
	s_andn2_saveexec_b64 s[36:37], s[36:37]
	s_cbranch_execz .LBB14_136
; %bb.135:                              ;   in Loop: Header=BB14_4 Depth=1
	v_cvt_i32_f32_e32 v71, v70
	v_mov_b32_e32 v74, 0x3a4beed6
	v_mov_b32_e32 v73, 0x3af135b4
	v_cvt_f32_i32_e32 v72, v71
	v_cmp_lt_i32_e64 s[14:15], 2, v71
	v_cmp_lt_i32_e64 s[16:17], 3, v71
	v_sub_f32_e64 v72, |v69|, v72
	v_fmac_f32_e32 v74, 0x36f5d7bd, v72
	v_fma_f32 v74, v72, v74, v21
	v_fma_f32 v74, v72, v74, v22
	v_fmac_f32_e32 v73, 0x3805ff67, v72
	v_fma_f32 v74, v72, v74, v23
	v_fma_f32 v73, v72, v73, v16
	;; [unrolled: 1-line block ×4, first 2 shown]
	v_fma_f32 v74, v72, v74, 1.0
	v_fma_f32 v73, v72, v73, v18
	v_rcp_f32_e32 v74, v74
	v_fma_f32 v73, v72, v73, v19
	v_fma_f32 v73, v72, v73, v20
	v_mul_f32_e32 v73, v72, v73
	v_mul_f32_e32 v74, v73, v74
	v_fmac_f32_e32 v74, 0.5, v72
	v_add_f32_e32 v75, 4.0, v72
	v_add_f32_e32 v76, 0x40a00000, v72
	v_add_f32_e32 v77, 0x40c00000, v72
	v_pk_add_f32 v[72:73], v[72:73], s[30:31] op_sel_hi:[0,1]
	v_cndmask_b32_e64 v73, 1.0, v73, s[16:17]
	v_cndmask_b32_e64 v72, 1.0, v72, s[14:15]
	v_cmp_lt_i32_e64 s[14:15], 4, v71
	v_mul_f32_e32 v72, v72, v73
	v_cndmask_b32_e64 v73, 1.0, v75, s[14:15]
	v_cmp_lt_i32_e64 s[14:15], 5, v71
	v_mul_f32_e32 v72, v73, v72
	;; [unrolled: 3-line block ×3, first 2 shown]
	v_cndmask_b32_e64 v71, 1.0, v77, s[14:15]
	v_mul_f32_e32 v71, v71, v72
	v_cmp_gt_f32_e64 s[14:15], s48, v71
	v_cndmask_b32_e64 v72, 1.0, v54, s[14:15]
	v_mul_f32_e32 v71, v71, v72
	v_log_f32_e32 v71, v71
	v_mul_f32_e32 v72, 0x3f317217, v71
	v_fma_f32 v73, v71, s49, -v72
	v_fmac_f32_e32 v73, 0x3377d1cf, v71
	v_add_f32_e32 v72, v72, v73
	v_cmp_lt_f32_e64 s[16:17], |v71|, s50
	v_cndmask_b32_e64 v71, v71, v72, s[16:17]
	v_cndmask_b32_e64 v72, 0, v55, s[14:15]
	v_sub_f32_e32 v71, v71, v72
	v_add_f32_e32 v71, v71, v74
.LBB14_136:                             ;   in Loop: Header=BB14_4 Depth=1
	s_or_b64 exec, exec, s[36:37]
.LBB14_137:                             ;   in Loop: Header=BB14_4 Depth=1
	s_andn2_saveexec_b64 s[16:17], s[34:35]
	s_cbranch_execz .LBB14_155
; %bb.138:                              ;   in Loop: Header=BB14_4 Depth=1
	v_cmp_le_f32_e64 s[14:15], |v69|, s51
                                        ; implicit-def: $vgpr71
                                        ; implicit-def: $vgpr73
                                        ; implicit-def: $vgpr72
	s_and_saveexec_b64 s[34:35], s[14:15]
	s_xor_b64 s[34:35], exec, s[34:35]
	s_cbranch_execz .LBB14_140
; %bb.139:                              ;   in Loop: Header=BB14_4 Depth=1
	v_cmp_lt_f32_e64 s[14:15], |v69|, s48
	v_cndmask_b32_e64 v71, 1.0, v54, s[14:15]
	v_mul_f32_e64 v71, |v69|, v71
	v_log_f32_e32 v71, v71
	v_cndmask_b32_e64 v72, 0, v55, s[14:15]
	v_mul_f32_e32 v73, 0x3f317217, v71
	v_fma_f32 v74, v71, s49, -v73
	v_fmac_f32_e32 v74, 0x3377d1cf, v71
	v_add_f32_e32 v73, v73, v74
	v_cmp_lt_f32_e64 s[14:15], |v71|, s50
	v_cndmask_b32_e64 v71, v71, v73, s[14:15]
	v_sub_f32_e32 v71, v71, v72
	v_sub_f32_e64 v72, 1.0, |v69|
	v_add_f32_e64 v73, |v69|, s53
	v_cmp_lt_f32_e64 s[14:15], |v69|, s52
	v_cndmask_b32_e64 v72, v72, v73, s[14:15]
	v_cndmask_b32_e64 v73, 0, 1, s[14:15]
	v_cmp_lt_f32_e64 s[14:15], |v69|, s54
	v_xor_b32_e32 v71, 0x80000000, v71
	v_cndmask_b32_e64 v72, v72, |v69|, s[14:15]
	v_cndmask_b32_e64 v73, v73, 2, s[14:15]
.LBB14_140:                             ;   in Loop: Header=BB14_4 Depth=1
	s_andn2_saveexec_b64 s[34:35], s[34:35]
; %bb.141:                              ;   in Loop: Header=BB14_4 Depth=1
	v_sub_f32_e64 v71, 2.0, |v69|
	v_add_f32_e64 v72, |v69|, s56
	v_cmp_lt_f32_e64 s[14:15], |v69|, s55
	v_cndmask_b32_e64 v72, v71, v72, s[14:15]
	v_cndmask_b32_e64 v71, v71, 1.0, s[14:15]
	v_cvt_i32_f32_e32 v71, v71
	v_add_f32_e64 v73, |v69|, -1.0
	v_cmp_lt_f32_e64 s[14:15], |v69|, s57
	v_cndmask_b32_e64 v72, v72, v73, s[14:15]
	v_cndmask_b32_e64 v73, v71, 2, s[14:15]
	v_mov_b32_e32 v71, 0
; %bb.142:                              ;   in Loop: Header=BB14_4 Depth=1
	s_or_b64 exec, exec, s[34:35]
	v_cmp_lt_i32_e64 s[14:15], 0, v73
	s_and_saveexec_b64 s[34:35], s[14:15]
	s_xor_b64 s[34:35], exec, s[34:35]
	s_cbranch_execz .LBB14_150
; %bb.143:                              ;   in Loop: Header=BB14_4 Depth=1
	v_cmp_lt_i32_e64 s[14:15], 1, v73
	s_and_saveexec_b64 s[36:37], s[14:15]
	s_xor_b64 s[36:37], exec, s[36:37]
	s_cbranch_execz .LBB14_147
; %bb.144:                              ;   in Loop: Header=BB14_4 Depth=1
	v_cmp_eq_u32_e64 s[14:15], 2, v73
	s_and_saveexec_b64 s[38:39], s[14:15]
	s_cbranch_execz .LBB14_146
; %bb.145:                              ;   in Loop: Header=BB14_4 Depth=1
	v_mov_b32_e32 v74, 0x3dd572af
	v_fmac_f32_e32 v74, 0x3b52d5db, v72
	v_fma_f32 v74, v72, v74, v28
	v_mov_b32_e32 v73, 0x3e6a7578
	v_fma_f32 v74, v72, v74, v29
	v_fmac_f32_e32 v73, 0x3c5b3c5e, v72
	v_fma_f32 v74, v72, v74, v30
	v_fma_f32 v73, v72, v73, v25
	v_fma_f32 v74, v72, v74, 1.0
	v_fma_f32 v73, v72, v73, v26
	v_rcp_f32_e32 v74, v74
	v_fma_f32 v73, v72, v73, v27
	v_fma_f32 v73, v72, v73, v20
	v_mul_f32_e32 v73, v72, v73
	v_mul_f32_e32 v73, v73, v74
	v_fmac_f32_e32 v73, -0.5, v72
	v_add_f32_e32 v71, v71, v73
.LBB14_146:                             ;   in Loop: Header=BB14_4 Depth=1
	s_or_b64 exec, exec, s[38:39]
                                        ; implicit-def: $vgpr72
.LBB14_147:                             ;   in Loop: Header=BB14_4 Depth=1
	s_andn2_saveexec_b64 s[14:15], s[36:37]
	s_cbranch_execz .LBB14_149
; %bb.148:                              ;   in Loop: Header=BB14_4 Depth=1
	v_mul_f32_e32 v73, v72, v72
	v_mul_f32_e32 v74, v72, v73
	v_mov_b32_e32 v76, 0x3a66f867
	v_mov_b32_e32 v77, 0xba0d3085
	v_fmac_f32_e32 v76, 0xb9a3f927, v74
	v_fmac_f32_e32 v77, 0x39afe9f7, v74
	v_mov_b32_e32 v75, 0xbab7f476
	v_fma_f32 v76, v74, v76, v34
	v_fma_f32 v77, v74, v77, v37
	v_fmac_f32_e32 v75, 0x39a57b6b, v74
	v_fma_f32 v76, v74, v76, v35
	v_fma_f32 v77, v74, v77, v38
	;; [unrolled: 1-line block ×6, first 2 shown]
	v_fmac_f32_e32 v76, v72, v77
	v_fma_f32 v75, v74, v75, v33
	v_fma_f32 v72, v74, -v76, s58
	v_fma_f32 v72, v73, v75, -v72
	v_add_f32_e32 v72, 0xbdf8cdce, v72
	v_add_f32_e32 v71, v71, v72
.LBB14_149:                             ;   in Loop: Header=BB14_4 Depth=1
	s_or_b64 exec, exec, s[14:15]
                                        ; implicit-def: $vgpr73
                                        ; implicit-def: $vgpr72
.LBB14_150:                             ;   in Loop: Header=BB14_4 Depth=1
	s_andn2_saveexec_b64 s[34:35], s[34:35]
	s_cbranch_execz .LBB14_154
; %bb.151:                              ;   in Loop: Header=BB14_4 Depth=1
	v_cmp_eq_u32_e64 s[14:15], 0, v73
	s_and_saveexec_b64 s[36:37], s[14:15]
	s_cbranch_execz .LBB14_153
; %bb.152:                              ;   in Loop: Header=BB14_4 Depth=1
	v_mul_f32_e32 v73, v72, v72
	v_mov_b32_e32 v75, 0x38e28445
	v_mov_b32_e32 v74, 0x39679767
	v_fmac_f32_e32 v75, 0x383c2c75, v73
	v_fmac_f32_e32 v74, 0x37d383a2, v73
	v_fma_f32 v75, v73, v75, v44
	v_fma_f32 v74, v73, v74, v40
	;; [unrolled: 1-line block ×8, first 2 shown]
	v_mul_f32_e32 v73, v73, v75
	v_fmac_f32_e32 v73, v72, v74
	v_fmac_f32_e32 v73, -0.5, v72
	v_add_f32_e32 v71, v71, v73
.LBB14_153:                             ;   in Loop: Header=BB14_4 Depth=1
	s_or_b64 exec, exec, s[36:37]
.LBB14_154:                             ;   in Loop: Header=BB14_4 Depth=1
	s_or_b64 exec, exec, s[34:35]
.LBB14_155:                             ;   in Loop: Header=BB14_4 Depth=1
	s_or_b64 exec, exec, s[16:17]
.LBB14_156:                             ;   in Loop: Header=BB14_4 Depth=1
	s_andn2_saveexec_b64 s[18:19], s[18:19]
	s_cbranch_execz .LBB14_158
; %bb.157:                              ;   in Loop: Header=BB14_4 Depth=1
	v_cmp_lt_f32_e64 s[14:15], |v69|, s48
	v_cndmask_b32_e64 v71, 1.0, v54, s[14:15]
	v_mul_f32_e64 v71, |v69|, v71
	v_log_f32_e32 v71, v71
	v_fma_f32 v72, |v69|, s59, v56
	v_fma_f32 v72, |v69|, v72, s60
	;; [unrolled: 1-line block ×3, first 2 shown]
	v_mul_f32_e32 v73, 0x3f317217, v71
	v_fma_f32 v74, v71, s49, -v73
	v_fmac_f32_e32 v74, 0x3377d1cf, v71
	v_add_f32_e32 v73, v73, v74
	v_cmp_lt_f32_e64 s[16:17], |v71|, s50
	v_cndmask_b32_e64 v71, v71, v73, s[16:17]
	v_cndmask_b32_e64 v73, 0, v55, s[14:15]
	v_sub_f32_e32 v71, v71, v73
	v_fma_f32 v71, |v69|, v72, -v71
.LBB14_158:                             ;   in Loop: Header=BB14_4 Depth=1
	s_or_b64 exec, exec, s[18:19]
	v_cmp_le_f16_e64 s[14:15], 0, v59
	v_cmp_nle_f16_e64 s[16:17], 0, v59
	s_and_saveexec_b64 s[18:19], s[16:17]
	s_xor_b64 s[34:35], exec, s[18:19]
	s_cbranch_execnz .LBB14_164
; %bb.159:                              ;   in Loop: Header=BB14_4 Depth=1
	s_andn2_saveexec_b64 s[34:35], s[34:35]
	s_cbranch_execnz .LBB14_167
.LBB14_160:                             ;   in Loop: Header=BB14_4 Depth=1
	s_or_b64 exec, exec, s[34:35]
	s_and_saveexec_b64 s[16:17], s[6:7]
	s_xor_b64 s[16:17], exec, s[16:17]
	s_cbranch_execnz .LBB14_168
.LBB14_161:                             ;   in Loop: Header=BB14_4 Depth=1
	s_or_b64 exec, exec, s[16:17]
	s_and_saveexec_b64 s[6:7], s[2:3]
	s_cbranch_execnz .LBB14_169
.LBB14_162:                             ;   in Loop: Header=BB14_4 Depth=1
	s_or_b64 exec, exec, s[6:7]
	s_and_saveexec_b64 s[2:3], s[0:1]
	s_cbranch_execnz .LBB14_170
.LBB14_163:                             ;   in Loop: Header=BB14_4 Depth=1
	s_or_b64 exec, exec, s[2:3]
	s_and_saveexec_b64 s[0:1], vcc
	s_cbranch_execz .LBB14_3
	s_branch .LBB14_171
.LBB14_164:                             ;   in Loop: Header=BB14_4 Depth=1
	v_cmp_lt_f32_e64 s[16:17], |v69|, s62
	v_cmp_gt_f32_e64 s[18:19], |v69|, s63
	s_and_b64 s[16:17], s[16:17], s[18:19]
	s_and_saveexec_b64 s[36:37], s[16:17]
	s_cbranch_execz .LBB14_166
; %bb.165:                              ;   in Loop: Header=BB14_4 Depth=1
	v_mul_f32_e64 v72, |v69|, 0.5
	v_floor_f32_e32 v73, v72
	v_sub_f32_e32 v73, v72, v73
	v_min_f32_e32 v73, 0x3f7fffff, v73
	v_add_f32_e32 v73, v73, v73
	v_cmp_neq_f32_e64 s[16:17], s50, v72
	v_cndmask_b32_e64 v72, 0, v73, s[16:17]
	v_cmp_gt_f32_e64 s[16:17], |v69|, 1.0
	v_cndmask_b32_e64 v72, |v69|, v72, s[16:17]
	v_add_f32_e32 v73, v72, v72
	v_rndne_f32_e32 v73, v73
	v_fmac_f32_e32 v72, -0.5, v73
	v_mul_f32_e32 v74, v72, v72
	v_mov_b32_e32 v75, 0xbf1f24be
	v_fmac_f32_e32 v75, 0x3e75aa41, v74
	v_fma_f32 v75, v74, v75, v48
	v_fma_f32 v75, v74, v75, v49
	v_mul_f32_e32 v76, v72, v74
	v_mul_f32_e32 v75, v76, v75
	v_fmac_f32_e32 v75, 0x40490fdb, v72
	v_mov_b32_e32 v72, 0x3e642e9d
	v_cvt_i32_f32_e32 v73, v73
	v_fmac_f32_e32 v72, 0x3d4be544, v74
	v_fma_f32 v72, v74, v72, v50
	v_fma_f32 v72, v74, v72, v51
	;; [unrolled: 1-line block ×3, first 2 shown]
	v_fma_f32 v72, v74, v72, 1.0
	v_and_b32_e32 v74, 1, v73
	v_lshlrev_b32_e32 v73, 30, v73
	v_cmp_eq_u32_e64 s[16:17], 0, v74
	v_and_b32_e32 v73, 0x80000000, v73
	v_xor_b32_e32 v70, v70, v69
	v_cndmask_b32_e64 v72, v72, v75, s[16:17]
	v_xor_b32_e32 v70, v70, v73
	v_xor_b32_e32 v70, v70, v72
	v_mul_f32_e32 v70, v69, v70
	v_frexp_mant_f32_e64 v72, |v70|
	v_rcp_f32_e32 v72, v72
	v_frexp_exp_i32_f32_e32 v70, v70
	v_sub_u32_e32 v70, 2, v70
	v_mul_f32_e32 v72, 0x3f490fdb, v72
	v_ldexp_f32 v70, v72, v70
	v_cmp_gt_f32_e64 s[16:17], s48, v70
	v_cndmask_b32_e64 v72, 1.0, v54, s[16:17]
	v_mul_f32_e32 v70, v70, v72
	v_log_f32_e32 v70, v70
	v_mul_f32_e32 v72, 0x3f317217, v70
	v_fma_f32 v73, v70, s49, -v72
	v_fmac_f32_e32 v73, 0x3377d1cf, v70
	v_add_f32_e32 v72, v72, v73
	v_cmp_lt_f32_e64 s[18:19], |v70|, s50
	v_cndmask_b32_e64 v70, v70, v72, s[18:19]
	v_cndmask_b32_e64 v72, 0, v55, s[16:17]
	v_sub_f32_e32 v70, v70, v72
	v_sub_f32_e32 v70, v70, v71
	v_floor_f32_e32 v71, v69
	v_sub_f32_e32 v71, v69, v71
	v_min_f32_e32 v71, 0x3f7fffff, v71
	v_cmp_neq_f32_e64 s[16:17], 0, v71
	v_cndmask_b32_e64 v71, v57, v70, s[16:17]
.LBB14_166:                             ;   in Loop: Header=BB14_4 Depth=1
	s_or_b64 exec, exec, s[36:37]
	s_andn2_saveexec_b64 s[34:35], s[34:35]
	s_cbranch_execz .LBB14_160
.LBB14_167:                             ;   in Loop: Header=BB14_4 Depth=1
	v_cmp_eq_f16_e64 s[16:17], 1.0, v59
	v_cmp_eq_f16_e64 s[18:19], 2.0, v59
	s_or_b64 s[16:17], s[16:17], s[18:19]
	v_cndmask_b32_e64 v71, v71, 0, s[16:17]
	s_or_b64 exec, exec, s[34:35]
	s_and_saveexec_b64 s[16:17], s[6:7]
	s_xor_b64 s[16:17], exec, s[16:17]
	s_cbranch_execz .LBB14_161
.LBB14_168:                             ;   in Loop: Header=BB14_4 Depth=1
	v_cvt_f16_f32_e32 v64, v64
	v_cmp_lt_f32_e64 s[6:7], |v63|, s62
	s_or_b64 s[6:7], s[8:9], s[6:7]
	v_cndmask_b32_e64 v64, v58, v64, s[6:7]
	v_cmp_class_f32_e64 s[6:7], v63, v53
	v_cndmask_b32_e64 v63, v64, v58, s[6:7]
	v_cmp_u_f16_e64 s[6:7], v61, v61
	v_cndmask_b32_e64 v61, v63, v61, s[6:7]
	global_store_short v[2:3], v61, off
	s_or_b64 exec, exec, s[16:17]
	s_and_saveexec_b64 s[6:7], s[2:3]
	s_cbranch_execz .LBB14_162
.LBB14_169:                             ;   in Loop: Header=BB14_4 Depth=1
	v_cvt_f16_f32_e32 v61, v66
	v_cmp_lt_f32_e64 s[2:3], |v65|, s62
	s_or_b64 s[2:3], s[10:11], s[2:3]
	v_cndmask_b32_e64 v61, v58, v61, s[2:3]
	v_cmp_class_f32_e64 s[2:3], v65, v53
	v_cndmask_b32_e64 v61, v61, v58, s[2:3]
	v_cmp_u_f16_e64 s[2:3], v60, v60
	v_cndmask_b32_e64 v60, v61, v60, s[2:3]
	global_store_short v[4:5], v60, off
	s_or_b64 exec, exec, s[6:7]
	s_and_saveexec_b64 s[2:3], s[0:1]
	s_cbranch_execz .LBB14_163
.LBB14_170:                             ;   in Loop: Header=BB14_4 Depth=1
	v_cvt_f16_f32_e32 v60, v68
	v_cmp_lt_f32_e64 s[0:1], |v67|, s62
	s_or_b64 s[0:1], s[12:13], s[0:1]
	v_mov_b32_e32 v61, s33
	v_cndmask_b32_e64 v60, v58, v60, s[0:1]
	v_cmp_class_f32_e64 s[0:1], v67, v53
	v_cndmask_b32_e64 v60, v60, v58, s[0:1]
	v_cmp_u_f16_e64 s[0:1], v62, v62
	v_cndmask_b32_e64 v62, v60, v62, s[0:1]
	v_add_co_u32_e64 v60, s[0:1], s40, v2
	v_addc_co_u32_e64 v61, s[0:1], v3, v61, s[0:1]
	global_store_short v[60:61], v62, off
	s_or_b64 exec, exec, s[2:3]
	s_and_saveexec_b64 s[0:1], vcc
	s_cbranch_execz .LBB14_3
.LBB14_171:                             ;   in Loop: Header=BB14_4 Depth=1
	v_cvt_f16_f32_e32 v60, v71
	v_cmp_lt_f32_e64 s[2:3], |v69|, s62
	s_or_b64 vcc, s[14:15], s[2:3]
	v_mov_b32_e32 v61, s44
	v_cndmask_b32_e32 v60, v58, v60, vcc
	v_cmp_class_f32_e32 vcc, v69, v53
	v_cndmask_b32_e32 v60, v60, v58, vcc
	v_cmp_u_f16_e32 vcc, v59, v59
	v_cndmask_b32_e32 v59, v60, v59, vcc
	v_add_co_u32_e32 v60, vcc, s43, v2
	v_addc_co_u32_e32 v61, vcc, v3, v61, vcc
	global_store_short v[60:61], v59, off
	s_branch .LBB14_3
.LBB14_172:
	s_cbranch_execz .LBB14_174
	s_branch .LBB14_329
.LBB14_173:
.LBB14_174:
	v_mov_b32_e32 v3, 0
	v_lshlrev_b32_e32 v2, 2, v0
	s_mov_b32 s26, 0
	v_cmp_gt_i64_e32 vcc, s[20:21], v[2:3]
	s_and_saveexec_b64 s[0:1], vcc
	s_cbranch_execz .LBB14_329
; %bb.175:
	s_load_dword s0, s[4:5], 0xd3c
	v_lshlrev_b32_e32 v1, 3, v0
	s_mov_b32 s12, 2.0
	s_mov_b64 s[10:11], 0
	s_mov_b32 s28, 0x3c800000
	s_waitcnt lgkmcnt(0)
	s_and_b32 s0, s0, 0xffff
	s_lshl_b32 s27, s0, 2
	s_add_u32 s1, s22, s24
	s_addc_u32 s2, s23, s25
	v_add_lshl_u32 v2, v0, s0, 2
	v_mov_b32_e32 v0, s2
	v_add_co_u32_e32 v1, vcc, s1, v1
	v_addc_co_u32_e32 v4, vcc, 0, v0, vcc
	v_add_co_u32_e32 v0, vcc, 4, v1
	v_addc_co_u32_e32 v1, vcc, 0, v4, vcc
	s_lshl_b32 s24, s0, 3
	s_mov_b32 s25, s26
	s_mov_b32 s13, 0x40400000
	;; [unrolled: 1-line block ×7, first 2 shown]
	v_mov_b32_e32 v6, 0xba1c065c
	v_mov_b32_e32 v7, 0x3a500cfd
	;; [unrolled: 1-line block ×14, first 2 shown]
	s_mov_b32 s35, 0x3f666666
	s_mov_b32 s36, 0x3f3b4a23
	s_mov_b32 s37, 0xbeec5b0c
	s_mov_b32 s38, 0x3e6d3309
	s_mov_b32 s39, 0x3fdda512
	s_mov_b32 s40, 0xbfbb16c3
	s_mov_b32 s41, 0x3f9d70a4
	v_mov_b32_e32 v20, 0x3f7a4bb2
	v_mov_b32_e32 v21, 0x3fba3ae7
	;; [unrolled: 1-line block ×15, first 2 shown]
	s_mov_b32 s42, 0xa2863e55
	v_mov_b32_e32 v35, 0x3a9c54a1
	v_mov_b32_e32 v36, 0x3bf2027e
	;; [unrolled: 1-line block ×8, first 2 shown]
	s_mov_b32 s43, 0x3e8a8991
	s_mov_b32 s44, 0x3f528d33
	;; [unrolled: 1-line block ×5, first 2 shown]
	v_mov_b32_e32 v43, 0x40234736
	v_mov_b32_e32 v44, 0xc0a55e0e
	;; [unrolled: 1-line block ×6, first 2 shown]
	s_mov_b32 s48, 0x5040100
	s_mov_b64 s[14:15], 0xffff
	v_mov_b32_e32 v49, 0x4f800000
	v_mov_b32_e32 v50, 0x41b17218
	;; [unrolled: 1-line block ×5, first 2 shown]
	s_branch .LBB14_177
.LBB14_176:                             ;   in Loop: Header=BB14_177 Depth=1
	s_or_b64 exec, exec, s[16:17]
	v_cvt_f16_f32_e32 v60, v60
	v_cmp_lt_f32_e64 s[6:7], |v59|, s46
	s_or_b64 s[2:3], s[2:3], s[6:7]
	v_cvt_f16_f32_e32 v58, v58
	v_cndmask_b32_e64 v60, v53, v60, s[2:3]
	v_cmp_class_f32_e64 s[2:3], v59, v48
	v_cndmask_b32_e64 v59, v60, v53, s[2:3]
	v_cmp_u_f16_e64 s[2:3], v5, v5
	v_cndmask_b32_e64 v5, v59, v5, s[2:3]
	v_cmp_lt_f32_e64 s[2:3], |v57|, s46
	s_or_b64 s[0:1], s[0:1], s[2:3]
	v_cndmask_b32_e64 v58, v53, v58, s[0:1]
	v_cmp_class_f32_e64 s[0:1], v57, v48
	v_cvt_f16_f32_e32 v55, v55
	v_cndmask_b32_e64 v57, v58, v53, s[0:1]
	v_cmp_u_f16_e64 s[0:1], v56, v56
	v_cndmask_b32_e64 v56, v57, v56, s[0:1]
	v_cmp_lt_f32_e64 s[0:1], |v54|, s46
	s_or_b64 vcc, vcc, s[0:1]
	v_cndmask_b32_e32 v55, v53, v55, vcc
	v_cmp_class_f32_e32 vcc, v54, v48
	v_cndmask_b32_e32 v54, v55, v53, vcc
	v_cvt_f16_f32_e32 v55, v64
	v_cmp_u_f16_e32 vcc, v4, v4
	v_cmp_lt_f32_e64 s[0:1], |v62|, s46
	v_cndmask_b32_e32 v4, v54, v4, vcc
	s_or_b64 vcc, s[4:5], s[0:1]
	v_cndmask_b32_e32 v54, v53, v55, vcc
	v_cmp_class_f32_e32 vcc, v62, v48
	v_cndmask_b32_e32 v54, v54, v53, vcc
	v_cmp_u_f16_e32 vcc, v61, v61
	v_cndmask_b32_e32 v54, v54, v61, vcc
	v_perm_b32 v5, v54, v5, s48
	v_perm_b32 v4, v56, v4, s48
	v_cmp_le_i64_e32 vcc, s[20:21], v[2:3]
	v_cmp_lt_u64_e64 s[0:1], s[14:15], v[2:3]
	global_store_dwordx2 v[0:1], v[4:5], off offset:-4
	s_or_b64 s[0:1], vcc, s[0:1]
	v_mov_b32_e32 v4, s26
	v_add_co_u32_e32 v2, vcc, s27, v2
	v_addc_co_u32_e32 v3, vcc, v3, v4, vcc
	v_mov_b32_e32 v4, s25
	s_and_b64 s[0:1], exec, s[0:1]
	v_add_co_u32_e32 v0, vcc, s24, v0
	s_or_b64 s[10:11], s[0:1], s[10:11]
	v_addc_co_u32_e32 v1, vcc, v1, v4, vcc
	s_andn2_b64 exec, exec, s[10:11]
	s_cbranch_execz .LBB14_329
.LBB14_177:                             ; =>This Inner Loop Header: Depth=1
	global_load_dwordx2 v[4:5], v[0:1], off offset:-4
                                        ; implicit-def: $vgpr55
	s_waitcnt vmcnt(0)
	v_cvt_f32_f16_e32 v54, v4
	v_and_b32_e32 v56, 0x7fffffff, v54
	v_cmp_nlt_f32_e64 s[0:1], |v54|, s28
	s_and_saveexec_b64 s[2:3], s[0:1]
	s_xor_b64 s[2:3], exec, s[2:3]
	s_cbranch_execz .LBB14_207
; %bb.178:                              ;   in Loop: Header=BB14_177 Depth=1
	v_cmp_nlt_f32_e64 s[0:1], |v54|, 2.0
                                        ; implicit-def: $vgpr55
	s_and_saveexec_b64 s[4:5], s[0:1]
	s_xor_b64 s[4:5], exec, s[4:5]
	s_cbranch_execz .LBB14_188
; %bb.179:                              ;   in Loop: Header=BB14_177 Depth=1
	v_cmp_nlt_f32_e64 s[0:1], |v54|, s29
                                        ; implicit-def: $vgpr55
	s_and_saveexec_b64 s[6:7], s[0:1]
	s_xor_b64 s[6:7], exec, s[6:7]
	s_cbranch_execz .LBB14_185
; %bb.180:                              ;   in Loop: Header=BB14_177 Depth=1
	v_cmp_nlt_f32_e64 s[0:1], |v54|, s30
                                        ; implicit-def: $vgpr55
	s_and_saveexec_b64 s[8:9], s[0:1]
	s_xor_b64 s[8:9], exec, s[8:9]
	s_cbranch_execz .LBB14_182
; %bb.181:                              ;   in Loop: Header=BB14_177 Depth=1
	v_cmp_lt_f32_e64 vcc, |v54|, s31
	v_cndmask_b32_e32 v55, 1.0, v49, vcc
	v_mul_f32_e64 v55, |v54|, v55
	v_log_f32_e32 v55, v55
	v_mul_f32_e32 v57, 0x3f317217, v55
	v_fma_f32 v58, v55, s33, -v57
	v_fmac_f32_e32 v58, 0x3377d1cf, v55
	v_add_f32_e32 v57, v57, v58
	v_cmp_lt_f32_e64 s[0:1], |v55|, s34
	v_cndmask_b32_e64 v55, v55, v57, s[0:1]
	v_cndmask_b32_e32 v57, 0, v50, vcc
	v_sub_f32_e32 v55, v55, v57
	v_fma_f32 v55, |v54|, v55, -|v54|
.LBB14_182:                             ;   in Loop: Header=BB14_177 Depth=1
	s_andn2_saveexec_b64 s[8:9], s[8:9]
	s_cbranch_execz .LBB14_184
; %bb.183:                              ;   in Loop: Header=BB14_177 Depth=1
	v_rcp_f32_e64 v55, |v54|
	v_cmp_lt_f32_e64 vcc, |v54|, s31
	v_cndmask_b32_e32 v58, 1.0, v49, vcc
	v_mov_b32_e32 v57, 0x3a5b3dd2
	v_mul_f32_e32 v59, v55, v55
	v_mul_f32_e64 v58, |v54|, v58
	v_fmac_f32_e32 v57, 0xbad5c4e8, v59
	v_log_f32_e32 v58, v58
	v_fma_f32 v57, v59, v57, v6
	v_fma_f32 v57, v59, v57, v7
	;; [unrolled: 1-line block ×4, first 2 shown]
	v_mul_f32_e32 v59, 0x3f317217, v58
	v_fma_f32 v60, v58, s33, -v59
	v_fmac_f32_e32 v60, 0x3377d1cf, v58
	v_add_f32_e32 v59, v59, v60
	v_cmp_lt_f32_e64 s[0:1], |v58|, s34
	v_cndmask_b32_e64 v58, v58, v59, s[0:1]
	v_cndmask_b32_e32 v59, 0, v50, vcc
	v_sub_f32_e32 v58, v58, v59
	v_fma_f32 v55, v55, v57, v10
	v_add_f32_e64 v57, |v54|, -0.5
	v_add_f32_e32 v58, -1.0, v58
	v_fmac_f32_e32 v55, v57, v58
.LBB14_184:                             ;   in Loop: Header=BB14_177 Depth=1
	s_or_b64 exec, exec, s[8:9]
.LBB14_185:                             ;   in Loop: Header=BB14_177 Depth=1
	s_andn2_saveexec_b64 s[6:7], s[6:7]
	s_cbranch_execz .LBB14_187
; %bb.186:                              ;   in Loop: Header=BB14_177 Depth=1
	v_cvt_i32_f32_e32 v55, v56
	v_mov_b32_e32 v59, 0x3a4beed6
	v_cvt_f32_i32_e32 v57, v55
	v_cmp_lt_i32_e32 vcc, 2, v55
	v_cmp_lt_i32_e64 s[0:1], 3, v55
	v_sub_f32_e64 v58, |v54|, v57
	v_fmac_f32_e32 v59, 0x36f5d7bd, v58
	v_fma_f32 v59, v58, v59, v16
	v_mov_b32_e32 v57, 0x3af135b4
	v_fma_f32 v59, v58, v59, v17
	v_fmac_f32_e32 v57, 0x3805ff67, v58
	v_fma_f32 v59, v58, v59, v18
	v_fma_f32 v57, v58, v57, v11
	;; [unrolled: 1-line block ×4, first 2 shown]
	v_fma_f32 v59, v58, v59, 1.0
	v_fma_f32 v57, v58, v57, v13
	v_rcp_f32_e32 v59, v59
	v_fma_f32 v57, v58, v57, v14
	v_fma_f32 v57, v58, v57, v15
	v_mul_f32_e32 v57, v58, v57
	v_mul_f32_e32 v57, v57, v59
	v_fmac_f32_e32 v57, 0.5, v58
	v_add_f32_e32 v60, 4.0, v58
	v_add_f32_e32 v61, 0x40a00000, v58
	v_add_f32_e32 v62, 0x40c00000, v58
	v_pk_add_f32 v[58:59], v[58:59], s[12:13] op_sel_hi:[0,1]
	v_cndmask_b32_e64 v59, 1.0, v59, s[0:1]
	v_cndmask_b32_e32 v58, 1.0, v58, vcc
	v_cmp_lt_i32_e32 vcc, 4, v55
	v_mul_f32_e32 v58, v58, v59
	v_cndmask_b32_e32 v59, 1.0, v60, vcc
	v_cmp_lt_i32_e32 vcc, 5, v55
	v_mul_f32_e32 v58, v59, v58
	;; [unrolled: 3-line block ×3, first 2 shown]
	v_cndmask_b32_e32 v55, 1.0, v62, vcc
	v_mul_f32_e32 v55, v55, v58
	v_cmp_gt_f32_e32 vcc, s31, v55
	v_cndmask_b32_e32 v58, 1.0, v49, vcc
	v_mul_f32_e32 v55, v55, v58
	v_log_f32_e32 v55, v55
	v_mul_f32_e32 v58, 0x3f317217, v55
	v_fma_f32 v59, v55, s33, -v58
	v_fmac_f32_e32 v59, 0x3377d1cf, v55
	v_add_f32_e32 v58, v58, v59
	v_cmp_lt_f32_e64 s[0:1], |v55|, s34
	v_cndmask_b32_e64 v55, v55, v58, s[0:1]
	v_cndmask_b32_e32 v58, 0, v50, vcc
	v_sub_f32_e32 v55, v55, v58
	v_add_f32_e32 v55, v55, v57
.LBB14_187:                             ;   in Loop: Header=BB14_177 Depth=1
	s_or_b64 exec, exec, s[6:7]
.LBB14_188:                             ;   in Loop: Header=BB14_177 Depth=1
	s_andn2_saveexec_b64 s[0:1], s[4:5]
	s_cbranch_execz .LBB14_206
; %bb.189:                              ;   in Loop: Header=BB14_177 Depth=1
	v_cmp_le_f32_e64 s[4:5], |v54|, s35
                                        ; implicit-def: $vgpr55
                                        ; implicit-def: $vgpr58
                                        ; implicit-def: $vgpr57
	s_and_saveexec_b64 s[6:7], s[4:5]
	s_xor_b64 s[4:5], exec, s[6:7]
	s_cbranch_execz .LBB14_191
; %bb.190:                              ;   in Loop: Header=BB14_177 Depth=1
	v_cmp_lt_f32_e64 vcc, |v54|, s31
	v_cndmask_b32_e32 v55, 1.0, v49, vcc
	v_mul_f32_e64 v55, |v54|, v55
	v_log_f32_e32 v55, v55
	v_cndmask_b32_e32 v57, 0, v50, vcc
	v_cmp_lt_f32_e64 s[6:7], |v54|, s38
	v_mul_f32_e32 v58, 0x3f317217, v55
	v_fma_f32 v59, v55, s33, -v58
	v_fmac_f32_e32 v59, 0x3377d1cf, v55
	v_add_f32_e32 v58, v58, v59
	v_cmp_lt_f32_e64 vcc, |v55|, s34
	v_cndmask_b32_e32 v55, v55, v58, vcc
	v_sub_f32_e32 v55, v55, v57
	v_sub_f32_e64 v57, 1.0, |v54|
	v_add_f32_e64 v58, |v54|, s37
	v_cmp_lt_f32_e64 vcc, |v54|, s36
	v_cndmask_b32_e32 v57, v57, v58, vcc
	v_cndmask_b32_e64 v58, 0, 1, vcc
	v_xor_b32_e32 v55, 0x80000000, v55
	v_cndmask_b32_e64 v57, v57, |v54|, s[6:7]
	v_cndmask_b32_e64 v58, v58, 2, s[6:7]
.LBB14_191:                             ;   in Loop: Header=BB14_177 Depth=1
	s_andn2_saveexec_b64 s[4:5], s[4:5]
; %bb.192:                              ;   in Loop: Header=BB14_177 Depth=1
	v_sub_f32_e64 v55, 2.0, |v54|
	v_add_f32_e64 v57, |v54|, s40
	v_cmp_lt_f32_e64 vcc, |v54|, s39
	v_cndmask_b32_e32 v57, v55, v57, vcc
	v_cndmask_b32_e64 v55, v55, 1.0, vcc
	v_cvt_i32_f32_e32 v55, v55
	v_add_f32_e64 v58, |v54|, -1.0
	v_cmp_lt_f32_e64 vcc, |v54|, s41
	v_cndmask_b32_e32 v57, v57, v58, vcc
	v_cndmask_b32_e64 v58, v55, 2, vcc
	v_mov_b32_e32 v55, 0
; %bb.193:                              ;   in Loop: Header=BB14_177 Depth=1
	s_or_b64 exec, exec, s[4:5]
	v_cmp_lt_i32_e32 vcc, 0, v58
	s_and_saveexec_b64 s[4:5], vcc
	s_xor_b64 s[4:5], exec, s[4:5]
	s_cbranch_execz .LBB14_201
; %bb.194:                              ;   in Loop: Header=BB14_177 Depth=1
	v_cmp_lt_i32_e32 vcc, 1, v58
	s_and_saveexec_b64 s[6:7], vcc
	s_xor_b64 s[6:7], exec, s[6:7]
	s_cbranch_execz .LBB14_198
; %bb.195:                              ;   in Loop: Header=BB14_177 Depth=1
	v_cmp_eq_u32_e32 vcc, 2, v58
	s_and_saveexec_b64 s[8:9], vcc
	s_cbranch_execz .LBB14_197
; %bb.196:                              ;   in Loop: Header=BB14_177 Depth=1
	v_mov_b32_e32 v59, 0x3dd572af
	v_fmac_f32_e32 v59, 0x3b52d5db, v57
	v_fma_f32 v59, v57, v59, v23
	v_mov_b32_e32 v58, 0x3e6a7578
	v_fma_f32 v59, v57, v59, v24
	v_fmac_f32_e32 v58, 0x3c5b3c5e, v57
	v_fma_f32 v59, v57, v59, v25
	v_fma_f32 v58, v57, v58, v20
	v_fma_f32 v59, v57, v59, 1.0
	v_fma_f32 v58, v57, v58, v21
	v_rcp_f32_e32 v59, v59
	v_fma_f32 v58, v57, v58, v22
	v_fma_f32 v58, v57, v58, v15
	v_mul_f32_e32 v58, v57, v58
	v_mul_f32_e32 v58, v58, v59
	v_fmac_f32_e32 v58, -0.5, v57
	v_add_f32_e32 v55, v55, v58
.LBB14_197:                             ;   in Loop: Header=BB14_177 Depth=1
	s_or_b64 exec, exec, s[8:9]
                                        ; implicit-def: $vgpr57
.LBB14_198:                             ;   in Loop: Header=BB14_177 Depth=1
	s_andn2_saveexec_b64 s[6:7], s[6:7]
	s_cbranch_execz .LBB14_200
; %bb.199:                              ;   in Loop: Header=BB14_177 Depth=1
	v_mul_f32_e32 v58, v57, v57
	v_mul_f32_e32 v59, v57, v58
	v_mov_b32_e32 v61, 0x3a66f867
	v_mov_b32_e32 v62, 0xba0d3085
	v_fmac_f32_e32 v61, 0xb9a3f927, v59
	v_fmac_f32_e32 v62, 0x39afe9f7, v59
	v_mov_b32_e32 v60, 0xbab7f476
	v_fma_f32 v61, v59, v61, v29
	v_fma_f32 v62, v59, v62, v32
	v_fmac_f32_e32 v60, 0x39a57b6b, v59
	v_fma_f32 v61, v59, v61, v30
	v_fma_f32 v62, v59, v62, v33
	;; [unrolled: 1-line block ×6, first 2 shown]
	v_fmac_f32_e32 v61, v57, v62
	v_fma_f32 v60, v59, v60, v28
	v_fma_f32 v57, v59, -v61, s42
	v_fma_f32 v57, v58, v60, -v57
	v_add_f32_e32 v57, 0xbdf8cdce, v57
	v_add_f32_e32 v55, v55, v57
.LBB14_200:                             ;   in Loop: Header=BB14_177 Depth=1
	s_or_b64 exec, exec, s[6:7]
                                        ; implicit-def: $vgpr58
                                        ; implicit-def: $vgpr57
.LBB14_201:                             ;   in Loop: Header=BB14_177 Depth=1
	s_andn2_saveexec_b64 s[4:5], s[4:5]
	s_cbranch_execz .LBB14_205
; %bb.202:                              ;   in Loop: Header=BB14_177 Depth=1
	v_cmp_eq_u32_e32 vcc, 0, v58
	s_and_saveexec_b64 s[6:7], vcc
	s_cbranch_execz .LBB14_204
; %bb.203:                              ;   in Loop: Header=BB14_177 Depth=1
	v_mul_f32_e32 v58, v57, v57
	v_mov_b32_e32 v60, 0x38e28445
	v_mov_b32_e32 v59, 0x39679767
	v_fmac_f32_e32 v60, 0x383c2c75, v58
	v_fmac_f32_e32 v59, 0x37d383a2, v58
	v_fma_f32 v60, v58, v60, v39
	v_fma_f32 v59, v58, v59, v35
	;; [unrolled: 1-line block ×8, first 2 shown]
	v_mul_f32_e32 v58, v58, v60
	v_fmac_f32_e32 v58, v57, v59
	v_fmac_f32_e32 v58, -0.5, v57
	v_add_f32_e32 v55, v55, v58
.LBB14_204:                             ;   in Loop: Header=BB14_177 Depth=1
	s_or_b64 exec, exec, s[6:7]
.LBB14_205:                             ;   in Loop: Header=BB14_177 Depth=1
	s_or_b64 exec, exec, s[4:5]
.LBB14_206:                             ;   in Loop: Header=BB14_177 Depth=1
	s_or_b64 exec, exec, s[0:1]
.LBB14_207:                             ;   in Loop: Header=BB14_177 Depth=1
	s_andn2_saveexec_b64 s[2:3], s[2:3]
	s_cbranch_execz .LBB14_209
; %bb.208:                              ;   in Loop: Header=BB14_177 Depth=1
	v_cmp_lt_f32_e64 vcc, |v54|, s31
	v_cndmask_b32_e32 v55, 1.0, v49, vcc
	v_mul_f32_e64 v55, |v54|, v55
	v_log_f32_e32 v55, v55
	v_fma_f32 v57, |v54|, s43, v51
	v_fma_f32 v57, |v54|, v57, s44
	;; [unrolled: 1-line block ×3, first 2 shown]
	v_mul_f32_e32 v58, 0x3f317217, v55
	v_fma_f32 v59, v55, s33, -v58
	v_fmac_f32_e32 v59, 0x3377d1cf, v55
	v_add_f32_e32 v58, v58, v59
	v_cmp_lt_f32_e64 s[0:1], |v55|, s34
	v_cndmask_b32_e64 v55, v55, v58, s[0:1]
	v_cndmask_b32_e32 v58, 0, v50, vcc
	v_sub_f32_e32 v55, v55, v58
	v_fma_f32 v55, |v54|, v57, -v55
.LBB14_209:                             ;   in Loop: Header=BB14_177 Depth=1
	s_or_b64 exec, exec, s[2:3]
	v_cmp_le_f16_e32 vcc, 0, v4
	v_cmp_nle_f16_e64 s[0:1], 0, v4
	s_and_saveexec_b64 s[2:3], s[0:1]
	s_xor_b64 s[4:5], exec, s[2:3]
	s_cbranch_execz .LBB14_213
; %bb.210:                              ;   in Loop: Header=BB14_177 Depth=1
	v_cmp_lt_f32_e64 s[0:1], |v54|, s46
	v_cmp_gt_f32_e64 s[2:3], |v54|, s47
	s_and_b64 s[0:1], s[0:1], s[2:3]
	s_and_saveexec_b64 s[6:7], s[0:1]
	s_cbranch_execz .LBB14_212
; %bb.211:                              ;   in Loop: Header=BB14_177 Depth=1
	v_mul_f32_e64 v57, |v54|, 0.5
	v_floor_f32_e32 v58, v57
	v_sub_f32_e32 v58, v57, v58
	v_min_f32_e32 v58, 0x3f7fffff, v58
	v_add_f32_e32 v58, v58, v58
	v_cmp_neq_f32_e64 s[0:1], s34, v57
	v_cndmask_b32_e64 v57, 0, v58, s[0:1]
	v_cmp_gt_f32_e64 s[0:1], |v54|, 1.0
	v_cndmask_b32_e64 v57, |v54|, v57, s[0:1]
	v_add_f32_e32 v58, v57, v57
	v_rndne_f32_e32 v58, v58
	v_fmac_f32_e32 v57, -0.5, v58
	v_mul_f32_e32 v59, v57, v57
	v_mov_b32_e32 v60, 0xbf1f24be
	v_fmac_f32_e32 v60, 0x3e75aa41, v59
	v_fma_f32 v60, v59, v60, v43
	v_fma_f32 v60, v59, v60, v44
	v_mul_f32_e32 v61, v57, v59
	v_mul_f32_e32 v60, v61, v60
	v_fmac_f32_e32 v60, 0x40490fdb, v57
	v_mov_b32_e32 v57, 0x3e642e9d
	v_cvt_i32_f32_e32 v58, v58
	v_fmac_f32_e32 v57, 0x3d4be544, v59
	v_fma_f32 v57, v59, v57, v45
	v_fma_f32 v57, v59, v57, v46
	;; [unrolled: 1-line block ×3, first 2 shown]
	v_fma_f32 v57, v59, v57, 1.0
	v_and_b32_e32 v59, 1, v58
	v_lshlrev_b32_e32 v58, 30, v58
	v_cmp_eq_u32_e64 s[0:1], 0, v59
	v_and_b32_e32 v58, 0x80000000, v58
	v_xor_b32_e32 v56, v56, v54
	v_cndmask_b32_e64 v57, v57, v60, s[0:1]
	v_xor_b32_e32 v56, v56, v58
	v_xor_b32_e32 v56, v56, v57
	v_mul_f32_e32 v56, v54, v56
	v_frexp_mant_f32_e64 v57, |v56|
	v_rcp_f32_e32 v57, v57
	v_frexp_exp_i32_f32_e32 v56, v56
	v_sub_u32_e32 v56, 2, v56
	v_mul_f32_e32 v57, 0x3f490fdb, v57
	v_ldexp_f32 v56, v57, v56
	v_cmp_gt_f32_e64 s[0:1], s31, v56
	v_cndmask_b32_e64 v57, 1.0, v49, s[0:1]
	v_mul_f32_e32 v56, v56, v57
	v_log_f32_e32 v56, v56
	v_mul_f32_e32 v57, 0x3f317217, v56
	v_fma_f32 v58, v56, s33, -v57
	v_fmac_f32_e32 v58, 0x3377d1cf, v56
	v_add_f32_e32 v57, v57, v58
	v_cmp_lt_f32_e64 s[2:3], |v56|, s34
	v_cndmask_b32_e64 v56, v56, v57, s[2:3]
	v_cndmask_b32_e64 v57, 0, v50, s[0:1]
	v_sub_f32_e32 v56, v56, v57
	v_sub_f32_e32 v55, v56, v55
	v_floor_f32_e32 v56, v54
	v_sub_f32_e32 v56, v54, v56
	v_min_f32_e32 v56, 0x3f7fffff, v56
	v_cmp_neq_f32_e64 s[0:1], 0, v56
	v_cndmask_b32_e64 v55, v52, v55, s[0:1]
.LBB14_212:                             ;   in Loop: Header=BB14_177 Depth=1
	s_or_b64 exec, exec, s[6:7]
.LBB14_213:                             ;   in Loop: Header=BB14_177 Depth=1
	s_andn2_saveexec_b64 s[4:5], s[4:5]
; %bb.214:                              ;   in Loop: Header=BB14_177 Depth=1
	v_cmp_eq_f16_e64 s[0:1], 1.0, v4
	v_cmp_eq_f16_e64 s[2:3], 2.0, v4
	s_or_b64 s[0:1], s[0:1], s[2:3]
	v_cndmask_b32_e64 v55, v55, 0, s[0:1]
; %bb.215:                              ;   in Loop: Header=BB14_177 Depth=1
	s_or_b64 exec, exec, s[4:5]
	v_lshrrev_b32_e32 v56, 16, v4
	v_cvt_f32_f16_e32 v57, v56
                                        ; implicit-def: $vgpr58
	v_and_b32_e32 v59, 0x7fffffff, v57
	v_cmp_nlt_f32_e64 s[0:1], |v57|, s28
	s_and_saveexec_b64 s[2:3], s[0:1]
	s_xor_b64 s[4:5], exec, s[2:3]
	s_cbranch_execz .LBB14_245
; %bb.216:                              ;   in Loop: Header=BB14_177 Depth=1
	v_cmp_nlt_f32_e64 s[0:1], |v57|, 2.0
                                        ; implicit-def: $vgpr58
	s_and_saveexec_b64 s[2:3], s[0:1]
	s_xor_b64 s[6:7], exec, s[2:3]
	s_cbranch_execz .LBB14_226
; %bb.217:                              ;   in Loop: Header=BB14_177 Depth=1
	v_cmp_nlt_f32_e64 s[0:1], |v57|, s29
                                        ; implicit-def: $vgpr58
	s_and_saveexec_b64 s[2:3], s[0:1]
	s_xor_b64 s[8:9], exec, s[2:3]
	s_cbranch_execz .LBB14_223
; %bb.218:                              ;   in Loop: Header=BB14_177 Depth=1
	v_cmp_nlt_f32_e64 s[0:1], |v57|, s30
                                        ; implicit-def: $vgpr58
	s_and_saveexec_b64 s[2:3], s[0:1]
	s_xor_b64 s[16:17], exec, s[2:3]
	s_cbranch_execz .LBB14_220
; %bb.219:                              ;   in Loop: Header=BB14_177 Depth=1
	v_cmp_lt_f32_e64 s[0:1], |v57|, s31
	v_cndmask_b32_e64 v58, 1.0, v49, s[0:1]
	v_mul_f32_e64 v58, |v57|, v58
	v_log_f32_e32 v58, v58
	v_mul_f32_e32 v60, 0x3f317217, v58
	v_fma_f32 v61, v58, s33, -v60
	v_fmac_f32_e32 v61, 0x3377d1cf, v58
	v_add_f32_e32 v60, v60, v61
	v_cmp_lt_f32_e64 s[2:3], |v58|, s34
	v_cndmask_b32_e64 v58, v58, v60, s[2:3]
	v_cndmask_b32_e64 v60, 0, v50, s[0:1]
	v_sub_f32_e32 v58, v58, v60
	v_fma_f32 v58, |v57|, v58, -|v57|
.LBB14_220:                             ;   in Loop: Header=BB14_177 Depth=1
	s_andn2_saveexec_b64 s[16:17], s[16:17]
	s_cbranch_execz .LBB14_222
; %bb.221:                              ;   in Loop: Header=BB14_177 Depth=1
	v_rcp_f32_e64 v58, |v57|
	v_cmp_lt_f32_e64 s[0:1], |v57|, s31
	v_cndmask_b32_e64 v61, 1.0, v49, s[0:1]
	v_mov_b32_e32 v60, 0x3a5b3dd2
	v_mul_f32_e32 v62, v58, v58
	v_mul_f32_e64 v61, |v57|, v61
	v_fmac_f32_e32 v60, 0xbad5c4e8, v62
	v_log_f32_e32 v61, v61
	v_fma_f32 v60, v62, v60, v6
	v_fma_f32 v60, v62, v60, v7
	;; [unrolled: 1-line block ×4, first 2 shown]
	v_mul_f32_e32 v62, 0x3f317217, v61
	v_fma_f32 v63, v61, s33, -v62
	v_fmac_f32_e32 v63, 0x3377d1cf, v61
	v_add_f32_e32 v62, v62, v63
	v_cmp_lt_f32_e64 s[2:3], |v61|, s34
	v_cndmask_b32_e64 v61, v61, v62, s[2:3]
	v_cndmask_b32_e64 v62, 0, v50, s[0:1]
	v_sub_f32_e32 v61, v61, v62
	v_fma_f32 v58, v58, v60, v10
	v_add_f32_e64 v60, |v57|, -0.5
	v_add_f32_e32 v61, -1.0, v61
	v_fmac_f32_e32 v58, v60, v61
.LBB14_222:                             ;   in Loop: Header=BB14_177 Depth=1
	s_or_b64 exec, exec, s[16:17]
.LBB14_223:                             ;   in Loop: Header=BB14_177 Depth=1
	s_andn2_saveexec_b64 s[8:9], s[8:9]
	s_cbranch_execz .LBB14_225
; %bb.224:                              ;   in Loop: Header=BB14_177 Depth=1
	v_cvt_i32_f32_e32 v62, v59
	v_mov_b32_e32 v60, 0x3af135b4
	v_mov_b32_e32 v61, 0x3a4beed6
	v_cvt_f32_i32_e32 v58, v62
	v_cmp_lt_i32_e64 s[0:1], 3, v62
	v_sub_f32_e64 v58, |v57|, v58
	v_fmac_f32_e32 v60, 0x3805ff67, v58
	v_fmac_f32_e32 v61, 0x36f5d7bd, v58
	v_fma_f32 v60, v58, v60, v11
	v_fma_f32 v61, v58, v61, v16
	;; [unrolled: 1-line block ×9, first 2 shown]
	v_fma_f32 v60, v58, v60, 1.0
	v_rcp_f32_e32 v64, v60
	v_pk_add_f32 v[60:61], v[58:59], s[12:13] op_sel_hi:[0,1]
	v_cndmask_b32_e64 v61, 1.0, v61, s[0:1]
	v_cmp_lt_i32_e64 s[0:1], 2, v62
	v_add_f32_e32 v65, 4.0, v58
	v_cndmask_b32_e64 v60, 1.0, v60, s[0:1]
	v_cmp_lt_i32_e64 s[0:1], 4, v62
	v_add_f32_e32 v66, 0x40a00000, v58
	v_mul_f32_e32 v60, v60, v61
	v_cndmask_b32_e64 v61, 1.0, v65, s[0:1]
	v_cmp_lt_i32_e64 s[0:1], 5, v62
	v_add_f32_e32 v67, 0x40c00000, v58
	v_mul_f32_e32 v60, v61, v60
	v_cndmask_b32_e64 v61, 1.0, v66, s[0:1]
	v_cmp_lt_i32_e64 s[0:1], 6, v62
	v_mul_f32_e32 v60, v61, v60
	v_cndmask_b32_e64 v61, 1.0, v67, s[0:1]
	v_mul_f32_e32 v60, v61, v60
	v_cmp_gt_f32_e64 s[0:1], s31, v60
	v_cndmask_b32_e64 v61, 1.0, v49, s[0:1]
	v_mul_f32_e32 v60, v60, v61
	v_log_f32_e32 v60, v60
	v_mul_f32_e32 v61, v58, v63
	v_mul_f32_e32 v61, v61, v64
	v_fmac_f32_e32 v61, 0.5, v58
	v_mul_f32_e32 v58, 0x3f317217, v60
	v_fma_f32 v62, v60, s33, -v58
	v_fmac_f32_e32 v62, 0x3377d1cf, v60
	v_add_f32_e32 v58, v58, v62
	v_cmp_lt_f32_e64 s[2:3], |v60|, s34
	v_cndmask_b32_e64 v58, v60, v58, s[2:3]
	v_cndmask_b32_e64 v60, 0, v50, s[0:1]
	v_sub_f32_e32 v58, v58, v60
	v_add_f32_e32 v58, v58, v61
.LBB14_225:                             ;   in Loop: Header=BB14_177 Depth=1
	s_or_b64 exec, exec, s[8:9]
.LBB14_226:                             ;   in Loop: Header=BB14_177 Depth=1
	s_andn2_saveexec_b64 s[2:3], s[6:7]
	s_cbranch_execz .LBB14_244
; %bb.227:                              ;   in Loop: Header=BB14_177 Depth=1
	v_cmp_le_f32_e64 s[0:1], |v57|, s35
                                        ; implicit-def: $vgpr58
                                        ; implicit-def: $vgpr61
                                        ; implicit-def: $vgpr60
	s_and_saveexec_b64 s[6:7], s[0:1]
	s_xor_b64 s[6:7], exec, s[6:7]
	s_cbranch_execz .LBB14_229
; %bb.228:                              ;   in Loop: Header=BB14_177 Depth=1
	v_cmp_lt_f32_e64 s[0:1], |v57|, s31
	v_cndmask_b32_e64 v58, 1.0, v49, s[0:1]
	v_mul_f32_e64 v58, |v57|, v58
	v_log_f32_e32 v58, v58
	v_cndmask_b32_e64 v60, 0, v50, s[0:1]
	v_mul_f32_e32 v61, 0x3f317217, v58
	v_fma_f32 v62, v58, s33, -v61
	v_fmac_f32_e32 v62, 0x3377d1cf, v58
	v_add_f32_e32 v61, v61, v62
	v_cmp_lt_f32_e64 s[0:1], |v58|, s34
	v_cndmask_b32_e64 v58, v58, v61, s[0:1]
	v_sub_f32_e32 v58, v58, v60
	v_sub_f32_e64 v60, 1.0, |v57|
	v_add_f32_e64 v61, |v57|, s37
	v_cmp_lt_f32_e64 s[0:1], |v57|, s36
	v_cndmask_b32_e64 v60, v60, v61, s[0:1]
	v_cndmask_b32_e64 v61, 0, 1, s[0:1]
	v_cmp_lt_f32_e64 s[0:1], |v57|, s38
	v_xor_b32_e32 v58, 0x80000000, v58
	v_cndmask_b32_e64 v60, v60, |v57|, s[0:1]
	v_cndmask_b32_e64 v61, v61, 2, s[0:1]
.LBB14_229:                             ;   in Loop: Header=BB14_177 Depth=1
	s_andn2_saveexec_b64 s[6:7], s[6:7]
; %bb.230:                              ;   in Loop: Header=BB14_177 Depth=1
	v_sub_f32_e64 v58, 2.0, |v57|
	v_add_f32_e64 v60, |v57|, s40
	v_cmp_lt_f32_e64 s[0:1], |v57|, s39
	v_cndmask_b32_e64 v60, v58, v60, s[0:1]
	v_cndmask_b32_e64 v58, v58, 1.0, s[0:1]
	v_cvt_i32_f32_e32 v58, v58
	v_add_f32_e64 v61, |v57|, -1.0
	v_cmp_lt_f32_e64 s[0:1], |v57|, s41
	v_cndmask_b32_e64 v60, v60, v61, s[0:1]
	v_cndmask_b32_e64 v61, v58, 2, s[0:1]
	v_mov_b32_e32 v58, 0
; %bb.231:                              ;   in Loop: Header=BB14_177 Depth=1
	s_or_b64 exec, exec, s[6:7]
	v_cmp_lt_i32_e64 s[0:1], 0, v61
	s_and_saveexec_b64 s[6:7], s[0:1]
	s_xor_b64 s[6:7], exec, s[6:7]
	s_cbranch_execz .LBB14_239
; %bb.232:                              ;   in Loop: Header=BB14_177 Depth=1
	v_cmp_lt_i32_e64 s[0:1], 1, v61
	s_and_saveexec_b64 s[8:9], s[0:1]
	s_xor_b64 s[8:9], exec, s[8:9]
	s_cbranch_execz .LBB14_236
; %bb.233:                              ;   in Loop: Header=BB14_177 Depth=1
	v_cmp_eq_u32_e64 s[0:1], 2, v61
	s_and_saveexec_b64 s[16:17], s[0:1]
	s_cbranch_execz .LBB14_235
; %bb.234:                              ;   in Loop: Header=BB14_177 Depth=1
	v_mov_b32_e32 v62, 0x3dd572af
	v_fmac_f32_e32 v62, 0x3b52d5db, v60
	v_fma_f32 v62, v60, v62, v23
	v_mov_b32_e32 v61, 0x3e6a7578
	v_fma_f32 v62, v60, v62, v24
	v_fmac_f32_e32 v61, 0x3c5b3c5e, v60
	v_fma_f32 v62, v60, v62, v25
	v_fma_f32 v61, v60, v61, v20
	v_fma_f32 v62, v60, v62, 1.0
	v_fma_f32 v61, v60, v61, v21
	v_rcp_f32_e32 v62, v62
	v_fma_f32 v61, v60, v61, v22
	v_fma_f32 v61, v60, v61, v15
	v_mul_f32_e32 v61, v60, v61
	v_mul_f32_e32 v61, v61, v62
	v_fmac_f32_e32 v61, -0.5, v60
	v_add_f32_e32 v58, v58, v61
.LBB14_235:                             ;   in Loop: Header=BB14_177 Depth=1
	s_or_b64 exec, exec, s[16:17]
                                        ; implicit-def: $vgpr60
.LBB14_236:                             ;   in Loop: Header=BB14_177 Depth=1
	s_andn2_saveexec_b64 s[0:1], s[8:9]
	s_cbranch_execz .LBB14_238
; %bb.237:                              ;   in Loop: Header=BB14_177 Depth=1
	v_mul_f32_e32 v61, v60, v60
	v_mul_f32_e32 v62, v60, v61
	v_mov_b32_e32 v64, 0x3a66f867
	v_mov_b32_e32 v65, 0xba0d3085
	v_fmac_f32_e32 v64, 0xb9a3f927, v62
	v_fmac_f32_e32 v65, 0x39afe9f7, v62
	v_mov_b32_e32 v63, 0xbab7f476
	v_fma_f32 v64, v62, v64, v29
	v_fma_f32 v65, v62, v65, v32
	v_fmac_f32_e32 v63, 0x39a57b6b, v62
	v_fma_f32 v64, v62, v64, v30
	v_fma_f32 v65, v62, v65, v33
	;; [unrolled: 1-line block ×6, first 2 shown]
	v_fmac_f32_e32 v64, v60, v65
	v_fma_f32 v63, v62, v63, v28
	v_fma_f32 v60, v62, -v64, s42
	v_fma_f32 v60, v61, v63, -v60
	v_add_f32_e32 v60, 0xbdf8cdce, v60
	v_add_f32_e32 v58, v58, v60
.LBB14_238:                             ;   in Loop: Header=BB14_177 Depth=1
	s_or_b64 exec, exec, s[0:1]
                                        ; implicit-def: $vgpr61
                                        ; implicit-def: $vgpr60
.LBB14_239:                             ;   in Loop: Header=BB14_177 Depth=1
	s_andn2_saveexec_b64 s[6:7], s[6:7]
	s_cbranch_execz .LBB14_243
; %bb.240:                              ;   in Loop: Header=BB14_177 Depth=1
	v_cmp_eq_u32_e64 s[0:1], 0, v61
	s_and_saveexec_b64 s[8:9], s[0:1]
	s_cbranch_execz .LBB14_242
; %bb.241:                              ;   in Loop: Header=BB14_177 Depth=1
	v_mul_f32_e32 v61, v60, v60
	v_mov_b32_e32 v63, 0x38e28445
	v_mov_b32_e32 v62, 0x39679767
	v_fmac_f32_e32 v63, 0x383c2c75, v61
	v_fmac_f32_e32 v62, 0x37d383a2, v61
	v_fma_f32 v63, v61, v63, v39
	v_fma_f32 v62, v61, v62, v35
	;; [unrolled: 1-line block ×8, first 2 shown]
	v_mul_f32_e32 v61, v61, v63
	v_fmac_f32_e32 v61, v60, v62
	v_fmac_f32_e32 v61, -0.5, v60
	v_add_f32_e32 v58, v58, v61
.LBB14_242:                             ;   in Loop: Header=BB14_177 Depth=1
	s_or_b64 exec, exec, s[8:9]
.LBB14_243:                             ;   in Loop: Header=BB14_177 Depth=1
	s_or_b64 exec, exec, s[6:7]
.LBB14_244:                             ;   in Loop: Header=BB14_177 Depth=1
	s_or_b64 exec, exec, s[2:3]
.LBB14_245:                             ;   in Loop: Header=BB14_177 Depth=1
	s_andn2_saveexec_b64 s[4:5], s[4:5]
	s_cbranch_execz .LBB14_247
; %bb.246:                              ;   in Loop: Header=BB14_177 Depth=1
	v_cmp_lt_f32_e64 s[0:1], |v57|, s31
	v_cndmask_b32_e64 v58, 1.0, v49, s[0:1]
	v_mul_f32_e64 v58, |v57|, v58
	v_log_f32_e32 v58, v58
	v_fma_f32 v60, |v57|, s43, v51
	v_fma_f32 v60, |v57|, v60, s44
	;; [unrolled: 1-line block ×3, first 2 shown]
	v_mul_f32_e32 v61, 0x3f317217, v58
	v_fma_f32 v62, v58, s33, -v61
	v_fmac_f32_e32 v62, 0x3377d1cf, v58
	v_add_f32_e32 v61, v61, v62
	v_cmp_lt_f32_e64 s[2:3], |v58|, s34
	v_cndmask_b32_e64 v58, v58, v61, s[2:3]
	v_cndmask_b32_e64 v61, 0, v50, s[0:1]
	v_sub_f32_e32 v58, v58, v61
	v_fma_f32 v58, |v57|, v60, -v58
.LBB14_247:                             ;   in Loop: Header=BB14_177 Depth=1
	s_or_b64 exec, exec, s[4:5]
	v_cmp_le_f16_e64 s[0:1], 0, v56
	v_cmp_nle_f16_e64 s[2:3], 0, v56
	s_and_saveexec_b64 s[4:5], s[2:3]
	s_xor_b64 s[6:7], exec, s[4:5]
	s_cbranch_execz .LBB14_251
; %bb.248:                              ;   in Loop: Header=BB14_177 Depth=1
	v_cmp_lt_f32_e64 s[2:3], |v57|, s46
	v_cmp_gt_f32_e64 s[4:5], |v57|, s47
	s_and_b64 s[2:3], s[2:3], s[4:5]
	s_and_saveexec_b64 s[8:9], s[2:3]
	s_cbranch_execz .LBB14_250
; %bb.249:                              ;   in Loop: Header=BB14_177 Depth=1
	v_mul_f32_e64 v60, |v57|, 0.5
	v_floor_f32_e32 v61, v60
	v_sub_f32_e32 v61, v60, v61
	v_min_f32_e32 v61, 0x3f7fffff, v61
	v_add_f32_e32 v61, v61, v61
	v_cmp_neq_f32_e64 s[2:3], s34, v60
	v_cndmask_b32_e64 v60, 0, v61, s[2:3]
	v_cmp_gt_f32_e64 s[2:3], |v57|, 1.0
	v_cndmask_b32_e64 v60, |v57|, v60, s[2:3]
	v_add_f32_e32 v61, v60, v60
	v_rndne_f32_e32 v61, v61
	v_fmac_f32_e32 v60, -0.5, v61
	v_mul_f32_e32 v62, v60, v60
	v_mov_b32_e32 v63, 0xbf1f24be
	v_fmac_f32_e32 v63, 0x3e75aa41, v62
	v_fma_f32 v63, v62, v63, v43
	v_fma_f32 v63, v62, v63, v44
	v_mul_f32_e32 v64, v60, v62
	v_mul_f32_e32 v63, v64, v63
	v_fmac_f32_e32 v63, 0x40490fdb, v60
	v_mov_b32_e32 v60, 0x3e642e9d
	v_cvt_i32_f32_e32 v61, v61
	v_fmac_f32_e32 v60, 0x3d4be544, v62
	v_fma_f32 v60, v62, v60, v45
	v_fma_f32 v60, v62, v60, v46
	;; [unrolled: 1-line block ×3, first 2 shown]
	v_fma_f32 v60, v62, v60, 1.0
	v_and_b32_e32 v62, 1, v61
	v_lshlrev_b32_e32 v61, 30, v61
	v_cmp_eq_u32_e64 s[2:3], 0, v62
	v_and_b32_e32 v61, 0x80000000, v61
	v_xor_b32_e32 v59, v59, v57
	v_cndmask_b32_e64 v60, v60, v63, s[2:3]
	v_xor_b32_e32 v59, v59, v61
	v_xor_b32_e32 v59, v59, v60
	v_mul_f32_e32 v59, v57, v59
	v_frexp_mant_f32_e64 v60, |v59|
	v_rcp_f32_e32 v60, v60
	v_frexp_exp_i32_f32_e32 v59, v59
	v_sub_u32_e32 v59, 2, v59
	v_mul_f32_e32 v60, 0x3f490fdb, v60
	v_ldexp_f32 v59, v60, v59
	v_cmp_gt_f32_e64 s[2:3], s31, v59
	v_cndmask_b32_e64 v60, 1.0, v49, s[2:3]
	v_mul_f32_e32 v59, v59, v60
	v_log_f32_e32 v59, v59
	v_mul_f32_e32 v60, 0x3f317217, v59
	v_fma_f32 v61, v59, s33, -v60
	v_fmac_f32_e32 v61, 0x3377d1cf, v59
	v_add_f32_e32 v60, v60, v61
	v_cmp_lt_f32_e64 s[4:5], |v59|, s34
	v_cndmask_b32_e64 v59, v59, v60, s[4:5]
	v_cndmask_b32_e64 v60, 0, v50, s[2:3]
	v_sub_f32_e32 v59, v59, v60
	v_sub_f32_e32 v58, v59, v58
	v_floor_f32_e32 v59, v57
	v_sub_f32_e32 v59, v57, v59
	v_min_f32_e32 v59, 0x3f7fffff, v59
	v_cmp_neq_f32_e64 s[2:3], 0, v59
	v_cndmask_b32_e64 v58, v52, v58, s[2:3]
.LBB14_250:                             ;   in Loop: Header=BB14_177 Depth=1
	s_or_b64 exec, exec, s[8:9]
.LBB14_251:                             ;   in Loop: Header=BB14_177 Depth=1
	s_andn2_saveexec_b64 s[6:7], s[6:7]
; %bb.252:                              ;   in Loop: Header=BB14_177 Depth=1
	v_cmp_eq_f16_e64 s[2:3], 1.0, v56
	v_cmp_eq_f16_e64 s[4:5], 2.0, v56
	s_or_b64 s[2:3], s[2:3], s[4:5]
	v_cndmask_b32_e64 v58, v58, 0, s[2:3]
; %bb.253:                              ;   in Loop: Header=BB14_177 Depth=1
	s_or_b64 exec, exec, s[6:7]
	v_cvt_f32_f16_e32 v59, v5
                                        ; implicit-def: $vgpr60
	v_and_b32_e32 v61, 0x7fffffff, v59
	v_cmp_nlt_f32_e64 s[2:3], |v59|, s28
	s_and_saveexec_b64 s[4:5], s[2:3]
	s_xor_b64 s[6:7], exec, s[4:5]
	s_cbranch_execz .LBB14_283
; %bb.254:                              ;   in Loop: Header=BB14_177 Depth=1
	v_cmp_nlt_f32_e64 s[2:3], |v59|, 2.0
                                        ; implicit-def: $vgpr60
	s_and_saveexec_b64 s[4:5], s[2:3]
	s_xor_b64 s[8:9], exec, s[4:5]
	s_cbranch_execz .LBB14_264
; %bb.255:                              ;   in Loop: Header=BB14_177 Depth=1
	v_cmp_nlt_f32_e64 s[2:3], |v59|, s29
                                        ; implicit-def: $vgpr60
	s_and_saveexec_b64 s[4:5], s[2:3]
	s_xor_b64 s[16:17], exec, s[4:5]
	s_cbranch_execz .LBB14_261
; %bb.256:                              ;   in Loop: Header=BB14_177 Depth=1
	v_cmp_nlt_f32_e64 s[2:3], |v59|, s30
                                        ; implicit-def: $vgpr60
	s_and_saveexec_b64 s[4:5], s[2:3]
	s_xor_b64 s[18:19], exec, s[4:5]
	s_cbranch_execz .LBB14_258
; %bb.257:                              ;   in Loop: Header=BB14_177 Depth=1
	v_cmp_lt_f32_e64 s[2:3], |v59|, s31
	v_cndmask_b32_e64 v60, 1.0, v49, s[2:3]
	v_mul_f32_e64 v60, |v59|, v60
	v_log_f32_e32 v60, v60
	v_mul_f32_e32 v62, 0x3f317217, v60
	v_fma_f32 v63, v60, s33, -v62
	v_fmac_f32_e32 v63, 0x3377d1cf, v60
	v_add_f32_e32 v62, v62, v63
	v_cmp_lt_f32_e64 s[4:5], |v60|, s34
	v_cndmask_b32_e64 v60, v60, v62, s[4:5]
	v_cndmask_b32_e64 v62, 0, v50, s[2:3]
	v_sub_f32_e32 v60, v60, v62
	v_fma_f32 v60, |v59|, v60, -|v59|
.LBB14_258:                             ;   in Loop: Header=BB14_177 Depth=1
	s_andn2_saveexec_b64 s[18:19], s[18:19]
	s_cbranch_execz .LBB14_260
; %bb.259:                              ;   in Loop: Header=BB14_177 Depth=1
	v_rcp_f32_e64 v60, |v59|
	v_cmp_lt_f32_e64 s[2:3], |v59|, s31
	v_cndmask_b32_e64 v63, 1.0, v49, s[2:3]
	v_mov_b32_e32 v62, 0x3a5b3dd2
	v_mul_f32_e32 v64, v60, v60
	v_mul_f32_e64 v63, |v59|, v63
	v_fmac_f32_e32 v62, 0xbad5c4e8, v64
	v_log_f32_e32 v63, v63
	v_fma_f32 v62, v64, v62, v6
	v_fma_f32 v62, v64, v62, v7
	v_fma_f32 v62, v64, v62, v8
	v_fma_f32 v62, v64, v62, v9
	v_mul_f32_e32 v64, 0x3f317217, v63
	v_fma_f32 v65, v63, s33, -v64
	v_fmac_f32_e32 v65, 0x3377d1cf, v63
	v_add_f32_e32 v64, v64, v65
	v_cmp_lt_f32_e64 s[4:5], |v63|, s34
	v_cndmask_b32_e64 v63, v63, v64, s[4:5]
	v_cndmask_b32_e64 v64, 0, v50, s[2:3]
	v_sub_f32_e32 v63, v63, v64
	v_fma_f32 v60, v60, v62, v10
	v_add_f32_e64 v62, |v59|, -0.5
	v_add_f32_e32 v63, -1.0, v63
	v_fmac_f32_e32 v60, v62, v63
.LBB14_260:                             ;   in Loop: Header=BB14_177 Depth=1
	s_or_b64 exec, exec, s[18:19]
.LBB14_261:                             ;   in Loop: Header=BB14_177 Depth=1
	s_andn2_saveexec_b64 s[16:17], s[16:17]
	s_cbranch_execz .LBB14_263
; %bb.262:                              ;   in Loop: Header=BB14_177 Depth=1
	v_cvt_i32_f32_e32 v64, v61
	v_mov_b32_e32 v62, 0x3af135b4
	v_mov_b32_e32 v63, 0x3a4beed6
	v_cvt_f32_i32_e32 v60, v64
	v_cmp_lt_i32_e64 s[2:3], 3, v64
	v_sub_f32_e64 v60, |v59|, v60
	v_fmac_f32_e32 v62, 0x3805ff67, v60
	v_fmac_f32_e32 v63, 0x36f5d7bd, v60
	v_fma_f32 v62, v60, v62, v11
	v_fma_f32 v63, v60, v63, v16
	;; [unrolled: 1-line block ×9, first 2 shown]
	v_fma_f32 v62, v60, v62, 1.0
	v_rcp_f32_e32 v66, v62
	v_pk_add_f32 v[62:63], v[60:61], s[12:13] op_sel_hi:[0,1]
	v_cndmask_b32_e64 v63, 1.0, v63, s[2:3]
	v_cmp_lt_i32_e64 s[2:3], 2, v64
	v_add_f32_e32 v67, 4.0, v60
	v_cndmask_b32_e64 v62, 1.0, v62, s[2:3]
	v_cmp_lt_i32_e64 s[2:3], 4, v64
	v_add_f32_e32 v68, 0x40a00000, v60
	v_mul_f32_e32 v62, v62, v63
	v_cndmask_b32_e64 v63, 1.0, v67, s[2:3]
	v_cmp_lt_i32_e64 s[2:3], 5, v64
	v_add_f32_e32 v69, 0x40c00000, v60
	v_mul_f32_e32 v62, v63, v62
	v_cndmask_b32_e64 v63, 1.0, v68, s[2:3]
	v_cmp_lt_i32_e64 s[2:3], 6, v64
	v_mul_f32_e32 v62, v63, v62
	v_cndmask_b32_e64 v63, 1.0, v69, s[2:3]
	v_mul_f32_e32 v62, v63, v62
	v_cmp_gt_f32_e64 s[2:3], s31, v62
	v_cndmask_b32_e64 v63, 1.0, v49, s[2:3]
	v_mul_f32_e32 v62, v62, v63
	v_log_f32_e32 v62, v62
	v_mul_f32_e32 v63, v60, v65
	v_mul_f32_e32 v63, v63, v66
	v_fmac_f32_e32 v63, 0.5, v60
	v_mul_f32_e32 v60, 0x3f317217, v62
	v_fma_f32 v64, v62, s33, -v60
	v_fmac_f32_e32 v64, 0x3377d1cf, v62
	v_add_f32_e32 v60, v60, v64
	v_cmp_lt_f32_e64 s[4:5], |v62|, s34
	v_cndmask_b32_e64 v60, v62, v60, s[4:5]
	v_cndmask_b32_e64 v62, 0, v50, s[2:3]
	v_sub_f32_e32 v60, v60, v62
	v_add_f32_e32 v60, v60, v63
.LBB14_263:                             ;   in Loop: Header=BB14_177 Depth=1
	s_or_b64 exec, exec, s[16:17]
.LBB14_264:                             ;   in Loop: Header=BB14_177 Depth=1
	s_andn2_saveexec_b64 s[4:5], s[8:9]
	s_cbranch_execz .LBB14_282
; %bb.265:                              ;   in Loop: Header=BB14_177 Depth=1
	v_cmp_le_f32_e64 s[2:3], |v59|, s35
                                        ; implicit-def: $vgpr60
                                        ; implicit-def: $vgpr63
                                        ; implicit-def: $vgpr62
	s_and_saveexec_b64 s[8:9], s[2:3]
	s_xor_b64 s[8:9], exec, s[8:9]
	s_cbranch_execz .LBB14_267
; %bb.266:                              ;   in Loop: Header=BB14_177 Depth=1
	v_cmp_lt_f32_e64 s[2:3], |v59|, s31
	v_cndmask_b32_e64 v60, 1.0, v49, s[2:3]
	v_mul_f32_e64 v60, |v59|, v60
	v_log_f32_e32 v60, v60
	v_cndmask_b32_e64 v62, 0, v50, s[2:3]
	v_mul_f32_e32 v63, 0x3f317217, v60
	v_fma_f32 v64, v60, s33, -v63
	v_fmac_f32_e32 v64, 0x3377d1cf, v60
	v_add_f32_e32 v63, v63, v64
	v_cmp_lt_f32_e64 s[2:3], |v60|, s34
	v_cndmask_b32_e64 v60, v60, v63, s[2:3]
	v_sub_f32_e32 v60, v60, v62
	v_sub_f32_e64 v62, 1.0, |v59|
	v_add_f32_e64 v63, |v59|, s37
	v_cmp_lt_f32_e64 s[2:3], |v59|, s36
	v_cndmask_b32_e64 v62, v62, v63, s[2:3]
	v_cndmask_b32_e64 v63, 0, 1, s[2:3]
	v_cmp_lt_f32_e64 s[2:3], |v59|, s38
	v_xor_b32_e32 v60, 0x80000000, v60
	v_cndmask_b32_e64 v62, v62, |v59|, s[2:3]
	v_cndmask_b32_e64 v63, v63, 2, s[2:3]
.LBB14_267:                             ;   in Loop: Header=BB14_177 Depth=1
	s_andn2_saveexec_b64 s[8:9], s[8:9]
; %bb.268:                              ;   in Loop: Header=BB14_177 Depth=1
	v_sub_f32_e64 v60, 2.0, |v59|
	v_add_f32_e64 v62, |v59|, s40
	v_cmp_lt_f32_e64 s[2:3], |v59|, s39
	v_cndmask_b32_e64 v62, v60, v62, s[2:3]
	v_cndmask_b32_e64 v60, v60, 1.0, s[2:3]
	v_cvt_i32_f32_e32 v60, v60
	v_add_f32_e64 v63, |v59|, -1.0
	v_cmp_lt_f32_e64 s[2:3], |v59|, s41
	v_cndmask_b32_e64 v62, v62, v63, s[2:3]
	v_cndmask_b32_e64 v63, v60, 2, s[2:3]
	v_mov_b32_e32 v60, 0
; %bb.269:                              ;   in Loop: Header=BB14_177 Depth=1
	s_or_b64 exec, exec, s[8:9]
	v_cmp_lt_i32_e64 s[2:3], 0, v63
	s_and_saveexec_b64 s[8:9], s[2:3]
	s_xor_b64 s[8:9], exec, s[8:9]
	s_cbranch_execz .LBB14_277
; %bb.270:                              ;   in Loop: Header=BB14_177 Depth=1
	v_cmp_lt_i32_e64 s[2:3], 1, v63
	s_and_saveexec_b64 s[16:17], s[2:3]
	s_xor_b64 s[16:17], exec, s[16:17]
	s_cbranch_execz .LBB14_274
; %bb.271:                              ;   in Loop: Header=BB14_177 Depth=1
	v_cmp_eq_u32_e64 s[2:3], 2, v63
	s_and_saveexec_b64 s[18:19], s[2:3]
	s_cbranch_execz .LBB14_273
; %bb.272:                              ;   in Loop: Header=BB14_177 Depth=1
	v_mov_b32_e32 v64, 0x3dd572af
	v_fmac_f32_e32 v64, 0x3b52d5db, v62
	v_fma_f32 v64, v62, v64, v23
	v_mov_b32_e32 v63, 0x3e6a7578
	v_fma_f32 v64, v62, v64, v24
	v_fmac_f32_e32 v63, 0x3c5b3c5e, v62
	v_fma_f32 v64, v62, v64, v25
	v_fma_f32 v63, v62, v63, v20
	v_fma_f32 v64, v62, v64, 1.0
	v_fma_f32 v63, v62, v63, v21
	v_rcp_f32_e32 v64, v64
	v_fma_f32 v63, v62, v63, v22
	v_fma_f32 v63, v62, v63, v15
	v_mul_f32_e32 v63, v62, v63
	v_mul_f32_e32 v63, v63, v64
	v_fmac_f32_e32 v63, -0.5, v62
	v_add_f32_e32 v60, v60, v63
.LBB14_273:                             ;   in Loop: Header=BB14_177 Depth=1
	s_or_b64 exec, exec, s[18:19]
                                        ; implicit-def: $vgpr62
.LBB14_274:                             ;   in Loop: Header=BB14_177 Depth=1
	s_andn2_saveexec_b64 s[2:3], s[16:17]
	s_cbranch_execz .LBB14_276
; %bb.275:                              ;   in Loop: Header=BB14_177 Depth=1
	v_mul_f32_e32 v63, v62, v62
	v_mul_f32_e32 v64, v62, v63
	v_mov_b32_e32 v66, 0x3a66f867
	v_mov_b32_e32 v67, 0xba0d3085
	v_fmac_f32_e32 v66, 0xb9a3f927, v64
	v_fmac_f32_e32 v67, 0x39afe9f7, v64
	v_mov_b32_e32 v65, 0xbab7f476
	v_fma_f32 v66, v64, v66, v29
	v_fma_f32 v67, v64, v67, v32
	v_fmac_f32_e32 v65, 0x39a57b6b, v64
	v_fma_f32 v66, v64, v66, v30
	v_fma_f32 v67, v64, v67, v33
	;; [unrolled: 1-line block ×6, first 2 shown]
	v_fmac_f32_e32 v66, v62, v67
	v_fma_f32 v65, v64, v65, v28
	v_fma_f32 v62, v64, -v66, s42
	v_fma_f32 v62, v63, v65, -v62
	v_add_f32_e32 v62, 0xbdf8cdce, v62
	v_add_f32_e32 v60, v60, v62
.LBB14_276:                             ;   in Loop: Header=BB14_177 Depth=1
	s_or_b64 exec, exec, s[2:3]
                                        ; implicit-def: $vgpr63
                                        ; implicit-def: $vgpr62
.LBB14_277:                             ;   in Loop: Header=BB14_177 Depth=1
	s_andn2_saveexec_b64 s[8:9], s[8:9]
	s_cbranch_execz .LBB14_281
; %bb.278:                              ;   in Loop: Header=BB14_177 Depth=1
	v_cmp_eq_u32_e64 s[2:3], 0, v63
	s_and_saveexec_b64 s[16:17], s[2:3]
	s_cbranch_execz .LBB14_280
; %bb.279:                              ;   in Loop: Header=BB14_177 Depth=1
	v_mul_f32_e32 v63, v62, v62
	v_mov_b32_e32 v65, 0x38e28445
	v_mov_b32_e32 v64, 0x39679767
	v_fmac_f32_e32 v65, 0x383c2c75, v63
	v_fmac_f32_e32 v64, 0x37d383a2, v63
	v_fma_f32 v65, v63, v65, v39
	v_fma_f32 v64, v63, v64, v35
	;; [unrolled: 1-line block ×8, first 2 shown]
	v_mul_f32_e32 v63, v63, v65
	v_fmac_f32_e32 v63, v62, v64
	v_fmac_f32_e32 v63, -0.5, v62
	v_add_f32_e32 v60, v60, v63
.LBB14_280:                             ;   in Loop: Header=BB14_177 Depth=1
	s_or_b64 exec, exec, s[16:17]
.LBB14_281:                             ;   in Loop: Header=BB14_177 Depth=1
	s_or_b64 exec, exec, s[8:9]
.LBB14_282:                             ;   in Loop: Header=BB14_177 Depth=1
	s_or_b64 exec, exec, s[4:5]
.LBB14_283:                             ;   in Loop: Header=BB14_177 Depth=1
	s_andn2_saveexec_b64 s[6:7], s[6:7]
	s_cbranch_execz .LBB14_285
; %bb.284:                              ;   in Loop: Header=BB14_177 Depth=1
	v_cmp_lt_f32_e64 s[2:3], |v59|, s31
	v_cndmask_b32_e64 v60, 1.0, v49, s[2:3]
	v_mul_f32_e64 v60, |v59|, v60
	v_log_f32_e32 v60, v60
	v_fma_f32 v62, |v59|, s43, v51
	v_fma_f32 v62, |v59|, v62, s44
	;; [unrolled: 1-line block ×3, first 2 shown]
	v_mul_f32_e32 v63, 0x3f317217, v60
	v_fma_f32 v64, v60, s33, -v63
	v_fmac_f32_e32 v64, 0x3377d1cf, v60
	v_add_f32_e32 v63, v63, v64
	v_cmp_lt_f32_e64 s[4:5], |v60|, s34
	v_cndmask_b32_e64 v60, v60, v63, s[4:5]
	v_cndmask_b32_e64 v63, 0, v50, s[2:3]
	v_sub_f32_e32 v60, v60, v63
	v_fma_f32 v60, |v59|, v62, -v60
.LBB14_285:                             ;   in Loop: Header=BB14_177 Depth=1
	s_or_b64 exec, exec, s[6:7]
	v_cmp_le_f16_e64 s[2:3], 0, v5
	v_cmp_nle_f16_e64 s[4:5], 0, v5
	s_and_saveexec_b64 s[6:7], s[4:5]
	s_xor_b64 s[8:9], exec, s[6:7]
	s_cbranch_execz .LBB14_289
; %bb.286:                              ;   in Loop: Header=BB14_177 Depth=1
	v_cmp_lt_f32_e64 s[4:5], |v59|, s46
	v_cmp_gt_f32_e64 s[6:7], |v59|, s47
	s_and_b64 s[4:5], s[4:5], s[6:7]
	s_and_saveexec_b64 s[16:17], s[4:5]
	s_cbranch_execz .LBB14_288
; %bb.287:                              ;   in Loop: Header=BB14_177 Depth=1
	v_mul_f32_e64 v62, |v59|, 0.5
	v_floor_f32_e32 v63, v62
	v_sub_f32_e32 v63, v62, v63
	v_min_f32_e32 v63, 0x3f7fffff, v63
	v_add_f32_e32 v63, v63, v63
	v_cmp_neq_f32_e64 s[4:5], s34, v62
	v_cndmask_b32_e64 v62, 0, v63, s[4:5]
	v_cmp_gt_f32_e64 s[4:5], |v59|, 1.0
	v_cndmask_b32_e64 v62, |v59|, v62, s[4:5]
	v_add_f32_e32 v63, v62, v62
	v_rndne_f32_e32 v63, v63
	v_fmac_f32_e32 v62, -0.5, v63
	v_mul_f32_e32 v64, v62, v62
	v_mov_b32_e32 v65, 0xbf1f24be
	v_fmac_f32_e32 v65, 0x3e75aa41, v64
	v_fma_f32 v65, v64, v65, v43
	v_fma_f32 v65, v64, v65, v44
	v_mul_f32_e32 v66, v62, v64
	v_mul_f32_e32 v65, v66, v65
	v_fmac_f32_e32 v65, 0x40490fdb, v62
	v_mov_b32_e32 v62, 0x3e642e9d
	v_cvt_i32_f32_e32 v63, v63
	v_fmac_f32_e32 v62, 0x3d4be544, v64
	v_fma_f32 v62, v64, v62, v45
	v_fma_f32 v62, v64, v62, v46
	;; [unrolled: 1-line block ×3, first 2 shown]
	v_fma_f32 v62, v64, v62, 1.0
	v_and_b32_e32 v64, 1, v63
	v_lshlrev_b32_e32 v63, 30, v63
	v_cmp_eq_u32_e64 s[4:5], 0, v64
	v_and_b32_e32 v63, 0x80000000, v63
	v_xor_b32_e32 v61, v61, v59
	v_cndmask_b32_e64 v62, v62, v65, s[4:5]
	v_xor_b32_e32 v61, v61, v63
	v_xor_b32_e32 v61, v61, v62
	v_mul_f32_e32 v61, v59, v61
	v_frexp_mant_f32_e64 v62, |v61|
	v_rcp_f32_e32 v62, v62
	v_frexp_exp_i32_f32_e32 v61, v61
	v_sub_u32_e32 v61, 2, v61
	v_mul_f32_e32 v62, 0x3f490fdb, v62
	v_ldexp_f32 v61, v62, v61
	v_cmp_gt_f32_e64 s[4:5], s31, v61
	v_cndmask_b32_e64 v62, 1.0, v49, s[4:5]
	v_mul_f32_e32 v61, v61, v62
	v_log_f32_e32 v61, v61
	v_mul_f32_e32 v62, 0x3f317217, v61
	v_fma_f32 v63, v61, s33, -v62
	v_fmac_f32_e32 v63, 0x3377d1cf, v61
	v_add_f32_e32 v62, v62, v63
	v_cmp_lt_f32_e64 s[6:7], |v61|, s34
	v_cndmask_b32_e64 v61, v61, v62, s[6:7]
	v_cndmask_b32_e64 v62, 0, v50, s[4:5]
	v_sub_f32_e32 v61, v61, v62
	v_sub_f32_e32 v60, v61, v60
	v_floor_f32_e32 v61, v59
	v_sub_f32_e32 v61, v59, v61
	v_min_f32_e32 v61, 0x3f7fffff, v61
	v_cmp_neq_f32_e64 s[4:5], 0, v61
	v_cndmask_b32_e64 v60, v52, v60, s[4:5]
.LBB14_288:                             ;   in Loop: Header=BB14_177 Depth=1
	s_or_b64 exec, exec, s[16:17]
.LBB14_289:                             ;   in Loop: Header=BB14_177 Depth=1
	s_andn2_saveexec_b64 s[8:9], s[8:9]
; %bb.290:                              ;   in Loop: Header=BB14_177 Depth=1
	v_cmp_eq_f16_e64 s[4:5], 1.0, v5
	v_cmp_eq_f16_e64 s[6:7], 2.0, v5
	s_or_b64 s[4:5], s[4:5], s[6:7]
	v_cndmask_b32_e64 v60, v60, 0, s[4:5]
; %bb.291:                              ;   in Loop: Header=BB14_177 Depth=1
	s_or_b64 exec, exec, s[8:9]
	v_lshrrev_b32_e32 v61, 16, v5
	v_cvt_f32_f16_e32 v62, v61
                                        ; implicit-def: $vgpr64
	v_and_b32_e32 v63, 0x7fffffff, v62
	v_cmp_nlt_f32_e64 s[4:5], |v62|, s28
	s_and_saveexec_b64 s[6:7], s[4:5]
	s_xor_b64 s[8:9], exec, s[6:7]
	s_cbranch_execz .LBB14_321
; %bb.292:                              ;   in Loop: Header=BB14_177 Depth=1
	v_cmp_nlt_f32_e64 s[4:5], |v62|, 2.0
                                        ; implicit-def: $vgpr64
	s_and_saveexec_b64 s[6:7], s[4:5]
	s_xor_b64 s[16:17], exec, s[6:7]
	s_cbranch_execz .LBB14_302
; %bb.293:                              ;   in Loop: Header=BB14_177 Depth=1
	v_cmp_nlt_f32_e64 s[4:5], |v62|, s29
                                        ; implicit-def: $vgpr64
	s_and_saveexec_b64 s[6:7], s[4:5]
	s_xor_b64 s[18:19], exec, s[6:7]
	s_cbranch_execz .LBB14_299
; %bb.294:                              ;   in Loop: Header=BB14_177 Depth=1
	v_cmp_nlt_f32_e64 s[4:5], |v62|, s30
                                        ; implicit-def: $vgpr64
	s_and_saveexec_b64 s[6:7], s[4:5]
	s_xor_b64 s[22:23], exec, s[6:7]
	s_cbranch_execz .LBB14_296
; %bb.295:                              ;   in Loop: Header=BB14_177 Depth=1
	v_cmp_lt_f32_e64 s[4:5], |v62|, s31
	v_cndmask_b32_e64 v64, 1.0, v49, s[4:5]
	v_mul_f32_e64 v64, |v62|, v64
	v_log_f32_e32 v64, v64
	v_mul_f32_e32 v65, 0x3f317217, v64
	v_fma_f32 v66, v64, s33, -v65
	v_fmac_f32_e32 v66, 0x3377d1cf, v64
	v_add_f32_e32 v65, v65, v66
	v_cmp_lt_f32_e64 s[6:7], |v64|, s34
	v_cndmask_b32_e64 v64, v64, v65, s[6:7]
	v_cndmask_b32_e64 v65, 0, v50, s[4:5]
	v_sub_f32_e32 v64, v64, v65
	v_fma_f32 v64, |v62|, v64, -|v62|
.LBB14_296:                             ;   in Loop: Header=BB14_177 Depth=1
	s_andn2_saveexec_b64 s[22:23], s[22:23]
	s_cbranch_execz .LBB14_298
; %bb.297:                              ;   in Loop: Header=BB14_177 Depth=1
	v_rcp_f32_e64 v64, |v62|
	v_cmp_lt_f32_e64 s[4:5], |v62|, s31
	v_cndmask_b32_e64 v66, 1.0, v49, s[4:5]
	v_mov_b32_e32 v65, 0x3a5b3dd2
	v_mul_f32_e32 v67, v64, v64
	v_mul_f32_e64 v66, |v62|, v66
	v_fmac_f32_e32 v65, 0xbad5c4e8, v67
	v_log_f32_e32 v66, v66
	v_fma_f32 v65, v67, v65, v6
	v_fma_f32 v65, v67, v65, v7
	;; [unrolled: 1-line block ×4, first 2 shown]
	v_mul_f32_e32 v67, 0x3f317217, v66
	v_fma_f32 v68, v66, s33, -v67
	v_fmac_f32_e32 v68, 0x3377d1cf, v66
	v_add_f32_e32 v67, v67, v68
	v_cmp_lt_f32_e64 s[6:7], |v66|, s34
	v_cndmask_b32_e64 v66, v66, v67, s[6:7]
	v_cndmask_b32_e64 v67, 0, v50, s[4:5]
	v_sub_f32_e32 v66, v66, v67
	v_fma_f32 v64, v64, v65, v10
	v_add_f32_e64 v65, |v62|, -0.5
	v_add_f32_e32 v66, -1.0, v66
	v_fmac_f32_e32 v64, v65, v66
.LBB14_298:                             ;   in Loop: Header=BB14_177 Depth=1
	s_or_b64 exec, exec, s[22:23]
.LBB14_299:                             ;   in Loop: Header=BB14_177 Depth=1
	s_andn2_saveexec_b64 s[18:19], s[18:19]
	s_cbranch_execz .LBB14_301
; %bb.300:                              ;   in Loop: Header=BB14_177 Depth=1
	v_cvt_i32_f32_e32 v66, v63
	v_mov_b32_e32 v67, 0x3a4beed6
	v_mov_b32_e32 v65, 0x3af135b4
	v_cvt_f32_i32_e32 v64, v66
	v_cmp_lt_i32_e64 s[4:5], 2, v66
	v_cmp_lt_i32_e64 s[6:7], 3, v66
	v_sub_f32_e64 v64, |v62|, v64
	v_fmac_f32_e32 v67, 0x36f5d7bd, v64
	v_fma_f32 v67, v64, v67, v16
	v_fma_f32 v67, v64, v67, v17
	v_fmac_f32_e32 v65, 0x3805ff67, v64
	v_fma_f32 v67, v64, v67, v18
	v_fma_f32 v65, v64, v65, v11
	;; [unrolled: 1-line block ×4, first 2 shown]
	v_fma_f32 v67, v64, v67, 1.0
	v_fma_f32 v65, v64, v65, v13
	v_rcp_f32_e32 v67, v67
	v_fma_f32 v65, v64, v65, v14
	v_fma_f32 v65, v64, v65, v15
	v_mul_f32_e32 v65, v64, v65
	v_mul_f32_e32 v67, v65, v67
	v_fmac_f32_e32 v67, 0.5, v64
	v_add_f32_e32 v68, 4.0, v64
	v_add_f32_e32 v69, 0x40a00000, v64
	v_add_f32_e32 v70, 0x40c00000, v64
	v_pk_add_f32 v[64:65], v[64:65], s[12:13] op_sel_hi:[0,1]
	v_cndmask_b32_e64 v65, 1.0, v65, s[6:7]
	v_cndmask_b32_e64 v64, 1.0, v64, s[4:5]
	v_cmp_lt_i32_e64 s[4:5], 4, v66
	v_mul_f32_e32 v64, v64, v65
	v_cndmask_b32_e64 v65, 1.0, v68, s[4:5]
	v_cmp_lt_i32_e64 s[4:5], 5, v66
	v_mul_f32_e32 v64, v65, v64
	;; [unrolled: 3-line block ×3, first 2 shown]
	v_cndmask_b32_e64 v65, 1.0, v70, s[4:5]
	v_mul_f32_e32 v64, v65, v64
	v_cmp_gt_f32_e64 s[4:5], s31, v64
	v_cndmask_b32_e64 v65, 1.0, v49, s[4:5]
	v_mul_f32_e32 v64, v64, v65
	v_log_f32_e32 v64, v64
	v_mul_f32_e32 v65, 0x3f317217, v64
	v_fma_f32 v66, v64, s33, -v65
	v_fmac_f32_e32 v66, 0x3377d1cf, v64
	v_add_f32_e32 v65, v65, v66
	v_cmp_lt_f32_e64 s[6:7], |v64|, s34
	v_cndmask_b32_e64 v64, v64, v65, s[6:7]
	v_cndmask_b32_e64 v65, 0, v50, s[4:5]
	v_sub_f32_e32 v64, v64, v65
	v_add_f32_e32 v64, v64, v67
.LBB14_301:                             ;   in Loop: Header=BB14_177 Depth=1
	s_or_b64 exec, exec, s[18:19]
.LBB14_302:                             ;   in Loop: Header=BB14_177 Depth=1
	s_andn2_saveexec_b64 s[6:7], s[16:17]
	s_cbranch_execz .LBB14_320
; %bb.303:                              ;   in Loop: Header=BB14_177 Depth=1
	v_cmp_le_f32_e64 s[4:5], |v62|, s35
                                        ; implicit-def: $vgpr64
                                        ; implicit-def: $vgpr66
                                        ; implicit-def: $vgpr65
	s_and_saveexec_b64 s[16:17], s[4:5]
	s_xor_b64 s[16:17], exec, s[16:17]
	s_cbranch_execz .LBB14_305
; %bb.304:                              ;   in Loop: Header=BB14_177 Depth=1
	v_cmp_lt_f32_e64 s[4:5], |v62|, s31
	v_cndmask_b32_e64 v64, 1.0, v49, s[4:5]
	v_mul_f32_e64 v64, |v62|, v64
	v_log_f32_e32 v64, v64
	v_cndmask_b32_e64 v65, 0, v50, s[4:5]
	v_mul_f32_e32 v66, 0x3f317217, v64
	v_fma_f32 v67, v64, s33, -v66
	v_fmac_f32_e32 v67, 0x3377d1cf, v64
	v_add_f32_e32 v66, v66, v67
	v_cmp_lt_f32_e64 s[4:5], |v64|, s34
	v_cndmask_b32_e64 v64, v64, v66, s[4:5]
	v_sub_f32_e32 v64, v64, v65
	v_sub_f32_e64 v65, 1.0, |v62|
	v_add_f32_e64 v66, |v62|, s37
	v_cmp_lt_f32_e64 s[4:5], |v62|, s36
	v_cndmask_b32_e64 v65, v65, v66, s[4:5]
	v_cndmask_b32_e64 v66, 0, 1, s[4:5]
	v_cmp_lt_f32_e64 s[4:5], |v62|, s38
	v_xor_b32_e32 v64, 0x80000000, v64
	v_cndmask_b32_e64 v65, v65, |v62|, s[4:5]
	v_cndmask_b32_e64 v66, v66, 2, s[4:5]
.LBB14_305:                             ;   in Loop: Header=BB14_177 Depth=1
	s_andn2_saveexec_b64 s[16:17], s[16:17]
; %bb.306:                              ;   in Loop: Header=BB14_177 Depth=1
	v_sub_f32_e64 v64, 2.0, |v62|
	v_add_f32_e64 v65, |v62|, s40
	v_cmp_lt_f32_e64 s[4:5], |v62|, s39
	v_cndmask_b32_e64 v65, v64, v65, s[4:5]
	v_cndmask_b32_e64 v64, v64, 1.0, s[4:5]
	v_cvt_i32_f32_e32 v64, v64
	v_add_f32_e64 v66, |v62|, -1.0
	v_cmp_lt_f32_e64 s[4:5], |v62|, s41
	v_cndmask_b32_e64 v65, v65, v66, s[4:5]
	v_cndmask_b32_e64 v66, v64, 2, s[4:5]
	v_mov_b32_e32 v64, 0
; %bb.307:                              ;   in Loop: Header=BB14_177 Depth=1
	s_or_b64 exec, exec, s[16:17]
	v_cmp_lt_i32_e64 s[4:5], 0, v66
	s_and_saveexec_b64 s[16:17], s[4:5]
	s_xor_b64 s[16:17], exec, s[16:17]
	s_cbranch_execz .LBB14_315
; %bb.308:                              ;   in Loop: Header=BB14_177 Depth=1
	v_cmp_lt_i32_e64 s[4:5], 1, v66
	s_and_saveexec_b64 s[18:19], s[4:5]
	s_xor_b64 s[18:19], exec, s[18:19]
	s_cbranch_execz .LBB14_312
; %bb.309:                              ;   in Loop: Header=BB14_177 Depth=1
	v_cmp_eq_u32_e64 s[4:5], 2, v66
	s_and_saveexec_b64 s[22:23], s[4:5]
	s_cbranch_execz .LBB14_311
; %bb.310:                              ;   in Loop: Header=BB14_177 Depth=1
	v_mov_b32_e32 v67, 0x3dd572af
	v_fmac_f32_e32 v67, 0x3b52d5db, v65
	v_fma_f32 v67, v65, v67, v23
	v_mov_b32_e32 v66, 0x3e6a7578
	v_fma_f32 v67, v65, v67, v24
	v_fmac_f32_e32 v66, 0x3c5b3c5e, v65
	v_fma_f32 v67, v65, v67, v25
	v_fma_f32 v66, v65, v66, v20
	v_fma_f32 v67, v65, v67, 1.0
	v_fma_f32 v66, v65, v66, v21
	v_rcp_f32_e32 v67, v67
	v_fma_f32 v66, v65, v66, v22
	v_fma_f32 v66, v65, v66, v15
	v_mul_f32_e32 v66, v65, v66
	v_mul_f32_e32 v66, v66, v67
	v_fmac_f32_e32 v66, -0.5, v65
	v_add_f32_e32 v64, v64, v66
.LBB14_311:                             ;   in Loop: Header=BB14_177 Depth=1
	s_or_b64 exec, exec, s[22:23]
                                        ; implicit-def: $vgpr65
.LBB14_312:                             ;   in Loop: Header=BB14_177 Depth=1
	s_andn2_saveexec_b64 s[4:5], s[18:19]
	s_cbranch_execz .LBB14_314
; %bb.313:                              ;   in Loop: Header=BB14_177 Depth=1
	v_mul_f32_e32 v66, v65, v65
	v_mul_f32_e32 v67, v65, v66
	v_mov_b32_e32 v69, 0x3a66f867
	v_mov_b32_e32 v70, 0xba0d3085
	v_fmac_f32_e32 v69, 0xb9a3f927, v67
	v_fmac_f32_e32 v70, 0x39afe9f7, v67
	v_mov_b32_e32 v68, 0xbab7f476
	v_fma_f32 v69, v67, v69, v29
	v_fma_f32 v70, v67, v70, v32
	v_fmac_f32_e32 v68, 0x39a57b6b, v67
	v_fma_f32 v69, v67, v69, v30
	v_fma_f32 v70, v67, v70, v33
	;; [unrolled: 1-line block ×6, first 2 shown]
	v_fmac_f32_e32 v69, v65, v70
	v_fma_f32 v68, v67, v68, v28
	v_fma_f32 v65, v67, -v69, s42
	v_fma_f32 v65, v66, v68, -v65
	v_add_f32_e32 v65, 0xbdf8cdce, v65
	v_add_f32_e32 v64, v64, v65
.LBB14_314:                             ;   in Loop: Header=BB14_177 Depth=1
	s_or_b64 exec, exec, s[4:5]
                                        ; implicit-def: $vgpr66
                                        ; implicit-def: $vgpr65
.LBB14_315:                             ;   in Loop: Header=BB14_177 Depth=1
	s_andn2_saveexec_b64 s[16:17], s[16:17]
	s_cbranch_execz .LBB14_319
; %bb.316:                              ;   in Loop: Header=BB14_177 Depth=1
	v_cmp_eq_u32_e64 s[4:5], 0, v66
	s_and_saveexec_b64 s[18:19], s[4:5]
	s_cbranch_execz .LBB14_318
; %bb.317:                              ;   in Loop: Header=BB14_177 Depth=1
	v_mul_f32_e32 v66, v65, v65
	v_mov_b32_e32 v68, 0x38e28445
	v_mov_b32_e32 v67, 0x39679767
	v_fmac_f32_e32 v68, 0x383c2c75, v66
	v_fmac_f32_e32 v67, 0x37d383a2, v66
	v_fma_f32 v68, v66, v68, v39
	v_fma_f32 v67, v66, v67, v35
	;; [unrolled: 1-line block ×8, first 2 shown]
	v_mul_f32_e32 v66, v66, v68
	v_fmac_f32_e32 v66, v65, v67
	v_fmac_f32_e32 v66, -0.5, v65
	v_add_f32_e32 v64, v64, v66
.LBB14_318:                             ;   in Loop: Header=BB14_177 Depth=1
	s_or_b64 exec, exec, s[18:19]
.LBB14_319:                             ;   in Loop: Header=BB14_177 Depth=1
	s_or_b64 exec, exec, s[16:17]
.LBB14_320:                             ;   in Loop: Header=BB14_177 Depth=1
	s_or_b64 exec, exec, s[6:7]
.LBB14_321:                             ;   in Loop: Header=BB14_177 Depth=1
	s_andn2_saveexec_b64 s[8:9], s[8:9]
	s_cbranch_execz .LBB14_323
; %bb.322:                              ;   in Loop: Header=BB14_177 Depth=1
	v_cmp_lt_f32_e64 s[4:5], |v62|, s31
	v_cndmask_b32_e64 v64, 1.0, v49, s[4:5]
	v_mul_f32_e64 v64, |v62|, v64
	v_log_f32_e32 v64, v64
	v_fma_f32 v65, |v62|, s43, v51
	v_fma_f32 v65, |v62|, v65, s44
	;; [unrolled: 1-line block ×3, first 2 shown]
	v_mul_f32_e32 v66, 0x3f317217, v64
	v_fma_f32 v67, v64, s33, -v66
	v_fmac_f32_e32 v67, 0x3377d1cf, v64
	v_add_f32_e32 v66, v66, v67
	v_cmp_lt_f32_e64 s[6:7], |v64|, s34
	v_cndmask_b32_e64 v64, v64, v66, s[6:7]
	v_cndmask_b32_e64 v66, 0, v50, s[4:5]
	v_sub_f32_e32 v64, v64, v66
	v_fma_f32 v64, |v62|, v65, -v64
.LBB14_323:                             ;   in Loop: Header=BB14_177 Depth=1
	s_or_b64 exec, exec, s[8:9]
	v_cmp_le_f16_e64 s[4:5], 0, v61
	v_cmp_nle_f16_e64 s[6:7], 0, v61
	s_and_saveexec_b64 s[8:9], s[6:7]
	s_xor_b64 s[16:17], exec, s[8:9]
	s_cbranch_execz .LBB14_327
; %bb.324:                              ;   in Loop: Header=BB14_177 Depth=1
	v_cmp_lt_f32_e64 s[6:7], |v62|, s46
	v_cmp_gt_f32_e64 s[8:9], |v62|, s47
	s_and_b64 s[6:7], s[6:7], s[8:9]
	s_and_saveexec_b64 s[18:19], s[6:7]
	s_cbranch_execz .LBB14_326
; %bb.325:                              ;   in Loop: Header=BB14_177 Depth=1
	v_mul_f32_e64 v65, |v62|, 0.5
	v_floor_f32_e32 v66, v65
	v_sub_f32_e32 v66, v65, v66
	v_min_f32_e32 v66, 0x3f7fffff, v66
	v_add_f32_e32 v66, v66, v66
	v_cmp_neq_f32_e64 s[6:7], s34, v65
	v_cndmask_b32_e64 v65, 0, v66, s[6:7]
	v_cmp_gt_f32_e64 s[6:7], |v62|, 1.0
	v_cndmask_b32_e64 v65, |v62|, v65, s[6:7]
	v_add_f32_e32 v66, v65, v65
	v_rndne_f32_e32 v66, v66
	v_fmac_f32_e32 v65, -0.5, v66
	v_mul_f32_e32 v67, v65, v65
	v_mov_b32_e32 v68, 0xbf1f24be
	v_fmac_f32_e32 v68, 0x3e75aa41, v67
	v_fma_f32 v68, v67, v68, v43
	v_fma_f32 v68, v67, v68, v44
	v_mul_f32_e32 v69, v65, v67
	v_mul_f32_e32 v68, v69, v68
	v_fmac_f32_e32 v68, 0x40490fdb, v65
	v_mov_b32_e32 v65, 0x3e642e9d
	v_cvt_i32_f32_e32 v66, v66
	v_fmac_f32_e32 v65, 0x3d4be544, v67
	v_fma_f32 v65, v67, v65, v45
	v_fma_f32 v65, v67, v65, v46
	;; [unrolled: 1-line block ×3, first 2 shown]
	v_fma_f32 v65, v67, v65, 1.0
	v_and_b32_e32 v67, 1, v66
	v_lshlrev_b32_e32 v66, 30, v66
	v_cmp_eq_u32_e64 s[6:7], 0, v67
	v_and_b32_e32 v66, 0x80000000, v66
	v_xor_b32_e32 v63, v63, v62
	v_cndmask_b32_e64 v65, v65, v68, s[6:7]
	v_xor_b32_e32 v63, v63, v66
	v_xor_b32_e32 v63, v63, v65
	v_mul_f32_e32 v63, v62, v63
	v_frexp_mant_f32_e64 v65, |v63|
	v_rcp_f32_e32 v65, v65
	v_frexp_exp_i32_f32_e32 v63, v63
	v_sub_u32_e32 v63, 2, v63
	v_mul_f32_e32 v65, 0x3f490fdb, v65
	v_ldexp_f32 v63, v65, v63
	v_cmp_gt_f32_e64 s[6:7], s31, v63
	v_cndmask_b32_e64 v65, 1.0, v49, s[6:7]
	v_mul_f32_e32 v63, v63, v65
	v_log_f32_e32 v63, v63
	v_mul_f32_e32 v65, 0x3f317217, v63
	v_fma_f32 v66, v63, s33, -v65
	v_fmac_f32_e32 v66, 0x3377d1cf, v63
	v_add_f32_e32 v65, v65, v66
	v_cmp_lt_f32_e64 s[8:9], |v63|, s34
	v_cndmask_b32_e64 v63, v63, v65, s[8:9]
	v_cndmask_b32_e64 v65, 0, v50, s[6:7]
	v_sub_f32_e32 v63, v63, v65
	v_sub_f32_e32 v63, v63, v64
	v_floor_f32_e32 v64, v62
	v_sub_f32_e32 v64, v62, v64
	v_min_f32_e32 v64, 0x3f7fffff, v64
	v_cmp_neq_f32_e64 s[6:7], 0, v64
	v_cndmask_b32_e64 v64, v52, v63, s[6:7]
.LBB14_326:                             ;   in Loop: Header=BB14_177 Depth=1
	s_or_b64 exec, exec, s[18:19]
.LBB14_327:                             ;   in Loop: Header=BB14_177 Depth=1
	s_andn2_saveexec_b64 s[16:17], s[16:17]
	s_cbranch_execz .LBB14_176
; %bb.328:                              ;   in Loop: Header=BB14_177 Depth=1
	v_cmp_eq_f16_e64 s[6:7], 1.0, v61
	v_cmp_eq_f16_e64 s[8:9], 2.0, v61
	s_or_b64 s[6:7], s[6:7], s[8:9]
	v_cndmask_b32_e64 v64, v64, 0, s[6:7]
	s_branch .LBB14_176
.LBB14_329:
	s_endpgm
	.section	.rodata,"a",@progbits
	.p2align	6, 0x0
	.amdhsa_kernel _ZN2at6native12_GLOBAL__N_125multi_tensor_apply_kernelINS1_18TensorListMetadataILi1EEENS1_14UnaryOpFunctorIN3c104HalfELi1ELi1ELi0EEEJNS0_6LgammaIfEEEEEvT_T0_DpT1_
		.amdhsa_group_segment_fixed_size 0
		.amdhsa_private_segment_fixed_size 0
		.amdhsa_kernarg_size 3632
		.amdhsa_user_sgpr_count 6
		.amdhsa_user_sgpr_private_segment_buffer 1
		.amdhsa_user_sgpr_dispatch_ptr 0
		.amdhsa_user_sgpr_queue_ptr 0
		.amdhsa_user_sgpr_kernarg_segment_ptr 1
		.amdhsa_user_sgpr_dispatch_id 0
		.amdhsa_user_sgpr_flat_scratch_init 0
		.amdhsa_user_sgpr_kernarg_preload_length 0
		.amdhsa_user_sgpr_kernarg_preload_offset 0
		.amdhsa_user_sgpr_private_segment_size 0
		.amdhsa_uses_dynamic_stack 0
		.amdhsa_system_sgpr_private_segment_wavefront_offset 0
		.amdhsa_system_sgpr_workgroup_id_x 1
		.amdhsa_system_sgpr_workgroup_id_y 0
		.amdhsa_system_sgpr_workgroup_id_z 0
		.amdhsa_system_sgpr_workgroup_info 0
		.amdhsa_system_vgpr_workitem_id 0
		.amdhsa_next_free_vgpr 78
		.amdhsa_next_free_sgpr 64
		.amdhsa_accum_offset 80
		.amdhsa_reserve_vcc 1
		.amdhsa_reserve_flat_scratch 0
		.amdhsa_float_round_mode_32 0
		.amdhsa_float_round_mode_16_64 0
		.amdhsa_float_denorm_mode_32 3
		.amdhsa_float_denorm_mode_16_64 3
		.amdhsa_dx10_clamp 1
		.amdhsa_ieee_mode 1
		.amdhsa_fp16_overflow 0
		.amdhsa_tg_split 0
		.amdhsa_exception_fp_ieee_invalid_op 0
		.amdhsa_exception_fp_denorm_src 0
		.amdhsa_exception_fp_ieee_div_zero 0
		.amdhsa_exception_fp_ieee_overflow 0
		.amdhsa_exception_fp_ieee_underflow 0
		.amdhsa_exception_fp_ieee_inexact 0
		.amdhsa_exception_int_div_zero 0
	.end_amdhsa_kernel
	.section	.text._ZN2at6native12_GLOBAL__N_125multi_tensor_apply_kernelINS1_18TensorListMetadataILi1EEENS1_14UnaryOpFunctorIN3c104HalfELi1ELi1ELi0EEEJNS0_6LgammaIfEEEEEvT_T0_DpT1_,"axG",@progbits,_ZN2at6native12_GLOBAL__N_125multi_tensor_apply_kernelINS1_18TensorListMetadataILi1EEENS1_14UnaryOpFunctorIN3c104HalfELi1ELi1ELi0EEEJNS0_6LgammaIfEEEEEvT_T0_DpT1_,comdat
.Lfunc_end14:
	.size	_ZN2at6native12_GLOBAL__N_125multi_tensor_apply_kernelINS1_18TensorListMetadataILi1EEENS1_14UnaryOpFunctorIN3c104HalfELi1ELi1ELi0EEEJNS0_6LgammaIfEEEEEvT_T0_DpT1_, .Lfunc_end14-_ZN2at6native12_GLOBAL__N_125multi_tensor_apply_kernelINS1_18TensorListMetadataILi1EEENS1_14UnaryOpFunctorIN3c104HalfELi1ELi1ELi0EEEJNS0_6LgammaIfEEEEEvT_T0_DpT1_
                                        ; -- End function
	.section	.AMDGPU.csdata,"",@progbits
; Kernel info:
; codeLenInByte = 19188
; NumSgprs: 68
; NumVgprs: 78
; NumAgprs: 0
; TotalNumVgprs: 78
; ScratchSize: 0
; MemoryBound: 0
; FloatMode: 240
; IeeeMode: 1
; LDSByteSize: 0 bytes/workgroup (compile time only)
; SGPRBlocks: 8
; VGPRBlocks: 9
; NumSGPRsForWavesPerEU: 68
; NumVGPRsForWavesPerEU: 78
; AccumOffset: 80
; Occupancy: 6
; WaveLimiterHint : 0
; COMPUTE_PGM_RSRC2:SCRATCH_EN: 0
; COMPUTE_PGM_RSRC2:USER_SGPR: 6
; COMPUTE_PGM_RSRC2:TRAP_HANDLER: 0
; COMPUTE_PGM_RSRC2:TGID_X_EN: 1
; COMPUTE_PGM_RSRC2:TGID_Y_EN: 0
; COMPUTE_PGM_RSRC2:TGID_Z_EN: 0
; COMPUTE_PGM_RSRC2:TIDIG_COMP_CNT: 0
; COMPUTE_PGM_RSRC3_GFX90A:ACCUM_OFFSET: 19
; COMPUTE_PGM_RSRC3_GFX90A:TG_SPLIT: 0
	.section	.text._ZN2at6native12_GLOBAL__N_125multi_tensor_apply_kernelINS1_18TensorListMetadataILi1EEENS1_14UnaryOpFunctorIN3c108BFloat16ELi1ELi1ELi0EEEJNS0_6LgammaIfEEEEEvT_T0_DpT1_,"axG",@progbits,_ZN2at6native12_GLOBAL__N_125multi_tensor_apply_kernelINS1_18TensorListMetadataILi1EEENS1_14UnaryOpFunctorIN3c108BFloat16ELi1ELi1ELi0EEEJNS0_6LgammaIfEEEEEvT_T0_DpT1_,comdat
	.globl	_ZN2at6native12_GLOBAL__N_125multi_tensor_apply_kernelINS1_18TensorListMetadataILi1EEENS1_14UnaryOpFunctorIN3c108BFloat16ELi1ELi1ELi0EEEJNS0_6LgammaIfEEEEEvT_T0_DpT1_ ; -- Begin function _ZN2at6native12_GLOBAL__N_125multi_tensor_apply_kernelINS1_18TensorListMetadataILi1EEENS1_14UnaryOpFunctorIN3c108BFloat16ELi1ELi1ELi0EEEJNS0_6LgammaIfEEEEEvT_T0_DpT1_
	.p2align	8
	.type	_ZN2at6native12_GLOBAL__N_125multi_tensor_apply_kernelINS1_18TensorListMetadataILi1EEENS1_14UnaryOpFunctorIN3c108BFloat16ELi1ELi1ELi0EEEJNS0_6LgammaIfEEEEEvT_T0_DpT1_,@function
_ZN2at6native12_GLOBAL__N_125multi_tensor_apply_kernelINS1_18TensorListMetadataILi1EEENS1_14UnaryOpFunctorIN3c108BFloat16ELi1ELi1ELi0EEEJNS0_6LgammaIfEEEEEvT_T0_DpT1_: ; @_ZN2at6native12_GLOBAL__N_125multi_tensor_apply_kernelINS1_18TensorListMetadataILi1EEENS1_14UnaryOpFunctorIN3c108BFloat16ELi1ELi1ELi0EEEJNS0_6LgammaIfEEEEEvT_T0_DpT1_
; %bb.0:
	v_mov_b32_e32 v1, s6
	global_load_ubyte v1, v1, s[4:5] offset:1760
	s_add_u32 s0, s4, s6
	s_mul_hi_u32 s1, s6, 3
	s_mul_i32 s6, s6, 3
	s_addc_u32 s2, s5, 0
	s_add_u32 s0, s0, s6
	s_addc_u32 s1, s2, s1
	s_load_dword s0, s[0:1], 0x820
	s_mov_b32 s7, 0
	s_waitcnt vmcnt(0)
	v_readfirstlane_b32 s2, v1
	s_lshl_b32 s1, s2, 3
	s_load_dwordx2 s[2:3], s[4:5], s1 offset:0x370
	s_load_dwordx2 s[22:23], s[4:5], s1 offset:0x0
	s_waitcnt lgkmcnt(0)
	s_ashr_i32 s1, s0, 31
	s_lshl_b64 s[24:25], s[0:1], 17
	s_lshl_b64 s[0:1], s[0:1], 16
	s_and_b32 s6, s22, 7
	s_sub_u32 s20, s2, s0
	s_subb_u32 s21, s3, s1
	s_and_b32 s0, s2, 3
	s_mov_b32 s1, s7
	s_or_b64 s[0:1], s[6:7], s[0:1]
	s_cmp_eq_u64 s[0:1], 0
	s_cbranch_scc1 .LBB15_173
; %bb.1:
	v_cmp_lt_i64_e64 s[0:1], s[20:21], 1
	s_and_b64 vcc, exec, s[0:1]
	s_cbranch_vccnz .LBB15_172
; %bb.2:
	s_load_dword s0, s[4:5], 0xd3c
	v_mov_b32_e32 v2, 0x10000
	v_mov_b32_e32 v3, 0
	v_cmp_lt_u64_e32 vcc, s[20:21], v[2:3]
	v_lshlrev_b32_e32 v1, 1, v0
	s_waitcnt lgkmcnt(0)
	s_and_b32 s2, s0, 0xffff
	s_and_b64 s[0:1], vcc, exec
	s_cselect_b32 s27, s21, 0
	s_cselect_b32 s26, s20, 0x10000
	s_lshl_b32 s3, s2, 1
	s_lshl_b32 s40, s2, 2
	s_add_u32 s6, s22, s24
	s_addc_u32 s7, s23, s25
	v_mov_b32_e32 v3, s7
	v_add_co_u32_e32 v2, vcc, s6, v1
	s_mul_i32 s0, s2, 3
	v_addc_co_u32_e32 v3, vcc, 0, v3, vcc
	v_add_co_u32_e32 v1, vcc, s0, v0
	v_addc_co_u32_e64 v6, s[0:1], 0, 0, vcc
	v_add_co_u32_e32 v7, vcc, s3, v0
	v_addc_co_u32_e64 v8, s[0:1], 0, 0, vcc
	v_add_co_u32_e32 v9, vcc, s2, v0
	v_lshlrev_b32_e32 v4, 1, v9
	s_mov_b32 s33, 0
	v_addc_co_u32_e64 v10, s[0:1], 0, 0, vcc
	v_mov_b32_e32 v5, s7
	v_add_co_u32_e32 v4, vcc, s6, v4
	s_mov_b32 s30, 2.0
	s_lshl_b32 s41, s2, 3
	s_mov_b32 s42, s33
	s_mul_i32 s43, s2, 6
	s_mov_b32 s44, s33
	v_addc_co_u32_e32 v5, vcc, 0, v5, vcc
	s_mov_b64 s[28:29], 0
	s_mov_b32 s45, 0x3c800000
	s_mov_b32 s31, 0x40400000
	;; [unrolled: 1-line block ×7, first 2 shown]
	v_mov_b32_e32 v11, 0xba1c065c
	v_mov_b32_e32 v12, 0x3a500cfd
	;; [unrolled: 1-line block ×14, first 2 shown]
	s_mov_b32 s51, 0x3f666666
	s_brev_b32 s52, 1
	s_mov_b32 s53, 0x3f3b4a23
	s_mov_b32 s54, 0xbeec5b0c
	;; [unrolled: 1-line block ×6, first 2 shown]
	v_mov_b32_e32 v25, 0x3f7a4bb2
	v_mov_b32_e32 v26, 0x3fba3ae7
	;; [unrolled: 1-line block ×15, first 2 shown]
	s_mov_b32 s59, 0xa2863e55
	v_mov_b32_e32 v40, 0x3a9c54a1
	v_mov_b32_e32 v41, 0x3bf2027e
	;; [unrolled: 1-line block ×8, first 2 shown]
	s_mov_b32 s60, 0x3e8a8991
	s_mov_b32 s61, 0x3f528d33
	;; [unrolled: 1-line block ×5, first 2 shown]
	v_mov_b32_e32 v48, 0x40234736
	v_mov_b32_e32 v49, 0xc0a55e0e
	;; [unrolled: 1-line block ×6, first 2 shown]
	s_movk_i32 s65, 0x7fff
	v_mov_b32_e32 v54, 0x4f800000
	v_mov_b32_e32 v55, 0x41b17218
	;; [unrolled: 1-line block ×5, first 2 shown]
	s_branch .LBB15_4
.LBB15_3:                               ;   in Loop: Header=BB15_4 Depth=1
	s_or_b64 exec, exec, s[0:1]
	s_add_u32 s28, s28, s40
	s_addc_u32 s29, s29, 0
	v_pk_mov_b32 v[60:61], s[20:21], s[20:21] op_sel:[0,1]
	v_cmp_ge_i64_e32 vcc, s[28:29], v[60:61]
	v_mov_b32_e32 v60, 0xffff
	v_mov_b32_e32 v61, 0
	v_cmp_gt_u64_e64 s[0:1], s[28:29], v[60:61]
	s_or_b64 s[0:1], vcc, s[0:1]
	v_mov_b32_e32 v59, s42
	v_add_co_u32_e32 v2, vcc, s41, v2
	v_addc_co_u32_e32 v3, vcc, v3, v59, vcc
	v_add_co_u32_e32 v4, vcc, s41, v4
	v_addc_co_u32_e32 v5, vcc, v5, v59, vcc
	s_and_b64 vcc, exec, s[0:1]
	s_cbranch_vccnz .LBB15_172
.LBB15_4:                               ; =>This Inner Loop Header: Depth=1
	v_mov_b32_e32 v59, s29
	v_add_co_u32_e32 v60, vcc, s28, v0
	v_addc_co_u32_e32 v61, vcc, 0, v59, vcc
	v_cmp_gt_u64_e64 s[6:7], s[26:27], v[60:61]
	v_mov_b32_e32 v59, 0
	s_and_saveexec_b64 s[0:1], s[6:7]
	s_cbranch_execz .LBB15_6
; %bb.5:                                ;   in Loop: Header=BB15_4 Depth=1
	global_load_ushort v59, v[2:3], off
.LBB15_6:                               ;   in Loop: Header=BB15_4 Depth=1
	s_or_b64 exec, exec, s[0:1]
	v_mov_b32_e32 v61, s29
	v_add_co_u32_e32 v60, vcc, s28, v9
	v_addc_co_u32_e32 v61, vcc, v10, v61, vcc
	v_cmp_gt_u64_e64 s[2:3], s[26:27], v[60:61]
	v_mov_b32_e32 v62, 0
	s_and_saveexec_b64 s[0:1], s[2:3]
	s_cbranch_execz .LBB15_8
; %bb.7:                                ;   in Loop: Header=BB15_4 Depth=1
	global_load_ushort v62, v[4:5], off
.LBB15_8:                               ;   in Loop: Header=BB15_4 Depth=1
	s_or_b64 exec, exec, s[0:1]
	v_mov_b32_e32 v61, s29
	v_add_co_u32_e32 v60, vcc, s28, v7
	v_addc_co_u32_e32 v61, vcc, v8, v61, vcc
	v_cmp_gt_u64_e64 s[0:1], s[26:27], v[60:61]
	v_mov_b32_e32 v61, 0
	v_mov_b32_e32 v64, 0
	s_and_saveexec_b64 s[8:9], s[0:1]
	s_cbranch_execz .LBB15_10
; %bb.9:                                ;   in Loop: Header=BB15_4 Depth=1
	v_mov_b32_e32 v60, s33
	v_add_co_u32_e32 v64, vcc, s40, v2
	v_addc_co_u32_e32 v65, vcc, v3, v60, vcc
	global_load_ushort v64, v[64:65], off
.LBB15_10:                              ;   in Loop: Header=BB15_4 Depth=1
	s_or_b64 exec, exec, s[8:9]
	v_mov_b32_e32 v60, s29
	v_add_co_u32_e32 v66, vcc, s28, v1
	v_addc_co_u32_e32 v67, vcc, v6, v60, vcc
	v_cmp_gt_u64_e32 vcc, s[26:27], v[66:67]
	s_and_saveexec_b64 s[10:11], vcc
	s_cbranch_execz .LBB15_12
; %bb.11:                               ;   in Loop: Header=BB15_4 Depth=1
	v_mov_b32_e32 v61, s44
	v_add_co_u32_e64 v60, s[8:9], s43, v2
	v_addc_co_u32_e64 v61, s[8:9], v3, v61, s[8:9]
	global_load_ushort v61, v[60:61], off
.LBB15_12:                              ;   in Loop: Header=BB15_4 Depth=1
	s_or_b64 exec, exec, s[10:11]
	s_waitcnt vmcnt(0)
	v_lshlrev_b32_e32 v59, 16, v59
	v_and_b32_e32 v63, 0x7fffffff, v59
	v_cmp_nlt_f32_e64 s[8:9], |v59|, s45
                                        ; implicit-def: $vgpr60
	s_and_saveexec_b64 s[10:11], s[8:9]
	s_xor_b64 s[12:13], exec, s[10:11]
	s_cbranch_execz .LBB15_42
; %bb.13:                               ;   in Loop: Header=BB15_4 Depth=1
	v_cmp_nlt_f32_e64 s[8:9], |v59|, 2.0
                                        ; implicit-def: $vgpr60
	s_and_saveexec_b64 s[10:11], s[8:9]
	s_xor_b64 s[14:15], exec, s[10:11]
	s_cbranch_execz .LBB15_23
; %bb.14:                               ;   in Loop: Header=BB15_4 Depth=1
	v_cmp_nlt_f32_e64 s[8:9], |v59|, s46
                                        ; implicit-def: $vgpr60
	s_and_saveexec_b64 s[10:11], s[8:9]
	s_xor_b64 s[16:17], exec, s[10:11]
	s_cbranch_execz .LBB15_20
; %bb.15:                               ;   in Loop: Header=BB15_4 Depth=1
	v_cmp_nlt_f32_e64 s[8:9], |v59|, s47
                                        ; implicit-def: $vgpr60
	s_and_saveexec_b64 s[10:11], s[8:9]
	s_xor_b64 s[18:19], exec, s[10:11]
	s_cbranch_execz .LBB15_17
; %bb.16:                               ;   in Loop: Header=BB15_4 Depth=1
	v_cmp_lt_f32_e64 s[8:9], |v59|, s48
	v_cndmask_b32_e64 v60, 1.0, v54, s[8:9]
	v_mul_f32_e64 v60, |v59|, v60
	v_log_f32_e32 v60, v60
	v_mul_f32_e32 v65, 0x3f317217, v60
	v_fma_f32 v66, v60, s49, -v65
	v_fmac_f32_e32 v66, 0x3377d1cf, v60
	v_add_f32_e32 v65, v65, v66
	v_cmp_lt_f32_e64 s[10:11], |v60|, s50
	v_cndmask_b32_e64 v60, v60, v65, s[10:11]
	v_cndmask_b32_e64 v65, 0, v55, s[8:9]
	v_sub_f32_e32 v60, v60, v65
	v_fma_f32 v60, |v59|, v60, -|v59|
.LBB15_17:                              ;   in Loop: Header=BB15_4 Depth=1
	s_andn2_saveexec_b64 s[18:19], s[18:19]
	s_cbranch_execz .LBB15_19
; %bb.18:                               ;   in Loop: Header=BB15_4 Depth=1
	v_rcp_f32_e64 v60, |v59|
	v_cmp_lt_f32_e64 s[8:9], |v59|, s48
	v_cndmask_b32_e64 v66, 1.0, v54, s[8:9]
	v_mov_b32_e32 v65, 0x3a5b3dd2
	v_mul_f32_e32 v67, v60, v60
	v_mul_f32_e64 v66, |v59|, v66
	v_fmac_f32_e32 v65, 0xbad5c4e8, v67
	v_log_f32_e32 v66, v66
	v_fma_f32 v65, v67, v65, v11
	v_fma_f32 v65, v67, v65, v12
	;; [unrolled: 1-line block ×4, first 2 shown]
	v_mul_f32_e32 v67, 0x3f317217, v66
	v_fma_f32 v68, v66, s49, -v67
	v_fmac_f32_e32 v68, 0x3377d1cf, v66
	v_add_f32_e32 v67, v67, v68
	v_cmp_lt_f32_e64 s[10:11], |v66|, s50
	v_cndmask_b32_e64 v66, v66, v67, s[10:11]
	v_cndmask_b32_e64 v67, 0, v55, s[8:9]
	v_sub_f32_e32 v66, v66, v67
	v_fma_f32 v60, v60, v65, v15
	v_add_f32_e64 v65, |v59|, -0.5
	v_add_f32_e32 v66, -1.0, v66
	v_fmac_f32_e32 v60, v65, v66
.LBB15_19:                              ;   in Loop: Header=BB15_4 Depth=1
	s_or_b64 exec, exec, s[18:19]
.LBB15_20:                              ;   in Loop: Header=BB15_4 Depth=1
	s_andn2_saveexec_b64 s[16:17], s[16:17]
	s_cbranch_execz .LBB15_22
; %bb.21:                               ;   in Loop: Header=BB15_4 Depth=1
	v_cvt_i32_f32_e32 v65, v63
	v_mov_b32_e32 v67, 0x3a4beed6
	v_mov_b32_e32 v66, 0x3af135b4
	v_cvt_f32_i32_e32 v60, v65
	v_cmp_lt_i32_e64 s[8:9], 2, v65
	v_cmp_lt_i32_e64 s[10:11], 3, v65
	v_sub_f32_e64 v60, |v59|, v60
	v_fmac_f32_e32 v67, 0x36f5d7bd, v60
	v_fma_f32 v67, v60, v67, v21
	v_fma_f32 v67, v60, v67, v22
	v_fmac_f32_e32 v66, 0x3805ff67, v60
	v_fma_f32 v67, v60, v67, v23
	v_fma_f32 v66, v60, v66, v16
	;; [unrolled: 1-line block ×4, first 2 shown]
	v_fma_f32 v67, v60, v67, 1.0
	v_fma_f32 v66, v60, v66, v18
	v_rcp_f32_e32 v67, v67
	v_fma_f32 v66, v60, v66, v19
	v_fma_f32 v66, v60, v66, v20
	v_mul_f32_e32 v66, v60, v66
	v_mul_f32_e32 v68, v66, v67
	v_pk_add_f32 v[66:67], v[60:61], s[30:31] op_sel_hi:[0,1]
	v_fmac_f32_e32 v68, 0.5, v60
	v_add_f32_e32 v69, 4.0, v60
	v_add_f32_e32 v70, 0x40a00000, v60
	v_add_f32_e32 v71, 0x40c00000, v60
	v_cndmask_b32_e64 v60, 1.0, v67, s[10:11]
	v_cndmask_b32_e64 v66, 1.0, v66, s[8:9]
	v_cmp_lt_i32_e64 s[8:9], 4, v65
	v_mul_f32_e32 v60, v66, v60
	v_cndmask_b32_e64 v66, 1.0, v69, s[8:9]
	v_cmp_lt_i32_e64 s[8:9], 5, v65
	v_mul_f32_e32 v60, v66, v60
	;; [unrolled: 3-line block ×3, first 2 shown]
	v_cndmask_b32_e64 v65, 1.0, v71, s[8:9]
	v_mul_f32_e32 v60, v65, v60
	v_cmp_gt_f32_e64 s[8:9], s48, v60
	v_cndmask_b32_e64 v65, 1.0, v54, s[8:9]
	v_mul_f32_e32 v60, v60, v65
	v_log_f32_e32 v60, v60
	v_mul_f32_e32 v65, 0x3f317217, v60
	v_fma_f32 v66, v60, s49, -v65
	v_fmac_f32_e32 v66, 0x3377d1cf, v60
	v_add_f32_e32 v65, v65, v66
	v_cmp_lt_f32_e64 s[10:11], |v60|, s50
	v_cndmask_b32_e64 v60, v60, v65, s[10:11]
	v_cndmask_b32_e64 v65, 0, v55, s[8:9]
	v_sub_f32_e32 v60, v60, v65
	v_add_f32_e32 v60, v60, v68
.LBB15_22:                              ;   in Loop: Header=BB15_4 Depth=1
	s_or_b64 exec, exec, s[16:17]
.LBB15_23:                              ;   in Loop: Header=BB15_4 Depth=1
	s_andn2_saveexec_b64 s[10:11], s[14:15]
	s_cbranch_execz .LBB15_41
; %bb.24:                               ;   in Loop: Header=BB15_4 Depth=1
	v_cmp_le_f32_e64 s[8:9], |v59|, s51
                                        ; implicit-def: $vgpr60
                                        ; implicit-def: $vgpr66
                                        ; implicit-def: $vgpr65
	s_and_saveexec_b64 s[14:15], s[8:9]
	s_xor_b64 s[14:15], exec, s[14:15]
	s_cbranch_execz .LBB15_26
; %bb.25:                               ;   in Loop: Header=BB15_4 Depth=1
	v_cmp_lt_f32_e64 s[8:9], |v59|, s48
	v_cndmask_b32_e64 v60, 1.0, v54, s[8:9]
	v_mul_f32_e64 v60, |v59|, v60
	v_log_f32_e32 v60, v60
	v_cndmask_b32_e64 v65, 0, v55, s[8:9]
	v_mul_f32_e32 v66, 0x3f317217, v60
	v_fma_f32 v67, v60, s49, -v66
	v_fmac_f32_e32 v67, 0x3377d1cf, v60
	v_add_f32_e32 v66, v66, v67
	v_cmp_lt_f32_e64 s[8:9], |v60|, s50
	v_cndmask_b32_e64 v60, v60, v66, s[8:9]
	v_sub_f32_e32 v60, v60, v65
	v_sub_f32_e64 v65, 1.0, |v59|
	v_add_f32_e64 v66, |v59|, s54
	v_cmp_lt_f32_e64 s[8:9], |v59|, s53
	v_cndmask_b32_e64 v65, v65, v66, s[8:9]
	v_cndmask_b32_e64 v66, 0, 1, s[8:9]
	v_cmp_lt_f32_e64 s[8:9], |v59|, s55
	v_xor_b32_e32 v60, 0x80000000, v60
	v_cndmask_b32_e64 v65, v65, |v59|, s[8:9]
	v_cndmask_b32_e64 v66, v66, 2, s[8:9]
.LBB15_26:                              ;   in Loop: Header=BB15_4 Depth=1
	s_andn2_saveexec_b64 s[14:15], s[14:15]
; %bb.27:                               ;   in Loop: Header=BB15_4 Depth=1
	v_sub_f32_e64 v60, 2.0, |v59|
	v_add_f32_e64 v65, |v59|, s57
	v_cmp_lt_f32_e64 s[8:9], |v59|, s56
	v_cndmask_b32_e64 v65, v60, v65, s[8:9]
	v_cndmask_b32_e64 v60, v60, 1.0, s[8:9]
	v_cvt_i32_f32_e32 v60, v60
	v_add_f32_e64 v66, |v59|, -1.0
	v_cmp_lt_f32_e64 s[8:9], |v59|, s58
	v_cndmask_b32_e64 v65, v65, v66, s[8:9]
	v_cndmask_b32_e64 v66, v60, 2, s[8:9]
	v_mov_b32_e32 v60, 0
; %bb.28:                               ;   in Loop: Header=BB15_4 Depth=1
	s_or_b64 exec, exec, s[14:15]
	v_cmp_lt_i32_e64 s[8:9], 0, v66
	s_and_saveexec_b64 s[14:15], s[8:9]
	s_xor_b64 s[14:15], exec, s[14:15]
	s_cbranch_execz .LBB15_36
; %bb.29:                               ;   in Loop: Header=BB15_4 Depth=1
	v_cmp_lt_i32_e64 s[8:9], 1, v66
	s_and_saveexec_b64 s[16:17], s[8:9]
	s_xor_b64 s[16:17], exec, s[16:17]
	s_cbranch_execz .LBB15_33
; %bb.30:                               ;   in Loop: Header=BB15_4 Depth=1
	v_cmp_eq_u32_e64 s[8:9], 2, v66
	s_and_saveexec_b64 s[18:19], s[8:9]
	s_cbranch_execz .LBB15_32
; %bb.31:                               ;   in Loop: Header=BB15_4 Depth=1
	v_mov_b32_e32 v67, 0x3dd572af
	v_fmac_f32_e32 v67, 0x3b52d5db, v65
	v_fma_f32 v67, v65, v67, v28
	v_mov_b32_e32 v66, 0x3e6a7578
	v_fma_f32 v67, v65, v67, v29
	v_fmac_f32_e32 v66, 0x3c5b3c5e, v65
	v_fma_f32 v67, v65, v67, v30
	v_fma_f32 v66, v65, v66, v25
	v_fma_f32 v67, v65, v67, 1.0
	v_fma_f32 v66, v65, v66, v26
	v_rcp_f32_e32 v67, v67
	v_fma_f32 v66, v65, v66, v27
	v_fma_f32 v66, v65, v66, v20
	v_mul_f32_e32 v66, v65, v66
	v_mul_f32_e32 v66, v66, v67
	v_fmac_f32_e32 v66, -0.5, v65
	v_add_f32_e32 v60, v60, v66
.LBB15_32:                              ;   in Loop: Header=BB15_4 Depth=1
	s_or_b64 exec, exec, s[18:19]
                                        ; implicit-def: $vgpr65
.LBB15_33:                              ;   in Loop: Header=BB15_4 Depth=1
	s_andn2_saveexec_b64 s[8:9], s[16:17]
	s_cbranch_execz .LBB15_35
; %bb.34:                               ;   in Loop: Header=BB15_4 Depth=1
	v_mul_f32_e32 v66, v65, v65
	v_mul_f32_e32 v67, v65, v66
	v_mov_b32_e32 v69, 0x3a66f867
	v_mov_b32_e32 v70, 0xba0d3085
	v_fmac_f32_e32 v69, 0xb9a3f927, v67
	v_fmac_f32_e32 v70, 0x39afe9f7, v67
	v_mov_b32_e32 v68, 0xbab7f476
	v_fma_f32 v69, v67, v69, v34
	v_fma_f32 v70, v67, v70, v37
	v_fmac_f32_e32 v68, 0x39a57b6b, v67
	v_fma_f32 v69, v67, v69, v35
	v_fma_f32 v70, v67, v70, v38
	;; [unrolled: 1-line block ×6, first 2 shown]
	v_fmac_f32_e32 v69, v65, v70
	v_fma_f32 v68, v67, v68, v33
	v_fma_f32 v65, v67, -v69, s59
	v_fma_f32 v65, v66, v68, -v65
	v_add_f32_e32 v65, 0xbdf8cdce, v65
	v_add_f32_e32 v60, v60, v65
.LBB15_35:                              ;   in Loop: Header=BB15_4 Depth=1
	s_or_b64 exec, exec, s[8:9]
                                        ; implicit-def: $vgpr66
                                        ; implicit-def: $vgpr65
.LBB15_36:                              ;   in Loop: Header=BB15_4 Depth=1
	s_andn2_saveexec_b64 s[14:15], s[14:15]
	s_cbranch_execz .LBB15_40
; %bb.37:                               ;   in Loop: Header=BB15_4 Depth=1
	v_cmp_eq_u32_e64 s[8:9], 0, v66
	s_and_saveexec_b64 s[16:17], s[8:9]
	s_cbranch_execz .LBB15_39
; %bb.38:                               ;   in Loop: Header=BB15_4 Depth=1
	v_mul_f32_e32 v66, v65, v65
	v_mov_b32_e32 v68, 0x38e28445
	v_mov_b32_e32 v67, 0x39679767
	v_fmac_f32_e32 v68, 0x383c2c75, v66
	v_fmac_f32_e32 v67, 0x37d383a2, v66
	v_fma_f32 v68, v66, v68, v44
	v_fma_f32 v67, v66, v67, v40
	;; [unrolled: 1-line block ×8, first 2 shown]
	v_mul_f32_e32 v66, v66, v68
	v_fmac_f32_e32 v66, v65, v67
	v_fmac_f32_e32 v66, -0.5, v65
	v_add_f32_e32 v60, v60, v66
.LBB15_39:                              ;   in Loop: Header=BB15_4 Depth=1
	s_or_b64 exec, exec, s[16:17]
.LBB15_40:                              ;   in Loop: Header=BB15_4 Depth=1
	s_or_b64 exec, exec, s[14:15]
.LBB15_41:                              ;   in Loop: Header=BB15_4 Depth=1
	s_or_b64 exec, exec, s[10:11]
.LBB15_42:                              ;   in Loop: Header=BB15_4 Depth=1
	s_andn2_saveexec_b64 s[12:13], s[12:13]
	s_cbranch_execz .LBB15_44
; %bb.43:                               ;   in Loop: Header=BB15_4 Depth=1
	v_cmp_lt_f32_e64 s[8:9], |v59|, s48
	v_cndmask_b32_e64 v60, 1.0, v54, s[8:9]
	v_mul_f32_e64 v60, |v59|, v60
	v_log_f32_e32 v60, v60
	v_fma_f32 v65, |v59|, s60, v56
	v_fma_f32 v65, |v59|, v65, s61
	;; [unrolled: 1-line block ×3, first 2 shown]
	v_mul_f32_e32 v66, 0x3f317217, v60
	v_fma_f32 v67, v60, s49, -v66
	v_fmac_f32_e32 v67, 0x3377d1cf, v60
	v_add_f32_e32 v66, v66, v67
	v_cmp_lt_f32_e64 s[10:11], |v60|, s50
	v_cndmask_b32_e64 v60, v60, v66, s[10:11]
	v_cndmask_b32_e64 v66, 0, v55, s[8:9]
	v_sub_f32_e32 v60, v60, v66
	v_fma_f32 v60, |v59|, v65, -v60
.LBB15_44:                              ;   in Loop: Header=BB15_4 Depth=1
	s_or_b64 exec, exec, s[12:13]
	v_cmp_le_f32_e64 s[8:9], 0, v59
	v_cmp_nle_f32_e64 s[10:11], 0, v59
	s_and_saveexec_b64 s[12:13], s[10:11]
	s_xor_b64 s[14:15], exec, s[12:13]
	s_cbranch_execz .LBB15_48
; %bb.45:                               ;   in Loop: Header=BB15_4 Depth=1
	v_cmp_lt_f32_e64 s[10:11], |v59|, s63
	v_cmp_gt_f32_e64 s[12:13], |v59|, s64
	s_and_b64 s[10:11], s[10:11], s[12:13]
	s_and_saveexec_b64 s[16:17], s[10:11]
	s_cbranch_execz .LBB15_47
; %bb.46:                               ;   in Loop: Header=BB15_4 Depth=1
	v_mul_f32_e64 v65, |v59|, 0.5
	v_floor_f32_e32 v66, v65
	v_sub_f32_e32 v66, v65, v66
	v_min_f32_e32 v66, 0x3f7fffff, v66
	v_add_f32_e32 v66, v66, v66
	v_cmp_neq_f32_e64 s[10:11], s50, v65
	v_cndmask_b32_e64 v65, 0, v66, s[10:11]
	v_cmp_gt_f32_e64 s[10:11], |v59|, 1.0
	v_cndmask_b32_e64 v65, |v59|, v65, s[10:11]
	v_add_f32_e32 v66, v65, v65
	v_rndne_f32_e32 v66, v66
	v_fmac_f32_e32 v65, -0.5, v66
	v_mul_f32_e32 v67, v65, v65
	v_mov_b32_e32 v68, 0xbf1f24be
	v_fmac_f32_e32 v68, 0x3e75aa41, v67
	v_fma_f32 v68, v67, v68, v48
	v_fma_f32 v68, v67, v68, v49
	v_mul_f32_e32 v69, v65, v67
	v_mul_f32_e32 v68, v69, v68
	v_fmac_f32_e32 v68, 0x40490fdb, v65
	v_mov_b32_e32 v65, 0x3e642e9d
	v_cvt_i32_f32_e32 v66, v66
	v_fmac_f32_e32 v65, 0x3d4be544, v67
	v_fma_f32 v65, v67, v65, v50
	v_fma_f32 v65, v67, v65, v51
	;; [unrolled: 1-line block ×3, first 2 shown]
	v_fma_f32 v65, v67, v65, 1.0
	v_and_b32_e32 v67, 1, v66
	v_cmp_eq_u32_e64 s[10:11], 0, v67
	v_lshlrev_b32_e32 v66, 30, v66
	v_cndmask_b32_e64 v65, v65, v68, s[10:11]
	v_and_or_b32 v63, v66, s52, v63
	v_xor_b32_e32 v63, v63, v65
	v_xor_b32_e32 v63, v63, v59
	v_mul_f32_e32 v63, v59, v63
	v_frexp_mant_f32_e64 v65, |v63|
	v_rcp_f32_e32 v65, v65
	v_frexp_exp_i32_f32_e32 v63, v63
	v_sub_u32_e32 v63, 2, v63
	v_mul_f32_e32 v65, 0x3f490fdb, v65
	v_ldexp_f32 v63, v65, v63
	v_cmp_gt_f32_e64 s[10:11], s48, v63
	v_cndmask_b32_e64 v65, 1.0, v54, s[10:11]
	v_mul_f32_e32 v63, v63, v65
	v_log_f32_e32 v63, v63
	v_mul_f32_e32 v65, 0x3f317217, v63
	v_fma_f32 v66, v63, s49, -v65
	v_fmac_f32_e32 v66, 0x3377d1cf, v63
	v_add_f32_e32 v65, v65, v66
	v_cmp_lt_f32_e64 s[12:13], |v63|, s50
	v_cndmask_b32_e64 v63, v63, v65, s[12:13]
	v_cndmask_b32_e64 v65, 0, v55, s[10:11]
	v_sub_f32_e32 v63, v63, v65
	v_sub_f32_e32 v60, v63, v60
	v_floor_f32_e32 v63, v59
	v_sub_f32_e32 v63, v59, v63
	v_min_f32_e32 v63, 0x3f7fffff, v63
	v_cmp_neq_f32_e64 s[10:11], 0, v63
	v_cndmask_b32_e64 v60, v57, v60, s[10:11]
.LBB15_47:                              ;   in Loop: Header=BB15_4 Depth=1
	s_or_b64 exec, exec, s[16:17]
.LBB15_48:                              ;   in Loop: Header=BB15_4 Depth=1
	s_andn2_saveexec_b64 s[14:15], s[14:15]
; %bb.49:                               ;   in Loop: Header=BB15_4 Depth=1
	v_cmp_eq_f32_e64 s[10:11], 1.0, v59
	v_cmp_eq_f32_e64 s[12:13], 2.0, v59
	s_or_b64 s[10:11], s[10:11], s[12:13]
	v_cndmask_b32_e64 v60, v60, 0, s[10:11]
; %bb.50:                               ;   in Loop: Header=BB15_4 Depth=1
	s_or_b64 exec, exec, s[14:15]
	v_lshlrev_b32_e32 v62, 16, v62
	v_and_b32_e32 v65, 0x7fffffff, v62
	v_cmp_nlt_f32_e64 s[10:11], |v62|, s45
                                        ; implicit-def: $vgpr63
	s_and_saveexec_b64 s[12:13], s[10:11]
	s_xor_b64 s[14:15], exec, s[12:13]
	s_cbranch_execz .LBB15_80
; %bb.51:                               ;   in Loop: Header=BB15_4 Depth=1
	v_cmp_nlt_f32_e64 s[10:11], |v62|, 2.0
                                        ; implicit-def: $vgpr63
	s_and_saveexec_b64 s[12:13], s[10:11]
	s_xor_b64 s[16:17], exec, s[12:13]
	s_cbranch_execz .LBB15_61
; %bb.52:                               ;   in Loop: Header=BB15_4 Depth=1
	v_cmp_nlt_f32_e64 s[10:11], |v62|, s46
                                        ; implicit-def: $vgpr63
	s_and_saveexec_b64 s[12:13], s[10:11]
	s_xor_b64 s[18:19], exec, s[12:13]
	s_cbranch_execz .LBB15_58
; %bb.53:                               ;   in Loop: Header=BB15_4 Depth=1
	v_cmp_nlt_f32_e64 s[10:11], |v62|, s47
                                        ; implicit-def: $vgpr63
	s_and_saveexec_b64 s[12:13], s[10:11]
	s_xor_b64 s[34:35], exec, s[12:13]
	s_cbranch_execz .LBB15_55
; %bb.54:                               ;   in Loop: Header=BB15_4 Depth=1
	v_cmp_lt_f32_e64 s[10:11], |v62|, s48
	v_cndmask_b32_e64 v63, 1.0, v54, s[10:11]
	v_mul_f32_e64 v63, |v62|, v63
	v_log_f32_e32 v63, v63
	v_mul_f32_e32 v66, 0x3f317217, v63
	v_fma_f32 v67, v63, s49, -v66
	v_fmac_f32_e32 v67, 0x3377d1cf, v63
	v_add_f32_e32 v66, v66, v67
	v_cmp_lt_f32_e64 s[12:13], |v63|, s50
	v_cndmask_b32_e64 v63, v63, v66, s[12:13]
	v_cndmask_b32_e64 v66, 0, v55, s[10:11]
	v_sub_f32_e32 v63, v63, v66
	v_fma_f32 v63, |v62|, v63, -|v62|
.LBB15_55:                              ;   in Loop: Header=BB15_4 Depth=1
	s_andn2_saveexec_b64 s[34:35], s[34:35]
	s_cbranch_execz .LBB15_57
; %bb.56:                               ;   in Loop: Header=BB15_4 Depth=1
	v_rcp_f32_e64 v63, |v62|
	v_cmp_lt_f32_e64 s[10:11], |v62|, s48
	v_cndmask_b32_e64 v67, 1.0, v54, s[10:11]
	v_mov_b32_e32 v66, 0x3a5b3dd2
	v_mul_f32_e32 v68, v63, v63
	v_mul_f32_e64 v67, |v62|, v67
	v_fmac_f32_e32 v66, 0xbad5c4e8, v68
	v_log_f32_e32 v67, v67
	v_fma_f32 v66, v68, v66, v11
	v_fma_f32 v66, v68, v66, v12
	;; [unrolled: 1-line block ×4, first 2 shown]
	v_mul_f32_e32 v68, 0x3f317217, v67
	v_fma_f32 v69, v67, s49, -v68
	v_fmac_f32_e32 v69, 0x3377d1cf, v67
	v_add_f32_e32 v68, v68, v69
	v_cmp_lt_f32_e64 s[12:13], |v67|, s50
	v_cndmask_b32_e64 v67, v67, v68, s[12:13]
	v_cndmask_b32_e64 v68, 0, v55, s[10:11]
	v_sub_f32_e32 v67, v67, v68
	v_fma_f32 v63, v63, v66, v15
	v_add_f32_e64 v66, |v62|, -0.5
	v_add_f32_e32 v67, -1.0, v67
	v_fmac_f32_e32 v63, v66, v67
.LBB15_57:                              ;   in Loop: Header=BB15_4 Depth=1
	s_or_b64 exec, exec, s[34:35]
.LBB15_58:                              ;   in Loop: Header=BB15_4 Depth=1
	s_andn2_saveexec_b64 s[18:19], s[18:19]
	s_cbranch_execz .LBB15_60
; %bb.59:                               ;   in Loop: Header=BB15_4 Depth=1
	v_cvt_i32_f32_e32 v63, v65
	v_mov_b32_e32 v67, 0x3af135b4
	v_mov_b32_e32 v68, 0x3a4beed6
	v_cvt_f32_i32_e32 v66, v63
	v_cmp_lt_i32_e64 s[10:11], 3, v63
	v_sub_f32_e64 v66, |v62|, v66
	v_fmac_f32_e32 v67, 0x3805ff67, v66
	v_fmac_f32_e32 v68, 0x36f5d7bd, v66
	v_fma_f32 v67, v66, v67, v16
	v_fma_f32 v68, v66, v68, v21
	;; [unrolled: 1-line block ×9, first 2 shown]
	v_fma_f32 v68, v66, v68, 1.0
	v_rcp_f32_e32 v70, v68
	v_pk_add_f32 v[68:69], v[66:67], s[30:31] op_sel_hi:[0,1]
	v_cndmask_b32_e64 v69, 1.0, v69, s[10:11]
	v_cmp_lt_i32_e64 s[10:11], 2, v63
	v_add_f32_e32 v71, 4.0, v66
	v_cndmask_b32_e64 v68, 1.0, v68, s[10:11]
	v_cmp_lt_i32_e64 s[10:11], 4, v63
	v_add_f32_e32 v72, 0x40a00000, v66
	v_mul_f32_e32 v68, v68, v69
	v_cndmask_b32_e64 v69, 1.0, v71, s[10:11]
	v_cmp_lt_i32_e64 s[10:11], 5, v63
	v_add_f32_e32 v73, 0x40c00000, v66
	v_mul_f32_e32 v68, v69, v68
	v_cndmask_b32_e64 v69, 1.0, v72, s[10:11]
	v_cmp_lt_i32_e64 s[10:11], 6, v63
	v_mul_f32_e32 v68, v69, v68
	v_cndmask_b32_e64 v63, 1.0, v73, s[10:11]
	v_mul_f32_e32 v63, v63, v68
	v_cmp_gt_f32_e64 s[10:11], s48, v63
	v_cndmask_b32_e64 v68, 1.0, v54, s[10:11]
	v_mul_f32_e32 v63, v63, v68
	v_log_f32_e32 v63, v63
	v_mul_f32_e32 v67, v66, v67
	v_mul_f32_e32 v67, v67, v70
	v_fmac_f32_e32 v67, 0.5, v66
	v_mul_f32_e32 v66, 0x3f317217, v63
	v_fma_f32 v68, v63, s49, -v66
	v_fmac_f32_e32 v68, 0x3377d1cf, v63
	v_add_f32_e32 v66, v66, v68
	v_cmp_lt_f32_e64 s[12:13], |v63|, s50
	v_cndmask_b32_e64 v63, v63, v66, s[12:13]
	v_cndmask_b32_e64 v66, 0, v55, s[10:11]
	v_sub_f32_e32 v63, v63, v66
	v_add_f32_e32 v63, v63, v67
.LBB15_60:                              ;   in Loop: Header=BB15_4 Depth=1
	s_or_b64 exec, exec, s[18:19]
.LBB15_61:                              ;   in Loop: Header=BB15_4 Depth=1
	s_andn2_saveexec_b64 s[12:13], s[16:17]
	s_cbranch_execz .LBB15_79
; %bb.62:                               ;   in Loop: Header=BB15_4 Depth=1
	v_cmp_le_f32_e64 s[10:11], |v62|, s51
                                        ; implicit-def: $vgpr63
                                        ; implicit-def: $vgpr67
                                        ; implicit-def: $vgpr66
	s_and_saveexec_b64 s[16:17], s[10:11]
	s_xor_b64 s[16:17], exec, s[16:17]
	s_cbranch_execz .LBB15_64
; %bb.63:                               ;   in Loop: Header=BB15_4 Depth=1
	v_cmp_lt_f32_e64 s[10:11], |v62|, s48
	v_cndmask_b32_e64 v63, 1.0, v54, s[10:11]
	v_mul_f32_e64 v63, |v62|, v63
	v_log_f32_e32 v63, v63
	v_cndmask_b32_e64 v66, 0, v55, s[10:11]
	v_mul_f32_e32 v67, 0x3f317217, v63
	v_fma_f32 v68, v63, s49, -v67
	v_fmac_f32_e32 v68, 0x3377d1cf, v63
	v_add_f32_e32 v67, v67, v68
	v_cmp_lt_f32_e64 s[10:11], |v63|, s50
	v_cndmask_b32_e64 v63, v63, v67, s[10:11]
	v_sub_f32_e32 v63, v63, v66
	v_sub_f32_e64 v66, 1.0, |v62|
	v_add_f32_e64 v67, |v62|, s54
	v_cmp_lt_f32_e64 s[10:11], |v62|, s53
	v_cndmask_b32_e64 v66, v66, v67, s[10:11]
	v_cndmask_b32_e64 v67, 0, 1, s[10:11]
	v_cmp_lt_f32_e64 s[10:11], |v62|, s55
	v_xor_b32_e32 v63, 0x80000000, v63
	v_cndmask_b32_e64 v66, v66, |v62|, s[10:11]
	v_cndmask_b32_e64 v67, v67, 2, s[10:11]
.LBB15_64:                              ;   in Loop: Header=BB15_4 Depth=1
	s_andn2_saveexec_b64 s[16:17], s[16:17]
; %bb.65:                               ;   in Loop: Header=BB15_4 Depth=1
	v_sub_f32_e64 v63, 2.0, |v62|
	v_add_f32_e64 v66, |v62|, s57
	v_cmp_lt_f32_e64 s[10:11], |v62|, s56
	v_cndmask_b32_e64 v66, v63, v66, s[10:11]
	v_cndmask_b32_e64 v63, v63, 1.0, s[10:11]
	v_cvt_i32_f32_e32 v63, v63
	v_add_f32_e64 v67, |v62|, -1.0
	v_cmp_lt_f32_e64 s[10:11], |v62|, s58
	v_cndmask_b32_e64 v66, v66, v67, s[10:11]
	v_cndmask_b32_e64 v67, v63, 2, s[10:11]
	v_mov_b32_e32 v63, 0
; %bb.66:                               ;   in Loop: Header=BB15_4 Depth=1
	s_or_b64 exec, exec, s[16:17]
	v_cmp_lt_i32_e64 s[10:11], 0, v67
	s_and_saveexec_b64 s[16:17], s[10:11]
	s_xor_b64 s[16:17], exec, s[16:17]
	s_cbranch_execz .LBB15_74
; %bb.67:                               ;   in Loop: Header=BB15_4 Depth=1
	v_cmp_lt_i32_e64 s[10:11], 1, v67
	s_and_saveexec_b64 s[18:19], s[10:11]
	s_xor_b64 s[18:19], exec, s[18:19]
	s_cbranch_execz .LBB15_71
; %bb.68:                               ;   in Loop: Header=BB15_4 Depth=1
	v_cmp_eq_u32_e64 s[10:11], 2, v67
	s_and_saveexec_b64 s[34:35], s[10:11]
	s_cbranch_execz .LBB15_70
; %bb.69:                               ;   in Loop: Header=BB15_4 Depth=1
	v_mov_b32_e32 v68, 0x3dd572af
	v_fmac_f32_e32 v68, 0x3b52d5db, v66
	v_fma_f32 v68, v66, v68, v28
	v_mov_b32_e32 v67, 0x3e6a7578
	v_fma_f32 v68, v66, v68, v29
	v_fmac_f32_e32 v67, 0x3c5b3c5e, v66
	v_fma_f32 v68, v66, v68, v30
	v_fma_f32 v67, v66, v67, v25
	v_fma_f32 v68, v66, v68, 1.0
	v_fma_f32 v67, v66, v67, v26
	v_rcp_f32_e32 v68, v68
	v_fma_f32 v67, v66, v67, v27
	v_fma_f32 v67, v66, v67, v20
	v_mul_f32_e32 v67, v66, v67
	v_mul_f32_e32 v67, v67, v68
	v_fmac_f32_e32 v67, -0.5, v66
	v_add_f32_e32 v63, v63, v67
.LBB15_70:                              ;   in Loop: Header=BB15_4 Depth=1
	s_or_b64 exec, exec, s[34:35]
                                        ; implicit-def: $vgpr66
.LBB15_71:                              ;   in Loop: Header=BB15_4 Depth=1
	s_andn2_saveexec_b64 s[10:11], s[18:19]
	s_cbranch_execz .LBB15_73
; %bb.72:                               ;   in Loop: Header=BB15_4 Depth=1
	v_mul_f32_e32 v67, v66, v66
	v_mul_f32_e32 v68, v66, v67
	v_mov_b32_e32 v70, 0x3a66f867
	v_mov_b32_e32 v71, 0xba0d3085
	v_fmac_f32_e32 v70, 0xb9a3f927, v68
	v_fmac_f32_e32 v71, 0x39afe9f7, v68
	v_mov_b32_e32 v69, 0xbab7f476
	v_fma_f32 v70, v68, v70, v34
	v_fma_f32 v71, v68, v71, v37
	v_fmac_f32_e32 v69, 0x39a57b6b, v68
	v_fma_f32 v70, v68, v70, v35
	v_fma_f32 v71, v68, v71, v38
	;; [unrolled: 1-line block ×6, first 2 shown]
	v_fmac_f32_e32 v70, v66, v71
	v_fma_f32 v69, v68, v69, v33
	v_fma_f32 v66, v68, -v70, s59
	v_fma_f32 v66, v67, v69, -v66
	v_add_f32_e32 v66, 0xbdf8cdce, v66
	v_add_f32_e32 v63, v63, v66
.LBB15_73:                              ;   in Loop: Header=BB15_4 Depth=1
	s_or_b64 exec, exec, s[10:11]
                                        ; implicit-def: $vgpr67
                                        ; implicit-def: $vgpr66
.LBB15_74:                              ;   in Loop: Header=BB15_4 Depth=1
	s_andn2_saveexec_b64 s[16:17], s[16:17]
	s_cbranch_execz .LBB15_78
; %bb.75:                               ;   in Loop: Header=BB15_4 Depth=1
	v_cmp_eq_u32_e64 s[10:11], 0, v67
	s_and_saveexec_b64 s[18:19], s[10:11]
	s_cbranch_execz .LBB15_77
; %bb.76:                               ;   in Loop: Header=BB15_4 Depth=1
	v_mul_f32_e32 v67, v66, v66
	v_mov_b32_e32 v69, 0x38e28445
	v_mov_b32_e32 v68, 0x39679767
	v_fmac_f32_e32 v69, 0x383c2c75, v67
	v_fmac_f32_e32 v68, 0x37d383a2, v67
	v_fma_f32 v69, v67, v69, v44
	v_fma_f32 v68, v67, v68, v40
	;; [unrolled: 1-line block ×8, first 2 shown]
	v_mul_f32_e32 v67, v67, v69
	v_fmac_f32_e32 v67, v66, v68
	v_fmac_f32_e32 v67, -0.5, v66
	v_add_f32_e32 v63, v63, v67
.LBB15_77:                              ;   in Loop: Header=BB15_4 Depth=1
	s_or_b64 exec, exec, s[18:19]
.LBB15_78:                              ;   in Loop: Header=BB15_4 Depth=1
	s_or_b64 exec, exec, s[16:17]
.LBB15_79:                              ;   in Loop: Header=BB15_4 Depth=1
	s_or_b64 exec, exec, s[12:13]
.LBB15_80:                              ;   in Loop: Header=BB15_4 Depth=1
	s_andn2_saveexec_b64 s[14:15], s[14:15]
	s_cbranch_execz .LBB15_82
; %bb.81:                               ;   in Loop: Header=BB15_4 Depth=1
	v_cmp_lt_f32_e64 s[10:11], |v62|, s48
	v_cndmask_b32_e64 v63, 1.0, v54, s[10:11]
	v_mul_f32_e64 v63, |v62|, v63
	v_log_f32_e32 v63, v63
	v_fma_f32 v66, |v62|, s60, v56
	v_fma_f32 v66, |v62|, v66, s61
	;; [unrolled: 1-line block ×3, first 2 shown]
	v_mul_f32_e32 v67, 0x3f317217, v63
	v_fma_f32 v68, v63, s49, -v67
	v_fmac_f32_e32 v68, 0x3377d1cf, v63
	v_add_f32_e32 v67, v67, v68
	v_cmp_lt_f32_e64 s[12:13], |v63|, s50
	v_cndmask_b32_e64 v63, v63, v67, s[12:13]
	v_cndmask_b32_e64 v67, 0, v55, s[10:11]
	v_sub_f32_e32 v63, v63, v67
	v_fma_f32 v63, |v62|, v66, -v63
.LBB15_82:                              ;   in Loop: Header=BB15_4 Depth=1
	s_or_b64 exec, exec, s[14:15]
	v_cmp_le_f32_e64 s[10:11], 0, v62
	v_cmp_nle_f32_e64 s[12:13], 0, v62
	s_and_saveexec_b64 s[14:15], s[12:13]
	s_xor_b64 s[16:17], exec, s[14:15]
	s_cbranch_execz .LBB15_86
; %bb.83:                               ;   in Loop: Header=BB15_4 Depth=1
	v_cmp_lt_f32_e64 s[12:13], |v62|, s63
	v_cmp_gt_f32_e64 s[14:15], |v62|, s64
	s_and_b64 s[12:13], s[12:13], s[14:15]
	s_and_saveexec_b64 s[18:19], s[12:13]
	s_cbranch_execz .LBB15_85
; %bb.84:                               ;   in Loop: Header=BB15_4 Depth=1
	v_mul_f32_e64 v66, |v62|, 0.5
	v_floor_f32_e32 v67, v66
	v_sub_f32_e32 v67, v66, v67
	v_min_f32_e32 v67, 0x3f7fffff, v67
	v_add_f32_e32 v67, v67, v67
	v_cmp_neq_f32_e64 s[12:13], s50, v66
	v_cndmask_b32_e64 v66, 0, v67, s[12:13]
	v_cmp_gt_f32_e64 s[12:13], |v62|, 1.0
	v_cndmask_b32_e64 v66, |v62|, v66, s[12:13]
	v_add_f32_e32 v67, v66, v66
	v_rndne_f32_e32 v67, v67
	v_fmac_f32_e32 v66, -0.5, v67
	v_mul_f32_e32 v68, v66, v66
	v_mov_b32_e32 v69, 0xbf1f24be
	v_fmac_f32_e32 v69, 0x3e75aa41, v68
	v_fma_f32 v69, v68, v69, v48
	v_fma_f32 v69, v68, v69, v49
	v_mul_f32_e32 v70, v66, v68
	v_mul_f32_e32 v69, v70, v69
	v_fmac_f32_e32 v69, 0x40490fdb, v66
	v_mov_b32_e32 v66, 0x3e642e9d
	v_cvt_i32_f32_e32 v67, v67
	v_fmac_f32_e32 v66, 0x3d4be544, v68
	v_fma_f32 v66, v68, v66, v50
	v_fma_f32 v66, v68, v66, v51
	;; [unrolled: 1-line block ×3, first 2 shown]
	v_fma_f32 v66, v68, v66, 1.0
	v_and_b32_e32 v68, 1, v67
	v_cmp_eq_u32_e64 s[12:13], 0, v68
	v_lshlrev_b32_e32 v67, 30, v67
	v_cndmask_b32_e64 v66, v66, v69, s[12:13]
	v_and_or_b32 v65, v67, s52, v65
	v_xor_b32_e32 v65, v65, v66
	v_xor_b32_e32 v65, v65, v62
	v_mul_f32_e32 v65, v62, v65
	v_frexp_mant_f32_e64 v66, |v65|
	v_rcp_f32_e32 v66, v66
	v_frexp_exp_i32_f32_e32 v65, v65
	v_sub_u32_e32 v65, 2, v65
	v_mul_f32_e32 v66, 0x3f490fdb, v66
	v_ldexp_f32 v65, v66, v65
	v_cmp_gt_f32_e64 s[12:13], s48, v65
	v_cndmask_b32_e64 v66, 1.0, v54, s[12:13]
	v_mul_f32_e32 v65, v65, v66
	v_log_f32_e32 v65, v65
	v_mul_f32_e32 v66, 0x3f317217, v65
	v_fma_f32 v67, v65, s49, -v66
	v_fmac_f32_e32 v67, 0x3377d1cf, v65
	v_add_f32_e32 v66, v66, v67
	v_cmp_lt_f32_e64 s[14:15], |v65|, s50
	v_cndmask_b32_e64 v65, v65, v66, s[14:15]
	v_cndmask_b32_e64 v66, 0, v55, s[12:13]
	v_sub_f32_e32 v65, v65, v66
	v_sub_f32_e32 v63, v65, v63
	v_floor_f32_e32 v65, v62
	v_sub_f32_e32 v65, v62, v65
	v_min_f32_e32 v65, 0x3f7fffff, v65
	v_cmp_neq_f32_e64 s[12:13], 0, v65
	v_cndmask_b32_e64 v63, v57, v63, s[12:13]
.LBB15_85:                              ;   in Loop: Header=BB15_4 Depth=1
	s_or_b64 exec, exec, s[18:19]
.LBB15_86:                              ;   in Loop: Header=BB15_4 Depth=1
	s_andn2_saveexec_b64 s[16:17], s[16:17]
; %bb.87:                               ;   in Loop: Header=BB15_4 Depth=1
	v_cmp_eq_f32_e64 s[12:13], 1.0, v62
	v_cmp_eq_f32_e64 s[14:15], 2.0, v62
	s_or_b64 s[12:13], s[12:13], s[14:15]
	v_cndmask_b32_e64 v63, v63, 0, s[12:13]
; %bb.88:                               ;   in Loop: Header=BB15_4 Depth=1
	s_or_b64 exec, exec, s[16:17]
	v_lshlrev_b32_e32 v64, 16, v64
	v_and_b32_e32 v66, 0x7fffffff, v64
	v_cmp_nlt_f32_e64 s[12:13], |v64|, s45
                                        ; implicit-def: $vgpr65
	s_and_saveexec_b64 s[14:15], s[12:13]
	s_xor_b64 s[16:17], exec, s[14:15]
	s_cbranch_execz .LBB15_118
; %bb.89:                               ;   in Loop: Header=BB15_4 Depth=1
	v_cmp_nlt_f32_e64 s[12:13], |v64|, 2.0
                                        ; implicit-def: $vgpr65
	s_and_saveexec_b64 s[14:15], s[12:13]
	s_xor_b64 s[18:19], exec, s[14:15]
	s_cbranch_execz .LBB15_99
; %bb.90:                               ;   in Loop: Header=BB15_4 Depth=1
	v_cmp_nlt_f32_e64 s[12:13], |v64|, s46
                                        ; implicit-def: $vgpr65
	s_and_saveexec_b64 s[14:15], s[12:13]
	s_xor_b64 s[34:35], exec, s[14:15]
	s_cbranch_execz .LBB15_96
; %bb.91:                               ;   in Loop: Header=BB15_4 Depth=1
	v_cmp_nlt_f32_e64 s[12:13], |v64|, s47
                                        ; implicit-def: $vgpr65
	s_and_saveexec_b64 s[14:15], s[12:13]
	s_xor_b64 s[36:37], exec, s[14:15]
	s_cbranch_execz .LBB15_93
; %bb.92:                               ;   in Loop: Header=BB15_4 Depth=1
	v_cmp_lt_f32_e64 s[12:13], |v64|, s48
	v_cndmask_b32_e64 v65, 1.0, v54, s[12:13]
	v_mul_f32_e64 v65, |v64|, v65
	v_log_f32_e32 v65, v65
	v_mul_f32_e32 v67, 0x3f317217, v65
	v_fma_f32 v68, v65, s49, -v67
	v_fmac_f32_e32 v68, 0x3377d1cf, v65
	v_add_f32_e32 v67, v67, v68
	v_cmp_lt_f32_e64 s[14:15], |v65|, s50
	v_cndmask_b32_e64 v65, v65, v67, s[14:15]
	v_cndmask_b32_e64 v67, 0, v55, s[12:13]
	v_sub_f32_e32 v65, v65, v67
	v_fma_f32 v65, |v64|, v65, -|v64|
.LBB15_93:                              ;   in Loop: Header=BB15_4 Depth=1
	s_andn2_saveexec_b64 s[36:37], s[36:37]
	s_cbranch_execz .LBB15_95
; %bb.94:                               ;   in Loop: Header=BB15_4 Depth=1
	v_rcp_f32_e64 v65, |v64|
	v_cmp_lt_f32_e64 s[12:13], |v64|, s48
	v_cndmask_b32_e64 v68, 1.0, v54, s[12:13]
	v_mov_b32_e32 v67, 0x3a5b3dd2
	v_mul_f32_e32 v69, v65, v65
	v_mul_f32_e64 v68, |v64|, v68
	v_fmac_f32_e32 v67, 0xbad5c4e8, v69
	v_log_f32_e32 v68, v68
	v_fma_f32 v67, v69, v67, v11
	v_fma_f32 v67, v69, v67, v12
	;; [unrolled: 1-line block ×4, first 2 shown]
	v_mul_f32_e32 v69, 0x3f317217, v68
	v_fma_f32 v70, v68, s49, -v69
	v_fmac_f32_e32 v70, 0x3377d1cf, v68
	v_add_f32_e32 v69, v69, v70
	v_cmp_lt_f32_e64 s[14:15], |v68|, s50
	v_cndmask_b32_e64 v68, v68, v69, s[14:15]
	v_cndmask_b32_e64 v69, 0, v55, s[12:13]
	v_sub_f32_e32 v68, v68, v69
	v_fma_f32 v65, v65, v67, v15
	v_add_f32_e64 v67, |v64|, -0.5
	v_add_f32_e32 v68, -1.0, v68
	v_fmac_f32_e32 v65, v67, v68
.LBB15_95:                              ;   in Loop: Header=BB15_4 Depth=1
	s_or_b64 exec, exec, s[36:37]
.LBB15_96:                              ;   in Loop: Header=BB15_4 Depth=1
	s_andn2_saveexec_b64 s[34:35], s[34:35]
	s_cbranch_execz .LBB15_98
; %bb.97:                               ;   in Loop: Header=BB15_4 Depth=1
	v_cvt_i32_f32_e32 v65, v66
	v_mov_b32_e32 v69, 0x3af135b4
	v_mov_b32_e32 v70, 0x3a4beed6
	v_cvt_f32_i32_e32 v67, v65
	v_cmp_lt_i32_e64 s[12:13], 3, v65
	v_sub_f32_e64 v68, |v64|, v67
	v_fmac_f32_e32 v69, 0x3805ff67, v68
	v_fmac_f32_e32 v70, 0x36f5d7bd, v68
	v_fma_f32 v67, v68, v69, v16
	v_fma_f32 v69, v68, v70, v21
	;; [unrolled: 1-line block ×5, first 2 shown]
	v_fma_f32 v69, v68, v69, 1.0
	v_rcp_f32_e32 v69, v69
	v_add_f32_e32 v72, 4.0, v68
	v_add_f32_e32 v73, 0x40a00000, v68
	v_add_f32_e32 v74, 0x40c00000, v68
	v_pk_add_f32 v[70:71], v[68:69], s[30:31] op_sel_hi:[0,1]
	v_cndmask_b32_e64 v71, 1.0, v71, s[12:13]
	v_cmp_lt_i32_e64 s[12:13], 2, v65
	v_cndmask_b32_e64 v70, 1.0, v70, s[12:13]
	v_cmp_lt_i32_e64 s[12:13], 4, v65
	v_mul_f32_e32 v70, v70, v71
	v_cndmask_b32_e64 v71, 1.0, v72, s[12:13]
	v_cmp_lt_i32_e64 s[12:13], 5, v65
	v_mul_f32_e32 v70, v71, v70
	;; [unrolled: 3-line block ×3, first 2 shown]
	v_cndmask_b32_e64 v65, 1.0, v74, s[12:13]
	v_mul_f32_e32 v65, v65, v70
	v_cmp_gt_f32_e64 s[12:13], s48, v65
	v_fma_f32 v67, v68, v67, v17
	v_cndmask_b32_e64 v70, 1.0, v54, s[12:13]
	v_fma_f32 v67, v68, v67, v18
	v_mul_f32_e32 v65, v65, v70
	v_fma_f32 v67, v68, v67, v19
	v_log_f32_e32 v65, v65
	v_fma_f32 v67, v68, v67, v20
	v_mul_f32_e32 v67, v68, v67
	v_mul_f32_e32 v67, v67, v69
	v_fmac_f32_e32 v67, 0.5, v68
	v_mul_f32_e32 v68, 0x3f317217, v65
	v_fma_f32 v69, v65, s49, -v68
	v_fmac_f32_e32 v69, 0x3377d1cf, v65
	v_add_f32_e32 v68, v68, v69
	v_cmp_lt_f32_e64 s[14:15], |v65|, s50
	v_cndmask_b32_e64 v65, v65, v68, s[14:15]
	v_cndmask_b32_e64 v68, 0, v55, s[12:13]
	v_sub_f32_e32 v65, v65, v68
	v_add_f32_e32 v65, v65, v67
.LBB15_98:                              ;   in Loop: Header=BB15_4 Depth=1
	s_or_b64 exec, exec, s[34:35]
.LBB15_99:                              ;   in Loop: Header=BB15_4 Depth=1
	s_andn2_saveexec_b64 s[14:15], s[18:19]
	s_cbranch_execz .LBB15_117
; %bb.100:                              ;   in Loop: Header=BB15_4 Depth=1
	v_cmp_le_f32_e64 s[12:13], |v64|, s51
                                        ; implicit-def: $vgpr65
                                        ; implicit-def: $vgpr68
                                        ; implicit-def: $vgpr67
	s_and_saveexec_b64 s[18:19], s[12:13]
	s_xor_b64 s[18:19], exec, s[18:19]
	s_cbranch_execz .LBB15_102
; %bb.101:                              ;   in Loop: Header=BB15_4 Depth=1
	v_cmp_lt_f32_e64 s[12:13], |v64|, s48
	v_cndmask_b32_e64 v65, 1.0, v54, s[12:13]
	v_mul_f32_e64 v65, |v64|, v65
	v_log_f32_e32 v65, v65
	v_cndmask_b32_e64 v67, 0, v55, s[12:13]
	v_mul_f32_e32 v68, 0x3f317217, v65
	v_fma_f32 v69, v65, s49, -v68
	v_fmac_f32_e32 v69, 0x3377d1cf, v65
	v_add_f32_e32 v68, v68, v69
	v_cmp_lt_f32_e64 s[12:13], |v65|, s50
	v_cndmask_b32_e64 v65, v65, v68, s[12:13]
	v_sub_f32_e32 v65, v65, v67
	v_sub_f32_e64 v67, 1.0, |v64|
	v_add_f32_e64 v68, |v64|, s54
	v_cmp_lt_f32_e64 s[12:13], |v64|, s53
	v_cndmask_b32_e64 v67, v67, v68, s[12:13]
	v_cndmask_b32_e64 v68, 0, 1, s[12:13]
	v_cmp_lt_f32_e64 s[12:13], |v64|, s55
	v_xor_b32_e32 v65, 0x80000000, v65
	v_cndmask_b32_e64 v67, v67, |v64|, s[12:13]
	v_cndmask_b32_e64 v68, v68, 2, s[12:13]
.LBB15_102:                             ;   in Loop: Header=BB15_4 Depth=1
	s_andn2_saveexec_b64 s[18:19], s[18:19]
; %bb.103:                              ;   in Loop: Header=BB15_4 Depth=1
	v_sub_f32_e64 v65, 2.0, |v64|
	v_add_f32_e64 v67, |v64|, s57
	v_cmp_lt_f32_e64 s[12:13], |v64|, s56
	v_cndmask_b32_e64 v67, v65, v67, s[12:13]
	v_cndmask_b32_e64 v65, v65, 1.0, s[12:13]
	v_cvt_i32_f32_e32 v65, v65
	v_add_f32_e64 v68, |v64|, -1.0
	v_cmp_lt_f32_e64 s[12:13], |v64|, s58
	v_cndmask_b32_e64 v67, v67, v68, s[12:13]
	v_cndmask_b32_e64 v68, v65, 2, s[12:13]
	v_mov_b32_e32 v65, 0
; %bb.104:                              ;   in Loop: Header=BB15_4 Depth=1
	s_or_b64 exec, exec, s[18:19]
	v_cmp_lt_i32_e64 s[12:13], 0, v68
	s_and_saveexec_b64 s[18:19], s[12:13]
	s_xor_b64 s[18:19], exec, s[18:19]
	s_cbranch_execz .LBB15_112
; %bb.105:                              ;   in Loop: Header=BB15_4 Depth=1
	v_cmp_lt_i32_e64 s[12:13], 1, v68
	s_and_saveexec_b64 s[34:35], s[12:13]
	s_xor_b64 s[34:35], exec, s[34:35]
	s_cbranch_execz .LBB15_109
; %bb.106:                              ;   in Loop: Header=BB15_4 Depth=1
	v_cmp_eq_u32_e64 s[12:13], 2, v68
	s_and_saveexec_b64 s[36:37], s[12:13]
	s_cbranch_execz .LBB15_108
; %bb.107:                              ;   in Loop: Header=BB15_4 Depth=1
	v_mov_b32_e32 v69, 0x3dd572af
	v_fmac_f32_e32 v69, 0x3b52d5db, v67
	v_fma_f32 v69, v67, v69, v28
	v_mov_b32_e32 v68, 0x3e6a7578
	v_fma_f32 v69, v67, v69, v29
	v_fmac_f32_e32 v68, 0x3c5b3c5e, v67
	v_fma_f32 v69, v67, v69, v30
	v_fma_f32 v68, v67, v68, v25
	v_fma_f32 v69, v67, v69, 1.0
	v_fma_f32 v68, v67, v68, v26
	v_rcp_f32_e32 v69, v69
	v_fma_f32 v68, v67, v68, v27
	v_fma_f32 v68, v67, v68, v20
	v_mul_f32_e32 v68, v67, v68
	v_mul_f32_e32 v68, v68, v69
	v_fmac_f32_e32 v68, -0.5, v67
	v_add_f32_e32 v65, v65, v68
.LBB15_108:                             ;   in Loop: Header=BB15_4 Depth=1
	s_or_b64 exec, exec, s[36:37]
                                        ; implicit-def: $vgpr67
.LBB15_109:                             ;   in Loop: Header=BB15_4 Depth=1
	s_andn2_saveexec_b64 s[12:13], s[34:35]
	s_cbranch_execz .LBB15_111
; %bb.110:                              ;   in Loop: Header=BB15_4 Depth=1
	v_mul_f32_e32 v68, v67, v67
	v_mul_f32_e32 v69, v67, v68
	v_mov_b32_e32 v71, 0x3a66f867
	v_mov_b32_e32 v72, 0xba0d3085
	v_fmac_f32_e32 v71, 0xb9a3f927, v69
	v_fmac_f32_e32 v72, 0x39afe9f7, v69
	v_mov_b32_e32 v70, 0xbab7f476
	v_fma_f32 v71, v69, v71, v34
	v_fma_f32 v72, v69, v72, v37
	v_fmac_f32_e32 v70, 0x39a57b6b, v69
	v_fma_f32 v71, v69, v71, v35
	v_fma_f32 v72, v69, v72, v38
	;; [unrolled: 1-line block ×6, first 2 shown]
	v_fmac_f32_e32 v71, v67, v72
	v_fma_f32 v70, v69, v70, v33
	v_fma_f32 v67, v69, -v71, s59
	v_fma_f32 v67, v68, v70, -v67
	v_add_f32_e32 v67, 0xbdf8cdce, v67
	v_add_f32_e32 v65, v65, v67
.LBB15_111:                             ;   in Loop: Header=BB15_4 Depth=1
	s_or_b64 exec, exec, s[12:13]
                                        ; implicit-def: $vgpr68
                                        ; implicit-def: $vgpr67
.LBB15_112:                             ;   in Loop: Header=BB15_4 Depth=1
	s_andn2_saveexec_b64 s[18:19], s[18:19]
	s_cbranch_execz .LBB15_116
; %bb.113:                              ;   in Loop: Header=BB15_4 Depth=1
	v_cmp_eq_u32_e64 s[12:13], 0, v68
	s_and_saveexec_b64 s[34:35], s[12:13]
	s_cbranch_execz .LBB15_115
; %bb.114:                              ;   in Loop: Header=BB15_4 Depth=1
	v_mul_f32_e32 v68, v67, v67
	v_mov_b32_e32 v70, 0x38e28445
	v_mov_b32_e32 v69, 0x39679767
	v_fmac_f32_e32 v70, 0x383c2c75, v68
	v_fmac_f32_e32 v69, 0x37d383a2, v68
	v_fma_f32 v70, v68, v70, v44
	v_fma_f32 v69, v68, v69, v40
	;; [unrolled: 1-line block ×8, first 2 shown]
	v_mul_f32_e32 v68, v68, v70
	v_fmac_f32_e32 v68, v67, v69
	v_fmac_f32_e32 v68, -0.5, v67
	v_add_f32_e32 v65, v65, v68
.LBB15_115:                             ;   in Loop: Header=BB15_4 Depth=1
	s_or_b64 exec, exec, s[34:35]
.LBB15_116:                             ;   in Loop: Header=BB15_4 Depth=1
	s_or_b64 exec, exec, s[18:19]
.LBB15_117:                             ;   in Loop: Header=BB15_4 Depth=1
	s_or_b64 exec, exec, s[14:15]
.LBB15_118:                             ;   in Loop: Header=BB15_4 Depth=1
	s_andn2_saveexec_b64 s[16:17], s[16:17]
	s_cbranch_execz .LBB15_120
; %bb.119:                              ;   in Loop: Header=BB15_4 Depth=1
	v_cmp_lt_f32_e64 s[12:13], |v64|, s48
	v_cndmask_b32_e64 v65, 1.0, v54, s[12:13]
	v_mul_f32_e64 v65, |v64|, v65
	v_log_f32_e32 v65, v65
	v_fma_f32 v67, |v64|, s60, v56
	v_fma_f32 v67, |v64|, v67, s61
	v_fma_f32 v67, |v64|, v67, s62
	v_mul_f32_e32 v68, 0x3f317217, v65
	v_fma_f32 v69, v65, s49, -v68
	v_fmac_f32_e32 v69, 0x3377d1cf, v65
	v_add_f32_e32 v68, v68, v69
	v_cmp_lt_f32_e64 s[14:15], |v65|, s50
	v_cndmask_b32_e64 v65, v65, v68, s[14:15]
	v_cndmask_b32_e64 v68, 0, v55, s[12:13]
	v_sub_f32_e32 v65, v65, v68
	v_fma_f32 v65, |v64|, v67, -v65
.LBB15_120:                             ;   in Loop: Header=BB15_4 Depth=1
	s_or_b64 exec, exec, s[16:17]
	v_cmp_le_f32_e64 s[12:13], 0, v64
	v_cmp_nle_f32_e64 s[14:15], 0, v64
	s_and_saveexec_b64 s[16:17], s[14:15]
	s_xor_b64 s[18:19], exec, s[16:17]
	s_cbranch_execz .LBB15_124
; %bb.121:                              ;   in Loop: Header=BB15_4 Depth=1
	v_cmp_lt_f32_e64 s[14:15], |v64|, s63
	v_cmp_gt_f32_e64 s[16:17], |v64|, s64
	s_and_b64 s[14:15], s[14:15], s[16:17]
	s_and_saveexec_b64 s[34:35], s[14:15]
	s_cbranch_execz .LBB15_123
; %bb.122:                              ;   in Loop: Header=BB15_4 Depth=1
	v_mul_f32_e64 v67, |v64|, 0.5
	v_floor_f32_e32 v68, v67
	v_sub_f32_e32 v68, v67, v68
	v_min_f32_e32 v68, 0x3f7fffff, v68
	v_add_f32_e32 v68, v68, v68
	v_cmp_neq_f32_e64 s[14:15], s50, v67
	v_cndmask_b32_e64 v67, 0, v68, s[14:15]
	v_cmp_gt_f32_e64 s[14:15], |v64|, 1.0
	v_cndmask_b32_e64 v67, |v64|, v67, s[14:15]
	v_add_f32_e32 v68, v67, v67
	v_rndne_f32_e32 v68, v68
	v_fmac_f32_e32 v67, -0.5, v68
	v_mul_f32_e32 v69, v67, v67
	v_mov_b32_e32 v70, 0xbf1f24be
	v_fmac_f32_e32 v70, 0x3e75aa41, v69
	v_fma_f32 v70, v69, v70, v48
	v_fma_f32 v70, v69, v70, v49
	v_mul_f32_e32 v71, v67, v69
	v_mul_f32_e32 v70, v71, v70
	v_fmac_f32_e32 v70, 0x40490fdb, v67
	v_mov_b32_e32 v67, 0x3e642e9d
	v_cvt_i32_f32_e32 v68, v68
	v_fmac_f32_e32 v67, 0x3d4be544, v69
	v_fma_f32 v67, v69, v67, v50
	v_fma_f32 v67, v69, v67, v51
	v_fma_f32 v67, v69, v67, v52
	v_fma_f32 v67, v69, v67, 1.0
	v_and_b32_e32 v69, 1, v68
	v_cmp_eq_u32_e64 s[14:15], 0, v69
	v_lshlrev_b32_e32 v68, 30, v68
	v_cndmask_b32_e64 v67, v67, v70, s[14:15]
	v_and_or_b32 v66, v68, s52, v66
	v_xor_b32_e32 v66, v66, v67
	v_xor_b32_e32 v66, v66, v64
	v_mul_f32_e32 v66, v64, v66
	v_frexp_mant_f32_e64 v67, |v66|
	v_rcp_f32_e32 v67, v67
	v_frexp_exp_i32_f32_e32 v66, v66
	v_sub_u32_e32 v66, 2, v66
	v_mul_f32_e32 v67, 0x3f490fdb, v67
	v_ldexp_f32 v66, v67, v66
	v_cmp_gt_f32_e64 s[14:15], s48, v66
	v_cndmask_b32_e64 v67, 1.0, v54, s[14:15]
	v_mul_f32_e32 v66, v66, v67
	v_log_f32_e32 v66, v66
	v_mul_f32_e32 v67, 0x3f317217, v66
	v_fma_f32 v68, v66, s49, -v67
	v_fmac_f32_e32 v68, 0x3377d1cf, v66
	v_add_f32_e32 v67, v67, v68
	v_cmp_lt_f32_e64 s[16:17], |v66|, s50
	v_cndmask_b32_e64 v66, v66, v67, s[16:17]
	v_cndmask_b32_e64 v67, 0, v55, s[14:15]
	v_sub_f32_e32 v66, v66, v67
	v_sub_f32_e32 v65, v66, v65
	v_floor_f32_e32 v66, v64
	v_sub_f32_e32 v66, v64, v66
	v_min_f32_e32 v66, 0x3f7fffff, v66
	v_cmp_neq_f32_e64 s[14:15], 0, v66
	v_cndmask_b32_e64 v65, v57, v65, s[14:15]
.LBB15_123:                             ;   in Loop: Header=BB15_4 Depth=1
	s_or_b64 exec, exec, s[34:35]
.LBB15_124:                             ;   in Loop: Header=BB15_4 Depth=1
	s_andn2_saveexec_b64 s[18:19], s[18:19]
; %bb.125:                              ;   in Loop: Header=BB15_4 Depth=1
	v_cmp_eq_f32_e64 s[14:15], 1.0, v64
	v_cmp_eq_f32_e64 s[16:17], 2.0, v64
	s_or_b64 s[14:15], s[14:15], s[16:17]
	v_cndmask_b32_e64 v65, v65, 0, s[14:15]
; %bb.126:                              ;   in Loop: Header=BB15_4 Depth=1
	s_or_b64 exec, exec, s[18:19]
	v_lshlrev_b32_e32 v61, 16, v61
	v_and_b32_e32 v66, 0x7fffffff, v61
	v_cmp_nlt_f32_e64 s[14:15], |v61|, s45
                                        ; implicit-def: $vgpr67
	s_and_saveexec_b64 s[16:17], s[14:15]
	s_xor_b64 s[18:19], exec, s[16:17]
	s_cbranch_execz .LBB15_156
; %bb.127:                              ;   in Loop: Header=BB15_4 Depth=1
	v_cmp_nlt_f32_e64 s[14:15], |v61|, 2.0
                                        ; implicit-def: $vgpr67
	s_and_saveexec_b64 s[16:17], s[14:15]
	s_xor_b64 s[34:35], exec, s[16:17]
	s_cbranch_execz .LBB15_137
; %bb.128:                              ;   in Loop: Header=BB15_4 Depth=1
	v_cmp_nlt_f32_e64 s[14:15], |v61|, s46
                                        ; implicit-def: $vgpr67
	s_and_saveexec_b64 s[16:17], s[14:15]
	s_xor_b64 s[36:37], exec, s[16:17]
	s_cbranch_execz .LBB15_134
; %bb.129:                              ;   in Loop: Header=BB15_4 Depth=1
	v_cmp_nlt_f32_e64 s[14:15], |v61|, s47
                                        ; implicit-def: $vgpr67
	s_and_saveexec_b64 s[16:17], s[14:15]
	s_xor_b64 s[38:39], exec, s[16:17]
	s_cbranch_execz .LBB15_131
; %bb.130:                              ;   in Loop: Header=BB15_4 Depth=1
	v_cmp_lt_f32_e64 s[14:15], |v61|, s48
	v_cndmask_b32_e64 v67, 1.0, v54, s[14:15]
	v_mul_f32_e64 v67, |v61|, v67
	v_log_f32_e32 v67, v67
	v_mul_f32_e32 v68, 0x3f317217, v67
	v_fma_f32 v69, v67, s49, -v68
	v_fmac_f32_e32 v69, 0x3377d1cf, v67
	v_add_f32_e32 v68, v68, v69
	v_cmp_lt_f32_e64 s[16:17], |v67|, s50
	v_cndmask_b32_e64 v67, v67, v68, s[16:17]
	v_cndmask_b32_e64 v68, 0, v55, s[14:15]
	v_sub_f32_e32 v67, v67, v68
	v_fma_f32 v67, |v61|, v67, -|v61|
.LBB15_131:                             ;   in Loop: Header=BB15_4 Depth=1
	s_andn2_saveexec_b64 s[38:39], s[38:39]
	s_cbranch_execz .LBB15_133
; %bb.132:                              ;   in Loop: Header=BB15_4 Depth=1
	v_rcp_f32_e64 v67, |v61|
	v_cmp_lt_f32_e64 s[14:15], |v61|, s48
	v_cndmask_b32_e64 v69, 1.0, v54, s[14:15]
	v_mov_b32_e32 v68, 0x3a5b3dd2
	v_mul_f32_e32 v70, v67, v67
	v_mul_f32_e64 v69, |v61|, v69
	v_fmac_f32_e32 v68, 0xbad5c4e8, v70
	v_log_f32_e32 v69, v69
	v_fma_f32 v68, v70, v68, v11
	v_fma_f32 v68, v70, v68, v12
	v_fma_f32 v68, v70, v68, v13
	v_fma_f32 v68, v70, v68, v14
	v_mul_f32_e32 v70, 0x3f317217, v69
	v_fma_f32 v71, v69, s49, -v70
	v_fmac_f32_e32 v71, 0x3377d1cf, v69
	v_add_f32_e32 v70, v70, v71
	v_cmp_lt_f32_e64 s[16:17], |v69|, s50
	v_cndmask_b32_e64 v69, v69, v70, s[16:17]
	v_cndmask_b32_e64 v70, 0, v55, s[14:15]
	v_sub_f32_e32 v69, v69, v70
	v_fma_f32 v67, v67, v68, v15
	v_add_f32_e64 v68, |v61|, -0.5
	v_add_f32_e32 v69, -1.0, v69
	v_fmac_f32_e32 v67, v68, v69
.LBB15_133:                             ;   in Loop: Header=BB15_4 Depth=1
	s_or_b64 exec, exec, s[38:39]
.LBB15_134:                             ;   in Loop: Header=BB15_4 Depth=1
	s_andn2_saveexec_b64 s[36:37], s[36:37]
	s_cbranch_execz .LBB15_136
; %bb.135:                              ;   in Loop: Header=BB15_4 Depth=1
	v_cvt_i32_f32_e32 v67, v66
	v_mov_b32_e32 v69, 0x3af135b4
	v_mov_b32_e32 v70, 0x3a4beed6
	v_cvt_f32_i32_e32 v68, v67
	v_cmp_lt_i32_e64 s[14:15], 3, v67
	v_sub_f32_e64 v68, |v61|, v68
	v_fmac_f32_e32 v69, 0x3805ff67, v68
	v_fmac_f32_e32 v70, 0x36f5d7bd, v68
	v_fma_f32 v69, v68, v69, v16
	v_fma_f32 v70, v68, v70, v21
	;; [unrolled: 1-line block ×9, first 2 shown]
	v_fma_f32 v70, v68, v70, 1.0
	v_rcp_f32_e32 v72, v70
	v_pk_add_f32 v[70:71], v[68:69], s[30:31] op_sel_hi:[0,1]
	v_cndmask_b32_e64 v71, 1.0, v71, s[14:15]
	v_cmp_lt_i32_e64 s[14:15], 2, v67
	v_add_f32_e32 v73, 4.0, v68
	v_cndmask_b32_e64 v70, 1.0, v70, s[14:15]
	v_cmp_lt_i32_e64 s[14:15], 4, v67
	v_add_f32_e32 v74, 0x40a00000, v68
	v_mul_f32_e32 v70, v70, v71
	v_cndmask_b32_e64 v71, 1.0, v73, s[14:15]
	v_cmp_lt_i32_e64 s[14:15], 5, v67
	v_add_f32_e32 v75, 0x40c00000, v68
	v_mul_f32_e32 v70, v71, v70
	v_cndmask_b32_e64 v71, 1.0, v74, s[14:15]
	v_cmp_lt_i32_e64 s[14:15], 6, v67
	v_mul_f32_e32 v70, v71, v70
	v_cndmask_b32_e64 v67, 1.0, v75, s[14:15]
	v_mul_f32_e32 v67, v67, v70
	v_cmp_gt_f32_e64 s[14:15], s48, v67
	v_cndmask_b32_e64 v70, 1.0, v54, s[14:15]
	v_mul_f32_e32 v67, v67, v70
	v_log_f32_e32 v67, v67
	v_mul_f32_e32 v69, v68, v69
	v_mul_f32_e32 v69, v69, v72
	v_fmac_f32_e32 v69, 0.5, v68
	v_mul_f32_e32 v68, 0x3f317217, v67
	v_fma_f32 v70, v67, s49, -v68
	v_fmac_f32_e32 v70, 0x3377d1cf, v67
	v_add_f32_e32 v68, v68, v70
	v_cmp_lt_f32_e64 s[16:17], |v67|, s50
	v_cndmask_b32_e64 v67, v67, v68, s[16:17]
	v_cndmask_b32_e64 v68, 0, v55, s[14:15]
	v_sub_f32_e32 v67, v67, v68
	v_add_f32_e32 v67, v67, v69
.LBB15_136:                             ;   in Loop: Header=BB15_4 Depth=1
	s_or_b64 exec, exec, s[36:37]
.LBB15_137:                             ;   in Loop: Header=BB15_4 Depth=1
	s_andn2_saveexec_b64 s[16:17], s[34:35]
	s_cbranch_execz .LBB15_155
; %bb.138:                              ;   in Loop: Header=BB15_4 Depth=1
	v_cmp_le_f32_e64 s[14:15], |v61|, s51
                                        ; implicit-def: $vgpr67
                                        ; implicit-def: $vgpr69
                                        ; implicit-def: $vgpr68
	s_and_saveexec_b64 s[34:35], s[14:15]
	s_xor_b64 s[34:35], exec, s[34:35]
	s_cbranch_execz .LBB15_140
; %bb.139:                              ;   in Loop: Header=BB15_4 Depth=1
	v_cmp_lt_f32_e64 s[14:15], |v61|, s48
	v_cndmask_b32_e64 v67, 1.0, v54, s[14:15]
	v_mul_f32_e64 v67, |v61|, v67
	v_log_f32_e32 v67, v67
	v_cndmask_b32_e64 v68, 0, v55, s[14:15]
	v_mul_f32_e32 v69, 0x3f317217, v67
	v_fma_f32 v70, v67, s49, -v69
	v_fmac_f32_e32 v70, 0x3377d1cf, v67
	v_add_f32_e32 v69, v69, v70
	v_cmp_lt_f32_e64 s[14:15], |v67|, s50
	v_cndmask_b32_e64 v67, v67, v69, s[14:15]
	v_sub_f32_e32 v67, v67, v68
	v_sub_f32_e64 v68, 1.0, |v61|
	v_add_f32_e64 v69, |v61|, s54
	v_cmp_lt_f32_e64 s[14:15], |v61|, s53
	v_cndmask_b32_e64 v68, v68, v69, s[14:15]
	v_cndmask_b32_e64 v69, 0, 1, s[14:15]
	v_cmp_lt_f32_e64 s[14:15], |v61|, s55
	v_xor_b32_e32 v67, 0x80000000, v67
	v_cndmask_b32_e64 v68, v68, |v61|, s[14:15]
	v_cndmask_b32_e64 v69, v69, 2, s[14:15]
.LBB15_140:                             ;   in Loop: Header=BB15_4 Depth=1
	s_andn2_saveexec_b64 s[34:35], s[34:35]
; %bb.141:                              ;   in Loop: Header=BB15_4 Depth=1
	v_sub_f32_e64 v67, 2.0, |v61|
	v_add_f32_e64 v68, |v61|, s57
	v_cmp_lt_f32_e64 s[14:15], |v61|, s56
	v_cndmask_b32_e64 v68, v67, v68, s[14:15]
	v_cndmask_b32_e64 v67, v67, 1.0, s[14:15]
	v_cvt_i32_f32_e32 v67, v67
	v_add_f32_e64 v69, |v61|, -1.0
	v_cmp_lt_f32_e64 s[14:15], |v61|, s58
	v_cndmask_b32_e64 v68, v68, v69, s[14:15]
	v_cndmask_b32_e64 v69, v67, 2, s[14:15]
	v_mov_b32_e32 v67, 0
; %bb.142:                              ;   in Loop: Header=BB15_4 Depth=1
	s_or_b64 exec, exec, s[34:35]
	v_cmp_lt_i32_e64 s[14:15], 0, v69
	s_and_saveexec_b64 s[34:35], s[14:15]
	s_xor_b64 s[34:35], exec, s[34:35]
	s_cbranch_execz .LBB15_150
; %bb.143:                              ;   in Loop: Header=BB15_4 Depth=1
	v_cmp_lt_i32_e64 s[14:15], 1, v69
	s_and_saveexec_b64 s[36:37], s[14:15]
	s_xor_b64 s[36:37], exec, s[36:37]
	s_cbranch_execz .LBB15_147
; %bb.144:                              ;   in Loop: Header=BB15_4 Depth=1
	v_cmp_eq_u32_e64 s[14:15], 2, v69
	s_and_saveexec_b64 s[38:39], s[14:15]
	s_cbranch_execz .LBB15_146
; %bb.145:                              ;   in Loop: Header=BB15_4 Depth=1
	v_mov_b32_e32 v70, 0x3dd572af
	v_fmac_f32_e32 v70, 0x3b52d5db, v68
	v_fma_f32 v70, v68, v70, v28
	v_mov_b32_e32 v69, 0x3e6a7578
	v_fma_f32 v70, v68, v70, v29
	v_fmac_f32_e32 v69, 0x3c5b3c5e, v68
	v_fma_f32 v70, v68, v70, v30
	v_fma_f32 v69, v68, v69, v25
	v_fma_f32 v70, v68, v70, 1.0
	v_fma_f32 v69, v68, v69, v26
	v_rcp_f32_e32 v70, v70
	v_fma_f32 v69, v68, v69, v27
	v_fma_f32 v69, v68, v69, v20
	v_mul_f32_e32 v69, v68, v69
	v_mul_f32_e32 v69, v69, v70
	v_fmac_f32_e32 v69, -0.5, v68
	v_add_f32_e32 v67, v67, v69
.LBB15_146:                             ;   in Loop: Header=BB15_4 Depth=1
	s_or_b64 exec, exec, s[38:39]
                                        ; implicit-def: $vgpr68
.LBB15_147:                             ;   in Loop: Header=BB15_4 Depth=1
	s_andn2_saveexec_b64 s[14:15], s[36:37]
	s_cbranch_execz .LBB15_149
; %bb.148:                              ;   in Loop: Header=BB15_4 Depth=1
	v_mul_f32_e32 v69, v68, v68
	v_mul_f32_e32 v70, v68, v69
	v_mov_b32_e32 v72, 0x3a66f867
	v_mov_b32_e32 v73, 0xba0d3085
	v_fmac_f32_e32 v72, 0xb9a3f927, v70
	v_fmac_f32_e32 v73, 0x39afe9f7, v70
	v_mov_b32_e32 v71, 0xbab7f476
	v_fma_f32 v72, v70, v72, v34
	v_fma_f32 v73, v70, v73, v37
	v_fmac_f32_e32 v71, 0x39a57b6b, v70
	v_fma_f32 v72, v70, v72, v35
	v_fma_f32 v73, v70, v73, v38
	;; [unrolled: 1-line block ×6, first 2 shown]
	v_fmac_f32_e32 v72, v68, v73
	v_fma_f32 v71, v70, v71, v33
	v_fma_f32 v68, v70, -v72, s59
	v_fma_f32 v68, v69, v71, -v68
	v_add_f32_e32 v68, 0xbdf8cdce, v68
	v_add_f32_e32 v67, v67, v68
.LBB15_149:                             ;   in Loop: Header=BB15_4 Depth=1
	s_or_b64 exec, exec, s[14:15]
                                        ; implicit-def: $vgpr69
                                        ; implicit-def: $vgpr68
.LBB15_150:                             ;   in Loop: Header=BB15_4 Depth=1
	s_andn2_saveexec_b64 s[34:35], s[34:35]
	s_cbranch_execz .LBB15_154
; %bb.151:                              ;   in Loop: Header=BB15_4 Depth=1
	v_cmp_eq_u32_e64 s[14:15], 0, v69
	s_and_saveexec_b64 s[36:37], s[14:15]
	s_cbranch_execz .LBB15_153
; %bb.152:                              ;   in Loop: Header=BB15_4 Depth=1
	v_mul_f32_e32 v69, v68, v68
	v_mov_b32_e32 v71, 0x38e28445
	v_mov_b32_e32 v70, 0x39679767
	v_fmac_f32_e32 v71, 0x383c2c75, v69
	v_fmac_f32_e32 v70, 0x37d383a2, v69
	v_fma_f32 v71, v69, v71, v44
	v_fma_f32 v70, v69, v70, v40
	;; [unrolled: 1-line block ×8, first 2 shown]
	v_mul_f32_e32 v69, v69, v71
	v_fmac_f32_e32 v69, v68, v70
	v_fmac_f32_e32 v69, -0.5, v68
	v_add_f32_e32 v67, v67, v69
.LBB15_153:                             ;   in Loop: Header=BB15_4 Depth=1
	s_or_b64 exec, exec, s[36:37]
.LBB15_154:                             ;   in Loop: Header=BB15_4 Depth=1
	s_or_b64 exec, exec, s[34:35]
.LBB15_155:                             ;   in Loop: Header=BB15_4 Depth=1
	s_or_b64 exec, exec, s[16:17]
.LBB15_156:                             ;   in Loop: Header=BB15_4 Depth=1
	s_andn2_saveexec_b64 s[18:19], s[18:19]
	s_cbranch_execz .LBB15_158
; %bb.157:                              ;   in Loop: Header=BB15_4 Depth=1
	v_cmp_lt_f32_e64 s[14:15], |v61|, s48
	v_cndmask_b32_e64 v67, 1.0, v54, s[14:15]
	v_mul_f32_e64 v67, |v61|, v67
	v_log_f32_e32 v67, v67
	v_fma_f32 v68, |v61|, s60, v56
	v_fma_f32 v68, |v61|, v68, s61
	;; [unrolled: 1-line block ×3, first 2 shown]
	v_mul_f32_e32 v69, 0x3f317217, v67
	v_fma_f32 v70, v67, s49, -v69
	v_fmac_f32_e32 v70, 0x3377d1cf, v67
	v_add_f32_e32 v69, v69, v70
	v_cmp_lt_f32_e64 s[16:17], |v67|, s50
	v_cndmask_b32_e64 v67, v67, v69, s[16:17]
	v_cndmask_b32_e64 v69, 0, v55, s[14:15]
	v_sub_f32_e32 v67, v67, v69
	v_fma_f32 v67, |v61|, v68, -v67
.LBB15_158:                             ;   in Loop: Header=BB15_4 Depth=1
	s_or_b64 exec, exec, s[18:19]
	v_cmp_le_f32_e64 s[14:15], 0, v61
	v_cmp_nle_f32_e64 s[16:17], 0, v61
	s_and_saveexec_b64 s[18:19], s[16:17]
	s_xor_b64 s[34:35], exec, s[18:19]
	s_cbranch_execnz .LBB15_164
; %bb.159:                              ;   in Loop: Header=BB15_4 Depth=1
	s_andn2_saveexec_b64 s[34:35], s[34:35]
	s_cbranch_execnz .LBB15_167
.LBB15_160:                             ;   in Loop: Header=BB15_4 Depth=1
	s_or_b64 exec, exec, s[34:35]
	s_and_saveexec_b64 s[16:17], s[6:7]
	s_xor_b64 s[16:17], exec, s[16:17]
	s_cbranch_execnz .LBB15_168
.LBB15_161:                             ;   in Loop: Header=BB15_4 Depth=1
	s_or_b64 exec, exec, s[16:17]
	s_and_saveexec_b64 s[6:7], s[2:3]
	s_cbranch_execnz .LBB15_169
.LBB15_162:                             ;   in Loop: Header=BB15_4 Depth=1
	s_or_b64 exec, exec, s[6:7]
	s_and_saveexec_b64 s[2:3], s[0:1]
	s_cbranch_execnz .LBB15_170
.LBB15_163:                             ;   in Loop: Header=BB15_4 Depth=1
	s_or_b64 exec, exec, s[2:3]
	s_and_saveexec_b64 s[0:1], vcc
	s_cbranch_execz .LBB15_3
	s_branch .LBB15_171
.LBB15_164:                             ;   in Loop: Header=BB15_4 Depth=1
	v_cmp_lt_f32_e64 s[16:17], |v61|, s63
	v_cmp_gt_f32_e64 s[18:19], |v61|, s64
	s_and_b64 s[16:17], s[16:17], s[18:19]
	s_and_saveexec_b64 s[36:37], s[16:17]
	s_cbranch_execz .LBB15_166
; %bb.165:                              ;   in Loop: Header=BB15_4 Depth=1
	v_mul_f32_e64 v68, |v61|, 0.5
	v_floor_f32_e32 v69, v68
	v_sub_f32_e32 v69, v68, v69
	v_min_f32_e32 v69, 0x3f7fffff, v69
	v_add_f32_e32 v69, v69, v69
	v_cmp_neq_f32_e64 s[16:17], s50, v68
	v_cndmask_b32_e64 v68, 0, v69, s[16:17]
	v_cmp_gt_f32_e64 s[16:17], |v61|, 1.0
	v_cndmask_b32_e64 v68, |v61|, v68, s[16:17]
	v_add_f32_e32 v69, v68, v68
	v_rndne_f32_e32 v69, v69
	v_fmac_f32_e32 v68, -0.5, v69
	v_mul_f32_e32 v70, v68, v68
	v_mov_b32_e32 v71, 0xbf1f24be
	v_fmac_f32_e32 v71, 0x3e75aa41, v70
	v_fma_f32 v71, v70, v71, v48
	v_fma_f32 v71, v70, v71, v49
	v_mul_f32_e32 v72, v68, v70
	v_mul_f32_e32 v71, v72, v71
	v_fmac_f32_e32 v71, 0x40490fdb, v68
	v_mov_b32_e32 v68, 0x3e642e9d
	v_cvt_i32_f32_e32 v69, v69
	v_fmac_f32_e32 v68, 0x3d4be544, v70
	v_fma_f32 v68, v70, v68, v50
	v_fma_f32 v68, v70, v68, v51
	;; [unrolled: 1-line block ×3, first 2 shown]
	v_fma_f32 v68, v70, v68, 1.0
	v_and_b32_e32 v70, 1, v69
	v_cmp_eq_u32_e64 s[16:17], 0, v70
	v_lshlrev_b32_e32 v69, 30, v69
	v_cndmask_b32_e64 v68, v68, v71, s[16:17]
	v_and_or_b32 v66, v69, s52, v66
	v_xor_b32_e32 v66, v66, v68
	v_xor_b32_e32 v66, v66, v61
	v_mul_f32_e32 v66, v61, v66
	v_frexp_mant_f32_e64 v68, |v66|
	v_rcp_f32_e32 v68, v68
	v_frexp_exp_i32_f32_e32 v66, v66
	v_sub_u32_e32 v66, 2, v66
	v_mul_f32_e32 v68, 0x3f490fdb, v68
	v_ldexp_f32 v66, v68, v66
	v_cmp_gt_f32_e64 s[16:17], s48, v66
	v_cndmask_b32_e64 v68, 1.0, v54, s[16:17]
	v_mul_f32_e32 v66, v66, v68
	v_log_f32_e32 v66, v66
	v_mul_f32_e32 v68, 0x3f317217, v66
	v_fma_f32 v69, v66, s49, -v68
	v_fmac_f32_e32 v69, 0x3377d1cf, v66
	v_add_f32_e32 v68, v68, v69
	v_cmp_lt_f32_e64 s[18:19], |v66|, s50
	v_cndmask_b32_e64 v66, v66, v68, s[18:19]
	v_cndmask_b32_e64 v68, 0, v55, s[16:17]
	v_sub_f32_e32 v66, v66, v68
	v_sub_f32_e32 v66, v66, v67
	v_floor_f32_e32 v67, v61
	v_sub_f32_e32 v67, v61, v67
	v_min_f32_e32 v67, 0x3f7fffff, v67
	v_cmp_neq_f32_e64 s[16:17], 0, v67
	v_cndmask_b32_e64 v67, v57, v66, s[16:17]
.LBB15_166:                             ;   in Loop: Header=BB15_4 Depth=1
	s_or_b64 exec, exec, s[36:37]
	s_andn2_saveexec_b64 s[34:35], s[34:35]
	s_cbranch_execz .LBB15_160
.LBB15_167:                             ;   in Loop: Header=BB15_4 Depth=1
	v_cmp_eq_f32_e64 s[16:17], 1.0, v61
	v_cmp_eq_f32_e64 s[18:19], 2.0, v61
	s_or_b64 s[16:17], s[16:17], s[18:19]
	v_cndmask_b32_e64 v67, v67, 0, s[16:17]
	s_or_b64 exec, exec, s[34:35]
	s_and_saveexec_b64 s[16:17], s[6:7]
	s_xor_b64 s[16:17], exec, s[16:17]
	s_cbranch_execz .LBB15_161
.LBB15_168:                             ;   in Loop: Header=BB15_4 Depth=1
	v_cmp_lt_f32_e64 s[6:7], |v59|, s63
	s_or_b64 s[6:7], s[8:9], s[6:7]
	v_cndmask_b32_e64 v60, v57, v60, s[6:7]
	v_cmp_class_f32_e64 s[6:7], v59, v53
	v_cndmask_b32_e64 v60, v60, v57, s[6:7]
	v_cmp_u_f32_e64 s[6:7], v59, v59
	v_cndmask_b32_e64 v59, v60, v59, s[6:7]
	v_bfe_u32 v60, v59, 16, 1
	v_add3_u32 v60, v59, v60, s65
	v_lshrrev_b32_e32 v60, 16, v60
	v_cmp_o_f32_e64 s[6:7], v59, v59
	v_cndmask_b32_e64 v59, v58, v60, s[6:7]
	global_store_short v[2:3], v59, off
	s_or_b64 exec, exec, s[16:17]
	s_and_saveexec_b64 s[6:7], s[2:3]
	s_cbranch_execz .LBB15_162
.LBB15_169:                             ;   in Loop: Header=BB15_4 Depth=1
	v_cmp_lt_f32_e64 s[2:3], |v62|, s63
	s_or_b64 s[2:3], s[10:11], s[2:3]
	v_cndmask_b32_e64 v59, v57, v63, s[2:3]
	v_cmp_class_f32_e64 s[2:3], v62, v53
	v_cndmask_b32_e64 v59, v59, v57, s[2:3]
	v_cmp_u_f32_e64 s[2:3], v62, v62
	v_cndmask_b32_e64 v59, v59, v62, s[2:3]
	v_bfe_u32 v60, v59, 16, 1
	v_add3_u32 v60, v59, v60, s65
	v_lshrrev_b32_e32 v60, 16, v60
	v_cmp_o_f32_e64 s[2:3], v59, v59
	v_cndmask_b32_e64 v59, v58, v60, s[2:3]
	global_store_short v[4:5], v59, off
	s_or_b64 exec, exec, s[6:7]
	s_and_saveexec_b64 s[2:3], s[0:1]
	s_cbranch_execz .LBB15_163
.LBB15_170:                             ;   in Loop: Header=BB15_4 Depth=1
	v_cmp_lt_f32_e64 s[0:1], |v64|, s63
	s_or_b64 s[0:1], s[12:13], s[0:1]
	v_cndmask_b32_e64 v59, v57, v65, s[0:1]
	v_cmp_class_f32_e64 s[0:1], v64, v53
	v_cndmask_b32_e64 v59, v59, v57, s[0:1]
	v_cmp_u_f32_e64 s[0:1], v64, v64
	v_cndmask_b32_e64 v59, v59, v64, s[0:1]
	v_bfe_u32 v60, v59, 16, 1
	v_add3_u32 v60, v59, v60, s65
	v_lshrrev_b32_e32 v60, 16, v60
	v_cmp_o_f32_e64 s[0:1], v59, v59
	v_cndmask_b32_e64 v59, v58, v60, s[0:1]
	v_mov_b32_e32 v60, s33
	v_add_co_u32_e64 v62, s[0:1], s40, v2
	v_addc_co_u32_e64 v63, s[0:1], v3, v60, s[0:1]
	global_store_short v[62:63], v59, off
	s_or_b64 exec, exec, s[2:3]
	s_and_saveexec_b64 s[0:1], vcc
	s_cbranch_execz .LBB15_3
.LBB15_171:                             ;   in Loop: Header=BB15_4 Depth=1
	v_cmp_lt_f32_e64 s[2:3], |v61|, s63
	s_or_b64 vcc, s[14:15], s[2:3]
	v_cndmask_b32_e32 v59, v57, v67, vcc
	v_cmp_class_f32_e32 vcc, v61, v53
	v_cndmask_b32_e32 v59, v59, v57, vcc
	v_cmp_u_f32_e32 vcc, v61, v61
	v_cndmask_b32_e32 v59, v59, v61, vcc
	v_bfe_u32 v60, v59, 16, 1
	v_add3_u32 v60, v59, v60, s65
	v_lshrrev_b32_e32 v60, 16, v60
	v_cmp_o_f32_e32 vcc, v59, v59
	v_cndmask_b32_e32 v59, v58, v60, vcc
	v_mov_b32_e32 v61, s44
	v_add_co_u32_e32 v60, vcc, s43, v2
	v_addc_co_u32_e32 v61, vcc, v3, v61, vcc
	global_store_short v[60:61], v59, off
	s_branch .LBB15_3
.LBB15_172:
	s_cbranch_execz .LBB15_174
	s_branch .LBB15_329
.LBB15_173:
.LBB15_174:
	v_mov_b32_e32 v3, 0
	v_lshlrev_b32_e32 v2, 2, v0
	s_mov_b32 s26, 0
	v_cmp_gt_i64_e32 vcc, s[20:21], v[2:3]
	s_and_saveexec_b64 s[0:1], vcc
	s_cbranch_execz .LBB15_329
; %bb.175:
	s_load_dword s0, s[4:5], 0xd3c
	v_lshlrev_b32_e32 v1, 3, v0
	s_mov_b32 s12, 2.0
	s_mov_b32 s27, s26
	s_mov_b64 s[10:11], 0
	s_waitcnt lgkmcnt(0)
	s_and_b32 s0, s0, 0xffff
	s_add_u32 s1, s22, s24
	s_addc_u32 s2, s23, s25
	v_mov_b32_e32 v2, s2
	v_add_co_u32_e32 v4, vcc, s1, v1
	v_addc_co_u32_e32 v5, vcc, 0, v2, vcc
	s_lshl_b32 s24, s0, 3
	v_add_lshl_u32 v2, v0, s0, 2
	s_lshl_b32 s25, s0, 2
	s_mov_b32 s28, 0x3c800000
	s_mov_b32 s13, 0x40400000
	;; [unrolled: 1-line block ×7, first 2 shown]
	v_mov_b32_e32 v6, 0xba1c065c
	v_mov_b32_e32 v7, 0x3a500cfd
	;; [unrolled: 1-line block ×14, first 2 shown]
	s_mov_b32 s35, 0x3f666666
	s_brev_b32 s36, 1
	s_mov_b32 s37, 0x3f3b4a23
	s_mov_b32 s38, 0xbeec5b0c
	;; [unrolled: 1-line block ×6, first 2 shown]
	v_mov_b32_e32 v20, 0x3f7a4bb2
	v_mov_b32_e32 v21, 0x3fba3ae7
	;; [unrolled: 1-line block ×15, first 2 shown]
	s_mov_b32 s43, 0xa2863e55
	v_mov_b32_e32 v35, 0x3a9c54a1
	v_mov_b32_e32 v36, 0x3bf2027e
	;; [unrolled: 1-line block ×8, first 2 shown]
	s_mov_b32 s44, 0x3e8a8991
	s_mov_b32 s45, 0x3f528d33
	;; [unrolled: 1-line block ×5, first 2 shown]
	v_mov_b32_e32 v43, 0x40234736
	v_mov_b32_e32 v44, 0xc0a55e0e
	;; [unrolled: 1-line block ×6, first 2 shown]
	s_movk_i32 s49, 0x7fff
	s_mov_b64 s[14:15], 0xffff
	v_mov_b32_e32 v49, 0x4f800000
	v_mov_b32_e32 v50, 0x41b17218
	;; [unrolled: 1-line block ×6, first 2 shown]
	s_branch .LBB15_177
.LBB15_176:                             ;   in Loop: Header=BB15_177 Depth=1
	s_or_b64 exec, exec, s[16:17]
	v_cmp_lt_f32_e64 s[6:7], |v0|, s47
	s_or_b64 s[2:3], s[2:3], s[6:7]
	v_cndmask_b32_e64 v59, v52, v59, s[2:3]
	v_cmp_class_f32_e64 s[2:3], v0, v48
	v_cndmask_b32_e64 v59, v59, v52, s[2:3]
	v_cmp_u_f32_e64 s[2:3], v0, v0
	v_cndmask_b32_e64 v0, v59, v0, s[2:3]
	v_cmp_lt_f32_e64 s[2:3], |v57|, s47
	s_or_b64 s[0:1], s[0:1], s[2:3]
	v_cndmask_b32_e64 v58, v52, v58, s[0:1]
	v_cmp_class_f32_e64 s[0:1], v57, v48
	v_cndmask_b32_e64 v58, v58, v52, s[0:1]
	v_cmp_u_f32_e64 s[0:1], v57, v57
	v_cndmask_b32_e64 v57, v58, v57, s[0:1]
	v_cmp_lt_f32_e64 s[0:1], |v55|, s47
	s_or_b64 vcc, vcc, s[0:1]
	v_cndmask_b32_e32 v56, v52, v56, vcc
	v_cmp_class_f32_e32 vcc, v55, v48
	v_cndmask_b32_e32 v56, v56, v52, vcc
	v_cmp_u_f32_e32 vcc, v55, v55
	v_cmp_lt_f32_e64 s[0:1], |v1|, s47
	v_cndmask_b32_e32 v55, v56, v55, vcc
	s_or_b64 vcc, s[4:5], s[0:1]
	v_cndmask_b32_e32 v60, v52, v61, vcc
	v_cmp_class_f32_e32 vcc, v1, v48
	v_cndmask_b32_e32 v60, v60, v52, vcc
	v_cmp_u_f32_e32 vcc, v1, v1
	v_cndmask_b32_e32 v1, v60, v1, vcc
	v_bfe_u32 v60, v1, 16, 1
	v_bfe_u32 v59, v0, 16, 1
	v_add3_u32 v60, v1, v60, s49
	v_add3_u32 v59, v0, v59, s49
	v_bfe_u32 v58, v57, 16, 1
	v_and_b32_e32 v60, 0xffff0000, v60
	v_cmp_o_f32_e32 vcc, v1, v1
	v_lshrrev_b32_e32 v59, 16, v59
	v_add3_u32 v58, v57, v58, s49
	v_bfe_u32 v56, v55, 16, 1
	v_cndmask_b32_e32 v1, v53, v60, vcc
	v_cmp_o_f32_e32 vcc, v0, v0
	v_and_b32_e32 v58, 0xffff0000, v58
	v_add3_u32 v56, v55, v56, s49
	v_cndmask_b32_e32 v0, v54, v59, vcc
	v_cmp_o_f32_e32 vcc, v57, v57
	v_lshrrev_b32_e32 v56, 16, v56
	v_cndmask_b32_e32 v57, v53, v58, vcc
	v_cmp_o_f32_e32 vcc, v55, v55
	v_cndmask_b32_e32 v55, v54, v56, vcc
	v_or_b32_e32 v55, v57, v55
	v_or3_b32 v1, 0, v0, v1
	v_or3_b32 v0, v55, 0, 0
	v_cmp_le_i64_e32 vcc, s[20:21], v[2:3]
	v_cmp_lt_u64_e64 s[0:1], s[14:15], v[2:3]
	global_store_dwordx2 v[4:5], v[0:1], off
	s_or_b64 s[0:1], vcc, s[0:1]
	v_mov_b32_e32 v0, s26
	v_add_co_u32_e32 v4, vcc, s24, v4
	v_addc_co_u32_e32 v5, vcc, v5, v0, vcc
	v_mov_b32_e32 v0, s27
	s_and_b64 s[0:1], exec, s[0:1]
	v_add_co_u32_e32 v2, vcc, s25, v2
	s_or_b64 s[10:11], s[0:1], s[10:11]
	v_addc_co_u32_e32 v3, vcc, v3, v0, vcc
	s_andn2_b64 exec, exec, s[10:11]
	s_cbranch_execz .LBB15_329
.LBB15_177:                             ; =>This Inner Loop Header: Depth=1
	global_load_dwordx2 v[0:1], v[4:5], off
                                        ; implicit-def: $vgpr56
	s_waitcnt vmcnt(0)
	v_lshlrev_b32_e32 v55, 16, v0
	v_and_b32_e32 v57, 0x7fffffff, v55
	v_cmp_nlt_f32_e64 s[0:1], |v55|, s28
	s_and_saveexec_b64 s[2:3], s[0:1]
	s_xor_b64 s[2:3], exec, s[2:3]
	s_cbranch_execz .LBB15_207
; %bb.178:                              ;   in Loop: Header=BB15_177 Depth=1
	v_cmp_nlt_f32_e64 s[0:1], |v55|, 2.0
                                        ; implicit-def: $vgpr56
	s_and_saveexec_b64 s[4:5], s[0:1]
	s_xor_b64 s[4:5], exec, s[4:5]
	s_cbranch_execz .LBB15_188
; %bb.179:                              ;   in Loop: Header=BB15_177 Depth=1
	v_cmp_nlt_f32_e64 s[0:1], |v55|, s29
                                        ; implicit-def: $vgpr56
	s_and_saveexec_b64 s[6:7], s[0:1]
	s_xor_b64 s[6:7], exec, s[6:7]
	s_cbranch_execz .LBB15_185
; %bb.180:                              ;   in Loop: Header=BB15_177 Depth=1
	v_cmp_nlt_f32_e64 s[0:1], |v55|, s30
                                        ; implicit-def: $vgpr56
	s_and_saveexec_b64 s[8:9], s[0:1]
	s_xor_b64 s[8:9], exec, s[8:9]
	s_cbranch_execz .LBB15_182
; %bb.181:                              ;   in Loop: Header=BB15_177 Depth=1
	v_cmp_lt_f32_e64 vcc, |v55|, s31
	v_cndmask_b32_e32 v56, 1.0, v49, vcc
	v_mul_f32_e64 v56, |v55|, v56
	v_log_f32_e32 v56, v56
	v_mul_f32_e32 v58, 0x3f317217, v56
	v_fma_f32 v59, v56, s33, -v58
	v_fmac_f32_e32 v59, 0x3377d1cf, v56
	v_add_f32_e32 v58, v58, v59
	v_cmp_lt_f32_e64 s[0:1], |v56|, s34
	v_cndmask_b32_e64 v56, v56, v58, s[0:1]
	v_cndmask_b32_e32 v58, 0, v50, vcc
	v_sub_f32_e32 v56, v56, v58
	v_fma_f32 v56, |v55|, v56, -|v55|
.LBB15_182:                             ;   in Loop: Header=BB15_177 Depth=1
	s_andn2_saveexec_b64 s[8:9], s[8:9]
	s_cbranch_execz .LBB15_184
; %bb.183:                              ;   in Loop: Header=BB15_177 Depth=1
	v_rcp_f32_e64 v56, |v55|
	v_cmp_lt_f32_e64 vcc, |v55|, s31
	v_cndmask_b32_e32 v59, 1.0, v49, vcc
	v_mov_b32_e32 v58, 0x3a5b3dd2
	v_mul_f32_e32 v60, v56, v56
	v_mul_f32_e64 v59, |v55|, v59
	v_fmac_f32_e32 v58, 0xbad5c4e8, v60
	v_log_f32_e32 v59, v59
	v_fma_f32 v58, v60, v58, v6
	v_fma_f32 v58, v60, v58, v7
	;; [unrolled: 1-line block ×4, first 2 shown]
	v_mul_f32_e32 v60, 0x3f317217, v59
	v_fma_f32 v61, v59, s33, -v60
	v_fmac_f32_e32 v61, 0x3377d1cf, v59
	v_add_f32_e32 v60, v60, v61
	v_cmp_lt_f32_e64 s[0:1], |v59|, s34
	v_cndmask_b32_e64 v59, v59, v60, s[0:1]
	v_cndmask_b32_e32 v60, 0, v50, vcc
	v_sub_f32_e32 v59, v59, v60
	v_fma_f32 v56, v56, v58, v10
	v_add_f32_e64 v58, |v55|, -0.5
	v_add_f32_e32 v59, -1.0, v59
	v_fmac_f32_e32 v56, v58, v59
.LBB15_184:                             ;   in Loop: Header=BB15_177 Depth=1
	s_or_b64 exec, exec, s[8:9]
.LBB15_185:                             ;   in Loop: Header=BB15_177 Depth=1
	s_andn2_saveexec_b64 s[6:7], s[6:7]
	s_cbranch_execz .LBB15_187
; %bb.186:                              ;   in Loop: Header=BB15_177 Depth=1
	v_cvt_i32_f32_e32 v60, v57
	v_mov_b32_e32 v58, 0x3af135b4
	v_mov_b32_e32 v59, 0x3a4beed6
	v_cvt_f32_i32_e32 v56, v60
	v_cmp_lt_i32_e32 vcc, 3, v60
	v_sub_f32_e64 v56, |v55|, v56
	v_fmac_f32_e32 v58, 0x3805ff67, v56
	v_fmac_f32_e32 v59, 0x36f5d7bd, v56
	v_fma_f32 v58, v56, v58, v11
	v_fma_f32 v59, v56, v59, v16
	;; [unrolled: 1-line block ×9, first 2 shown]
	v_fma_f32 v58, v56, v58, 1.0
	v_rcp_f32_e32 v62, v58
	v_pk_add_f32 v[58:59], v[56:57], s[12:13] op_sel_hi:[0,1]
	v_cndmask_b32_e32 v59, 1.0, v59, vcc
	v_cmp_lt_i32_e32 vcc, 2, v60
	v_add_f32_e32 v63, 4.0, v56
	v_cndmask_b32_e32 v58, 1.0, v58, vcc
	v_cmp_lt_i32_e32 vcc, 4, v60
	v_add_f32_e32 v64, 0x40a00000, v56
	v_mul_f32_e32 v58, v58, v59
	v_cndmask_b32_e32 v59, 1.0, v63, vcc
	v_cmp_lt_i32_e32 vcc, 5, v60
	v_add_f32_e32 v65, 0x40c00000, v56
	v_mul_f32_e32 v58, v59, v58
	v_cndmask_b32_e32 v59, 1.0, v64, vcc
	v_cmp_lt_i32_e32 vcc, 6, v60
	v_mul_f32_e32 v58, v59, v58
	v_cndmask_b32_e32 v59, 1.0, v65, vcc
	v_mul_f32_e32 v58, v59, v58
	v_cmp_gt_f32_e32 vcc, s31, v58
	v_cndmask_b32_e32 v59, 1.0, v49, vcc
	v_mul_f32_e32 v58, v58, v59
	v_log_f32_e32 v58, v58
	v_mul_f32_e32 v59, v56, v61
	v_mul_f32_e32 v59, v59, v62
	v_fmac_f32_e32 v59, 0.5, v56
	v_mul_f32_e32 v56, 0x3f317217, v58
	v_fma_f32 v60, v58, s33, -v56
	v_fmac_f32_e32 v60, 0x3377d1cf, v58
	v_add_f32_e32 v56, v56, v60
	v_cmp_lt_f32_e64 s[0:1], |v58|, s34
	v_cndmask_b32_e64 v56, v58, v56, s[0:1]
	v_cndmask_b32_e32 v58, 0, v50, vcc
	v_sub_f32_e32 v56, v56, v58
	v_add_f32_e32 v56, v56, v59
.LBB15_187:                             ;   in Loop: Header=BB15_177 Depth=1
	s_or_b64 exec, exec, s[6:7]
.LBB15_188:                             ;   in Loop: Header=BB15_177 Depth=1
	s_andn2_saveexec_b64 s[0:1], s[4:5]
	s_cbranch_execz .LBB15_206
; %bb.189:                              ;   in Loop: Header=BB15_177 Depth=1
	v_cmp_le_f32_e64 s[4:5], |v55|, s35
                                        ; implicit-def: $vgpr56
                                        ; implicit-def: $vgpr59
                                        ; implicit-def: $vgpr58
	s_and_saveexec_b64 s[6:7], s[4:5]
	s_xor_b64 s[4:5], exec, s[6:7]
	s_cbranch_execz .LBB15_191
; %bb.190:                              ;   in Loop: Header=BB15_177 Depth=1
	v_cmp_lt_f32_e64 vcc, |v55|, s31
	v_cndmask_b32_e32 v56, 1.0, v49, vcc
	v_mul_f32_e64 v56, |v55|, v56
	v_log_f32_e32 v56, v56
	v_cndmask_b32_e32 v58, 0, v50, vcc
	v_cmp_lt_f32_e64 s[6:7], |v55|, s39
	v_mul_f32_e32 v59, 0x3f317217, v56
	v_fma_f32 v60, v56, s33, -v59
	v_fmac_f32_e32 v60, 0x3377d1cf, v56
	v_add_f32_e32 v59, v59, v60
	v_cmp_lt_f32_e64 vcc, |v56|, s34
	v_cndmask_b32_e32 v56, v56, v59, vcc
	v_sub_f32_e32 v56, v56, v58
	v_sub_f32_e64 v58, 1.0, |v55|
	v_add_f32_e64 v59, |v55|, s38
	v_cmp_lt_f32_e64 vcc, |v55|, s37
	v_cndmask_b32_e32 v58, v58, v59, vcc
	v_cndmask_b32_e64 v59, 0, 1, vcc
	v_xor_b32_e32 v56, 0x80000000, v56
	v_cndmask_b32_e64 v58, v58, |v55|, s[6:7]
	v_cndmask_b32_e64 v59, v59, 2, s[6:7]
.LBB15_191:                             ;   in Loop: Header=BB15_177 Depth=1
	s_andn2_saveexec_b64 s[4:5], s[4:5]
; %bb.192:                              ;   in Loop: Header=BB15_177 Depth=1
	v_sub_f32_e64 v56, 2.0, |v55|
	v_add_f32_e64 v58, |v55|, s41
	v_cmp_lt_f32_e64 vcc, |v55|, s40
	v_cndmask_b32_e32 v58, v56, v58, vcc
	v_cndmask_b32_e64 v56, v56, 1.0, vcc
	v_cvt_i32_f32_e32 v56, v56
	v_add_f32_e64 v59, |v55|, -1.0
	v_cmp_lt_f32_e64 vcc, |v55|, s42
	v_cndmask_b32_e32 v58, v58, v59, vcc
	v_cndmask_b32_e64 v59, v56, 2, vcc
	v_mov_b32_e32 v56, 0
; %bb.193:                              ;   in Loop: Header=BB15_177 Depth=1
	s_or_b64 exec, exec, s[4:5]
	v_cmp_lt_i32_e32 vcc, 0, v59
	s_and_saveexec_b64 s[4:5], vcc
	s_xor_b64 s[4:5], exec, s[4:5]
	s_cbranch_execz .LBB15_201
; %bb.194:                              ;   in Loop: Header=BB15_177 Depth=1
	v_cmp_lt_i32_e32 vcc, 1, v59
	s_and_saveexec_b64 s[6:7], vcc
	s_xor_b64 s[6:7], exec, s[6:7]
	s_cbranch_execz .LBB15_198
; %bb.195:                              ;   in Loop: Header=BB15_177 Depth=1
	v_cmp_eq_u32_e32 vcc, 2, v59
	s_and_saveexec_b64 s[8:9], vcc
	s_cbranch_execz .LBB15_197
; %bb.196:                              ;   in Loop: Header=BB15_177 Depth=1
	v_mov_b32_e32 v60, 0x3dd572af
	v_fmac_f32_e32 v60, 0x3b52d5db, v58
	v_fma_f32 v60, v58, v60, v23
	v_mov_b32_e32 v59, 0x3e6a7578
	v_fma_f32 v60, v58, v60, v24
	v_fmac_f32_e32 v59, 0x3c5b3c5e, v58
	v_fma_f32 v60, v58, v60, v25
	v_fma_f32 v59, v58, v59, v20
	v_fma_f32 v60, v58, v60, 1.0
	v_fma_f32 v59, v58, v59, v21
	v_rcp_f32_e32 v60, v60
	v_fma_f32 v59, v58, v59, v22
	v_fma_f32 v59, v58, v59, v15
	v_mul_f32_e32 v59, v58, v59
	v_mul_f32_e32 v59, v59, v60
	v_fmac_f32_e32 v59, -0.5, v58
	v_add_f32_e32 v56, v56, v59
.LBB15_197:                             ;   in Loop: Header=BB15_177 Depth=1
	s_or_b64 exec, exec, s[8:9]
                                        ; implicit-def: $vgpr58
.LBB15_198:                             ;   in Loop: Header=BB15_177 Depth=1
	s_andn2_saveexec_b64 s[6:7], s[6:7]
	s_cbranch_execz .LBB15_200
; %bb.199:                              ;   in Loop: Header=BB15_177 Depth=1
	v_mul_f32_e32 v59, v58, v58
	v_mul_f32_e32 v60, v58, v59
	v_mov_b32_e32 v62, 0x3a66f867
	v_mov_b32_e32 v63, 0xba0d3085
	v_fmac_f32_e32 v62, 0xb9a3f927, v60
	v_fmac_f32_e32 v63, 0x39afe9f7, v60
	v_mov_b32_e32 v61, 0xbab7f476
	v_fma_f32 v62, v60, v62, v29
	v_fma_f32 v63, v60, v63, v32
	v_fmac_f32_e32 v61, 0x39a57b6b, v60
	v_fma_f32 v62, v60, v62, v30
	v_fma_f32 v63, v60, v63, v33
	;; [unrolled: 1-line block ×6, first 2 shown]
	v_fmac_f32_e32 v62, v58, v63
	v_fma_f32 v61, v60, v61, v28
	v_fma_f32 v58, v60, -v62, s43
	v_fma_f32 v58, v59, v61, -v58
	v_add_f32_e32 v58, 0xbdf8cdce, v58
	v_add_f32_e32 v56, v56, v58
.LBB15_200:                             ;   in Loop: Header=BB15_177 Depth=1
	s_or_b64 exec, exec, s[6:7]
                                        ; implicit-def: $vgpr59
                                        ; implicit-def: $vgpr58
.LBB15_201:                             ;   in Loop: Header=BB15_177 Depth=1
	s_andn2_saveexec_b64 s[4:5], s[4:5]
	s_cbranch_execz .LBB15_205
; %bb.202:                              ;   in Loop: Header=BB15_177 Depth=1
	v_cmp_eq_u32_e32 vcc, 0, v59
	s_and_saveexec_b64 s[6:7], vcc
	s_cbranch_execz .LBB15_204
; %bb.203:                              ;   in Loop: Header=BB15_177 Depth=1
	v_mul_f32_e32 v59, v58, v58
	v_mov_b32_e32 v61, 0x38e28445
	v_mov_b32_e32 v60, 0x39679767
	v_fmac_f32_e32 v61, 0x383c2c75, v59
	v_fmac_f32_e32 v60, 0x37d383a2, v59
	v_fma_f32 v61, v59, v61, v39
	v_fma_f32 v60, v59, v60, v35
	;; [unrolled: 1-line block ×8, first 2 shown]
	v_mul_f32_e32 v59, v59, v61
	v_fmac_f32_e32 v59, v58, v60
	v_fmac_f32_e32 v59, -0.5, v58
	v_add_f32_e32 v56, v56, v59
.LBB15_204:                             ;   in Loop: Header=BB15_177 Depth=1
	s_or_b64 exec, exec, s[6:7]
.LBB15_205:                             ;   in Loop: Header=BB15_177 Depth=1
	s_or_b64 exec, exec, s[4:5]
.LBB15_206:                             ;   in Loop: Header=BB15_177 Depth=1
	s_or_b64 exec, exec, s[0:1]
.LBB15_207:                             ;   in Loop: Header=BB15_177 Depth=1
	s_andn2_saveexec_b64 s[2:3], s[2:3]
	s_cbranch_execz .LBB15_209
; %bb.208:                              ;   in Loop: Header=BB15_177 Depth=1
	v_cmp_lt_f32_e64 vcc, |v55|, s31
	v_cndmask_b32_e32 v56, 1.0, v49, vcc
	v_mul_f32_e64 v56, |v55|, v56
	v_log_f32_e32 v56, v56
	v_fma_f32 v58, |v55|, s44, v51
	v_fma_f32 v58, |v55|, v58, s45
	;; [unrolled: 1-line block ×3, first 2 shown]
	v_mul_f32_e32 v59, 0x3f317217, v56
	v_fma_f32 v60, v56, s33, -v59
	v_fmac_f32_e32 v60, 0x3377d1cf, v56
	v_add_f32_e32 v59, v59, v60
	v_cmp_lt_f32_e64 s[0:1], |v56|, s34
	v_cndmask_b32_e64 v56, v56, v59, s[0:1]
	v_cndmask_b32_e32 v59, 0, v50, vcc
	v_sub_f32_e32 v56, v56, v59
	v_fma_f32 v56, |v55|, v58, -v56
.LBB15_209:                             ;   in Loop: Header=BB15_177 Depth=1
	s_or_b64 exec, exec, s[2:3]
	v_cmp_le_f32_e32 vcc, 0, v55
	v_cmp_nle_f32_e64 s[0:1], 0, v55
	s_and_saveexec_b64 s[2:3], s[0:1]
	s_xor_b64 s[4:5], exec, s[2:3]
	s_cbranch_execz .LBB15_213
; %bb.210:                              ;   in Loop: Header=BB15_177 Depth=1
	v_cmp_lt_f32_e64 s[0:1], |v55|, s47
	v_cmp_gt_f32_e64 s[2:3], |v55|, s48
	s_and_b64 s[0:1], s[0:1], s[2:3]
	s_and_saveexec_b64 s[6:7], s[0:1]
	s_cbranch_execz .LBB15_212
; %bb.211:                              ;   in Loop: Header=BB15_177 Depth=1
	v_mul_f32_e64 v58, |v55|, 0.5
	v_floor_f32_e32 v59, v58
	v_sub_f32_e32 v59, v58, v59
	v_min_f32_e32 v59, 0x3f7fffff, v59
	v_add_f32_e32 v59, v59, v59
	v_cmp_neq_f32_e64 s[0:1], s34, v58
	v_cndmask_b32_e64 v58, 0, v59, s[0:1]
	v_cmp_gt_f32_e64 s[0:1], |v55|, 1.0
	v_cndmask_b32_e64 v58, |v55|, v58, s[0:1]
	v_add_f32_e32 v59, v58, v58
	v_rndne_f32_e32 v59, v59
	v_fmac_f32_e32 v58, -0.5, v59
	v_mul_f32_e32 v60, v58, v58
	v_mov_b32_e32 v61, 0xbf1f24be
	v_fmac_f32_e32 v61, 0x3e75aa41, v60
	v_fma_f32 v61, v60, v61, v43
	v_fma_f32 v61, v60, v61, v44
	v_mul_f32_e32 v62, v58, v60
	v_mul_f32_e32 v61, v62, v61
	v_fmac_f32_e32 v61, 0x40490fdb, v58
	v_mov_b32_e32 v58, 0x3e642e9d
	v_cvt_i32_f32_e32 v59, v59
	v_fmac_f32_e32 v58, 0x3d4be544, v60
	v_fma_f32 v58, v60, v58, v45
	v_fma_f32 v58, v60, v58, v46
	;; [unrolled: 1-line block ×3, first 2 shown]
	v_fma_f32 v58, v60, v58, 1.0
	v_and_b32_e32 v60, 1, v59
	v_cmp_eq_u32_e64 s[0:1], 0, v60
	v_lshlrev_b32_e32 v59, 30, v59
	v_cndmask_b32_e64 v58, v58, v61, s[0:1]
	v_and_or_b32 v57, v59, s36, v57
	v_xor_b32_e32 v57, v57, v58
	v_xor_b32_e32 v57, v57, v55
	v_mul_f32_e32 v57, v55, v57
	v_frexp_mant_f32_e64 v58, |v57|
	v_rcp_f32_e32 v58, v58
	v_frexp_exp_i32_f32_e32 v57, v57
	v_sub_u32_e32 v57, 2, v57
	v_mul_f32_e32 v58, 0x3f490fdb, v58
	v_ldexp_f32 v57, v58, v57
	v_cmp_gt_f32_e64 s[0:1], s31, v57
	v_cndmask_b32_e64 v58, 1.0, v49, s[0:1]
	v_mul_f32_e32 v57, v57, v58
	v_log_f32_e32 v57, v57
	v_mul_f32_e32 v58, 0x3f317217, v57
	v_fma_f32 v59, v57, s33, -v58
	v_fmac_f32_e32 v59, 0x3377d1cf, v57
	v_add_f32_e32 v58, v58, v59
	v_cmp_lt_f32_e64 s[2:3], |v57|, s34
	v_cndmask_b32_e64 v57, v57, v58, s[2:3]
	v_cndmask_b32_e64 v58, 0, v50, s[0:1]
	v_sub_f32_e32 v57, v57, v58
	v_sub_f32_e32 v56, v57, v56
	v_floor_f32_e32 v57, v55
	v_sub_f32_e32 v57, v55, v57
	v_min_f32_e32 v57, 0x3f7fffff, v57
	v_cmp_neq_f32_e64 s[0:1], 0, v57
	v_cndmask_b32_e64 v56, v52, v56, s[0:1]
.LBB15_212:                             ;   in Loop: Header=BB15_177 Depth=1
	s_or_b64 exec, exec, s[6:7]
.LBB15_213:                             ;   in Loop: Header=BB15_177 Depth=1
	s_andn2_saveexec_b64 s[4:5], s[4:5]
; %bb.214:                              ;   in Loop: Header=BB15_177 Depth=1
	v_cmp_eq_f32_e64 s[0:1], 1.0, v55
	v_cmp_eq_f32_e64 s[2:3], 2.0, v55
	s_or_b64 s[0:1], s[0:1], s[2:3]
	v_cndmask_b32_e64 v56, v56, 0, s[0:1]
; %bb.215:                              ;   in Loop: Header=BB15_177 Depth=1
	s_or_b64 exec, exec, s[4:5]
	v_and_b32_e32 v57, 0xffff0000, v0
	v_and_b32_e32 v59, 0x7fffffff, v57
	v_cmp_nlt_f32_e64 s[0:1], |v57|, s28
                                        ; implicit-def: $vgpr58
	s_and_saveexec_b64 s[2:3], s[0:1]
	s_xor_b64 s[4:5], exec, s[2:3]
	s_cbranch_execz .LBB15_245
; %bb.216:                              ;   in Loop: Header=BB15_177 Depth=1
	v_cmp_nlt_f32_e64 s[0:1], |v57|, 2.0
                                        ; implicit-def: $vgpr58
	s_and_saveexec_b64 s[2:3], s[0:1]
	s_xor_b64 s[6:7], exec, s[2:3]
	s_cbranch_execz .LBB15_226
; %bb.217:                              ;   in Loop: Header=BB15_177 Depth=1
	v_cmp_nlt_f32_e64 s[0:1], |v57|, s29
                                        ; implicit-def: $vgpr58
	s_and_saveexec_b64 s[2:3], s[0:1]
	s_xor_b64 s[8:9], exec, s[2:3]
	s_cbranch_execz .LBB15_223
; %bb.218:                              ;   in Loop: Header=BB15_177 Depth=1
	v_cmp_nlt_f32_e64 s[0:1], |v57|, s30
                                        ; implicit-def: $vgpr58
	s_and_saveexec_b64 s[2:3], s[0:1]
	s_xor_b64 s[16:17], exec, s[2:3]
	s_cbranch_execz .LBB15_220
; %bb.219:                              ;   in Loop: Header=BB15_177 Depth=1
	v_cmp_lt_f32_e64 s[0:1], |v57|, s31
	v_cndmask_b32_e64 v58, 1.0, v49, s[0:1]
	v_mul_f32_e64 v58, |v57|, v58
	v_log_f32_e32 v58, v58
	v_mul_f32_e32 v60, 0x3f317217, v58
	v_fma_f32 v61, v58, s33, -v60
	v_fmac_f32_e32 v61, 0x3377d1cf, v58
	v_add_f32_e32 v60, v60, v61
	v_cmp_lt_f32_e64 s[2:3], |v58|, s34
	v_cndmask_b32_e64 v58, v58, v60, s[2:3]
	v_cndmask_b32_e64 v60, 0, v50, s[0:1]
	v_sub_f32_e32 v58, v58, v60
	v_fma_f32 v58, |v57|, v58, -|v57|
.LBB15_220:                             ;   in Loop: Header=BB15_177 Depth=1
	s_andn2_saveexec_b64 s[16:17], s[16:17]
	s_cbranch_execz .LBB15_222
; %bb.221:                              ;   in Loop: Header=BB15_177 Depth=1
	v_rcp_f32_e64 v58, |v57|
	v_cmp_lt_f32_e64 s[0:1], |v57|, s31
	v_cndmask_b32_e64 v61, 1.0, v49, s[0:1]
	v_mov_b32_e32 v60, 0x3a5b3dd2
	v_mul_f32_e32 v62, v58, v58
	v_mul_f32_e64 v61, |v57|, v61
	v_fmac_f32_e32 v60, 0xbad5c4e8, v62
	v_log_f32_e32 v61, v61
	v_fma_f32 v60, v62, v60, v6
	v_fma_f32 v60, v62, v60, v7
	;; [unrolled: 1-line block ×4, first 2 shown]
	v_mul_f32_e32 v62, 0x3f317217, v61
	v_fma_f32 v63, v61, s33, -v62
	v_fmac_f32_e32 v63, 0x3377d1cf, v61
	v_add_f32_e32 v62, v62, v63
	v_cmp_lt_f32_e64 s[2:3], |v61|, s34
	v_cndmask_b32_e64 v61, v61, v62, s[2:3]
	v_cndmask_b32_e64 v62, 0, v50, s[0:1]
	v_sub_f32_e32 v61, v61, v62
	v_fma_f32 v58, v58, v60, v10
	v_add_f32_e64 v60, |v57|, -0.5
	v_add_f32_e32 v61, -1.0, v61
	v_fmac_f32_e32 v58, v60, v61
.LBB15_222:                             ;   in Loop: Header=BB15_177 Depth=1
	s_or_b64 exec, exec, s[16:17]
.LBB15_223:                             ;   in Loop: Header=BB15_177 Depth=1
	s_andn2_saveexec_b64 s[8:9], s[8:9]
	s_cbranch_execz .LBB15_225
; %bb.224:                              ;   in Loop: Header=BB15_177 Depth=1
	v_cvt_i32_f32_e32 v62, v59
	v_mov_b32_e32 v60, 0x3af135b4
	v_mov_b32_e32 v61, 0x3a4beed6
	v_cvt_f32_i32_e32 v58, v62
	v_cmp_lt_i32_e64 s[0:1], 3, v62
	v_sub_f32_e64 v58, |v57|, v58
	v_fmac_f32_e32 v60, 0x3805ff67, v58
	v_fmac_f32_e32 v61, 0x36f5d7bd, v58
	v_fma_f32 v60, v58, v60, v11
	v_fma_f32 v61, v58, v61, v16
	v_fma_f32 v60, v58, v60, v12
	v_fma_f32 v61, v58, v61, v17
	v_fma_f32 v60, v58, v60, v13
	v_fma_f32 v61, v58, v61, v18
	v_fma_f32 v60, v58, v60, v14
	v_fma_f32 v63, v58, v60, v15
	v_fma_f32 v60, v58, v61, v19
	v_fma_f32 v60, v58, v60, 1.0
	v_rcp_f32_e32 v64, v60
	v_pk_add_f32 v[60:61], v[58:59], s[12:13] op_sel_hi:[0,1]
	v_cndmask_b32_e64 v61, 1.0, v61, s[0:1]
	v_cmp_lt_i32_e64 s[0:1], 2, v62
	v_add_f32_e32 v65, 4.0, v58
	v_cndmask_b32_e64 v60, 1.0, v60, s[0:1]
	v_cmp_lt_i32_e64 s[0:1], 4, v62
	v_add_f32_e32 v66, 0x40a00000, v58
	v_mul_f32_e32 v60, v60, v61
	v_cndmask_b32_e64 v61, 1.0, v65, s[0:1]
	v_cmp_lt_i32_e64 s[0:1], 5, v62
	v_add_f32_e32 v67, 0x40c00000, v58
	v_mul_f32_e32 v60, v61, v60
	v_cndmask_b32_e64 v61, 1.0, v66, s[0:1]
	v_cmp_lt_i32_e64 s[0:1], 6, v62
	v_mul_f32_e32 v60, v61, v60
	v_cndmask_b32_e64 v61, 1.0, v67, s[0:1]
	v_mul_f32_e32 v60, v61, v60
	v_cmp_gt_f32_e64 s[0:1], s31, v60
	v_cndmask_b32_e64 v61, 1.0, v49, s[0:1]
	v_mul_f32_e32 v60, v60, v61
	v_log_f32_e32 v60, v60
	v_mul_f32_e32 v61, v58, v63
	v_mul_f32_e32 v61, v61, v64
	v_fmac_f32_e32 v61, 0.5, v58
	v_mul_f32_e32 v58, 0x3f317217, v60
	v_fma_f32 v62, v60, s33, -v58
	v_fmac_f32_e32 v62, 0x3377d1cf, v60
	v_add_f32_e32 v58, v58, v62
	v_cmp_lt_f32_e64 s[2:3], |v60|, s34
	v_cndmask_b32_e64 v58, v60, v58, s[2:3]
	v_cndmask_b32_e64 v60, 0, v50, s[0:1]
	v_sub_f32_e32 v58, v58, v60
	v_add_f32_e32 v58, v58, v61
.LBB15_225:                             ;   in Loop: Header=BB15_177 Depth=1
	s_or_b64 exec, exec, s[8:9]
.LBB15_226:                             ;   in Loop: Header=BB15_177 Depth=1
	s_andn2_saveexec_b64 s[2:3], s[6:7]
	s_cbranch_execz .LBB15_244
; %bb.227:                              ;   in Loop: Header=BB15_177 Depth=1
	v_cmp_le_f32_e64 s[0:1], |v57|, s35
                                        ; implicit-def: $vgpr58
                                        ; implicit-def: $vgpr61
                                        ; implicit-def: $vgpr60
	s_and_saveexec_b64 s[6:7], s[0:1]
	s_xor_b64 s[6:7], exec, s[6:7]
	s_cbranch_execz .LBB15_229
; %bb.228:                              ;   in Loop: Header=BB15_177 Depth=1
	v_cmp_lt_f32_e64 s[0:1], |v57|, s31
	v_cndmask_b32_e64 v58, 1.0, v49, s[0:1]
	v_mul_f32_e64 v58, |v57|, v58
	v_log_f32_e32 v58, v58
	v_cndmask_b32_e64 v60, 0, v50, s[0:1]
	v_mul_f32_e32 v61, 0x3f317217, v58
	v_fma_f32 v62, v58, s33, -v61
	v_fmac_f32_e32 v62, 0x3377d1cf, v58
	v_add_f32_e32 v61, v61, v62
	v_cmp_lt_f32_e64 s[0:1], |v58|, s34
	v_cndmask_b32_e64 v58, v58, v61, s[0:1]
	v_sub_f32_e32 v58, v58, v60
	v_sub_f32_e64 v60, 1.0, |v57|
	v_add_f32_e64 v61, |v57|, s38
	v_cmp_lt_f32_e64 s[0:1], |v57|, s37
	v_cndmask_b32_e64 v60, v60, v61, s[0:1]
	v_cndmask_b32_e64 v61, 0, 1, s[0:1]
	v_cmp_lt_f32_e64 s[0:1], |v57|, s39
	v_xor_b32_e32 v58, 0x80000000, v58
	v_cndmask_b32_e64 v60, v60, |v57|, s[0:1]
	v_cndmask_b32_e64 v61, v61, 2, s[0:1]
.LBB15_229:                             ;   in Loop: Header=BB15_177 Depth=1
	s_andn2_saveexec_b64 s[6:7], s[6:7]
; %bb.230:                              ;   in Loop: Header=BB15_177 Depth=1
	v_sub_f32_e64 v58, 2.0, |v57|
	v_add_f32_e64 v60, |v57|, s41
	v_cmp_lt_f32_e64 s[0:1], |v57|, s40
	v_cndmask_b32_e64 v60, v58, v60, s[0:1]
	v_cndmask_b32_e64 v58, v58, 1.0, s[0:1]
	v_cvt_i32_f32_e32 v58, v58
	v_add_f32_e64 v61, |v57|, -1.0
	v_cmp_lt_f32_e64 s[0:1], |v57|, s42
	v_cndmask_b32_e64 v60, v60, v61, s[0:1]
	v_cndmask_b32_e64 v61, v58, 2, s[0:1]
	v_mov_b32_e32 v58, 0
; %bb.231:                              ;   in Loop: Header=BB15_177 Depth=1
	s_or_b64 exec, exec, s[6:7]
	v_cmp_lt_i32_e64 s[0:1], 0, v61
	s_and_saveexec_b64 s[6:7], s[0:1]
	s_xor_b64 s[6:7], exec, s[6:7]
	s_cbranch_execz .LBB15_239
; %bb.232:                              ;   in Loop: Header=BB15_177 Depth=1
	v_cmp_lt_i32_e64 s[0:1], 1, v61
	s_and_saveexec_b64 s[8:9], s[0:1]
	s_xor_b64 s[8:9], exec, s[8:9]
	s_cbranch_execz .LBB15_236
; %bb.233:                              ;   in Loop: Header=BB15_177 Depth=1
	v_cmp_eq_u32_e64 s[0:1], 2, v61
	s_and_saveexec_b64 s[16:17], s[0:1]
	s_cbranch_execz .LBB15_235
; %bb.234:                              ;   in Loop: Header=BB15_177 Depth=1
	v_mov_b32_e32 v62, 0x3dd572af
	v_fmac_f32_e32 v62, 0x3b52d5db, v60
	v_fma_f32 v62, v60, v62, v23
	v_mov_b32_e32 v61, 0x3e6a7578
	v_fma_f32 v62, v60, v62, v24
	v_fmac_f32_e32 v61, 0x3c5b3c5e, v60
	v_fma_f32 v62, v60, v62, v25
	v_fma_f32 v61, v60, v61, v20
	v_fma_f32 v62, v60, v62, 1.0
	v_fma_f32 v61, v60, v61, v21
	v_rcp_f32_e32 v62, v62
	v_fma_f32 v61, v60, v61, v22
	v_fma_f32 v61, v60, v61, v15
	v_mul_f32_e32 v61, v60, v61
	v_mul_f32_e32 v61, v61, v62
	v_fmac_f32_e32 v61, -0.5, v60
	v_add_f32_e32 v58, v58, v61
.LBB15_235:                             ;   in Loop: Header=BB15_177 Depth=1
	s_or_b64 exec, exec, s[16:17]
                                        ; implicit-def: $vgpr60
.LBB15_236:                             ;   in Loop: Header=BB15_177 Depth=1
	s_andn2_saveexec_b64 s[0:1], s[8:9]
	s_cbranch_execz .LBB15_238
; %bb.237:                              ;   in Loop: Header=BB15_177 Depth=1
	v_mul_f32_e32 v61, v60, v60
	v_mul_f32_e32 v62, v60, v61
	v_mov_b32_e32 v64, 0x3a66f867
	v_mov_b32_e32 v65, 0xba0d3085
	v_fmac_f32_e32 v64, 0xb9a3f927, v62
	v_fmac_f32_e32 v65, 0x39afe9f7, v62
	v_mov_b32_e32 v63, 0xbab7f476
	v_fma_f32 v64, v62, v64, v29
	v_fma_f32 v65, v62, v65, v32
	v_fmac_f32_e32 v63, 0x39a57b6b, v62
	v_fma_f32 v64, v62, v64, v30
	v_fma_f32 v65, v62, v65, v33
	;; [unrolled: 1-line block ×6, first 2 shown]
	v_fmac_f32_e32 v64, v60, v65
	v_fma_f32 v63, v62, v63, v28
	v_fma_f32 v60, v62, -v64, s43
	v_fma_f32 v60, v61, v63, -v60
	v_add_f32_e32 v60, 0xbdf8cdce, v60
	v_add_f32_e32 v58, v58, v60
.LBB15_238:                             ;   in Loop: Header=BB15_177 Depth=1
	s_or_b64 exec, exec, s[0:1]
                                        ; implicit-def: $vgpr61
                                        ; implicit-def: $vgpr60
.LBB15_239:                             ;   in Loop: Header=BB15_177 Depth=1
	s_andn2_saveexec_b64 s[6:7], s[6:7]
	s_cbranch_execz .LBB15_243
; %bb.240:                              ;   in Loop: Header=BB15_177 Depth=1
	v_cmp_eq_u32_e64 s[0:1], 0, v61
	s_and_saveexec_b64 s[8:9], s[0:1]
	s_cbranch_execz .LBB15_242
; %bb.241:                              ;   in Loop: Header=BB15_177 Depth=1
	v_mul_f32_e32 v61, v60, v60
	v_mov_b32_e32 v63, 0x38e28445
	v_mov_b32_e32 v62, 0x39679767
	v_fmac_f32_e32 v63, 0x383c2c75, v61
	v_fmac_f32_e32 v62, 0x37d383a2, v61
	v_fma_f32 v63, v61, v63, v39
	v_fma_f32 v62, v61, v62, v35
	;; [unrolled: 1-line block ×8, first 2 shown]
	v_mul_f32_e32 v61, v61, v63
	v_fmac_f32_e32 v61, v60, v62
	v_fmac_f32_e32 v61, -0.5, v60
	v_add_f32_e32 v58, v58, v61
.LBB15_242:                             ;   in Loop: Header=BB15_177 Depth=1
	s_or_b64 exec, exec, s[8:9]
.LBB15_243:                             ;   in Loop: Header=BB15_177 Depth=1
	s_or_b64 exec, exec, s[6:7]
.LBB15_244:                             ;   in Loop: Header=BB15_177 Depth=1
	s_or_b64 exec, exec, s[2:3]
.LBB15_245:                             ;   in Loop: Header=BB15_177 Depth=1
	s_andn2_saveexec_b64 s[4:5], s[4:5]
	s_cbranch_execz .LBB15_247
; %bb.246:                              ;   in Loop: Header=BB15_177 Depth=1
	v_cmp_lt_f32_e64 s[0:1], |v57|, s31
	v_cndmask_b32_e64 v58, 1.0, v49, s[0:1]
	v_mul_f32_e64 v58, |v57|, v58
	v_log_f32_e32 v58, v58
	v_fma_f32 v60, |v57|, s44, v51
	v_fma_f32 v60, |v57|, v60, s45
	;; [unrolled: 1-line block ×3, first 2 shown]
	v_mul_f32_e32 v61, 0x3f317217, v58
	v_fma_f32 v62, v58, s33, -v61
	v_fmac_f32_e32 v62, 0x3377d1cf, v58
	v_add_f32_e32 v61, v61, v62
	v_cmp_lt_f32_e64 s[2:3], |v58|, s34
	v_cndmask_b32_e64 v58, v58, v61, s[2:3]
	v_cndmask_b32_e64 v61, 0, v50, s[0:1]
	v_sub_f32_e32 v58, v58, v61
	v_fma_f32 v58, |v57|, v60, -v58
.LBB15_247:                             ;   in Loop: Header=BB15_177 Depth=1
	s_or_b64 exec, exec, s[4:5]
	v_cmp_le_f32_e64 s[0:1], 0, v57
	v_cmp_nle_f32_e64 s[2:3], 0, v57
	s_and_saveexec_b64 s[4:5], s[2:3]
	s_xor_b64 s[6:7], exec, s[4:5]
	s_cbranch_execz .LBB15_251
; %bb.248:                              ;   in Loop: Header=BB15_177 Depth=1
	v_cmp_lt_f32_e64 s[2:3], |v57|, s47
	v_cmp_gt_f32_e64 s[4:5], |v57|, s48
	s_and_b64 s[2:3], s[2:3], s[4:5]
	s_and_saveexec_b64 s[8:9], s[2:3]
	s_cbranch_execz .LBB15_250
; %bb.249:                              ;   in Loop: Header=BB15_177 Depth=1
	v_mul_f32_e64 v60, |v57|, 0.5
	v_floor_f32_e32 v61, v60
	v_sub_f32_e32 v61, v60, v61
	v_min_f32_e32 v61, 0x3f7fffff, v61
	v_add_f32_e32 v61, v61, v61
	v_cmp_neq_f32_e64 s[2:3], s34, v60
	v_cndmask_b32_e64 v60, 0, v61, s[2:3]
	v_cmp_gt_f32_e64 s[2:3], |v57|, 1.0
	v_cndmask_b32_e64 v60, |v57|, v60, s[2:3]
	v_add_f32_e32 v61, v60, v60
	v_rndne_f32_e32 v61, v61
	v_fmac_f32_e32 v60, -0.5, v61
	v_mul_f32_e32 v62, v60, v60
	v_mov_b32_e32 v63, 0xbf1f24be
	v_fmac_f32_e32 v63, 0x3e75aa41, v62
	v_fma_f32 v63, v62, v63, v43
	v_fma_f32 v63, v62, v63, v44
	v_mul_f32_e32 v64, v60, v62
	v_mul_f32_e32 v63, v64, v63
	v_fmac_f32_e32 v63, 0x40490fdb, v60
	v_mov_b32_e32 v60, 0x3e642e9d
	v_cvt_i32_f32_e32 v61, v61
	v_fmac_f32_e32 v60, 0x3d4be544, v62
	v_fma_f32 v60, v62, v60, v45
	v_fma_f32 v60, v62, v60, v46
	;; [unrolled: 1-line block ×3, first 2 shown]
	v_fma_f32 v60, v62, v60, 1.0
	v_and_b32_e32 v62, 1, v61
	v_cmp_eq_u32_e64 s[2:3], 0, v62
	v_lshlrev_b32_e32 v61, 30, v61
	v_cndmask_b32_e64 v60, v60, v63, s[2:3]
	v_and_or_b32 v59, v61, s36, v59
	v_xor_b32_e32 v59, v59, v60
	v_xor_b32_e32 v59, v59, v57
	v_mul_f32_e32 v59, v57, v59
	v_frexp_mant_f32_e64 v60, |v59|
	v_rcp_f32_e32 v60, v60
	v_frexp_exp_i32_f32_e32 v59, v59
	v_sub_u32_e32 v59, 2, v59
	v_mul_f32_e32 v60, 0x3f490fdb, v60
	v_ldexp_f32 v59, v60, v59
	v_cmp_gt_f32_e64 s[2:3], s31, v59
	v_cndmask_b32_e64 v60, 1.0, v49, s[2:3]
	v_mul_f32_e32 v59, v59, v60
	v_log_f32_e32 v59, v59
	v_mul_f32_e32 v60, 0x3f317217, v59
	v_fma_f32 v61, v59, s33, -v60
	v_fmac_f32_e32 v61, 0x3377d1cf, v59
	v_add_f32_e32 v60, v60, v61
	v_cmp_lt_f32_e64 s[4:5], |v59|, s34
	v_cndmask_b32_e64 v59, v59, v60, s[4:5]
	v_cndmask_b32_e64 v60, 0, v50, s[2:3]
	v_sub_f32_e32 v59, v59, v60
	v_sub_f32_e32 v58, v59, v58
	v_floor_f32_e32 v59, v57
	v_sub_f32_e32 v59, v57, v59
	v_min_f32_e32 v59, 0x3f7fffff, v59
	v_cmp_neq_f32_e64 s[2:3], 0, v59
	v_cndmask_b32_e64 v58, v52, v58, s[2:3]
.LBB15_250:                             ;   in Loop: Header=BB15_177 Depth=1
	s_or_b64 exec, exec, s[8:9]
.LBB15_251:                             ;   in Loop: Header=BB15_177 Depth=1
	s_andn2_saveexec_b64 s[6:7], s[6:7]
; %bb.252:                              ;   in Loop: Header=BB15_177 Depth=1
	v_cmp_eq_f32_e64 s[2:3], 1.0, v57
	v_cmp_eq_f32_e64 s[4:5], 2.0, v57
	s_or_b64 s[2:3], s[2:3], s[4:5]
	v_cndmask_b32_e64 v58, v58, 0, s[2:3]
; %bb.253:                              ;   in Loop: Header=BB15_177 Depth=1
	s_or_b64 exec, exec, s[6:7]
	v_alignbit_b32 v0, v1, v0, 16
	v_and_b32_e32 v0, 0xffff0000, v0
	v_and_b32_e32 v60, 0x7fffffff, v0
	v_cmp_nlt_f32_e64 s[2:3], |v0|, s28
                                        ; implicit-def: $vgpr59
	s_and_saveexec_b64 s[4:5], s[2:3]
	s_xor_b64 s[6:7], exec, s[4:5]
	s_cbranch_execz .LBB15_283
; %bb.254:                              ;   in Loop: Header=BB15_177 Depth=1
	v_cmp_nlt_f32_e64 s[2:3], |v0|, 2.0
                                        ; implicit-def: $vgpr59
	s_and_saveexec_b64 s[4:5], s[2:3]
	s_xor_b64 s[8:9], exec, s[4:5]
	s_cbranch_execz .LBB15_264
; %bb.255:                              ;   in Loop: Header=BB15_177 Depth=1
	v_cmp_nlt_f32_e64 s[2:3], |v0|, s29
                                        ; implicit-def: $vgpr59
	s_and_saveexec_b64 s[4:5], s[2:3]
	s_xor_b64 s[16:17], exec, s[4:5]
	s_cbranch_execz .LBB15_261
; %bb.256:                              ;   in Loop: Header=BB15_177 Depth=1
	v_cmp_nlt_f32_e64 s[2:3], |v0|, s30
                                        ; implicit-def: $vgpr59
	s_and_saveexec_b64 s[4:5], s[2:3]
	s_xor_b64 s[18:19], exec, s[4:5]
	s_cbranch_execz .LBB15_258
; %bb.257:                              ;   in Loop: Header=BB15_177 Depth=1
	v_cmp_lt_f32_e64 s[2:3], |v0|, s31
	v_cndmask_b32_e64 v59, 1.0, v49, s[2:3]
	v_mul_f32_e64 v59, |v0|, v59
	v_log_f32_e32 v59, v59
	v_mul_f32_e32 v61, 0x3f317217, v59
	v_fma_f32 v62, v59, s33, -v61
	v_fmac_f32_e32 v62, 0x3377d1cf, v59
	v_add_f32_e32 v61, v61, v62
	v_cmp_lt_f32_e64 s[4:5], |v59|, s34
	v_cndmask_b32_e64 v59, v59, v61, s[4:5]
	v_cndmask_b32_e64 v61, 0, v50, s[2:3]
	v_sub_f32_e32 v59, v59, v61
	v_fma_f32 v59, |v0|, v59, -|v0|
.LBB15_258:                             ;   in Loop: Header=BB15_177 Depth=1
	s_andn2_saveexec_b64 s[18:19], s[18:19]
	s_cbranch_execz .LBB15_260
; %bb.259:                              ;   in Loop: Header=BB15_177 Depth=1
	v_rcp_f32_e64 v59, |v0|
	v_cmp_lt_f32_e64 s[2:3], |v0|, s31
	v_cndmask_b32_e64 v62, 1.0, v49, s[2:3]
	v_mov_b32_e32 v61, 0x3a5b3dd2
	v_mul_f32_e32 v63, v59, v59
	v_mul_f32_e64 v62, |v0|, v62
	v_fmac_f32_e32 v61, 0xbad5c4e8, v63
	v_log_f32_e32 v62, v62
	v_fma_f32 v61, v63, v61, v6
	v_fma_f32 v61, v63, v61, v7
	;; [unrolled: 1-line block ×4, first 2 shown]
	v_mul_f32_e32 v63, 0x3f317217, v62
	v_fma_f32 v64, v62, s33, -v63
	v_fmac_f32_e32 v64, 0x3377d1cf, v62
	v_add_f32_e32 v63, v63, v64
	v_cmp_lt_f32_e64 s[4:5], |v62|, s34
	v_cndmask_b32_e64 v62, v62, v63, s[4:5]
	v_cndmask_b32_e64 v63, 0, v50, s[2:3]
	v_sub_f32_e32 v62, v62, v63
	v_fma_f32 v59, v59, v61, v10
	v_add_f32_e64 v61, |v0|, -0.5
	v_add_f32_e32 v62, -1.0, v62
	v_fmac_f32_e32 v59, v61, v62
.LBB15_260:                             ;   in Loop: Header=BB15_177 Depth=1
	s_or_b64 exec, exec, s[18:19]
.LBB15_261:                             ;   in Loop: Header=BB15_177 Depth=1
	s_andn2_saveexec_b64 s[16:17], s[16:17]
	s_cbranch_execz .LBB15_263
; %bb.262:                              ;   in Loop: Header=BB15_177 Depth=1
	v_cvt_i32_f32_e32 v59, v60
	v_mov_b32_e32 v63, 0x3af135b4
	v_mov_b32_e32 v64, 0x3a4beed6
	v_cvt_f32_i32_e32 v61, v59
	v_cmp_lt_i32_e64 s[2:3], 3, v59
	v_sub_f32_e64 v62, |v0|, v61
	v_fmac_f32_e32 v63, 0x3805ff67, v62
	v_fmac_f32_e32 v64, 0x36f5d7bd, v62
	v_fma_f32 v61, v62, v63, v11
	v_fma_f32 v63, v62, v64, v16
	;; [unrolled: 1-line block ×5, first 2 shown]
	v_fma_f32 v63, v62, v63, 1.0
	v_rcp_f32_e32 v63, v63
	v_add_f32_e32 v66, 4.0, v62
	v_add_f32_e32 v67, 0x40a00000, v62
	v_add_f32_e32 v68, 0x40c00000, v62
	v_pk_add_f32 v[64:65], v[62:63], s[12:13] op_sel_hi:[0,1]
	v_cndmask_b32_e64 v65, 1.0, v65, s[2:3]
	v_cmp_lt_i32_e64 s[2:3], 2, v59
	v_cndmask_b32_e64 v64, 1.0, v64, s[2:3]
	v_cmp_lt_i32_e64 s[2:3], 4, v59
	v_mul_f32_e32 v64, v64, v65
	v_cndmask_b32_e64 v65, 1.0, v66, s[2:3]
	v_cmp_lt_i32_e64 s[2:3], 5, v59
	v_mul_f32_e32 v64, v65, v64
	;; [unrolled: 3-line block ×3, first 2 shown]
	v_cndmask_b32_e64 v59, 1.0, v68, s[2:3]
	v_mul_f32_e32 v59, v59, v64
	v_cmp_gt_f32_e64 s[2:3], s31, v59
	v_fma_f32 v61, v62, v61, v12
	v_cndmask_b32_e64 v64, 1.0, v49, s[2:3]
	v_fma_f32 v61, v62, v61, v13
	v_mul_f32_e32 v59, v59, v64
	v_fma_f32 v61, v62, v61, v14
	v_log_f32_e32 v59, v59
	v_fma_f32 v61, v62, v61, v15
	v_mul_f32_e32 v61, v62, v61
	v_mul_f32_e32 v61, v61, v63
	v_fmac_f32_e32 v61, 0.5, v62
	v_mul_f32_e32 v62, 0x3f317217, v59
	v_fma_f32 v63, v59, s33, -v62
	v_fmac_f32_e32 v63, 0x3377d1cf, v59
	v_add_f32_e32 v62, v62, v63
	v_cmp_lt_f32_e64 s[4:5], |v59|, s34
	v_cndmask_b32_e64 v59, v59, v62, s[4:5]
	v_cndmask_b32_e64 v62, 0, v50, s[2:3]
	v_sub_f32_e32 v59, v59, v62
	v_add_f32_e32 v59, v59, v61
.LBB15_263:                             ;   in Loop: Header=BB15_177 Depth=1
	s_or_b64 exec, exec, s[16:17]
.LBB15_264:                             ;   in Loop: Header=BB15_177 Depth=1
	s_andn2_saveexec_b64 s[4:5], s[8:9]
	s_cbranch_execz .LBB15_282
; %bb.265:                              ;   in Loop: Header=BB15_177 Depth=1
	v_cmp_le_f32_e64 s[2:3], |v0|, s35
                                        ; implicit-def: $vgpr59
                                        ; implicit-def: $vgpr62
                                        ; implicit-def: $vgpr61
	s_and_saveexec_b64 s[8:9], s[2:3]
	s_xor_b64 s[8:9], exec, s[8:9]
	s_cbranch_execz .LBB15_267
; %bb.266:                              ;   in Loop: Header=BB15_177 Depth=1
	v_cmp_lt_f32_e64 s[2:3], |v0|, s31
	v_cndmask_b32_e64 v59, 1.0, v49, s[2:3]
	v_mul_f32_e64 v59, |v0|, v59
	v_log_f32_e32 v59, v59
	v_cndmask_b32_e64 v61, 0, v50, s[2:3]
	v_mul_f32_e32 v62, 0x3f317217, v59
	v_fma_f32 v63, v59, s33, -v62
	v_fmac_f32_e32 v63, 0x3377d1cf, v59
	v_add_f32_e32 v62, v62, v63
	v_cmp_lt_f32_e64 s[2:3], |v59|, s34
	v_cndmask_b32_e64 v59, v59, v62, s[2:3]
	v_sub_f32_e32 v59, v59, v61
	v_sub_f32_e64 v61, 1.0, |v0|
	v_add_f32_e64 v62, |v0|, s38
	v_cmp_lt_f32_e64 s[2:3], |v0|, s37
	v_cndmask_b32_e64 v61, v61, v62, s[2:3]
	v_cndmask_b32_e64 v62, 0, 1, s[2:3]
	v_cmp_lt_f32_e64 s[2:3], |v0|, s39
	v_xor_b32_e32 v59, 0x80000000, v59
	v_cndmask_b32_e64 v61, v61, |v0|, s[2:3]
	v_cndmask_b32_e64 v62, v62, 2, s[2:3]
.LBB15_267:                             ;   in Loop: Header=BB15_177 Depth=1
	s_andn2_saveexec_b64 s[8:9], s[8:9]
; %bb.268:                              ;   in Loop: Header=BB15_177 Depth=1
	v_sub_f32_e64 v59, 2.0, |v0|
	v_add_f32_e64 v61, |v0|, s41
	v_cmp_lt_f32_e64 s[2:3], |v0|, s40
	v_cndmask_b32_e64 v61, v59, v61, s[2:3]
	v_cndmask_b32_e64 v59, v59, 1.0, s[2:3]
	v_cvt_i32_f32_e32 v59, v59
	v_add_f32_e64 v62, |v0|, -1.0
	v_cmp_lt_f32_e64 s[2:3], |v0|, s42
	v_cndmask_b32_e64 v61, v61, v62, s[2:3]
	v_cndmask_b32_e64 v62, v59, 2, s[2:3]
	v_mov_b32_e32 v59, 0
; %bb.269:                              ;   in Loop: Header=BB15_177 Depth=1
	s_or_b64 exec, exec, s[8:9]
	v_cmp_lt_i32_e64 s[2:3], 0, v62
	s_and_saveexec_b64 s[8:9], s[2:3]
	s_xor_b64 s[8:9], exec, s[8:9]
	s_cbranch_execz .LBB15_277
; %bb.270:                              ;   in Loop: Header=BB15_177 Depth=1
	v_cmp_lt_i32_e64 s[2:3], 1, v62
	s_and_saveexec_b64 s[16:17], s[2:3]
	s_xor_b64 s[16:17], exec, s[16:17]
	s_cbranch_execz .LBB15_274
; %bb.271:                              ;   in Loop: Header=BB15_177 Depth=1
	v_cmp_eq_u32_e64 s[2:3], 2, v62
	s_and_saveexec_b64 s[18:19], s[2:3]
	s_cbranch_execz .LBB15_273
; %bb.272:                              ;   in Loop: Header=BB15_177 Depth=1
	v_mov_b32_e32 v63, 0x3dd572af
	v_fmac_f32_e32 v63, 0x3b52d5db, v61
	v_fma_f32 v63, v61, v63, v23
	v_mov_b32_e32 v62, 0x3e6a7578
	v_fma_f32 v63, v61, v63, v24
	v_fmac_f32_e32 v62, 0x3c5b3c5e, v61
	v_fma_f32 v63, v61, v63, v25
	v_fma_f32 v62, v61, v62, v20
	v_fma_f32 v63, v61, v63, 1.0
	v_fma_f32 v62, v61, v62, v21
	v_rcp_f32_e32 v63, v63
	v_fma_f32 v62, v61, v62, v22
	v_fma_f32 v62, v61, v62, v15
	v_mul_f32_e32 v62, v61, v62
	v_mul_f32_e32 v62, v62, v63
	v_fmac_f32_e32 v62, -0.5, v61
	v_add_f32_e32 v59, v59, v62
.LBB15_273:                             ;   in Loop: Header=BB15_177 Depth=1
	s_or_b64 exec, exec, s[18:19]
                                        ; implicit-def: $vgpr61
.LBB15_274:                             ;   in Loop: Header=BB15_177 Depth=1
	s_andn2_saveexec_b64 s[2:3], s[16:17]
	s_cbranch_execz .LBB15_276
; %bb.275:                              ;   in Loop: Header=BB15_177 Depth=1
	v_mul_f32_e32 v62, v61, v61
	v_mul_f32_e32 v63, v61, v62
	v_mov_b32_e32 v65, 0x3a66f867
	v_mov_b32_e32 v66, 0xba0d3085
	v_fmac_f32_e32 v65, 0xb9a3f927, v63
	v_fmac_f32_e32 v66, 0x39afe9f7, v63
	v_mov_b32_e32 v64, 0xbab7f476
	v_fma_f32 v65, v63, v65, v29
	v_fma_f32 v66, v63, v66, v32
	v_fmac_f32_e32 v64, 0x39a57b6b, v63
	v_fma_f32 v65, v63, v65, v30
	v_fma_f32 v66, v63, v66, v33
	;; [unrolled: 1-line block ×6, first 2 shown]
	v_fmac_f32_e32 v65, v61, v66
	v_fma_f32 v64, v63, v64, v28
	v_fma_f32 v61, v63, -v65, s43
	v_fma_f32 v61, v62, v64, -v61
	v_add_f32_e32 v61, 0xbdf8cdce, v61
	v_add_f32_e32 v59, v59, v61
.LBB15_276:                             ;   in Loop: Header=BB15_177 Depth=1
	s_or_b64 exec, exec, s[2:3]
                                        ; implicit-def: $vgpr62
                                        ; implicit-def: $vgpr61
.LBB15_277:                             ;   in Loop: Header=BB15_177 Depth=1
	s_andn2_saveexec_b64 s[8:9], s[8:9]
	s_cbranch_execz .LBB15_281
; %bb.278:                              ;   in Loop: Header=BB15_177 Depth=1
	v_cmp_eq_u32_e64 s[2:3], 0, v62
	s_and_saveexec_b64 s[16:17], s[2:3]
	s_cbranch_execz .LBB15_280
; %bb.279:                              ;   in Loop: Header=BB15_177 Depth=1
	v_mul_f32_e32 v62, v61, v61
	v_mov_b32_e32 v64, 0x38e28445
	v_mov_b32_e32 v63, 0x39679767
	v_fmac_f32_e32 v64, 0x383c2c75, v62
	v_fmac_f32_e32 v63, 0x37d383a2, v62
	v_fma_f32 v64, v62, v64, v39
	v_fma_f32 v63, v62, v63, v35
	;; [unrolled: 1-line block ×8, first 2 shown]
	v_mul_f32_e32 v62, v62, v64
	v_fmac_f32_e32 v62, v61, v63
	v_fmac_f32_e32 v62, -0.5, v61
	v_add_f32_e32 v59, v59, v62
.LBB15_280:                             ;   in Loop: Header=BB15_177 Depth=1
	s_or_b64 exec, exec, s[16:17]
.LBB15_281:                             ;   in Loop: Header=BB15_177 Depth=1
	s_or_b64 exec, exec, s[8:9]
.LBB15_282:                             ;   in Loop: Header=BB15_177 Depth=1
	s_or_b64 exec, exec, s[4:5]
.LBB15_283:                             ;   in Loop: Header=BB15_177 Depth=1
	s_andn2_saveexec_b64 s[6:7], s[6:7]
	s_cbranch_execz .LBB15_285
; %bb.284:                              ;   in Loop: Header=BB15_177 Depth=1
	v_cmp_lt_f32_e64 s[2:3], |v0|, s31
	v_cndmask_b32_e64 v59, 1.0, v49, s[2:3]
	v_mul_f32_e64 v59, |v0|, v59
	v_log_f32_e32 v59, v59
	v_fma_f32 v61, |v0|, s44, v51
	v_fma_f32 v61, |v0|, v61, s45
	;; [unrolled: 1-line block ×3, first 2 shown]
	v_mul_f32_e32 v62, 0x3f317217, v59
	v_fma_f32 v63, v59, s33, -v62
	v_fmac_f32_e32 v63, 0x3377d1cf, v59
	v_add_f32_e32 v62, v62, v63
	v_cmp_lt_f32_e64 s[4:5], |v59|, s34
	v_cndmask_b32_e64 v59, v59, v62, s[4:5]
	v_cndmask_b32_e64 v62, 0, v50, s[2:3]
	v_sub_f32_e32 v59, v59, v62
	v_fma_f32 v59, |v0|, v61, -v59
.LBB15_285:                             ;   in Loop: Header=BB15_177 Depth=1
	s_or_b64 exec, exec, s[6:7]
	v_cmp_le_f32_e64 s[2:3], 0, v0
	v_cmp_nle_f32_e64 s[4:5], 0, v0
	s_and_saveexec_b64 s[6:7], s[4:5]
	s_xor_b64 s[8:9], exec, s[6:7]
	s_cbranch_execz .LBB15_289
; %bb.286:                              ;   in Loop: Header=BB15_177 Depth=1
	v_cmp_lt_f32_e64 s[4:5], |v0|, s47
	v_cmp_gt_f32_e64 s[6:7], |v0|, s48
	s_and_b64 s[4:5], s[4:5], s[6:7]
	s_and_saveexec_b64 s[16:17], s[4:5]
	s_cbranch_execz .LBB15_288
; %bb.287:                              ;   in Loop: Header=BB15_177 Depth=1
	v_mul_f32_e64 v61, |v0|, 0.5
	v_floor_f32_e32 v62, v61
	v_sub_f32_e32 v62, v61, v62
	v_min_f32_e32 v62, 0x3f7fffff, v62
	v_add_f32_e32 v62, v62, v62
	v_cmp_neq_f32_e64 s[4:5], s34, v61
	v_cndmask_b32_e64 v61, 0, v62, s[4:5]
	v_cmp_gt_f32_e64 s[4:5], |v0|, 1.0
	v_cndmask_b32_e64 v61, |v0|, v61, s[4:5]
	v_add_f32_e32 v62, v61, v61
	v_rndne_f32_e32 v62, v62
	v_fmac_f32_e32 v61, -0.5, v62
	v_mul_f32_e32 v63, v61, v61
	v_mov_b32_e32 v64, 0xbf1f24be
	v_fmac_f32_e32 v64, 0x3e75aa41, v63
	v_fma_f32 v64, v63, v64, v43
	v_fma_f32 v64, v63, v64, v44
	v_mul_f32_e32 v65, v61, v63
	v_mul_f32_e32 v64, v65, v64
	v_fmac_f32_e32 v64, 0x40490fdb, v61
	v_mov_b32_e32 v61, 0x3e642e9d
	v_cvt_i32_f32_e32 v62, v62
	v_fmac_f32_e32 v61, 0x3d4be544, v63
	v_fma_f32 v61, v63, v61, v45
	v_fma_f32 v61, v63, v61, v46
	;; [unrolled: 1-line block ×3, first 2 shown]
	v_fma_f32 v61, v63, v61, 1.0
	v_and_b32_e32 v63, 1, v62
	v_cmp_eq_u32_e64 s[4:5], 0, v63
	v_lshlrev_b32_e32 v62, 30, v62
	v_cndmask_b32_e64 v61, v61, v64, s[4:5]
	v_and_or_b32 v60, v62, s36, v60
	v_xor_b32_e32 v60, v60, v61
	v_xor_b32_e32 v60, v60, v0
	v_mul_f32_e32 v60, v0, v60
	v_frexp_mant_f32_e64 v61, |v60|
	v_rcp_f32_e32 v61, v61
	v_frexp_exp_i32_f32_e32 v60, v60
	v_sub_u32_e32 v60, 2, v60
	v_mul_f32_e32 v61, 0x3f490fdb, v61
	v_ldexp_f32 v60, v61, v60
	v_cmp_gt_f32_e64 s[4:5], s31, v60
	v_cndmask_b32_e64 v61, 1.0, v49, s[4:5]
	v_mul_f32_e32 v60, v60, v61
	v_log_f32_e32 v60, v60
	v_mul_f32_e32 v61, 0x3f317217, v60
	v_fma_f32 v62, v60, s33, -v61
	v_fmac_f32_e32 v62, 0x3377d1cf, v60
	v_add_f32_e32 v61, v61, v62
	v_cmp_lt_f32_e64 s[6:7], |v60|, s34
	v_cndmask_b32_e64 v60, v60, v61, s[6:7]
	v_cndmask_b32_e64 v61, 0, v50, s[4:5]
	v_sub_f32_e32 v60, v60, v61
	v_sub_f32_e32 v59, v60, v59
	v_floor_f32_e32 v60, v0
	v_sub_f32_e32 v60, v0, v60
	v_min_f32_e32 v60, 0x3f7fffff, v60
	v_cmp_neq_f32_e64 s[4:5], 0, v60
	v_cndmask_b32_e64 v59, v52, v59, s[4:5]
.LBB15_288:                             ;   in Loop: Header=BB15_177 Depth=1
	s_or_b64 exec, exec, s[16:17]
.LBB15_289:                             ;   in Loop: Header=BB15_177 Depth=1
	s_andn2_saveexec_b64 s[8:9], s[8:9]
; %bb.290:                              ;   in Loop: Header=BB15_177 Depth=1
	v_cmp_eq_f32_e64 s[4:5], 1.0, v0
	v_cmp_eq_f32_e64 s[6:7], 2.0, v0
	s_or_b64 s[4:5], s[4:5], s[6:7]
	v_cndmask_b32_e64 v59, v59, 0, s[4:5]
; %bb.291:                              ;   in Loop: Header=BB15_177 Depth=1
	s_or_b64 exec, exec, s[8:9]
	v_and_b32_e32 v1, 0xffff0000, v1
	v_and_b32_e32 v60, 0x7fffffff, v1
	v_cmp_nlt_f32_e64 s[4:5], |v1|, s28
                                        ; implicit-def: $vgpr61
	s_and_saveexec_b64 s[6:7], s[4:5]
	s_xor_b64 s[8:9], exec, s[6:7]
	s_cbranch_execz .LBB15_321
; %bb.292:                              ;   in Loop: Header=BB15_177 Depth=1
	v_cmp_nlt_f32_e64 s[4:5], |v1|, 2.0
                                        ; implicit-def: $vgpr61
	s_and_saveexec_b64 s[6:7], s[4:5]
	s_xor_b64 s[16:17], exec, s[6:7]
	s_cbranch_execz .LBB15_302
; %bb.293:                              ;   in Loop: Header=BB15_177 Depth=1
	v_cmp_nlt_f32_e64 s[4:5], |v1|, s29
                                        ; implicit-def: $vgpr61
	s_and_saveexec_b64 s[6:7], s[4:5]
	s_xor_b64 s[18:19], exec, s[6:7]
	s_cbranch_execz .LBB15_299
; %bb.294:                              ;   in Loop: Header=BB15_177 Depth=1
	v_cmp_nlt_f32_e64 s[4:5], |v1|, s30
                                        ; implicit-def: $vgpr61
	s_and_saveexec_b64 s[6:7], s[4:5]
	s_xor_b64 s[22:23], exec, s[6:7]
	s_cbranch_execz .LBB15_296
; %bb.295:                              ;   in Loop: Header=BB15_177 Depth=1
	v_cmp_lt_f32_e64 s[4:5], |v1|, s31
	v_cndmask_b32_e64 v61, 1.0, v49, s[4:5]
	v_mul_f32_e64 v61, |v1|, v61
	v_log_f32_e32 v61, v61
	v_mul_f32_e32 v62, 0x3f317217, v61
	v_fma_f32 v63, v61, s33, -v62
	v_fmac_f32_e32 v63, 0x3377d1cf, v61
	v_add_f32_e32 v62, v62, v63
	v_cmp_lt_f32_e64 s[6:7], |v61|, s34
	v_cndmask_b32_e64 v61, v61, v62, s[6:7]
	v_cndmask_b32_e64 v62, 0, v50, s[4:5]
	v_sub_f32_e32 v61, v61, v62
	v_fma_f32 v61, |v1|, v61, -|v1|
.LBB15_296:                             ;   in Loop: Header=BB15_177 Depth=1
	s_andn2_saveexec_b64 s[22:23], s[22:23]
	s_cbranch_execz .LBB15_298
; %bb.297:                              ;   in Loop: Header=BB15_177 Depth=1
	v_rcp_f32_e64 v61, |v1|
	v_cmp_lt_f32_e64 s[4:5], |v1|, s31
	v_cndmask_b32_e64 v63, 1.0, v49, s[4:5]
	v_mov_b32_e32 v62, 0x3a5b3dd2
	v_mul_f32_e32 v64, v61, v61
	v_mul_f32_e64 v63, |v1|, v63
	v_fmac_f32_e32 v62, 0xbad5c4e8, v64
	v_log_f32_e32 v63, v63
	v_fma_f32 v62, v64, v62, v6
	v_fma_f32 v62, v64, v62, v7
	;; [unrolled: 1-line block ×4, first 2 shown]
	v_mul_f32_e32 v64, 0x3f317217, v63
	v_fma_f32 v65, v63, s33, -v64
	v_fmac_f32_e32 v65, 0x3377d1cf, v63
	v_add_f32_e32 v64, v64, v65
	v_cmp_lt_f32_e64 s[6:7], |v63|, s34
	v_cndmask_b32_e64 v63, v63, v64, s[6:7]
	v_cndmask_b32_e64 v64, 0, v50, s[4:5]
	v_sub_f32_e32 v63, v63, v64
	v_fma_f32 v61, v61, v62, v10
	v_add_f32_e64 v62, |v1|, -0.5
	v_add_f32_e32 v63, -1.0, v63
	v_fmac_f32_e32 v61, v62, v63
.LBB15_298:                             ;   in Loop: Header=BB15_177 Depth=1
	s_or_b64 exec, exec, s[22:23]
.LBB15_299:                             ;   in Loop: Header=BB15_177 Depth=1
	s_andn2_saveexec_b64 s[18:19], s[18:19]
	s_cbranch_execz .LBB15_301
; %bb.300:                              ;   in Loop: Header=BB15_177 Depth=1
	v_cvt_i32_f32_e32 v61, v60
	v_mov_b32_e32 v63, 0x3af135b4
	v_mov_b32_e32 v64, 0x3a4beed6
	v_cvt_f32_i32_e32 v62, v61
	v_cmp_lt_i32_e64 s[4:5], 3, v61
	v_sub_f32_e64 v62, |v1|, v62
	v_fmac_f32_e32 v63, 0x3805ff67, v62
	v_fmac_f32_e32 v64, 0x36f5d7bd, v62
	v_fma_f32 v63, v62, v63, v11
	v_fma_f32 v64, v62, v64, v16
	;; [unrolled: 1-line block ×9, first 2 shown]
	v_fma_f32 v64, v62, v64, 1.0
	v_rcp_f32_e32 v66, v64
	v_pk_add_f32 v[64:65], v[62:63], s[12:13] op_sel_hi:[0,1]
	v_cndmask_b32_e64 v65, 1.0, v65, s[4:5]
	v_cmp_lt_i32_e64 s[4:5], 2, v61
	v_add_f32_e32 v67, 4.0, v62
	v_cndmask_b32_e64 v64, 1.0, v64, s[4:5]
	v_cmp_lt_i32_e64 s[4:5], 4, v61
	v_add_f32_e32 v68, 0x40a00000, v62
	v_mul_f32_e32 v64, v64, v65
	v_cndmask_b32_e64 v65, 1.0, v67, s[4:5]
	v_cmp_lt_i32_e64 s[4:5], 5, v61
	v_add_f32_e32 v69, 0x40c00000, v62
	v_mul_f32_e32 v64, v65, v64
	v_cndmask_b32_e64 v65, 1.0, v68, s[4:5]
	v_cmp_lt_i32_e64 s[4:5], 6, v61
	v_mul_f32_e32 v64, v65, v64
	v_cndmask_b32_e64 v61, 1.0, v69, s[4:5]
	v_mul_f32_e32 v61, v61, v64
	v_cmp_gt_f32_e64 s[4:5], s31, v61
	v_cndmask_b32_e64 v64, 1.0, v49, s[4:5]
	v_mul_f32_e32 v61, v61, v64
	v_log_f32_e32 v61, v61
	v_mul_f32_e32 v63, v62, v63
	v_mul_f32_e32 v63, v63, v66
	v_fmac_f32_e32 v63, 0.5, v62
	v_mul_f32_e32 v62, 0x3f317217, v61
	v_fma_f32 v64, v61, s33, -v62
	v_fmac_f32_e32 v64, 0x3377d1cf, v61
	v_add_f32_e32 v62, v62, v64
	v_cmp_lt_f32_e64 s[6:7], |v61|, s34
	v_cndmask_b32_e64 v61, v61, v62, s[6:7]
	v_cndmask_b32_e64 v62, 0, v50, s[4:5]
	v_sub_f32_e32 v61, v61, v62
	v_add_f32_e32 v61, v61, v63
.LBB15_301:                             ;   in Loop: Header=BB15_177 Depth=1
	s_or_b64 exec, exec, s[18:19]
.LBB15_302:                             ;   in Loop: Header=BB15_177 Depth=1
	s_andn2_saveexec_b64 s[6:7], s[16:17]
	s_cbranch_execz .LBB15_320
; %bb.303:                              ;   in Loop: Header=BB15_177 Depth=1
	v_cmp_le_f32_e64 s[4:5], |v1|, s35
                                        ; implicit-def: $vgpr61
                                        ; implicit-def: $vgpr63
                                        ; implicit-def: $vgpr62
	s_and_saveexec_b64 s[16:17], s[4:5]
	s_xor_b64 s[16:17], exec, s[16:17]
	s_cbranch_execz .LBB15_305
; %bb.304:                              ;   in Loop: Header=BB15_177 Depth=1
	v_cmp_lt_f32_e64 s[4:5], |v1|, s31
	v_cndmask_b32_e64 v61, 1.0, v49, s[4:5]
	v_mul_f32_e64 v61, |v1|, v61
	v_log_f32_e32 v61, v61
	v_cndmask_b32_e64 v62, 0, v50, s[4:5]
	v_mul_f32_e32 v63, 0x3f317217, v61
	v_fma_f32 v64, v61, s33, -v63
	v_fmac_f32_e32 v64, 0x3377d1cf, v61
	v_add_f32_e32 v63, v63, v64
	v_cmp_lt_f32_e64 s[4:5], |v61|, s34
	v_cndmask_b32_e64 v61, v61, v63, s[4:5]
	v_sub_f32_e32 v61, v61, v62
	v_sub_f32_e64 v62, 1.0, |v1|
	v_add_f32_e64 v63, |v1|, s38
	v_cmp_lt_f32_e64 s[4:5], |v1|, s37
	v_cndmask_b32_e64 v62, v62, v63, s[4:5]
	v_cndmask_b32_e64 v63, 0, 1, s[4:5]
	v_cmp_lt_f32_e64 s[4:5], |v1|, s39
	v_xor_b32_e32 v61, 0x80000000, v61
	v_cndmask_b32_e64 v62, v62, |v1|, s[4:5]
	v_cndmask_b32_e64 v63, v63, 2, s[4:5]
.LBB15_305:                             ;   in Loop: Header=BB15_177 Depth=1
	s_andn2_saveexec_b64 s[16:17], s[16:17]
; %bb.306:                              ;   in Loop: Header=BB15_177 Depth=1
	v_sub_f32_e64 v61, 2.0, |v1|
	v_add_f32_e64 v62, |v1|, s41
	v_cmp_lt_f32_e64 s[4:5], |v1|, s40
	v_cndmask_b32_e64 v62, v61, v62, s[4:5]
	v_cndmask_b32_e64 v61, v61, 1.0, s[4:5]
	v_cvt_i32_f32_e32 v61, v61
	v_add_f32_e64 v63, |v1|, -1.0
	v_cmp_lt_f32_e64 s[4:5], |v1|, s42
	v_cndmask_b32_e64 v62, v62, v63, s[4:5]
	v_cndmask_b32_e64 v63, v61, 2, s[4:5]
	v_mov_b32_e32 v61, 0
; %bb.307:                              ;   in Loop: Header=BB15_177 Depth=1
	s_or_b64 exec, exec, s[16:17]
	v_cmp_lt_i32_e64 s[4:5], 0, v63
	s_and_saveexec_b64 s[16:17], s[4:5]
	s_xor_b64 s[16:17], exec, s[16:17]
	s_cbranch_execz .LBB15_315
; %bb.308:                              ;   in Loop: Header=BB15_177 Depth=1
	v_cmp_lt_i32_e64 s[4:5], 1, v63
	s_and_saveexec_b64 s[18:19], s[4:5]
	s_xor_b64 s[18:19], exec, s[18:19]
	s_cbranch_execz .LBB15_312
; %bb.309:                              ;   in Loop: Header=BB15_177 Depth=1
	v_cmp_eq_u32_e64 s[4:5], 2, v63
	s_and_saveexec_b64 s[22:23], s[4:5]
	s_cbranch_execz .LBB15_311
; %bb.310:                              ;   in Loop: Header=BB15_177 Depth=1
	v_mov_b32_e32 v64, 0x3dd572af
	v_fmac_f32_e32 v64, 0x3b52d5db, v62
	v_fma_f32 v64, v62, v64, v23
	v_mov_b32_e32 v63, 0x3e6a7578
	v_fma_f32 v64, v62, v64, v24
	v_fmac_f32_e32 v63, 0x3c5b3c5e, v62
	v_fma_f32 v64, v62, v64, v25
	v_fma_f32 v63, v62, v63, v20
	v_fma_f32 v64, v62, v64, 1.0
	v_fma_f32 v63, v62, v63, v21
	v_rcp_f32_e32 v64, v64
	v_fma_f32 v63, v62, v63, v22
	v_fma_f32 v63, v62, v63, v15
	v_mul_f32_e32 v63, v62, v63
	v_mul_f32_e32 v63, v63, v64
	v_fmac_f32_e32 v63, -0.5, v62
	v_add_f32_e32 v61, v61, v63
.LBB15_311:                             ;   in Loop: Header=BB15_177 Depth=1
	s_or_b64 exec, exec, s[22:23]
                                        ; implicit-def: $vgpr62
.LBB15_312:                             ;   in Loop: Header=BB15_177 Depth=1
	s_andn2_saveexec_b64 s[4:5], s[18:19]
	s_cbranch_execz .LBB15_314
; %bb.313:                              ;   in Loop: Header=BB15_177 Depth=1
	v_mul_f32_e32 v63, v62, v62
	v_mul_f32_e32 v64, v62, v63
	v_mov_b32_e32 v66, 0x3a66f867
	v_mov_b32_e32 v67, 0xba0d3085
	v_fmac_f32_e32 v66, 0xb9a3f927, v64
	v_fmac_f32_e32 v67, 0x39afe9f7, v64
	v_mov_b32_e32 v65, 0xbab7f476
	v_fma_f32 v66, v64, v66, v29
	v_fma_f32 v67, v64, v67, v32
	v_fmac_f32_e32 v65, 0x39a57b6b, v64
	v_fma_f32 v66, v64, v66, v30
	v_fma_f32 v67, v64, v67, v33
	;; [unrolled: 1-line block ×6, first 2 shown]
	v_fmac_f32_e32 v66, v62, v67
	v_fma_f32 v65, v64, v65, v28
	v_fma_f32 v62, v64, -v66, s43
	v_fma_f32 v62, v63, v65, -v62
	v_add_f32_e32 v62, 0xbdf8cdce, v62
	v_add_f32_e32 v61, v61, v62
.LBB15_314:                             ;   in Loop: Header=BB15_177 Depth=1
	s_or_b64 exec, exec, s[4:5]
                                        ; implicit-def: $vgpr63
                                        ; implicit-def: $vgpr62
.LBB15_315:                             ;   in Loop: Header=BB15_177 Depth=1
	s_andn2_saveexec_b64 s[16:17], s[16:17]
	s_cbranch_execz .LBB15_319
; %bb.316:                              ;   in Loop: Header=BB15_177 Depth=1
	v_cmp_eq_u32_e64 s[4:5], 0, v63
	s_and_saveexec_b64 s[18:19], s[4:5]
	s_cbranch_execz .LBB15_318
; %bb.317:                              ;   in Loop: Header=BB15_177 Depth=1
	v_mul_f32_e32 v63, v62, v62
	v_mov_b32_e32 v65, 0x38e28445
	v_mov_b32_e32 v64, 0x39679767
	v_fmac_f32_e32 v65, 0x383c2c75, v63
	v_fmac_f32_e32 v64, 0x37d383a2, v63
	v_fma_f32 v65, v63, v65, v39
	v_fma_f32 v64, v63, v64, v35
	v_fma_f32 v65, v63, v65, v40
	v_fma_f32 v64, v63, v64, v36
	v_fma_f32 v65, v63, v65, v41
	v_fma_f32 v64, v63, v64, v37
	v_fma_f32 v65, v63, v65, v42
	v_fma_f32 v64, v63, v64, v38
	v_mul_f32_e32 v63, v63, v65
	v_fmac_f32_e32 v63, v62, v64
	v_fmac_f32_e32 v63, -0.5, v62
	v_add_f32_e32 v61, v61, v63
.LBB15_318:                             ;   in Loop: Header=BB15_177 Depth=1
	s_or_b64 exec, exec, s[18:19]
.LBB15_319:                             ;   in Loop: Header=BB15_177 Depth=1
	s_or_b64 exec, exec, s[16:17]
.LBB15_320:                             ;   in Loop: Header=BB15_177 Depth=1
	s_or_b64 exec, exec, s[6:7]
.LBB15_321:                             ;   in Loop: Header=BB15_177 Depth=1
	s_andn2_saveexec_b64 s[8:9], s[8:9]
	s_cbranch_execz .LBB15_323
; %bb.322:                              ;   in Loop: Header=BB15_177 Depth=1
	v_cmp_lt_f32_e64 s[4:5], |v1|, s31
	v_cndmask_b32_e64 v61, 1.0, v49, s[4:5]
	v_mul_f32_e64 v61, |v1|, v61
	v_log_f32_e32 v61, v61
	v_fma_f32 v62, |v1|, s44, v51
	v_fma_f32 v62, |v1|, v62, s45
	;; [unrolled: 1-line block ×3, first 2 shown]
	v_mul_f32_e32 v63, 0x3f317217, v61
	v_fma_f32 v64, v61, s33, -v63
	v_fmac_f32_e32 v64, 0x3377d1cf, v61
	v_add_f32_e32 v63, v63, v64
	v_cmp_lt_f32_e64 s[6:7], |v61|, s34
	v_cndmask_b32_e64 v61, v61, v63, s[6:7]
	v_cndmask_b32_e64 v63, 0, v50, s[4:5]
	v_sub_f32_e32 v61, v61, v63
	v_fma_f32 v61, |v1|, v62, -v61
.LBB15_323:                             ;   in Loop: Header=BB15_177 Depth=1
	s_or_b64 exec, exec, s[8:9]
	v_cmp_le_f32_e64 s[4:5], 0, v1
	v_cmp_nle_f32_e64 s[6:7], 0, v1
	s_and_saveexec_b64 s[8:9], s[6:7]
	s_xor_b64 s[16:17], exec, s[8:9]
	s_cbranch_execz .LBB15_327
; %bb.324:                              ;   in Loop: Header=BB15_177 Depth=1
	v_cmp_lt_f32_e64 s[6:7], |v1|, s47
	v_cmp_gt_f32_e64 s[8:9], |v1|, s48
	s_and_b64 s[6:7], s[6:7], s[8:9]
	s_and_saveexec_b64 s[18:19], s[6:7]
	s_cbranch_execz .LBB15_326
; %bb.325:                              ;   in Loop: Header=BB15_177 Depth=1
	v_mul_f32_e64 v62, |v1|, 0.5
	v_floor_f32_e32 v63, v62
	v_sub_f32_e32 v63, v62, v63
	v_min_f32_e32 v63, 0x3f7fffff, v63
	v_add_f32_e32 v63, v63, v63
	v_cmp_neq_f32_e64 s[6:7], s34, v62
	v_cndmask_b32_e64 v62, 0, v63, s[6:7]
	v_cmp_gt_f32_e64 s[6:7], |v1|, 1.0
	v_cndmask_b32_e64 v62, |v1|, v62, s[6:7]
	v_add_f32_e32 v63, v62, v62
	v_rndne_f32_e32 v63, v63
	v_fmac_f32_e32 v62, -0.5, v63
	v_mul_f32_e32 v64, v62, v62
	v_mov_b32_e32 v65, 0xbf1f24be
	v_fmac_f32_e32 v65, 0x3e75aa41, v64
	v_fma_f32 v65, v64, v65, v43
	v_fma_f32 v65, v64, v65, v44
	v_mul_f32_e32 v66, v62, v64
	v_mul_f32_e32 v65, v66, v65
	v_fmac_f32_e32 v65, 0x40490fdb, v62
	v_mov_b32_e32 v62, 0x3e642e9d
	v_cvt_i32_f32_e32 v63, v63
	v_fmac_f32_e32 v62, 0x3d4be544, v64
	v_fma_f32 v62, v64, v62, v45
	v_fma_f32 v62, v64, v62, v46
	;; [unrolled: 1-line block ×3, first 2 shown]
	v_fma_f32 v62, v64, v62, 1.0
	v_and_b32_e32 v64, 1, v63
	v_cmp_eq_u32_e64 s[6:7], 0, v64
	v_lshlrev_b32_e32 v63, 30, v63
	v_cndmask_b32_e64 v62, v62, v65, s[6:7]
	v_and_or_b32 v60, v63, s36, v60
	v_xor_b32_e32 v60, v60, v62
	v_xor_b32_e32 v60, v60, v1
	v_mul_f32_e32 v60, v1, v60
	v_frexp_mant_f32_e64 v62, |v60|
	v_rcp_f32_e32 v62, v62
	v_frexp_exp_i32_f32_e32 v60, v60
	v_sub_u32_e32 v60, 2, v60
	v_mul_f32_e32 v62, 0x3f490fdb, v62
	v_ldexp_f32 v60, v62, v60
	v_cmp_gt_f32_e64 s[6:7], s31, v60
	v_cndmask_b32_e64 v62, 1.0, v49, s[6:7]
	v_mul_f32_e32 v60, v60, v62
	v_log_f32_e32 v60, v60
	v_mul_f32_e32 v62, 0x3f317217, v60
	v_fma_f32 v63, v60, s33, -v62
	v_fmac_f32_e32 v63, 0x3377d1cf, v60
	v_add_f32_e32 v62, v62, v63
	v_cmp_lt_f32_e64 s[8:9], |v60|, s34
	v_cndmask_b32_e64 v60, v60, v62, s[8:9]
	v_cndmask_b32_e64 v62, 0, v50, s[6:7]
	v_sub_f32_e32 v60, v60, v62
	v_sub_f32_e32 v60, v60, v61
	v_floor_f32_e32 v61, v1
	v_sub_f32_e32 v61, v1, v61
	v_min_f32_e32 v61, 0x3f7fffff, v61
	v_cmp_neq_f32_e64 s[6:7], 0, v61
	v_cndmask_b32_e64 v61, v52, v60, s[6:7]
.LBB15_326:                             ;   in Loop: Header=BB15_177 Depth=1
	s_or_b64 exec, exec, s[18:19]
.LBB15_327:                             ;   in Loop: Header=BB15_177 Depth=1
	s_andn2_saveexec_b64 s[16:17], s[16:17]
	s_cbranch_execz .LBB15_176
; %bb.328:                              ;   in Loop: Header=BB15_177 Depth=1
	v_cmp_eq_f32_e64 s[6:7], 1.0, v1
	v_cmp_eq_f32_e64 s[8:9], 2.0, v1
	s_or_b64 s[6:7], s[6:7], s[8:9]
	v_cndmask_b32_e64 v61, v61, 0, s[6:7]
	s_branch .LBB15_176
.LBB15_329:
	s_endpgm
	.section	.rodata,"a",@progbits
	.p2align	6, 0x0
	.amdhsa_kernel _ZN2at6native12_GLOBAL__N_125multi_tensor_apply_kernelINS1_18TensorListMetadataILi1EEENS1_14UnaryOpFunctorIN3c108BFloat16ELi1ELi1ELi0EEEJNS0_6LgammaIfEEEEEvT_T0_DpT1_
		.amdhsa_group_segment_fixed_size 0
		.amdhsa_private_segment_fixed_size 0
		.amdhsa_kernarg_size 3632
		.amdhsa_user_sgpr_count 6
		.amdhsa_user_sgpr_private_segment_buffer 1
		.amdhsa_user_sgpr_dispatch_ptr 0
		.amdhsa_user_sgpr_queue_ptr 0
		.amdhsa_user_sgpr_kernarg_segment_ptr 1
		.amdhsa_user_sgpr_dispatch_id 0
		.amdhsa_user_sgpr_flat_scratch_init 0
		.amdhsa_user_sgpr_kernarg_preload_length 0
		.amdhsa_user_sgpr_kernarg_preload_offset 0
		.amdhsa_user_sgpr_private_segment_size 0
		.amdhsa_uses_dynamic_stack 0
		.amdhsa_system_sgpr_private_segment_wavefront_offset 0
		.amdhsa_system_sgpr_workgroup_id_x 1
		.amdhsa_system_sgpr_workgroup_id_y 0
		.amdhsa_system_sgpr_workgroup_id_z 0
		.amdhsa_system_sgpr_workgroup_info 0
		.amdhsa_system_vgpr_workitem_id 0
		.amdhsa_next_free_vgpr 76
		.amdhsa_next_free_sgpr 66
		.amdhsa_accum_offset 76
		.amdhsa_reserve_vcc 1
		.amdhsa_reserve_flat_scratch 0
		.amdhsa_float_round_mode_32 0
		.amdhsa_float_round_mode_16_64 0
		.amdhsa_float_denorm_mode_32 3
		.amdhsa_float_denorm_mode_16_64 3
		.amdhsa_dx10_clamp 1
		.amdhsa_ieee_mode 1
		.amdhsa_fp16_overflow 0
		.amdhsa_tg_split 0
		.amdhsa_exception_fp_ieee_invalid_op 0
		.amdhsa_exception_fp_denorm_src 0
		.amdhsa_exception_fp_ieee_div_zero 0
		.amdhsa_exception_fp_ieee_overflow 0
		.amdhsa_exception_fp_ieee_underflow 0
		.amdhsa_exception_fp_ieee_inexact 0
		.amdhsa_exception_int_div_zero 0
	.end_amdhsa_kernel
	.section	.text._ZN2at6native12_GLOBAL__N_125multi_tensor_apply_kernelINS1_18TensorListMetadataILi1EEENS1_14UnaryOpFunctorIN3c108BFloat16ELi1ELi1ELi0EEEJNS0_6LgammaIfEEEEEvT_T0_DpT1_,"axG",@progbits,_ZN2at6native12_GLOBAL__N_125multi_tensor_apply_kernelINS1_18TensorListMetadataILi1EEENS1_14UnaryOpFunctorIN3c108BFloat16ELi1ELi1ELi0EEEJNS0_6LgammaIfEEEEEvT_T0_DpT1_,comdat
.Lfunc_end15:
	.size	_ZN2at6native12_GLOBAL__N_125multi_tensor_apply_kernelINS1_18TensorListMetadataILi1EEENS1_14UnaryOpFunctorIN3c108BFloat16ELi1ELi1ELi0EEEJNS0_6LgammaIfEEEEEvT_T0_DpT1_, .Lfunc_end15-_ZN2at6native12_GLOBAL__N_125multi_tensor_apply_kernelINS1_18TensorListMetadataILi1EEENS1_14UnaryOpFunctorIN3c108BFloat16ELi1ELi1ELi0EEEJNS0_6LgammaIfEEEEEvT_T0_DpT1_
                                        ; -- End function
	.section	.AMDGPU.csdata,"",@progbits
; Kernel info:
; codeLenInByte = 19396
; NumSgprs: 70
; NumVgprs: 76
; NumAgprs: 0
; TotalNumVgprs: 76
; ScratchSize: 0
; MemoryBound: 0
; FloatMode: 240
; IeeeMode: 1
; LDSByteSize: 0 bytes/workgroup (compile time only)
; SGPRBlocks: 8
; VGPRBlocks: 9
; NumSGPRsForWavesPerEU: 70
; NumVGPRsForWavesPerEU: 76
; AccumOffset: 76
; Occupancy: 6
; WaveLimiterHint : 0
; COMPUTE_PGM_RSRC2:SCRATCH_EN: 0
; COMPUTE_PGM_RSRC2:USER_SGPR: 6
; COMPUTE_PGM_RSRC2:TRAP_HANDLER: 0
; COMPUTE_PGM_RSRC2:TGID_X_EN: 1
; COMPUTE_PGM_RSRC2:TGID_Y_EN: 0
; COMPUTE_PGM_RSRC2:TGID_Z_EN: 0
; COMPUTE_PGM_RSRC2:TIDIG_COMP_CNT: 0
; COMPUTE_PGM_RSRC3_GFX90A:ACCUM_OFFSET: 18
; COMPUTE_PGM_RSRC3_GFX90A:TG_SPLIT: 0
	.section	.text._ZN2at6native12_GLOBAL__N_125multi_tensor_apply_kernelINS1_18TensorListMetadataILi2EEENS1_14UnaryOpFunctorIdLi2ELi1ELi1EEEJNS0_6TruncfIdEEEEEvT_T0_DpT1_,"axG",@progbits,_ZN2at6native12_GLOBAL__N_125multi_tensor_apply_kernelINS1_18TensorListMetadataILi2EEENS1_14UnaryOpFunctorIdLi2ELi1ELi1EEEJNS0_6TruncfIdEEEEEvT_T0_DpT1_,comdat
	.globl	_ZN2at6native12_GLOBAL__N_125multi_tensor_apply_kernelINS1_18TensorListMetadataILi2EEENS1_14UnaryOpFunctorIdLi2ELi1ELi1EEEJNS0_6TruncfIdEEEEEvT_T0_DpT1_ ; -- Begin function _ZN2at6native12_GLOBAL__N_125multi_tensor_apply_kernelINS1_18TensorListMetadataILi2EEENS1_14UnaryOpFunctorIdLi2ELi1ELi1EEEJNS0_6TruncfIdEEEEEvT_T0_DpT1_
	.p2align	8
	.type	_ZN2at6native12_GLOBAL__N_125multi_tensor_apply_kernelINS1_18TensorListMetadataILi2EEENS1_14UnaryOpFunctorIdLi2ELi1ELi1EEEJNS0_6TruncfIdEEEEEvT_T0_DpT1_,@function
_ZN2at6native12_GLOBAL__N_125multi_tensor_apply_kernelINS1_18TensorListMetadataILi2EEENS1_14UnaryOpFunctorIdLi2ELi1ELi1EEEJNS0_6TruncfIdEEEEEvT_T0_DpT1_: ; @_ZN2at6native12_GLOBAL__N_125multi_tensor_apply_kernelINS1_18TensorListMetadataILi2EEENS1_14UnaryOpFunctorIdLi2ELi1ELi1EEEJNS0_6TruncfIdEEEEEvT_T0_DpT1_
; %bb.0:
	v_mov_b32_e32 v1, s6
	global_load_ubyte v1, v1, s[4:5] offset:1536
	s_add_u32 s0, s4, s6
	s_mul_hi_u32 s2, s6, 3
	s_mul_i32 s6, s6, 3
	s_addc_u32 s7, s5, 0
	s_add_u32 s6, s0, s6
	s_addc_u32 s7, s7, s2
	s_load_dword s12, s[6:7], 0x740
	s_mov_b32 s1, 0
	s_mov_b32 s11, s1
	;; [unrolled: 1-line block ×3, first 2 shown]
	s_waitcnt lgkmcnt(0)
	s_ashr_i32 s13, s12, 31
	s_lshl_b64 s[8:9], s[12:13], 19
	s_waitcnt vmcnt(0)
	v_readfirstlane_b32 s0, v1
	s_lshl_b32 s0, s0, 3
	s_load_dwordx2 s[14:15], s[4:5], s0 offset:0x0
	s_load_dwordx2 s[16:17], s[4:5], s0 offset:0x400
	;; [unrolled: 1-line block ×3, first 2 shown]
	s_waitcnt lgkmcnt(0)
	s_add_u32 s20, s14, s8
	s_addc_u32 s21, s15, s9
	s_and_b32 s0, s20, 31
	s_add_u32 s22, s6, s8
	s_addc_u32 s23, s7, s9
	s_and_b32 s10, s16, 3
	s_and_b32 s2, s22, 31
	s_or_b64 s[10:11], s[0:1], s[10:11]
	s_or_b64 s[2:3], s[2:3], s[10:11]
	s_lshl_b64 s[10:11], s[12:13], 16
	s_sub_u32 s10, s16, s10
	s_subb_u32 s11, s17, s11
	s_cmp_eq_u64 s[2:3], 0
	s_mov_b64 s[2:3], -1
	s_cbranch_scc0 .LBB16_5
; %bb.1:
	v_mov_b32_e32 v3, 0
	v_lshlrev_b32_e32 v2, 2, v0
	v_cmp_gt_i64_e32 vcc, s[10:11], v[2:3]
	s_and_saveexec_b64 s[12:13], vcc
	s_cbranch_execz .LBB16_4
; %bb.2:
	s_load_dword s0, s[4:5], 0xc5c
	v_lshlrev_b32_e32 v4, 5, v0
	s_mov_b64 s[16:17], 0
	s_mov_b64 s[18:19], 0xffff
	v_mov_b32_e32 v1, s1
	s_waitcnt lgkmcnt(0)
	s_and_b32 s0, s0, 0xffff
	v_add_lshl_u32 v2, v0, s0, 2
	s_lshl_b32 s24, s0, 2
	s_lshl_b32 s25, s0, 5
.LBB16_3:                               ; =>This Inner Loop Header: Depth=1
	v_mov_b32_e32 v5, s21
	v_add_co_u32_e32 v14, vcc, s20, v4
	v_addc_co_u32_e32 v15, vcc, 0, v5, vcc
	global_load_dwordx4 v[6:9], v[14:15], off
	global_load_dwordx4 v[10:13], v[14:15], off offset:16
	v_cmp_le_i64_e32 vcc, s[10:11], v[2:3]
	v_cmp_lt_u64_e64 s[0:1], s[18:19], v[2:3]
	s_or_b64 s[0:1], vcc, s[0:1]
	v_add_co_u32_e64 v2, s[2:3], s24, v2
	s_add_u32 s20, s20, s25
	v_addc_co_u32_e64 v3, s[2:3], v3, v1, s[2:3]
	s_addc_u32 s21, s21, 0
	v_add_co_u32_e64 v14, s[2:3], s22, v4
	s_add_u32 s22, s22, s25
	v_mov_b32_e32 v5, s23
	s_addc_u32 s23, s23, 0
	s_and_b64 s[0:1], exec, s[0:1]
	v_addc_co_u32_e64 v15, s[2:3], 0, v5, s[2:3]
	s_or_b64 s[16:17], s[0:1], s[16:17]
	s_waitcnt vmcnt(1)
	v_trunc_f64_e32 v[6:7], v[6:7]
	v_trunc_f64_e32 v[8:9], v[8:9]
	s_waitcnt vmcnt(0)
	v_trunc_f64_e32 v[10:11], v[10:11]
	v_trunc_f64_e32 v[12:13], v[12:13]
	global_store_dwordx4 v[14:15], v[6:9], off
	global_store_dwordx4 v[14:15], v[10:13], off offset:16
	s_andn2_b64 exec, exec, s[16:17]
	s_cbranch_execnz .LBB16_3
.LBB16_4:
	s_or_b64 exec, exec, s[12:13]
	s_mov_b64 s[2:3], 0
.LBB16_5:
	s_andn2_b64 vcc, exec, s[2:3]
	s_cbranch_vccnz .LBB16_25
; %bb.6:
	v_cmp_lt_i64_e64 s[0:1], s[10:11], 1
	s_and_b64 vcc, exec, s[0:1]
	s_cbranch_vccnz .LBB16_25
; %bb.7:
	s_load_dword s0, s[4:5], 0xc5c
	v_mov_b32_e32 v2, 0x10000
	v_mov_b32_e32 v3, 0
	v_cmp_lt_u64_e32 vcc, s[10:11], v[2:3]
	v_lshlrev_b32_e32 v10, 3, v0
	s_waitcnt lgkmcnt(0)
	s_and_b32 s2, s0, 0xffff
	s_and_b64 s[0:1], vcc, exec
	v_mov_b32_e32 v13, s15
	v_add_co_u32_e32 v2, vcc, s14, v10
	v_addc_co_u32_e32 v1, vcc, 0, v13, vcc
	v_mov_b32_e32 v11, 0
	v_mov_b32_e32 v15, s7
	v_add_co_u32_e32 v4, vcc, s6, v10
	v_addc_co_u32_e32 v3, vcc, 0, v15, vcc
	v_mad_u64_u32 v[8:9], s[0:1], s2, 24, v[10:11]
	v_add_co_u32_e32 v6, vcc, s14, v8
	v_addc_co_u32_e32 v5, vcc, v13, v9, vcc
	v_add_co_u32_e32 v8, vcc, s6, v8
	s_mul_i32 s4, s2, 3
	v_addc_co_u32_e32 v7, vcc, v15, v9, vcc
	v_add_co_u32_e32 v17, vcc, s4, v0
	v_addc_co_u32_e64 v26, s[0:1], 0, 0, vcc
	s_cselect_b32 s13, s11, 0
	s_cselect_b32 s12, s10, 0x10000
	s_lshl_b32 s0, s2, 4
	v_add_co_u32_e32 v11, vcc, s0, v10
	v_addc_co_u32_e64 v14, s[0:1], 0, 0, vcc
	v_add_co_u32_e32 v10, vcc, s14, v11
	v_addc_co_u32_e32 v9, vcc, v13, v14, vcc
	v_add_co_u32_e32 v12, vcc, s6, v11
	s_lshl_b32 s3, s2, 1
	v_addc_co_u32_e32 v11, vcc, v15, v14, vcc
	v_add_co_u32_e32 v27, vcc, s3, v0
	v_addc_co_u32_e64 v28, s[0:1], 0, 0, vcc
	v_add_co_u32_e32 v29, vcc, s2, v0
	v_lshlrev_b32_e32 v16, 3, v29
	v_addc_co_u32_e64 v30, s[0:1], 0, 0, vcc
	v_add_co_u32_e32 v14, vcc, s14, v16
	v_addc_co_u32_e32 v13, vcc, 0, v13, vcc
	v_add_co_u32_e32 v16, vcc, s6, v16
	s_mov_b32 s18, 0
	s_lshl_b32 s19, s2, 2
	s_lshl_b32 s20, s2, 5
	v_addc_co_u32_e32 v15, vcc, 0, v15, vcc
	s_mov_b64 s[14:15], 0
	s_branch .LBB16_9
.LBB16_8:                               ;   in Loop: Header=BB16_9 Depth=1
	s_or_b64 exec, exec, s[0:1]
	s_add_u32 s14, s14, s19
	s_addc_u32 s15, s15, 0
	s_waitcnt vmcnt(0)
	v_pk_mov_b32 v[18:19], s[10:11], s[10:11] op_sel:[0,1]
	v_cmp_ge_i64_e32 vcc, s[14:15], v[18:19]
	v_mov_b32_e32 v18, 0xffff
	v_mov_b32_e32 v19, 0
	v_cmp_gt_u64_e64 s[0:1], s[14:15], v[18:19]
	s_or_b64 s[0:1], vcc, s[0:1]
	v_mov_b32_e32 v18, s18
	v_add_co_u32_e32 v2, vcc, s20, v2
	v_addc_co_u32_e32 v1, vcc, v1, v18, vcc
	v_add_co_u32_e32 v4, vcc, s20, v4
	v_addc_co_u32_e32 v3, vcc, v3, v18, vcc
	;; [unrolled: 2-line block ×8, first 2 shown]
	s_and_b64 vcc, exec, s[0:1]
	s_cbranch_vccnz .LBB16_25
.LBB16_9:                               ; =>This Inner Loop Header: Depth=1
	v_mov_b32_e32 v19, s15
	v_add_co_u32_e32 v18, vcc, s14, v0
	v_addc_co_u32_e32 v19, vcc, 0, v19, vcc
	v_cmp_gt_u64_e32 vcc, s[12:13], v[18:19]
	v_pk_mov_b32 v[18:19], 0, 0
	v_pk_mov_b32 v[20:21], v[18:19], v[18:19] op_sel:[0,1]
	s_and_saveexec_b64 s[2:3], vcc
	s_cbranch_execz .LBB16_11
; %bb.10:                               ;   in Loop: Header=BB16_9 Depth=1
	v_mov_b32_e32 v21, s9
	v_add_co_u32_e64 v20, s[0:1], s8, v2
	v_addc_co_u32_e64 v21, s[0:1], v1, v21, s[0:1]
	global_load_dwordx2 v[20:21], v[20:21], off
.LBB16_11:                              ;   in Loop: Header=BB16_9 Depth=1
	s_or_b64 exec, exec, s[2:3]
	v_mov_b32_e32 v23, s15
	v_add_co_u32_e64 v22, s[0:1], s14, v29
	v_addc_co_u32_e64 v23, s[0:1], v30, v23, s[0:1]
	v_cmp_gt_u64_e64 s[0:1], s[12:13], v[22:23]
	s_and_saveexec_b64 s[4:5], s[0:1]
	s_cbranch_execz .LBB16_13
; %bb.12:                               ;   in Loop: Header=BB16_9 Depth=1
	v_mov_b32_e32 v19, s9
	v_add_co_u32_e64 v18, s[2:3], s8, v14
	v_addc_co_u32_e64 v19, s[2:3], v13, v19, s[2:3]
	global_load_dwordx2 v[18:19], v[18:19], off
.LBB16_13:                              ;   in Loop: Header=BB16_9 Depth=1
	s_or_b64 exec, exec, s[4:5]
	v_mov_b32_e32 v23, s15
	v_add_co_u32_e64 v22, s[2:3], s14, v27
	v_addc_co_u32_e64 v23, s[2:3], v28, v23, s[2:3]
	v_cmp_gt_u64_e64 s[2:3], s[12:13], v[22:23]
	v_pk_mov_b32 v[22:23], 0, 0
	v_pk_mov_b32 v[24:25], v[22:23], v[22:23] op_sel:[0,1]
	s_and_saveexec_b64 s[6:7], s[2:3]
	s_cbranch_execz .LBB16_15
; %bb.14:                               ;   in Loop: Header=BB16_9 Depth=1
	v_mov_b32_e32 v25, s9
	v_add_co_u32_e64 v24, s[4:5], s8, v10
	v_addc_co_u32_e64 v25, s[4:5], v9, v25, s[4:5]
	global_load_dwordx2 v[24:25], v[24:25], off
.LBB16_15:                              ;   in Loop: Header=BB16_9 Depth=1
	s_or_b64 exec, exec, s[6:7]
	v_mov_b32_e32 v31, s15
	v_add_co_u32_e64 v32, s[4:5], s14, v17
	v_addc_co_u32_e64 v33, s[4:5], v26, v31, s[4:5]
	v_cmp_gt_u64_e64 s[4:5], s[12:13], v[32:33]
	s_and_saveexec_b64 s[16:17], s[4:5]
	s_cbranch_execnz .LBB16_20
; %bb.16:                               ;   in Loop: Header=BB16_9 Depth=1
	s_or_b64 exec, exec, s[16:17]
	s_and_saveexec_b64 s[6:7], vcc
	s_cbranch_execnz .LBB16_21
.LBB16_17:                              ;   in Loop: Header=BB16_9 Depth=1
	s_or_b64 exec, exec, s[6:7]
	s_and_saveexec_b64 s[6:7], s[0:1]
	s_cbranch_execnz .LBB16_22
.LBB16_18:                              ;   in Loop: Header=BB16_9 Depth=1
	s_or_b64 exec, exec, s[6:7]
	s_and_saveexec_b64 s[0:1], s[2:3]
	s_cbranch_execnz .LBB16_23
.LBB16_19:                              ;   in Loop: Header=BB16_9 Depth=1
	s_or_b64 exec, exec, s[0:1]
	s_and_saveexec_b64 s[0:1], s[4:5]
	s_cbranch_execz .LBB16_8
	s_branch .LBB16_24
.LBB16_20:                              ;   in Loop: Header=BB16_9 Depth=1
	v_mov_b32_e32 v23, s9
	v_add_co_u32_e64 v22, s[6:7], s8, v6
	v_addc_co_u32_e64 v23, s[6:7], v5, v23, s[6:7]
	global_load_dwordx2 v[22:23], v[22:23], off
	s_or_b64 exec, exec, s[16:17]
	s_and_saveexec_b64 s[6:7], vcc
	s_cbranch_execz .LBB16_17
.LBB16_21:                              ;   in Loop: Header=BB16_9 Depth=1
	v_mov_b32_e32 v31, s9
	v_add_co_u32_e32 v32, vcc, s8, v4
	v_addc_co_u32_e32 v33, vcc, v3, v31, vcc
	s_waitcnt vmcnt(0)
	v_trunc_f64_e32 v[20:21], v[20:21]
	global_store_dwordx2 v[32:33], v[20:21], off
	s_or_b64 exec, exec, s[6:7]
	s_and_saveexec_b64 s[6:7], s[0:1]
	s_cbranch_execz .LBB16_18
.LBB16_22:                              ;   in Loop: Header=BB16_9 Depth=1
	s_waitcnt vmcnt(0)
	v_mov_b32_e32 v21, s9
	v_add_co_u32_e32 v20, vcc, s8, v16
	v_trunc_f64_e32 v[18:19], v[18:19]
	v_addc_co_u32_e32 v21, vcc, v15, v21, vcc
	global_store_dwordx2 v[20:21], v[18:19], off
	s_or_b64 exec, exec, s[6:7]
	s_and_saveexec_b64 s[0:1], s[2:3]
	s_cbranch_execz .LBB16_19
.LBB16_23:                              ;   in Loop: Header=BB16_9 Depth=1
	s_waitcnt vmcnt(0)
	v_mov_b32_e32 v21, s9
	v_add_co_u32_e32 v20, vcc, s8, v12
	v_trunc_f64_e32 v[18:19], v[24:25]
	v_addc_co_u32_e32 v21, vcc, v11, v21, vcc
	global_store_dwordx2 v[20:21], v[18:19], off
	s_or_b64 exec, exec, s[0:1]
	s_and_saveexec_b64 s[0:1], s[4:5]
	s_cbranch_execz .LBB16_8
.LBB16_24:                              ;   in Loop: Header=BB16_9 Depth=1
	s_waitcnt vmcnt(0)
	v_mov_b32_e32 v21, s9
	v_add_co_u32_e32 v20, vcc, s8, v8
	v_trunc_f64_e32 v[18:19], v[22:23]
	v_addc_co_u32_e32 v21, vcc, v7, v21, vcc
	global_store_dwordx2 v[20:21], v[18:19], off
	s_branch .LBB16_8
.LBB16_25:
	s_endpgm
	.section	.rodata,"a",@progbits
	.p2align	6, 0x0
	.amdhsa_kernel _ZN2at6native12_GLOBAL__N_125multi_tensor_apply_kernelINS1_18TensorListMetadataILi2EEENS1_14UnaryOpFunctorIdLi2ELi1ELi1EEEJNS0_6TruncfIdEEEEEvT_T0_DpT1_
		.amdhsa_group_segment_fixed_size 0
		.amdhsa_private_segment_fixed_size 0
		.amdhsa_kernarg_size 3408
		.amdhsa_user_sgpr_count 6
		.amdhsa_user_sgpr_private_segment_buffer 1
		.amdhsa_user_sgpr_dispatch_ptr 0
		.amdhsa_user_sgpr_queue_ptr 0
		.amdhsa_user_sgpr_kernarg_segment_ptr 1
		.amdhsa_user_sgpr_dispatch_id 0
		.amdhsa_user_sgpr_flat_scratch_init 0
		.amdhsa_user_sgpr_kernarg_preload_length 0
		.amdhsa_user_sgpr_kernarg_preload_offset 0
		.amdhsa_user_sgpr_private_segment_size 0
		.amdhsa_uses_dynamic_stack 0
		.amdhsa_system_sgpr_private_segment_wavefront_offset 0
		.amdhsa_system_sgpr_workgroup_id_x 1
		.amdhsa_system_sgpr_workgroup_id_y 0
		.amdhsa_system_sgpr_workgroup_id_z 0
		.amdhsa_system_sgpr_workgroup_info 0
		.amdhsa_system_vgpr_workitem_id 0
		.amdhsa_next_free_vgpr 34
		.amdhsa_next_free_sgpr 26
		.amdhsa_accum_offset 36
		.amdhsa_reserve_vcc 1
		.amdhsa_reserve_flat_scratch 0
		.amdhsa_float_round_mode_32 0
		.amdhsa_float_round_mode_16_64 0
		.amdhsa_float_denorm_mode_32 3
		.amdhsa_float_denorm_mode_16_64 3
		.amdhsa_dx10_clamp 1
		.amdhsa_ieee_mode 1
		.amdhsa_fp16_overflow 0
		.amdhsa_tg_split 0
		.amdhsa_exception_fp_ieee_invalid_op 0
		.amdhsa_exception_fp_denorm_src 0
		.amdhsa_exception_fp_ieee_div_zero 0
		.amdhsa_exception_fp_ieee_overflow 0
		.amdhsa_exception_fp_ieee_underflow 0
		.amdhsa_exception_fp_ieee_inexact 0
		.amdhsa_exception_int_div_zero 0
	.end_amdhsa_kernel
	.section	.text._ZN2at6native12_GLOBAL__N_125multi_tensor_apply_kernelINS1_18TensorListMetadataILi2EEENS1_14UnaryOpFunctorIdLi2ELi1ELi1EEEJNS0_6TruncfIdEEEEEvT_T0_DpT1_,"axG",@progbits,_ZN2at6native12_GLOBAL__N_125multi_tensor_apply_kernelINS1_18TensorListMetadataILi2EEENS1_14UnaryOpFunctorIdLi2ELi1ELi1EEEJNS0_6TruncfIdEEEEEvT_T0_DpT1_,comdat
.Lfunc_end16:
	.size	_ZN2at6native12_GLOBAL__N_125multi_tensor_apply_kernelINS1_18TensorListMetadataILi2EEENS1_14UnaryOpFunctorIdLi2ELi1ELi1EEEJNS0_6TruncfIdEEEEEvT_T0_DpT1_, .Lfunc_end16-_ZN2at6native12_GLOBAL__N_125multi_tensor_apply_kernelINS1_18TensorListMetadataILi2EEENS1_14UnaryOpFunctorIdLi2ELi1ELi1EEEJNS0_6TruncfIdEEEEEvT_T0_DpT1_
                                        ; -- End function
	.section	.AMDGPU.csdata,"",@progbits
; Kernel info:
; codeLenInByte = 1288
; NumSgprs: 30
; NumVgprs: 34
; NumAgprs: 0
; TotalNumVgprs: 34
; ScratchSize: 0
; MemoryBound: 0
; FloatMode: 240
; IeeeMode: 1
; LDSByteSize: 0 bytes/workgroup (compile time only)
; SGPRBlocks: 3
; VGPRBlocks: 4
; NumSGPRsForWavesPerEU: 30
; NumVGPRsForWavesPerEU: 34
; AccumOffset: 36
; Occupancy: 8
; WaveLimiterHint : 0
; COMPUTE_PGM_RSRC2:SCRATCH_EN: 0
; COMPUTE_PGM_RSRC2:USER_SGPR: 6
; COMPUTE_PGM_RSRC2:TRAP_HANDLER: 0
; COMPUTE_PGM_RSRC2:TGID_X_EN: 1
; COMPUTE_PGM_RSRC2:TGID_Y_EN: 0
; COMPUTE_PGM_RSRC2:TGID_Z_EN: 0
; COMPUTE_PGM_RSRC2:TIDIG_COMP_CNT: 0
; COMPUTE_PGM_RSRC3_GFX90A:ACCUM_OFFSET: 8
; COMPUTE_PGM_RSRC3_GFX90A:TG_SPLIT: 0
	.section	.text._ZN2at6native12_GLOBAL__N_125multi_tensor_apply_kernelINS1_18TensorListMetadataILi2EEENS1_14UnaryOpFunctorIfLi2ELi1ELi1EEEJNS0_6TruncfIfEEEEEvT_T0_DpT1_,"axG",@progbits,_ZN2at6native12_GLOBAL__N_125multi_tensor_apply_kernelINS1_18TensorListMetadataILi2EEENS1_14UnaryOpFunctorIfLi2ELi1ELi1EEEJNS0_6TruncfIfEEEEEvT_T0_DpT1_,comdat
	.globl	_ZN2at6native12_GLOBAL__N_125multi_tensor_apply_kernelINS1_18TensorListMetadataILi2EEENS1_14UnaryOpFunctorIfLi2ELi1ELi1EEEJNS0_6TruncfIfEEEEEvT_T0_DpT1_ ; -- Begin function _ZN2at6native12_GLOBAL__N_125multi_tensor_apply_kernelINS1_18TensorListMetadataILi2EEENS1_14UnaryOpFunctorIfLi2ELi1ELi1EEEJNS0_6TruncfIfEEEEEvT_T0_DpT1_
	.p2align	8
	.type	_ZN2at6native12_GLOBAL__N_125multi_tensor_apply_kernelINS1_18TensorListMetadataILi2EEENS1_14UnaryOpFunctorIfLi2ELi1ELi1EEEJNS0_6TruncfIfEEEEEvT_T0_DpT1_,@function
_ZN2at6native12_GLOBAL__N_125multi_tensor_apply_kernelINS1_18TensorListMetadataILi2EEENS1_14UnaryOpFunctorIfLi2ELi1ELi1EEEJNS0_6TruncfIfEEEEEvT_T0_DpT1_: ; @_ZN2at6native12_GLOBAL__N_125multi_tensor_apply_kernelINS1_18TensorListMetadataILi2EEENS1_14UnaryOpFunctorIfLi2ELi1ELi1EEEJNS0_6TruncfIfEEEEEvT_T0_DpT1_
; %bb.0:
	v_mov_b32_e32 v1, s6
	global_load_ubyte v1, v1, s[4:5] offset:1536
	s_add_u32 s0, s4, s6
	s_mul_hi_u32 s2, s6, 3
	s_mul_i32 s6, s6, 3
	s_addc_u32 s7, s5, 0
	s_add_u32 s8, s0, s6
	s_addc_u32 s9, s7, s2
	s_mov_b32 s1, 0
	s_mov_b32 s17, s1
	;; [unrolled: 1-line block ×3, first 2 shown]
	s_waitcnt vmcnt(0)
	v_readfirstlane_b32 s0, v1
	s_lshl_b32 s0, s0, 3
	s_load_dword s10, s[8:9], 0x740
	s_load_dwordx2 s[14:15], s[4:5], s0 offset:0x0
	s_load_dwordx2 s[12:13], s[4:5], s0 offset:0x400
	;; [unrolled: 1-line block ×3, first 2 shown]
	s_waitcnt lgkmcnt(0)
	s_ashr_i32 s11, s10, 31
	s_and_b32 s0, s14, 15
	s_and_b32 s16, s12, 3
	;; [unrolled: 1-line block ×3, first 2 shown]
	s_or_b64 s[16:17], s[0:1], s[16:17]
	s_lshl_b64 s[8:9], s[10:11], 18
	s_or_b64 s[2:3], s[2:3], s[16:17]
	s_lshl_b64 s[10:11], s[10:11], 16
	s_sub_u32 s10, s12, s10
	s_subb_u32 s11, s13, s11
	s_cmp_eq_u64 s[2:3], 0
	s_mov_b64 s[2:3], -1
	s_cbranch_scc0 .LBB17_5
; %bb.1:
	v_mov_b32_e32 v3, 0
	v_lshlrev_b32_e32 v2, 2, v0
	v_cmp_gt_i64_e32 vcc, s[10:11], v[2:3]
	s_and_saveexec_b64 s[12:13], vcc
	s_cbranch_execz .LBB17_4
; %bb.2:
	s_load_dword s0, s[4:5], 0xc5c
	v_lshlrev_b32_e32 v1, 4, v0
	v_mov_b32_e32 v4, s9
	v_add_co_u32_e32 v1, vcc, s8, v1
	v_addc_co_u32_e32 v5, vcc, 0, v4, vcc
	s_waitcnt lgkmcnt(0)
	s_and_b32 s0, s0, 0xffff
	v_add_co_u32_e32 v4, vcc, 8, v1
	v_add_lshl_u32 v2, v0, s0, 2
	s_lshl_b32 s20, s0, 2
	v_addc_co_u32_e32 v1, vcc, 0, v5, vcc
	s_lshl_b32 s21, s0, 4
	s_mov_b64 s[16:17], 0
	v_mov_b32_e32 v5, s15
	v_mov_b32_e32 v6, s7
	s_mov_b64 s[18:19], 0xffff
	v_mov_b32_e32 v7, s1
	v_mov_b32_e32 v8, s1
.LBB17_3:                               ; =>This Inner Loop Header: Depth=1
	v_add_co_u32_e32 v10, vcc, s14, v4
	v_addc_co_u32_e32 v11, vcc, v5, v1, vcc
	global_load_dwordx4 v[10:13], v[10:11], off offset:-8
	v_add_co_u32_e32 v14, vcc, s6, v4
	v_addc_co_u32_e32 v15, vcc, v6, v1, vcc
	v_cmp_le_i64_e32 vcc, s[10:11], v[2:3]
	v_cmp_lt_u64_e64 s[0:1], s[18:19], v[2:3]
	v_add_co_u32_e64 v2, s[2:3], s20, v2
	v_addc_co_u32_e64 v3, s[2:3], v3, v7, s[2:3]
	s_or_b64 s[0:1], vcc, s[0:1]
	v_add_co_u32_e64 v4, s[2:3], s21, v4
	s_and_b64 s[0:1], exec, s[0:1]
	v_addc_co_u32_e64 v1, s[2:3], v1, v8, s[2:3]
	s_or_b64 s[16:17], s[0:1], s[16:17]
	s_waitcnt vmcnt(0)
	v_trunc_f32_e32 v11, v11
	v_trunc_f32_e32 v10, v10
	v_trunc_f32_e32 v13, v13
	v_trunc_f32_e32 v12, v12
	global_store_dwordx4 v[14:15], v[10:13], off offset:-8
	s_andn2_b64 exec, exec, s[16:17]
	s_cbranch_execnz .LBB17_3
.LBB17_4:
	s_or_b64 exec, exec, s[12:13]
	s_mov_b64 s[2:3], 0
.LBB17_5:
	s_andn2_b64 vcc, exec, s[2:3]
	s_cbranch_vccnz .LBB17_25
; %bb.6:
	v_cmp_lt_i64_e64 s[0:1], s[10:11], 1
	s_and_b64 vcc, exec, s[0:1]
	s_cbranch_vccnz .LBB17_25
; %bb.7:
	s_load_dword s0, s[4:5], 0xc5c
	v_mov_b32_e32 v2, 0x10000
	v_mov_b32_e32 v3, 0
	v_cmp_lt_u64_e32 vcc, s[10:11], v[2:3]
	v_lshlrev_b32_e32 v10, 2, v0
	s_waitcnt lgkmcnt(0)
	s_and_b32 s2, s0, 0xffff
	s_and_b64 s[0:1], vcc, exec
	v_mov_b32_e32 v13, s15
	v_add_co_u32_e32 v2, vcc, s14, v10
	v_addc_co_u32_e32 v1, vcc, 0, v13, vcc
	v_mov_b32_e32 v11, 0
	v_mov_b32_e32 v15, s7
	v_add_co_u32_e32 v4, vcc, s6, v10
	v_addc_co_u32_e32 v3, vcc, 0, v15, vcc
	v_mad_u64_u32 v[8:9], s[0:1], s2, 12, v[10:11]
	v_add_co_u32_e32 v6, vcc, s14, v8
	v_addc_co_u32_e32 v5, vcc, v13, v9, vcc
	v_add_co_u32_e32 v8, vcc, s6, v8
	s_mul_i32 s4, s2, 3
	v_addc_co_u32_e32 v7, vcc, v15, v9, vcc
	v_add_co_u32_e32 v17, vcc, s4, v0
	v_addc_co_u32_e64 v18, s[0:1], 0, 0, vcc
	s_cselect_b32 s13, s11, 0
	s_cselect_b32 s12, s10, 0x10000
	s_lshl_b32 s0, s2, 3
	v_add_co_u32_e32 v11, vcc, s0, v10
	v_addc_co_u32_e64 v14, s[0:1], 0, 0, vcc
	v_add_co_u32_e32 v10, vcc, s14, v11
	v_addc_co_u32_e32 v9, vcc, v13, v14, vcc
	v_add_co_u32_e32 v12, vcc, s6, v11
	s_lshl_b32 s3, s2, 1
	v_addc_co_u32_e32 v11, vcc, v15, v14, vcc
	v_add_co_u32_e32 v19, vcc, s3, v0
	v_addc_co_u32_e64 v20, s[0:1], 0, 0, vcc
	v_add_co_u32_e32 v21, vcc, s2, v0
	v_lshlrev_b32_e32 v16, 2, v21
	v_addc_co_u32_e64 v22, s[0:1], 0, 0, vcc
	v_add_co_u32_e32 v14, vcc, s14, v16
	v_addc_co_u32_e32 v13, vcc, 0, v13, vcc
	v_add_co_u32_e32 v16, vcc, s6, v16
	s_mov_b32 s18, 0
	s_lshl_b32 s19, s2, 2
	s_lshl_b32 s20, s2, 4
	v_addc_co_u32_e32 v15, vcc, 0, v15, vcc
	s_mov_b64 s[14:15], 0
	s_branch .LBB17_9
.LBB17_8:                               ;   in Loop: Header=BB17_9 Depth=1
	s_or_b64 exec, exec, s[0:1]
	s_add_u32 s14, s14, s19
	s_addc_u32 s15, s15, 0
	s_waitcnt vmcnt(0)
	v_pk_mov_b32 v[24:25], s[10:11], s[10:11] op_sel:[0,1]
	v_cmp_ge_i64_e32 vcc, s[14:15], v[24:25]
	v_mov_b32_e32 v24, 0xffff
	v_mov_b32_e32 v25, 0
	v_cmp_gt_u64_e64 s[0:1], s[14:15], v[24:25]
	s_or_b64 s[0:1], vcc, s[0:1]
	v_mov_b32_e32 v23, s18
	v_add_co_u32_e32 v2, vcc, s20, v2
	v_addc_co_u32_e32 v1, vcc, v1, v23, vcc
	v_add_co_u32_e32 v4, vcc, s20, v4
	v_addc_co_u32_e32 v3, vcc, v3, v23, vcc
	;; [unrolled: 2-line block ×8, first 2 shown]
	s_and_b64 vcc, exec, s[0:1]
	s_cbranch_vccnz .LBB17_25
.LBB17_9:                               ; =>This Inner Loop Header: Depth=1
	v_mov_b32_e32 v23, s15
	v_add_co_u32_e32 v24, vcc, s14, v0
	v_addc_co_u32_e32 v25, vcc, 0, v23, vcc
	v_cmp_gt_u64_e32 vcc, s[12:13], v[24:25]
	v_mov_b32_e32 v23, 0
	s_and_saveexec_b64 s[2:3], vcc
	s_cbranch_execz .LBB17_11
; %bb.10:                               ;   in Loop: Header=BB17_9 Depth=1
	v_mov_b32_e32 v23, s9
	v_add_co_u32_e64 v24, s[0:1], s8, v2
	v_addc_co_u32_e64 v25, s[0:1], v1, v23, s[0:1]
	global_load_dword v23, v[24:25], off
.LBB17_11:                              ;   in Loop: Header=BB17_9 Depth=1
	s_or_b64 exec, exec, s[2:3]
	v_mov_b32_e32 v25, s15
	v_add_co_u32_e64 v24, s[0:1], s14, v21
	v_addc_co_u32_e64 v25, s[0:1], v22, v25, s[0:1]
	v_cmp_gt_u64_e64 s[0:1], s[12:13], v[24:25]
	v_mov_b32_e32 v25, 0
	s_and_saveexec_b64 s[4:5], s[0:1]
	s_cbranch_execz .LBB17_13
; %bb.12:                               ;   in Loop: Header=BB17_9 Depth=1
	v_mov_b32_e32 v25, s9
	v_add_co_u32_e64 v24, s[2:3], s8, v14
	v_addc_co_u32_e64 v25, s[2:3], v13, v25, s[2:3]
	global_load_dword v25, v[24:25], off
.LBB17_13:                              ;   in Loop: Header=BB17_9 Depth=1
	s_or_b64 exec, exec, s[4:5]
	v_mov_b32_e32 v24, s15
	v_add_co_u32_e64 v26, s[2:3], s14, v19
	v_addc_co_u32_e64 v27, s[2:3], v20, v24, s[2:3]
	v_cmp_gt_u64_e64 s[2:3], s[12:13], v[26:27]
	v_mov_b32_e32 v24, 0
	v_mov_b32_e32 v26, 0
	s_and_saveexec_b64 s[6:7], s[2:3]
	s_cbranch_execz .LBB17_15
; %bb.14:                               ;   in Loop: Header=BB17_9 Depth=1
	v_mov_b32_e32 v27, s9
	v_add_co_u32_e64 v26, s[4:5], s8, v10
	v_addc_co_u32_e64 v27, s[4:5], v9, v27, s[4:5]
	global_load_dword v26, v[26:27], off
.LBB17_15:                              ;   in Loop: Header=BB17_9 Depth=1
	s_or_b64 exec, exec, s[6:7]
	v_mov_b32_e32 v27, s15
	v_add_co_u32_e64 v28, s[4:5], s14, v17
	v_addc_co_u32_e64 v29, s[4:5], v18, v27, s[4:5]
	v_cmp_gt_u64_e64 s[4:5], s[12:13], v[28:29]
	s_and_saveexec_b64 s[16:17], s[4:5]
	s_cbranch_execnz .LBB17_20
; %bb.16:                               ;   in Loop: Header=BB17_9 Depth=1
	s_or_b64 exec, exec, s[16:17]
	s_and_saveexec_b64 s[6:7], vcc
	s_cbranch_execnz .LBB17_21
.LBB17_17:                              ;   in Loop: Header=BB17_9 Depth=1
	s_or_b64 exec, exec, s[6:7]
	s_and_saveexec_b64 s[6:7], s[0:1]
	s_cbranch_execnz .LBB17_22
.LBB17_18:                              ;   in Loop: Header=BB17_9 Depth=1
	s_or_b64 exec, exec, s[6:7]
	s_and_saveexec_b64 s[0:1], s[2:3]
	s_cbranch_execnz .LBB17_23
.LBB17_19:                              ;   in Loop: Header=BB17_9 Depth=1
	s_or_b64 exec, exec, s[0:1]
	s_and_saveexec_b64 s[0:1], s[4:5]
	s_cbranch_execz .LBB17_8
	s_branch .LBB17_24
.LBB17_20:                              ;   in Loop: Header=BB17_9 Depth=1
	v_mov_b32_e32 v24, s9
	v_add_co_u32_e64 v28, s[6:7], s8, v6
	v_addc_co_u32_e64 v29, s[6:7], v5, v24, s[6:7]
	global_load_dword v24, v[28:29], off
	s_or_b64 exec, exec, s[16:17]
	s_and_saveexec_b64 s[6:7], vcc
	s_cbranch_execz .LBB17_17
.LBB17_21:                              ;   in Loop: Header=BB17_9 Depth=1
	v_mov_b32_e32 v27, s9
	v_add_co_u32_e32 v28, vcc, s8, v4
	v_addc_co_u32_e32 v29, vcc, v3, v27, vcc
	s_waitcnt vmcnt(0)
	v_trunc_f32_e32 v23, v23
	global_store_dword v[28:29], v23, off
	s_or_b64 exec, exec, s[6:7]
	s_and_saveexec_b64 s[6:7], s[0:1]
	s_cbranch_execz .LBB17_18
.LBB17_22:                              ;   in Loop: Header=BB17_9 Depth=1
	s_waitcnt vmcnt(0)
	v_trunc_f32_e32 v23, v25
	v_mov_b32_e32 v25, s9
	v_add_co_u32_e32 v28, vcc, s8, v16
	v_addc_co_u32_e32 v29, vcc, v15, v25, vcc
	global_store_dword v[28:29], v23, off
	s_or_b64 exec, exec, s[6:7]
	s_and_saveexec_b64 s[0:1], s[2:3]
	s_cbranch_execz .LBB17_19
.LBB17_23:                              ;   in Loop: Header=BB17_9 Depth=1
	s_waitcnt vmcnt(0)
	v_trunc_f32_e32 v23, v26
	v_mov_b32_e32 v25, s9
	v_add_co_u32_e32 v26, vcc, s8, v12
	v_addc_co_u32_e32 v27, vcc, v11, v25, vcc
	global_store_dword v[26:27], v23, off
	s_or_b64 exec, exec, s[0:1]
	s_and_saveexec_b64 s[0:1], s[4:5]
	s_cbranch_execz .LBB17_8
.LBB17_24:                              ;   in Loop: Header=BB17_9 Depth=1
	s_waitcnt vmcnt(0)
	v_trunc_f32_e32 v23, v24
	v_mov_b32_e32 v25, s9
	v_add_co_u32_e32 v24, vcc, s8, v8
	v_addc_co_u32_e32 v25, vcc, v7, v25, vcc
	global_store_dword v[24:25], v23, off
	s_branch .LBB17_8
.LBB17_25:
	s_endpgm
	.section	.rodata,"a",@progbits
	.p2align	6, 0x0
	.amdhsa_kernel _ZN2at6native12_GLOBAL__N_125multi_tensor_apply_kernelINS1_18TensorListMetadataILi2EEENS1_14UnaryOpFunctorIfLi2ELi1ELi1EEEJNS0_6TruncfIfEEEEEvT_T0_DpT1_
		.amdhsa_group_segment_fixed_size 0
		.amdhsa_private_segment_fixed_size 0
		.amdhsa_kernarg_size 3408
		.amdhsa_user_sgpr_count 6
		.amdhsa_user_sgpr_private_segment_buffer 1
		.amdhsa_user_sgpr_dispatch_ptr 0
		.amdhsa_user_sgpr_queue_ptr 0
		.amdhsa_user_sgpr_kernarg_segment_ptr 1
		.amdhsa_user_sgpr_dispatch_id 0
		.amdhsa_user_sgpr_flat_scratch_init 0
		.amdhsa_user_sgpr_kernarg_preload_length 0
		.amdhsa_user_sgpr_kernarg_preload_offset 0
		.amdhsa_user_sgpr_private_segment_size 0
		.amdhsa_uses_dynamic_stack 0
		.amdhsa_system_sgpr_private_segment_wavefront_offset 0
		.amdhsa_system_sgpr_workgroup_id_x 1
		.amdhsa_system_sgpr_workgroup_id_y 0
		.amdhsa_system_sgpr_workgroup_id_z 0
		.amdhsa_system_sgpr_workgroup_info 0
		.amdhsa_system_vgpr_workitem_id 0
		.amdhsa_next_free_vgpr 30
		.amdhsa_next_free_sgpr 22
		.amdhsa_accum_offset 32
		.amdhsa_reserve_vcc 1
		.amdhsa_reserve_flat_scratch 0
		.amdhsa_float_round_mode_32 0
		.amdhsa_float_round_mode_16_64 0
		.amdhsa_float_denorm_mode_32 3
		.amdhsa_float_denorm_mode_16_64 3
		.amdhsa_dx10_clamp 1
		.amdhsa_ieee_mode 1
		.amdhsa_fp16_overflow 0
		.amdhsa_tg_split 0
		.amdhsa_exception_fp_ieee_invalid_op 0
		.amdhsa_exception_fp_denorm_src 0
		.amdhsa_exception_fp_ieee_div_zero 0
		.amdhsa_exception_fp_ieee_overflow 0
		.amdhsa_exception_fp_ieee_underflow 0
		.amdhsa_exception_fp_ieee_inexact 0
		.amdhsa_exception_int_div_zero 0
	.end_amdhsa_kernel
	.section	.text._ZN2at6native12_GLOBAL__N_125multi_tensor_apply_kernelINS1_18TensorListMetadataILi2EEENS1_14UnaryOpFunctorIfLi2ELi1ELi1EEEJNS0_6TruncfIfEEEEEvT_T0_DpT1_,"axG",@progbits,_ZN2at6native12_GLOBAL__N_125multi_tensor_apply_kernelINS1_18TensorListMetadataILi2EEENS1_14UnaryOpFunctorIfLi2ELi1ELi1EEEJNS0_6TruncfIfEEEEEvT_T0_DpT1_,comdat
.Lfunc_end17:
	.size	_ZN2at6native12_GLOBAL__N_125multi_tensor_apply_kernelINS1_18TensorListMetadataILi2EEENS1_14UnaryOpFunctorIfLi2ELi1ELi1EEEJNS0_6TruncfIfEEEEEvT_T0_DpT1_, .Lfunc_end17-_ZN2at6native12_GLOBAL__N_125multi_tensor_apply_kernelINS1_18TensorListMetadataILi2EEENS1_14UnaryOpFunctorIfLi2ELi1ELi1EEEJNS0_6TruncfIfEEEEEvT_T0_DpT1_
                                        ; -- End function
	.section	.AMDGPU.csdata,"",@progbits
; Kernel info:
; codeLenInByte = 1248
; NumSgprs: 26
; NumVgprs: 30
; NumAgprs: 0
; TotalNumVgprs: 30
; ScratchSize: 0
; MemoryBound: 0
; FloatMode: 240
; IeeeMode: 1
; LDSByteSize: 0 bytes/workgroup (compile time only)
; SGPRBlocks: 3
; VGPRBlocks: 3
; NumSGPRsForWavesPerEU: 26
; NumVGPRsForWavesPerEU: 30
; AccumOffset: 32
; Occupancy: 8
; WaveLimiterHint : 0
; COMPUTE_PGM_RSRC2:SCRATCH_EN: 0
; COMPUTE_PGM_RSRC2:USER_SGPR: 6
; COMPUTE_PGM_RSRC2:TRAP_HANDLER: 0
; COMPUTE_PGM_RSRC2:TGID_X_EN: 1
; COMPUTE_PGM_RSRC2:TGID_Y_EN: 0
; COMPUTE_PGM_RSRC2:TGID_Z_EN: 0
; COMPUTE_PGM_RSRC2:TIDIG_COMP_CNT: 0
; COMPUTE_PGM_RSRC3_GFX90A:ACCUM_OFFSET: 7
; COMPUTE_PGM_RSRC3_GFX90A:TG_SPLIT: 0
	.section	.text._ZN2at6native12_GLOBAL__N_125multi_tensor_apply_kernelINS1_18TensorListMetadataILi2EEENS1_14UnaryOpFunctorIN3c104HalfELi2ELi1ELi1EEEJNS0_6TruncfIfEEEEEvT_T0_DpT1_,"axG",@progbits,_ZN2at6native12_GLOBAL__N_125multi_tensor_apply_kernelINS1_18TensorListMetadataILi2EEENS1_14UnaryOpFunctorIN3c104HalfELi2ELi1ELi1EEEJNS0_6TruncfIfEEEEEvT_T0_DpT1_,comdat
	.globl	_ZN2at6native12_GLOBAL__N_125multi_tensor_apply_kernelINS1_18TensorListMetadataILi2EEENS1_14UnaryOpFunctorIN3c104HalfELi2ELi1ELi1EEEJNS0_6TruncfIfEEEEEvT_T0_DpT1_ ; -- Begin function _ZN2at6native12_GLOBAL__N_125multi_tensor_apply_kernelINS1_18TensorListMetadataILi2EEENS1_14UnaryOpFunctorIN3c104HalfELi2ELi1ELi1EEEJNS0_6TruncfIfEEEEEvT_T0_DpT1_
	.p2align	8
	.type	_ZN2at6native12_GLOBAL__N_125multi_tensor_apply_kernelINS1_18TensorListMetadataILi2EEENS1_14UnaryOpFunctorIN3c104HalfELi2ELi1ELi1EEEJNS0_6TruncfIfEEEEEvT_T0_DpT1_,@function
_ZN2at6native12_GLOBAL__N_125multi_tensor_apply_kernelINS1_18TensorListMetadataILi2EEENS1_14UnaryOpFunctorIN3c104HalfELi2ELi1ELi1EEEJNS0_6TruncfIfEEEEEvT_T0_DpT1_: ; @_ZN2at6native12_GLOBAL__N_125multi_tensor_apply_kernelINS1_18TensorListMetadataILi2EEENS1_14UnaryOpFunctorIN3c104HalfELi2ELi1ELi1EEEJNS0_6TruncfIfEEEEEvT_T0_DpT1_
; %bb.0:
	v_mov_b32_e32 v1, s6
	global_load_ubyte v1, v1, s[4:5] offset:1536
	s_add_u32 s0, s4, s6
	s_mul_hi_u32 s2, s6, 3
	s_mul_i32 s6, s6, 3
	s_addc_u32 s7, s5, 0
	s_add_u32 s6, s0, s6
	s_addc_u32 s7, s7, s2
	s_load_dword s12, s[6:7], 0x740
	s_mov_b32 s1, 0
	s_mov_b32 s11, s1
	;; [unrolled: 1-line block ×3, first 2 shown]
	s_waitcnt lgkmcnt(0)
	s_ashr_i32 s13, s12, 31
	s_lshl_b64 s[8:9], s[12:13], 17
	s_waitcnt vmcnt(0)
	v_readfirstlane_b32 s0, v1
	s_lshl_b32 s0, s0, 3
	s_load_dwordx2 s[14:15], s[4:5], s0 offset:0x0
	s_load_dwordx2 s[16:17], s[4:5], s0 offset:0x400
	s_load_dwordx2 s[6:7], s[4:5], s0 offset:0x200
	s_waitcnt lgkmcnt(0)
	s_add_u32 s20, s14, s8
	s_addc_u32 s21, s15, s9
	s_and_b32 s0, s20, 7
	s_add_u32 s22, s6, s8
	s_addc_u32 s23, s7, s9
	s_and_b32 s10, s16, 3
	s_and_b32 s2, s22, 7
	s_or_b64 s[10:11], s[0:1], s[10:11]
	s_or_b64 s[2:3], s[2:3], s[10:11]
	s_lshl_b64 s[10:11], s[12:13], 16
	s_sub_u32 s10, s16, s10
	s_subb_u32 s11, s17, s11
	s_cmp_eq_u64 s[2:3], 0
	s_mov_b64 s[2:3], -1
	s_cbranch_scc0 .LBB18_5
; %bb.1:
	v_mov_b32_e32 v3, 0
	v_lshlrev_b32_e32 v2, 2, v0
	v_cmp_gt_i64_e32 vcc, s[10:11], v[2:3]
	s_and_saveexec_b64 s[12:13], vcc
	s_cbranch_execz .LBB18_4
; %bb.2:
	s_load_dword s0, s[4:5], 0xc5c
	v_lshlrev_b32_e32 v4, 3, v0
	s_mov_b64 s[16:17], 0
	s_mov_b64 s[18:19], 0xffff
	v_mov_b32_e32 v1, s1
	s_waitcnt lgkmcnt(0)
	s_and_b32 s0, s0, 0xffff
	v_add_lshl_u32 v2, v0, s0, 2
	s_lshl_b32 s24, s0, 2
	s_lshl_b32 s25, s0, 3
.LBB18_3:                               ; =>This Inner Loop Header: Depth=1
	v_mov_b32_e32 v5, s21
	v_add_co_u32_e32 v6, vcc, s20, v4
	v_addc_co_u32_e32 v7, vcc, 0, v5, vcc
	global_load_dwordx2 v[6:7], v[6:7], off
	v_cmp_le_i64_e32 vcc, s[10:11], v[2:3]
	v_cmp_lt_u64_e64 s[0:1], s[18:19], v[2:3]
	s_or_b64 s[0:1], vcc, s[0:1]
	v_add_co_u32_e64 v2, s[2:3], s24, v2
	s_add_u32 s20, s20, s25
	v_addc_co_u32_e64 v3, s[2:3], v3, v1, s[2:3]
	s_addc_u32 s21, s21, 0
	v_add_co_u32_e64 v8, s[2:3], s22, v4
	s_add_u32 s22, s22, s25
	v_mov_b32_e32 v5, s23
	s_addc_u32 s23, s23, 0
	v_addc_co_u32_e64 v9, s[2:3], 0, v5, s[2:3]
	s_and_b64 s[0:1], exec, s[0:1]
	s_or_b64 s[16:17], s[0:1], s[16:17]
	s_waitcnt vmcnt(0)
	v_trunc_f16_e32 v5, v6
	v_trunc_f16_sdwa v6, v6 dst_sel:DWORD dst_unused:UNUSED_PAD src0_sel:WORD_1
	v_trunc_f16_e32 v10, v7
	v_trunc_f16_sdwa v7, v7 dst_sel:DWORD dst_unused:UNUSED_PAD src0_sel:WORD_1
	v_pack_b32_f16 v7, v10, v7
	v_pack_b32_f16 v6, v5, v6
	global_store_dwordx2 v[8:9], v[6:7], off
	s_andn2_b64 exec, exec, s[16:17]
	s_cbranch_execnz .LBB18_3
.LBB18_4:
	s_or_b64 exec, exec, s[12:13]
	s_mov_b64 s[2:3], 0
.LBB18_5:
	s_andn2_b64 vcc, exec, s[2:3]
	s_cbranch_vccnz .LBB18_25
; %bb.6:
	v_cmp_lt_i64_e64 s[0:1], s[10:11], 1
	s_and_b64 vcc, exec, s[0:1]
	s_cbranch_vccnz .LBB18_25
; %bb.7:
	s_load_dword s0, s[4:5], 0xc5c
	v_mov_b32_e32 v2, 0x10000
	v_mov_b32_e32 v3, 0
	v_cmp_lt_u64_e32 vcc, s[10:11], v[2:3]
	v_lshlrev_b32_e32 v10, 1, v0
	s_waitcnt lgkmcnt(0)
	s_and_b32 s2, s0, 0xffff
	s_and_b64 s[0:1], vcc, exec
	v_mov_b32_e32 v13, s15
	v_add_co_u32_e32 v2, vcc, s14, v10
	v_addc_co_u32_e32 v1, vcc, 0, v13, vcc
	v_mov_b32_e32 v11, 0
	v_mov_b32_e32 v15, s7
	v_add_co_u32_e32 v4, vcc, s6, v10
	v_addc_co_u32_e32 v3, vcc, 0, v15, vcc
	v_mad_u64_u32 v[8:9], s[0:1], s2, 6, v[10:11]
	v_add_co_u32_e32 v6, vcc, s14, v8
	v_addc_co_u32_e32 v5, vcc, v13, v9, vcc
	v_add_co_u32_e32 v8, vcc, s6, v8
	s_mul_i32 s4, s2, 3
	v_addc_co_u32_e32 v7, vcc, v15, v9, vcc
	s_cselect_b32 s13, s11, 0
	s_cselect_b32 s12, s10, 0x10000
	s_lshl_b32 s19, s2, 2
	v_add_co_u32_e32 v17, vcc, s4, v0
	v_addc_co_u32_e64 v18, s[0:1], 0, 0, vcc
	v_add_co_u32_e32 v11, vcc, s19, v10
	v_addc_co_u32_e64 v14, s[0:1], 0, 0, vcc
	v_add_co_u32_e32 v10, vcc, s14, v11
	v_addc_co_u32_e32 v9, vcc, v13, v14, vcc
	v_add_co_u32_e32 v12, vcc, s6, v11
	s_lshl_b32 s3, s2, 1
	v_addc_co_u32_e32 v11, vcc, v15, v14, vcc
	v_add_co_u32_e32 v19, vcc, s3, v0
	v_addc_co_u32_e64 v20, s[0:1], 0, 0, vcc
	v_add_co_u32_e32 v21, vcc, s2, v0
	v_lshlrev_b32_e32 v16, 1, v21
	v_addc_co_u32_e64 v22, s[0:1], 0, 0, vcc
	v_add_co_u32_e32 v14, vcc, s14, v16
	v_addc_co_u32_e32 v13, vcc, 0, v13, vcc
	v_add_co_u32_e32 v16, vcc, s6, v16
	s_mov_b32 s18, 0
	s_lshl_b32 s20, s2, 3
	v_addc_co_u32_e32 v15, vcc, 0, v15, vcc
	s_mov_b64 s[14:15], 0
	s_branch .LBB18_9
.LBB18_8:                               ;   in Loop: Header=BB18_9 Depth=1
	s_or_b64 exec, exec, s[0:1]
	s_add_u32 s14, s14, s19
	s_addc_u32 s15, s15, 0
	s_waitcnt vmcnt(0)
	v_pk_mov_b32 v[24:25], s[10:11], s[10:11] op_sel:[0,1]
	v_cmp_ge_i64_e32 vcc, s[14:15], v[24:25]
	v_mov_b32_e32 v24, 0xffff
	v_mov_b32_e32 v25, 0
	v_cmp_gt_u64_e64 s[0:1], s[14:15], v[24:25]
	s_or_b64 s[0:1], vcc, s[0:1]
	v_mov_b32_e32 v23, s18
	v_add_co_u32_e32 v2, vcc, s20, v2
	v_addc_co_u32_e32 v1, vcc, v1, v23, vcc
	v_add_co_u32_e32 v4, vcc, s20, v4
	v_addc_co_u32_e32 v3, vcc, v3, v23, vcc
	;; [unrolled: 2-line block ×8, first 2 shown]
	s_and_b64 vcc, exec, s[0:1]
	s_cbranch_vccnz .LBB18_25
.LBB18_9:                               ; =>This Inner Loop Header: Depth=1
	v_mov_b32_e32 v23, s15
	v_add_co_u32_e32 v24, vcc, s14, v0
	v_addc_co_u32_e32 v25, vcc, 0, v23, vcc
	v_cmp_gt_u64_e32 vcc, s[12:13], v[24:25]
	v_mov_b32_e32 v23, 0
	s_and_saveexec_b64 s[2:3], vcc
	s_cbranch_execz .LBB18_11
; %bb.10:                               ;   in Loop: Header=BB18_9 Depth=1
	v_mov_b32_e32 v23, s9
	v_add_co_u32_e64 v24, s[0:1], s8, v2
	v_addc_co_u32_e64 v25, s[0:1], v1, v23, s[0:1]
	global_load_ushort v23, v[24:25], off
.LBB18_11:                              ;   in Loop: Header=BB18_9 Depth=1
	s_or_b64 exec, exec, s[2:3]
	v_mov_b32_e32 v25, s15
	v_add_co_u32_e64 v24, s[0:1], s14, v21
	v_addc_co_u32_e64 v25, s[0:1], v22, v25, s[0:1]
	v_cmp_gt_u64_e64 s[0:1], s[12:13], v[24:25]
	v_mov_b32_e32 v25, 0
	s_and_saveexec_b64 s[4:5], s[0:1]
	s_cbranch_execz .LBB18_13
; %bb.12:                               ;   in Loop: Header=BB18_9 Depth=1
	v_mov_b32_e32 v25, s9
	v_add_co_u32_e64 v24, s[2:3], s8, v14
	v_addc_co_u32_e64 v25, s[2:3], v13, v25, s[2:3]
	global_load_ushort v25, v[24:25], off
.LBB18_13:                              ;   in Loop: Header=BB18_9 Depth=1
	s_or_b64 exec, exec, s[4:5]
	v_mov_b32_e32 v24, s15
	v_add_co_u32_e64 v26, s[2:3], s14, v19
	v_addc_co_u32_e64 v27, s[2:3], v20, v24, s[2:3]
	v_cmp_gt_u64_e64 s[2:3], s[12:13], v[26:27]
	v_mov_b32_e32 v24, 0
	v_mov_b32_e32 v26, 0
	s_and_saveexec_b64 s[6:7], s[2:3]
	s_cbranch_execz .LBB18_15
; %bb.14:                               ;   in Loop: Header=BB18_9 Depth=1
	v_mov_b32_e32 v27, s9
	v_add_co_u32_e64 v26, s[4:5], s8, v10
	v_addc_co_u32_e64 v27, s[4:5], v9, v27, s[4:5]
	global_load_ushort v26, v[26:27], off
.LBB18_15:                              ;   in Loop: Header=BB18_9 Depth=1
	s_or_b64 exec, exec, s[6:7]
	v_mov_b32_e32 v27, s15
	v_add_co_u32_e64 v28, s[4:5], s14, v17
	v_addc_co_u32_e64 v29, s[4:5], v18, v27, s[4:5]
	v_cmp_gt_u64_e64 s[4:5], s[12:13], v[28:29]
	s_and_saveexec_b64 s[16:17], s[4:5]
	s_cbranch_execnz .LBB18_20
; %bb.16:                               ;   in Loop: Header=BB18_9 Depth=1
	s_or_b64 exec, exec, s[16:17]
	s_and_saveexec_b64 s[6:7], vcc
	s_cbranch_execnz .LBB18_21
.LBB18_17:                              ;   in Loop: Header=BB18_9 Depth=1
	s_or_b64 exec, exec, s[6:7]
	s_and_saveexec_b64 s[6:7], s[0:1]
	s_cbranch_execnz .LBB18_22
.LBB18_18:                              ;   in Loop: Header=BB18_9 Depth=1
	s_or_b64 exec, exec, s[6:7]
	s_and_saveexec_b64 s[0:1], s[2:3]
	s_cbranch_execnz .LBB18_23
.LBB18_19:                              ;   in Loop: Header=BB18_9 Depth=1
	s_or_b64 exec, exec, s[0:1]
	s_and_saveexec_b64 s[0:1], s[4:5]
	s_cbranch_execz .LBB18_8
	s_branch .LBB18_24
.LBB18_20:                              ;   in Loop: Header=BB18_9 Depth=1
	v_mov_b32_e32 v24, s9
	v_add_co_u32_e64 v28, s[6:7], s8, v6
	v_addc_co_u32_e64 v29, s[6:7], v5, v24, s[6:7]
	global_load_ushort v24, v[28:29], off
	s_or_b64 exec, exec, s[16:17]
	s_and_saveexec_b64 s[6:7], vcc
	s_cbranch_execz .LBB18_17
.LBB18_21:                              ;   in Loop: Header=BB18_9 Depth=1
	v_mov_b32_e32 v27, s9
	v_add_co_u32_e32 v28, vcc, s8, v4
	v_addc_co_u32_e32 v29, vcc, v3, v27, vcc
	s_waitcnt vmcnt(0)
	v_trunc_f16_e32 v23, v23
	global_store_short v[28:29], v23, off
	s_or_b64 exec, exec, s[6:7]
	s_and_saveexec_b64 s[6:7], s[0:1]
	s_cbranch_execz .LBB18_18
.LBB18_22:                              ;   in Loop: Header=BB18_9 Depth=1
	s_waitcnt vmcnt(0)
	v_trunc_f16_e32 v23, v25
	v_mov_b32_e32 v25, s9
	v_add_co_u32_e32 v28, vcc, s8, v16
	v_addc_co_u32_e32 v29, vcc, v15, v25, vcc
	global_store_short v[28:29], v23, off
	s_or_b64 exec, exec, s[6:7]
	s_and_saveexec_b64 s[0:1], s[2:3]
	s_cbranch_execz .LBB18_19
.LBB18_23:                              ;   in Loop: Header=BB18_9 Depth=1
	s_waitcnt vmcnt(0)
	v_trunc_f16_e32 v23, v26
	v_mov_b32_e32 v25, s9
	v_add_co_u32_e32 v26, vcc, s8, v12
	v_addc_co_u32_e32 v27, vcc, v11, v25, vcc
	global_store_short v[26:27], v23, off
	s_or_b64 exec, exec, s[0:1]
	s_and_saveexec_b64 s[0:1], s[4:5]
	s_cbranch_execz .LBB18_8
.LBB18_24:                              ;   in Loop: Header=BB18_9 Depth=1
	s_waitcnt vmcnt(0)
	v_trunc_f16_e32 v23, v24
	v_mov_b32_e32 v25, s9
	v_add_co_u32_e32 v24, vcc, s8, v8
	v_addc_co_u32_e32 v25, vcc, v7, v25, vcc
	global_store_short v[24:25], v23, off
	s_branch .LBB18_8
.LBB18_25:
	s_endpgm
	.section	.rodata,"a",@progbits
	.p2align	6, 0x0
	.amdhsa_kernel _ZN2at6native12_GLOBAL__N_125multi_tensor_apply_kernelINS1_18TensorListMetadataILi2EEENS1_14UnaryOpFunctorIN3c104HalfELi2ELi1ELi1EEEJNS0_6TruncfIfEEEEEvT_T0_DpT1_
		.amdhsa_group_segment_fixed_size 0
		.amdhsa_private_segment_fixed_size 0
		.amdhsa_kernarg_size 3408
		.amdhsa_user_sgpr_count 6
		.amdhsa_user_sgpr_private_segment_buffer 1
		.amdhsa_user_sgpr_dispatch_ptr 0
		.amdhsa_user_sgpr_queue_ptr 0
		.amdhsa_user_sgpr_kernarg_segment_ptr 1
		.amdhsa_user_sgpr_dispatch_id 0
		.amdhsa_user_sgpr_flat_scratch_init 0
		.amdhsa_user_sgpr_kernarg_preload_length 0
		.amdhsa_user_sgpr_kernarg_preload_offset 0
		.amdhsa_user_sgpr_private_segment_size 0
		.amdhsa_uses_dynamic_stack 0
		.amdhsa_system_sgpr_private_segment_wavefront_offset 0
		.amdhsa_system_sgpr_workgroup_id_x 1
		.amdhsa_system_sgpr_workgroup_id_y 0
		.amdhsa_system_sgpr_workgroup_id_z 0
		.amdhsa_system_sgpr_workgroup_info 0
		.amdhsa_system_vgpr_workitem_id 0
		.amdhsa_next_free_vgpr 30
		.amdhsa_next_free_sgpr 26
		.amdhsa_accum_offset 32
		.amdhsa_reserve_vcc 1
		.amdhsa_reserve_flat_scratch 0
		.amdhsa_float_round_mode_32 0
		.amdhsa_float_round_mode_16_64 0
		.amdhsa_float_denorm_mode_32 3
		.amdhsa_float_denorm_mode_16_64 3
		.amdhsa_dx10_clamp 1
		.amdhsa_ieee_mode 1
		.amdhsa_fp16_overflow 0
		.amdhsa_tg_split 0
		.amdhsa_exception_fp_ieee_invalid_op 0
		.amdhsa_exception_fp_denorm_src 0
		.amdhsa_exception_fp_ieee_div_zero 0
		.amdhsa_exception_fp_ieee_overflow 0
		.amdhsa_exception_fp_ieee_underflow 0
		.amdhsa_exception_fp_ieee_inexact 0
		.amdhsa_exception_int_div_zero 0
	.end_amdhsa_kernel
	.section	.text._ZN2at6native12_GLOBAL__N_125multi_tensor_apply_kernelINS1_18TensorListMetadataILi2EEENS1_14UnaryOpFunctorIN3c104HalfELi2ELi1ELi1EEEJNS0_6TruncfIfEEEEEvT_T0_DpT1_,"axG",@progbits,_ZN2at6native12_GLOBAL__N_125multi_tensor_apply_kernelINS1_18TensorListMetadataILi2EEENS1_14UnaryOpFunctorIN3c104HalfELi2ELi1ELi1EEEJNS0_6TruncfIfEEEEEvT_T0_DpT1_,comdat
.Lfunc_end18:
	.size	_ZN2at6native12_GLOBAL__N_125multi_tensor_apply_kernelINS1_18TensorListMetadataILi2EEENS1_14UnaryOpFunctorIN3c104HalfELi2ELi1ELi1EEEJNS0_6TruncfIfEEEEEvT_T0_DpT1_, .Lfunc_end18-_ZN2at6native12_GLOBAL__N_125multi_tensor_apply_kernelINS1_18TensorListMetadataILi2EEENS1_14UnaryOpFunctorIN3c104HalfELi2ELi1ELi1EEEJNS0_6TruncfIfEEEEEvT_T0_DpT1_
                                        ; -- End function
	.section	.AMDGPU.csdata,"",@progbits
; Kernel info:
; codeLenInByte = 1272
; NumSgprs: 30
; NumVgprs: 30
; NumAgprs: 0
; TotalNumVgprs: 30
; ScratchSize: 0
; MemoryBound: 0
; FloatMode: 240
; IeeeMode: 1
; LDSByteSize: 0 bytes/workgroup (compile time only)
; SGPRBlocks: 3
; VGPRBlocks: 3
; NumSGPRsForWavesPerEU: 30
; NumVGPRsForWavesPerEU: 30
; AccumOffset: 32
; Occupancy: 8
; WaveLimiterHint : 0
; COMPUTE_PGM_RSRC2:SCRATCH_EN: 0
; COMPUTE_PGM_RSRC2:USER_SGPR: 6
; COMPUTE_PGM_RSRC2:TRAP_HANDLER: 0
; COMPUTE_PGM_RSRC2:TGID_X_EN: 1
; COMPUTE_PGM_RSRC2:TGID_Y_EN: 0
; COMPUTE_PGM_RSRC2:TGID_Z_EN: 0
; COMPUTE_PGM_RSRC2:TIDIG_COMP_CNT: 0
; COMPUTE_PGM_RSRC3_GFX90A:ACCUM_OFFSET: 7
; COMPUTE_PGM_RSRC3_GFX90A:TG_SPLIT: 0
	.section	.text._ZN2at6native12_GLOBAL__N_125multi_tensor_apply_kernelINS1_18TensorListMetadataILi2EEENS1_14UnaryOpFunctorIN3c108BFloat16ELi2ELi1ELi1EEEJNS0_6TruncfIfEEEEEvT_T0_DpT1_,"axG",@progbits,_ZN2at6native12_GLOBAL__N_125multi_tensor_apply_kernelINS1_18TensorListMetadataILi2EEENS1_14UnaryOpFunctorIN3c108BFloat16ELi2ELi1ELi1EEEJNS0_6TruncfIfEEEEEvT_T0_DpT1_,comdat
	.globl	_ZN2at6native12_GLOBAL__N_125multi_tensor_apply_kernelINS1_18TensorListMetadataILi2EEENS1_14UnaryOpFunctorIN3c108BFloat16ELi2ELi1ELi1EEEJNS0_6TruncfIfEEEEEvT_T0_DpT1_ ; -- Begin function _ZN2at6native12_GLOBAL__N_125multi_tensor_apply_kernelINS1_18TensorListMetadataILi2EEENS1_14UnaryOpFunctorIN3c108BFloat16ELi2ELi1ELi1EEEJNS0_6TruncfIfEEEEEvT_T0_DpT1_
	.p2align	8
	.type	_ZN2at6native12_GLOBAL__N_125multi_tensor_apply_kernelINS1_18TensorListMetadataILi2EEENS1_14UnaryOpFunctorIN3c108BFloat16ELi2ELi1ELi1EEEJNS0_6TruncfIfEEEEEvT_T0_DpT1_,@function
_ZN2at6native12_GLOBAL__N_125multi_tensor_apply_kernelINS1_18TensorListMetadataILi2EEENS1_14UnaryOpFunctorIN3c108BFloat16ELi2ELi1ELi1EEEJNS0_6TruncfIfEEEEEvT_T0_DpT1_: ; @_ZN2at6native12_GLOBAL__N_125multi_tensor_apply_kernelINS1_18TensorListMetadataILi2EEENS1_14UnaryOpFunctorIN3c108BFloat16ELi2ELi1ELi1EEEJNS0_6TruncfIfEEEEEvT_T0_DpT1_
; %bb.0:
	v_mov_b32_e32 v1, s6
	global_load_ubyte v1, v1, s[4:5] offset:1536
	s_add_u32 s0, s4, s6
	s_mul_hi_u32 s2, s6, 3
	s_mul_i32 s6, s6, 3
	s_addc_u32 s7, s5, 0
	s_add_u32 s8, s0, s6
	s_addc_u32 s9, s7, s2
	s_mov_b32 s1, 0
	s_mov_b32 s17, s1
	;; [unrolled: 1-line block ×3, first 2 shown]
	s_waitcnt vmcnt(0)
	v_readfirstlane_b32 s0, v1
	s_lshl_b32 s0, s0, 3
	s_load_dword s10, s[8:9], 0x740
	s_load_dwordx2 s[14:15], s[4:5], s0 offset:0x0
	s_load_dwordx2 s[12:13], s[4:5], s0 offset:0x400
	;; [unrolled: 1-line block ×3, first 2 shown]
	s_waitcnt lgkmcnt(0)
	s_ashr_i32 s11, s10, 31
	s_and_b32 s0, s14, 7
	s_and_b32 s16, s12, 3
	;; [unrolled: 1-line block ×3, first 2 shown]
	s_or_b64 s[16:17], s[0:1], s[16:17]
	s_lshl_b64 s[8:9], s[10:11], 17
	s_or_b64 s[2:3], s[2:3], s[16:17]
	s_lshl_b64 s[10:11], s[10:11], 16
	s_sub_u32 s10, s12, s10
	s_subb_u32 s11, s13, s11
	s_cmp_eq_u64 s[2:3], 0
	s_mov_b64 s[2:3], -1
	s_cbranch_scc0 .LBB19_5
; %bb.1:
	v_mov_b32_e32 v3, 0
	v_lshlrev_b32_e32 v2, 2, v0
	v_cmp_gt_i64_e32 vcc, s[10:11], v[2:3]
	s_and_saveexec_b64 s[12:13], vcc
	s_cbranch_execz .LBB19_4
; %bb.2:
	s_load_dword s0, s[4:5], 0xc5c
	v_lshlrev_b32_e32 v1, 3, v0
	v_mov_b32_e32 v2, s9
	v_add_co_u32_e32 v4, vcc, s8, v1
	s_waitcnt lgkmcnt(0)
	s_and_b32 s0, s0, 0xffff
	v_addc_co_u32_e32 v1, vcc, 0, v2, vcc
	s_lshl_b32 s20, s0, 3
	v_add_lshl_u32 v2, v0, s0, 2
	s_lshl_b32 s21, s0, 2
	s_mov_b64 s[16:17], 0
	v_mov_b32_e32 v5, s15
	s_movk_i32 s22, 0x7fff
	v_mov_b32_e32 v6, s7
	v_mov_b32_e32 v7, 0x7fc00000
	;; [unrolled: 1-line block ×3, first 2 shown]
	s_mov_b64 s[18:19], 0xffff
	v_mov_b32_e32 v9, s1
	v_mov_b32_e32 v10, s1
.LBB19_3:                               ; =>This Inner Loop Header: Depth=1
	v_add_co_u32_e32 v12, vcc, s14, v4
	v_addc_co_u32_e32 v13, vcc, v5, v1, vcc
	global_load_dwordx2 v[12:13], v[12:13], off
	v_add_co_u32_e32 v14, vcc, s6, v4
	v_addc_co_u32_e32 v15, vcc, v6, v1, vcc
	v_cmp_le_i64_e32 vcc, s[10:11], v[2:3]
	v_cmp_lt_u64_e64 s[0:1], s[18:19], v[2:3]
	v_add_co_u32_e64 v4, s[2:3], s20, v4
	v_addc_co_u32_e64 v1, s[2:3], v1, v9, s[2:3]
	s_or_b64 s[0:1], vcc, s[0:1]
	v_add_co_u32_e64 v2, s[2:3], s21, v2
	s_and_b64 s[0:1], exec, s[0:1]
	v_addc_co_u32_e64 v3, s[2:3], v3, v10, s[2:3]
	s_or_b64 s[16:17], s[0:1], s[16:17]
	s_waitcnt vmcnt(0)
	v_and_b32_e32 v11, 0xffff0000, v12
	v_lshlrev_b32_e32 v16, 16, v12
	v_alignbit_b32 v12, v13, v12, 16
	v_and_b32_e32 v13, 0xffff0000, v13
	v_trunc_f32_e32 v16, v16
	v_trunc_f32_e32 v11, v11
	v_and_b32_e32 v12, 0xffff0000, v12
	v_trunc_f32_e32 v13, v13
	v_bfe_u32 v17, v16, 16, 1
	v_bfe_u32 v18, v11, 16, 1
	v_trunc_f32_e32 v12, v12
	v_bfe_u32 v19, v13, 16, 1
	v_add3_u32 v17, v16, v17, s22
	v_add3_u32 v18, v11, v18, s22
	v_bfe_u32 v20, v12, 16, 1
	v_add3_u32 v19, v13, v19, s22
	v_lshrrev_b32_e32 v17, 16, v17
	v_and_b32_e32 v18, 0xffff0000, v18
	v_add3_u32 v20, v12, v20, s22
	v_cmp_o_f32_e32 vcc, v11, v11
	v_cmp_o_f32_e64 s[0:1], v16, v16
	v_and_b32_e32 v19, 0xffff0000, v19
	v_cmp_o_f32_e64 s[2:3], v13, v13
	v_lshrrev_b32_e32 v11, 16, v20
	v_cndmask_b32_e32 v16, v7, v18, vcc
	v_cndmask_b32_e64 v17, v8, v17, s[0:1]
	v_cmp_o_f32_e32 vcc, v12, v12
	v_cndmask_b32_e64 v13, v7, v19, s[2:3]
	v_cndmask_b32_e32 v11, v8, v11, vcc
	v_or_b32_e32 v12, v17, v16
	v_or3_b32 v13, 0, v11, v13
	v_or3_b32 v12, v12, 0, 0
	global_store_dwordx2 v[14:15], v[12:13], off
	s_andn2_b64 exec, exec, s[16:17]
	s_cbranch_execnz .LBB19_3
.LBB19_4:
	s_or_b64 exec, exec, s[12:13]
	s_mov_b64 s[2:3], 0
.LBB19_5:
	s_andn2_b64 vcc, exec, s[2:3]
	s_cbranch_vccnz .LBB19_25
; %bb.6:
	v_cmp_lt_i64_e64 s[0:1], s[10:11], 1
	s_and_b64 vcc, exec, s[0:1]
	s_cbranch_vccnz .LBB19_25
; %bb.7:
	s_load_dword s0, s[4:5], 0xc5c
	v_mov_b32_e32 v2, 0x10000
	v_mov_b32_e32 v3, 0
	v_cmp_lt_u64_e32 vcc, s[10:11], v[2:3]
	v_lshlrev_b32_e32 v10, 1, v0
	s_waitcnt lgkmcnt(0)
	s_and_b32 s2, s0, 0xffff
	s_and_b64 s[0:1], vcc, exec
	v_mov_b32_e32 v13, s15
	v_add_co_u32_e32 v2, vcc, s14, v10
	v_addc_co_u32_e32 v1, vcc, 0, v13, vcc
	v_mov_b32_e32 v11, 0
	v_mov_b32_e32 v15, s7
	v_add_co_u32_e32 v4, vcc, s6, v10
	v_addc_co_u32_e32 v3, vcc, 0, v15, vcc
	v_mad_u64_u32 v[8:9], s[0:1], s2, 6, v[10:11]
	v_add_co_u32_e32 v6, vcc, s14, v8
	v_addc_co_u32_e32 v5, vcc, v13, v9, vcc
	v_add_co_u32_e32 v8, vcc, s6, v8
	s_mul_i32 s4, s2, 3
	v_addc_co_u32_e32 v7, vcc, v15, v9, vcc
	s_cselect_b32 s13, s11, 0
	s_cselect_b32 s12, s10, 0x10000
	s_lshl_b32 s19, s2, 2
	v_add_co_u32_e32 v17, vcc, s4, v0
	v_addc_co_u32_e64 v18, s[0:1], 0, 0, vcc
	v_add_co_u32_e32 v11, vcc, s19, v10
	v_addc_co_u32_e64 v14, s[0:1], 0, 0, vcc
	v_add_co_u32_e32 v10, vcc, s14, v11
	v_addc_co_u32_e32 v9, vcc, v13, v14, vcc
	v_add_co_u32_e32 v12, vcc, s6, v11
	s_lshl_b32 s3, s2, 1
	v_addc_co_u32_e32 v11, vcc, v15, v14, vcc
	v_add_co_u32_e32 v19, vcc, s3, v0
	v_addc_co_u32_e64 v20, s[0:1], 0, 0, vcc
	v_add_co_u32_e32 v21, vcc, s2, v0
	v_lshlrev_b32_e32 v16, 1, v21
	v_addc_co_u32_e64 v22, s[0:1], 0, 0, vcc
	v_add_co_u32_e32 v14, vcc, s14, v16
	v_addc_co_u32_e32 v13, vcc, 0, v13, vcc
	v_add_co_u32_e32 v16, vcc, s6, v16
	s_mov_b32 s18, 0
	s_lshl_b32 s20, s2, 3
	v_addc_co_u32_e32 v15, vcc, 0, v15, vcc
	s_mov_b64 s[14:15], 0
	s_movk_i32 s21, 0x7fff
	v_mov_b32_e32 v23, 0x7fc0
	s_branch .LBB19_9
.LBB19_8:                               ;   in Loop: Header=BB19_9 Depth=1
	s_or_b64 exec, exec, s[0:1]
	s_add_u32 s14, s14, s19
	s_addc_u32 s15, s15, 0
	s_waitcnt vmcnt(0)
	v_pk_mov_b32 v[24:25], s[10:11], s[10:11] op_sel:[0,1]
	v_cmp_ge_i64_e32 vcc, s[14:15], v[24:25]
	v_mov_b32_e32 v24, 0xffff
	v_mov_b32_e32 v25, 0
	v_cmp_gt_u64_e64 s[0:1], s[14:15], v[24:25]
	s_or_b64 s[0:1], vcc, s[0:1]
	v_mov_b32_e32 v24, s18
	v_add_co_u32_e32 v2, vcc, s20, v2
	v_addc_co_u32_e32 v1, vcc, v1, v24, vcc
	v_add_co_u32_e32 v4, vcc, s20, v4
	v_addc_co_u32_e32 v3, vcc, v3, v24, vcc
	;; [unrolled: 2-line block ×8, first 2 shown]
	s_and_b64 vcc, exec, s[0:1]
	s_cbranch_vccnz .LBB19_25
.LBB19_9:                               ; =>This Inner Loop Header: Depth=1
	v_mov_b32_e32 v25, s15
	v_add_co_u32_e32 v24, vcc, s14, v0
	v_addc_co_u32_e32 v25, vcc, 0, v25, vcc
	v_cmp_gt_u64_e32 vcc, s[12:13], v[24:25]
	v_mov_b32_e32 v25, 0
	s_and_saveexec_b64 s[2:3], vcc
	s_cbranch_execz .LBB19_11
; %bb.10:                               ;   in Loop: Header=BB19_9 Depth=1
	v_mov_b32_e32 v25, s9
	v_add_co_u32_e64 v24, s[0:1], s8, v2
	v_addc_co_u32_e64 v25, s[0:1], v1, v25, s[0:1]
	global_load_ushort v25, v[24:25], off
.LBB19_11:                              ;   in Loop: Header=BB19_9 Depth=1
	s_or_b64 exec, exec, s[2:3]
	v_mov_b32_e32 v24, s15
	v_add_co_u32_e64 v26, s[0:1], s14, v21
	v_addc_co_u32_e64 v27, s[0:1], v22, v24, s[0:1]
	v_cmp_gt_u64_e64 s[0:1], s[12:13], v[26:27]
	v_mov_b32_e32 v26, 0
	s_and_saveexec_b64 s[4:5], s[0:1]
	s_cbranch_execz .LBB19_13
; %bb.12:                               ;   in Loop: Header=BB19_9 Depth=1
	v_mov_b32_e32 v24, s9
	v_add_co_u32_e64 v26, s[2:3], s8, v14
	v_addc_co_u32_e64 v27, s[2:3], v13, v24, s[2:3]
	global_load_ushort v26, v[26:27], off
.LBB19_13:                              ;   in Loop: Header=BB19_9 Depth=1
	s_or_b64 exec, exec, s[4:5]
	v_mov_b32_e32 v24, s15
	v_add_co_u32_e64 v28, s[2:3], s14, v19
	v_addc_co_u32_e64 v29, s[2:3], v20, v24, s[2:3]
	v_cmp_gt_u64_e64 s[2:3], s[12:13], v[28:29]
	v_mov_b32_e32 v24, 0
	v_mov_b32_e32 v27, 0
	s_and_saveexec_b64 s[6:7], s[2:3]
	s_cbranch_execz .LBB19_15
; %bb.14:                               ;   in Loop: Header=BB19_9 Depth=1
	v_mov_b32_e32 v27, s9
	v_add_co_u32_e64 v28, s[4:5], s8, v10
	v_addc_co_u32_e64 v29, s[4:5], v9, v27, s[4:5]
	global_load_ushort v27, v[28:29], off
.LBB19_15:                              ;   in Loop: Header=BB19_9 Depth=1
	s_or_b64 exec, exec, s[6:7]
	v_mov_b32_e32 v29, s15
	v_add_co_u32_e64 v28, s[4:5], s14, v17
	v_addc_co_u32_e64 v29, s[4:5], v18, v29, s[4:5]
	v_cmp_gt_u64_e64 s[4:5], s[12:13], v[28:29]
	s_and_saveexec_b64 s[16:17], s[4:5]
	s_cbranch_execnz .LBB19_20
; %bb.16:                               ;   in Loop: Header=BB19_9 Depth=1
	s_or_b64 exec, exec, s[16:17]
	s_and_saveexec_b64 s[6:7], vcc
	s_cbranch_execnz .LBB19_21
.LBB19_17:                              ;   in Loop: Header=BB19_9 Depth=1
	s_or_b64 exec, exec, s[6:7]
	s_and_saveexec_b64 s[6:7], s[0:1]
	s_cbranch_execnz .LBB19_22
.LBB19_18:                              ;   in Loop: Header=BB19_9 Depth=1
	s_or_b64 exec, exec, s[6:7]
	s_and_saveexec_b64 s[0:1], s[2:3]
	s_cbranch_execnz .LBB19_23
.LBB19_19:                              ;   in Loop: Header=BB19_9 Depth=1
	s_or_b64 exec, exec, s[0:1]
	s_and_saveexec_b64 s[0:1], s[4:5]
	s_cbranch_execz .LBB19_8
	s_branch .LBB19_24
.LBB19_20:                              ;   in Loop: Header=BB19_9 Depth=1
	v_mov_b32_e32 v24, s9
	v_add_co_u32_e64 v28, s[6:7], s8, v6
	v_addc_co_u32_e64 v29, s[6:7], v5, v24, s[6:7]
	global_load_ushort v24, v[28:29], off
	s_or_b64 exec, exec, s[16:17]
	s_and_saveexec_b64 s[6:7], vcc
	s_cbranch_execz .LBB19_17
.LBB19_21:                              ;   in Loop: Header=BB19_9 Depth=1
	s_waitcnt vmcnt(0)
	v_lshlrev_b32_e32 v25, 16, v25
	v_trunc_f32_e32 v25, v25
	v_bfe_u32 v28, v25, 16, 1
	v_add3_u32 v28, v25, v28, s21
	v_lshrrev_b32_e32 v28, 16, v28
	v_cmp_o_f32_e32 vcc, v25, v25
	v_cndmask_b32_e32 v25, v23, v28, vcc
	v_mov_b32_e32 v29, s9
	v_add_co_u32_e32 v28, vcc, s8, v4
	v_addc_co_u32_e32 v29, vcc, v3, v29, vcc
	global_store_short v[28:29], v25, off
	s_or_b64 exec, exec, s[6:7]
	s_and_saveexec_b64 s[6:7], s[0:1]
	s_cbranch_execz .LBB19_18
.LBB19_22:                              ;   in Loop: Header=BB19_9 Depth=1
	s_waitcnt vmcnt(0)
	v_lshlrev_b32_e32 v25, 16, v26
	v_trunc_f32_e32 v25, v25
	v_bfe_u32 v26, v25, 16, 1
	v_add3_u32 v26, v25, v26, s21
	v_lshrrev_b32_e32 v26, 16, v26
	v_cmp_o_f32_e32 vcc, v25, v25
	v_cndmask_b32_e32 v25, v23, v26, vcc
	v_mov_b32_e32 v26, s9
	v_add_co_u32_e32 v28, vcc, s8, v16
	v_addc_co_u32_e32 v29, vcc, v15, v26, vcc
	global_store_short v[28:29], v25, off
	s_or_b64 exec, exec, s[6:7]
	s_and_saveexec_b64 s[0:1], s[2:3]
	s_cbranch_execz .LBB19_19
.LBB19_23:                              ;   in Loop: Header=BB19_9 Depth=1
	s_waitcnt vmcnt(0)
	v_lshlrev_b32_e32 v25, 16, v27
	v_trunc_f32_e32 v25, v25
	v_bfe_u32 v26, v25, 16, 1
	v_add3_u32 v26, v25, v26, s21
	v_lshrrev_b32_e32 v26, 16, v26
	v_cmp_o_f32_e32 vcc, v25, v25
	v_cndmask_b32_e32 v25, v23, v26, vcc
	v_mov_b32_e32 v27, s9
	v_add_co_u32_e32 v26, vcc, s8, v12
	v_addc_co_u32_e32 v27, vcc, v11, v27, vcc
	global_store_short v[26:27], v25, off
	s_or_b64 exec, exec, s[0:1]
	s_and_saveexec_b64 s[0:1], s[4:5]
	s_cbranch_execz .LBB19_8
.LBB19_24:                              ;   in Loop: Header=BB19_9 Depth=1
	s_waitcnt vmcnt(0)
	v_lshlrev_b32_e32 v24, 16, v24
	v_trunc_f32_e32 v24, v24
	v_bfe_u32 v25, v24, 16, 1
	v_add3_u32 v25, v24, v25, s21
	v_lshrrev_b32_e32 v25, 16, v25
	v_cmp_o_f32_e32 vcc, v24, v24
	v_cndmask_b32_e32 v26, v23, v25, vcc
	v_mov_b32_e32 v25, s9
	v_add_co_u32_e32 v24, vcc, s8, v8
	v_addc_co_u32_e32 v25, vcc, v7, v25, vcc
	global_store_short v[24:25], v26, off
	s_branch .LBB19_8
.LBB19_25:
	s_endpgm
	.section	.rodata,"a",@progbits
	.p2align	6, 0x0
	.amdhsa_kernel _ZN2at6native12_GLOBAL__N_125multi_tensor_apply_kernelINS1_18TensorListMetadataILi2EEENS1_14UnaryOpFunctorIN3c108BFloat16ELi2ELi1ELi1EEEJNS0_6TruncfIfEEEEEvT_T0_DpT1_
		.amdhsa_group_segment_fixed_size 0
		.amdhsa_private_segment_fixed_size 0
		.amdhsa_kernarg_size 3408
		.amdhsa_user_sgpr_count 6
		.amdhsa_user_sgpr_private_segment_buffer 1
		.amdhsa_user_sgpr_dispatch_ptr 0
		.amdhsa_user_sgpr_queue_ptr 0
		.amdhsa_user_sgpr_kernarg_segment_ptr 1
		.amdhsa_user_sgpr_dispatch_id 0
		.amdhsa_user_sgpr_flat_scratch_init 0
		.amdhsa_user_sgpr_kernarg_preload_length 0
		.amdhsa_user_sgpr_kernarg_preload_offset 0
		.amdhsa_user_sgpr_private_segment_size 0
		.amdhsa_uses_dynamic_stack 0
		.amdhsa_system_sgpr_private_segment_wavefront_offset 0
		.amdhsa_system_sgpr_workgroup_id_x 1
		.amdhsa_system_sgpr_workgroup_id_y 0
		.amdhsa_system_sgpr_workgroup_id_z 0
		.amdhsa_system_sgpr_workgroup_info 0
		.amdhsa_system_vgpr_workitem_id 0
		.amdhsa_next_free_vgpr 30
		.amdhsa_next_free_sgpr 23
		.amdhsa_accum_offset 32
		.amdhsa_reserve_vcc 1
		.amdhsa_reserve_flat_scratch 0
		.amdhsa_float_round_mode_32 0
		.amdhsa_float_round_mode_16_64 0
		.amdhsa_float_denorm_mode_32 3
		.amdhsa_float_denorm_mode_16_64 3
		.amdhsa_dx10_clamp 1
		.amdhsa_ieee_mode 1
		.amdhsa_fp16_overflow 0
		.amdhsa_tg_split 0
		.amdhsa_exception_fp_ieee_invalid_op 0
		.amdhsa_exception_fp_denorm_src 0
		.amdhsa_exception_fp_ieee_div_zero 0
		.amdhsa_exception_fp_ieee_overflow 0
		.amdhsa_exception_fp_ieee_underflow 0
		.amdhsa_exception_fp_ieee_inexact 0
		.amdhsa_exception_int_div_zero 0
	.end_amdhsa_kernel
	.section	.text._ZN2at6native12_GLOBAL__N_125multi_tensor_apply_kernelINS1_18TensorListMetadataILi2EEENS1_14UnaryOpFunctorIN3c108BFloat16ELi2ELi1ELi1EEEJNS0_6TruncfIfEEEEEvT_T0_DpT1_,"axG",@progbits,_ZN2at6native12_GLOBAL__N_125multi_tensor_apply_kernelINS1_18TensorListMetadataILi2EEENS1_14UnaryOpFunctorIN3c108BFloat16ELi2ELi1ELi1EEEJNS0_6TruncfIfEEEEEvT_T0_DpT1_,comdat
.Lfunc_end19:
	.size	_ZN2at6native12_GLOBAL__N_125multi_tensor_apply_kernelINS1_18TensorListMetadataILi2EEENS1_14UnaryOpFunctorIN3c108BFloat16ELi2ELi1ELi1EEEJNS0_6TruncfIfEEEEEvT_T0_DpT1_, .Lfunc_end19-_ZN2at6native12_GLOBAL__N_125multi_tensor_apply_kernelINS1_18TensorListMetadataILi2EEENS1_14UnaryOpFunctorIN3c108BFloat16ELi2ELi1ELi1EEEJNS0_6TruncfIfEEEEEvT_T0_DpT1_
                                        ; -- End function
	.section	.AMDGPU.csdata,"",@progbits
; Kernel info:
; codeLenInByte = 1588
; NumSgprs: 27
; NumVgprs: 30
; NumAgprs: 0
; TotalNumVgprs: 30
; ScratchSize: 0
; MemoryBound: 0
; FloatMode: 240
; IeeeMode: 1
; LDSByteSize: 0 bytes/workgroup (compile time only)
; SGPRBlocks: 3
; VGPRBlocks: 3
; NumSGPRsForWavesPerEU: 27
; NumVGPRsForWavesPerEU: 30
; AccumOffset: 32
; Occupancy: 8
; WaveLimiterHint : 0
; COMPUTE_PGM_RSRC2:SCRATCH_EN: 0
; COMPUTE_PGM_RSRC2:USER_SGPR: 6
; COMPUTE_PGM_RSRC2:TRAP_HANDLER: 0
; COMPUTE_PGM_RSRC2:TGID_X_EN: 1
; COMPUTE_PGM_RSRC2:TGID_Y_EN: 0
; COMPUTE_PGM_RSRC2:TGID_Z_EN: 0
; COMPUTE_PGM_RSRC2:TIDIG_COMP_CNT: 0
; COMPUTE_PGM_RSRC3_GFX90A:ACCUM_OFFSET: 7
; COMPUTE_PGM_RSRC3_GFX90A:TG_SPLIT: 0
	.section	.text._ZN2at6native12_GLOBAL__N_125multi_tensor_apply_kernelINS1_18TensorListMetadataILi1EEENS1_14UnaryOpFunctorIdLi1ELi1ELi0EEEJNS0_6TruncfIdEEEEEvT_T0_DpT1_,"axG",@progbits,_ZN2at6native12_GLOBAL__N_125multi_tensor_apply_kernelINS1_18TensorListMetadataILi1EEENS1_14UnaryOpFunctorIdLi1ELi1ELi0EEEJNS0_6TruncfIdEEEEEvT_T0_DpT1_,comdat
	.globl	_ZN2at6native12_GLOBAL__N_125multi_tensor_apply_kernelINS1_18TensorListMetadataILi1EEENS1_14UnaryOpFunctorIdLi1ELi1ELi0EEEJNS0_6TruncfIdEEEEEvT_T0_DpT1_ ; -- Begin function _ZN2at6native12_GLOBAL__N_125multi_tensor_apply_kernelINS1_18TensorListMetadataILi1EEENS1_14UnaryOpFunctorIdLi1ELi1ELi0EEEJNS0_6TruncfIdEEEEEvT_T0_DpT1_
	.p2align	8
	.type	_ZN2at6native12_GLOBAL__N_125multi_tensor_apply_kernelINS1_18TensorListMetadataILi1EEENS1_14UnaryOpFunctorIdLi1ELi1ELi0EEEJNS0_6TruncfIdEEEEEvT_T0_DpT1_,@function
_ZN2at6native12_GLOBAL__N_125multi_tensor_apply_kernelINS1_18TensorListMetadataILi1EEENS1_14UnaryOpFunctorIdLi1ELi1ELi0EEEJNS0_6TruncfIdEEEEEvT_T0_DpT1_: ; @_ZN2at6native12_GLOBAL__N_125multi_tensor_apply_kernelINS1_18TensorListMetadataILi1EEENS1_14UnaryOpFunctorIdLi1ELi1ELi0EEEJNS0_6TruncfIdEEEEEvT_T0_DpT1_
; %bb.0:
	v_mov_b32_e32 v1, s6
	global_load_ubyte v1, v1, s[4:5] offset:1760
	s_add_u32 s0, s4, s6
	s_mul_hi_u32 s1, s6, 3
	s_mul_i32 s6, s6, 3
	s_addc_u32 s2, s5, 0
	s_add_u32 s0, s0, s6
	s_addc_u32 s1, s2, s1
	s_load_dword s0, s[0:1], 0x820
	s_mov_b32 s7, 0
	s_waitcnt vmcnt(0)
	v_readfirstlane_b32 s2, v1
	s_lshl_b32 s1, s2, 3
	s_load_dwordx2 s[2:3], s[4:5], s1 offset:0x370
	s_load_dwordx2 s[12:13], s[4:5], s1 offset:0x0
	s_waitcnt lgkmcnt(0)
	s_ashr_i32 s1, s0, 31
	s_lshl_b64 s[14:15], s[0:1], 19
	s_lshl_b64 s[0:1], s[0:1], 16
	s_and_b32 s6, s12, 31
	s_sub_u32 s10, s2, s0
	s_subb_u32 s11, s3, s1
	s_and_b32 s0, s2, 3
	s_mov_b32 s1, s7
	s_or_b64 s[0:1], s[6:7], s[0:1]
	s_cmp_eq_u64 s[0:1], 0
	s_cbranch_scc1 .LBB20_21
; %bb.1:
	v_cmp_lt_i64_e64 s[0:1], s[10:11], 1
	s_and_b64 vcc, exec, s[0:1]
	s_cbranch_vccnz .LBB20_20
; %bb.2:
	s_load_dword s0, s[4:5], 0xd3c
	v_mov_b32_e32 v2, 0x10000
	v_mov_b32_e32 v3, 0
	v_cmp_lt_u64_e32 vcc, s[10:11], v[2:3]
	v_lshlrev_b32_e32 v1, 3, v0
	s_waitcnt lgkmcnt(0)
	s_and_b32 s3, s0, 0xffff
	s_and_b64 s[0:1], vcc, exec
	s_cselect_b32 s17, s11, 0
	s_cselect_b32 s16, s10, 0x10000
	s_lshl_b32 s6, s3, 1
	s_lshl_b32 s22, s3, 2
	s_add_u32 s7, s12, s14
	s_addc_u32 s8, s13, s15
	v_mov_b32_e32 v5, s8
	v_add_co_u32_e32 v4, vcc, s7, v1
	s_mul_i32 s0, s3, 3
	v_addc_co_u32_e32 v5, vcc, 0, v5, vcc
	v_add_co_u32_e32 v1, vcc, s0, v0
	v_addc_co_u32_e64 v18, s[0:1], 0, 0, vcc
	v_add_co_u32_e32 v19, vcc, s6, v0
	v_addc_co_u32_e64 v20, s[0:1], 0, 0, vcc
	v_add_co_u32_e32 v21, vcc, s3, v0
	v_lshlrev_b32_e32 v6, 3, v21
	s_mov_b32 s2, 0
	v_addc_co_u32_e64 v22, s[0:1], 0, 0, vcc
	v_mov_b32_e32 v7, s8
	v_add_co_u32_e32 v6, vcc, s7, v6
	s_lshl_b32 s23, s3, 5
	s_mul_i32 s24, s3, 24
	s_mov_b32 s25, s2
	s_lshl_b32 s26, s3, 4
	s_mov_b32 s27, s2
	v_addc_co_u32_e32 v7, vcc, 0, v7, vcc
	s_mov_b64 s[18:19], 0
	v_pk_mov_b32 v[8:9], s[10:11], s[10:11] op_sel:[0,1]
	v_mov_b32_e32 v23, s2
	s_branch .LBB20_4
.LBB20_3:                               ;   in Loop: Header=BB20_4 Depth=1
	s_or_b64 exec, exec, s[0:1]
	s_add_u32 s18, s18, s22
	s_addc_u32 s19, s19, 0
	v_cmp_lt_i64_e32 vcc, s[18:19], v[8:9]
	v_cmp_lt_u64_e64 s[0:1], s[18:19], v[2:3]
	s_and_b64 s[0:1], vcc, s[0:1]
	v_add_co_u32_e32 v4, vcc, s23, v4
	v_addc_co_u32_e32 v5, vcc, v5, v23, vcc
	v_add_co_u32_e32 v6, vcc, s23, v6
	v_addc_co_u32_e32 v7, vcc, v7, v23, vcc
	s_and_b64 vcc, exec, s[0:1]
	s_cbranch_vccz .LBB20_20
.LBB20_4:                               ; =>This Inner Loop Header: Depth=1
	s_waitcnt vmcnt(0)
	v_mov_b32_e32 v11, s19
	v_add_co_u32_e32 v10, vcc, s18, v0
	v_addc_co_u32_e32 v11, vcc, 0, v11, vcc
	v_cmp_gt_u64_e32 vcc, s[16:17], v[10:11]
	v_pk_mov_b32 v[10:11], 0, 0
	v_pk_mov_b32 v[12:13], v[10:11], v[10:11] op_sel:[0,1]
	s_and_saveexec_b64 s[0:1], vcc
	s_cbranch_execz .LBB20_6
; %bb.5:                                ;   in Loop: Header=BB20_4 Depth=1
	global_load_dwordx2 v[12:13], v[4:5], off
.LBB20_6:                               ;   in Loop: Header=BB20_4 Depth=1
	s_or_b64 exec, exec, s[0:1]
	v_mov_b32_e32 v15, s19
	v_add_co_u32_e64 v14, s[0:1], s18, v21
	v_addc_co_u32_e64 v15, s[0:1], v22, v15, s[0:1]
	v_cmp_gt_u64_e64 s[0:1], s[16:17], v[14:15]
	s_and_saveexec_b64 s[2:3], s[0:1]
	s_cbranch_execz .LBB20_8
; %bb.7:                                ;   in Loop: Header=BB20_4 Depth=1
	global_load_dwordx2 v[10:11], v[6:7], off
.LBB20_8:                               ;   in Loop: Header=BB20_4 Depth=1
	s_or_b64 exec, exec, s[2:3]
	v_mov_b32_e32 v15, s19
	v_add_co_u32_e64 v14, s[2:3], s18, v19
	v_addc_co_u32_e64 v15, s[2:3], v20, v15, s[2:3]
	v_cmp_gt_u64_e64 s[2:3], s[16:17], v[14:15]
	v_pk_mov_b32 v[14:15], 0, 0
	v_pk_mov_b32 v[16:17], v[14:15], v[14:15] op_sel:[0,1]
	s_and_saveexec_b64 s[8:9], s[2:3]
	s_cbranch_execz .LBB20_10
; %bb.9:                                ;   in Loop: Header=BB20_4 Depth=1
	v_mov_b32_e32 v17, s27
	v_add_co_u32_e64 v16, s[6:7], s26, v4
	v_addc_co_u32_e64 v17, s[6:7], v5, v17, s[6:7]
	global_load_dwordx2 v[16:17], v[16:17], off
.LBB20_10:                              ;   in Loop: Header=BB20_4 Depth=1
	s_or_b64 exec, exec, s[8:9]
	v_mov_b32_e32 v25, s19
	v_add_co_u32_e64 v24, s[6:7], s18, v1
	v_addc_co_u32_e64 v25, s[6:7], v18, v25, s[6:7]
	v_cmp_gt_u64_e64 s[6:7], s[16:17], v[24:25]
	s_and_saveexec_b64 s[20:21], s[6:7]
	s_cbranch_execnz .LBB20_15
; %bb.11:                               ;   in Loop: Header=BB20_4 Depth=1
	s_or_b64 exec, exec, s[20:21]
	s_and_saveexec_b64 s[8:9], vcc
	s_cbranch_execnz .LBB20_16
.LBB20_12:                              ;   in Loop: Header=BB20_4 Depth=1
	s_or_b64 exec, exec, s[8:9]
	s_and_saveexec_b64 s[8:9], s[0:1]
	s_cbranch_execnz .LBB20_17
.LBB20_13:                              ;   in Loop: Header=BB20_4 Depth=1
	s_or_b64 exec, exec, s[8:9]
	s_and_saveexec_b64 s[0:1], s[2:3]
	s_cbranch_execnz .LBB20_18
.LBB20_14:                              ;   in Loop: Header=BB20_4 Depth=1
	s_or_b64 exec, exec, s[0:1]
	s_and_saveexec_b64 s[0:1], s[6:7]
	s_cbranch_execz .LBB20_3
	s_branch .LBB20_19
.LBB20_15:                              ;   in Loop: Header=BB20_4 Depth=1
	v_mov_b32_e32 v15, s25
	v_add_co_u32_e64 v14, s[8:9], s24, v4
	v_addc_co_u32_e64 v15, s[8:9], v5, v15, s[8:9]
	global_load_dwordx2 v[14:15], v[14:15], off
	s_or_b64 exec, exec, s[20:21]
	s_and_saveexec_b64 s[8:9], vcc
	s_cbranch_execz .LBB20_12
.LBB20_16:                              ;   in Loop: Header=BB20_4 Depth=1
	s_waitcnt vmcnt(0)
	v_trunc_f64_e32 v[12:13], v[12:13]
	global_store_dwordx2 v[4:5], v[12:13], off
	s_or_b64 exec, exec, s[8:9]
	s_and_saveexec_b64 s[8:9], s[0:1]
	s_cbranch_execz .LBB20_13
.LBB20_17:                              ;   in Loop: Header=BB20_4 Depth=1
	s_waitcnt vmcnt(0)
	v_trunc_f64_e32 v[10:11], v[10:11]
	global_store_dwordx2 v[6:7], v[10:11], off
	s_or_b64 exec, exec, s[8:9]
	s_and_saveexec_b64 s[0:1], s[2:3]
	s_cbranch_execz .LBB20_14
.LBB20_18:                              ;   in Loop: Header=BB20_4 Depth=1
	s_waitcnt vmcnt(0)
	v_mov_b32_e32 v13, s27
	v_add_co_u32_e32 v12, vcc, s26, v4
	v_trunc_f64_e32 v[10:11], v[16:17]
	v_addc_co_u32_e32 v13, vcc, v5, v13, vcc
	global_store_dwordx2 v[12:13], v[10:11], off
	s_or_b64 exec, exec, s[0:1]
	s_and_saveexec_b64 s[0:1], s[6:7]
	s_cbranch_execz .LBB20_3
.LBB20_19:                              ;   in Loop: Header=BB20_4 Depth=1
	s_waitcnt vmcnt(0)
	v_mov_b32_e32 v13, s25
	v_add_co_u32_e32 v12, vcc, s24, v4
	v_trunc_f64_e32 v[10:11], v[14:15]
	v_addc_co_u32_e32 v13, vcc, v5, v13, vcc
	global_store_dwordx2 v[12:13], v[10:11], off
	s_branch .LBB20_3
.LBB20_20:
	s_cbranch_execz .LBB20_22
	s_branch .LBB20_25
.LBB20_21:
.LBB20_22:
	v_mov_b32_e32 v3, 0
	v_lshlrev_b32_e32 v2, 2, v0
	s_mov_b32 s0, 0
	v_cmp_gt_i64_e32 vcc, s[10:11], v[2:3]
	s_and_saveexec_b64 s[2:3], vcc
	s_cbranch_execz .LBB20_25
; %bb.23:
	s_load_dword s1, s[4:5], 0xd3c
	v_lshlrev_b32_e32 v1, 5, v0
	s_mov_b64 s[4:5], 0
	s_mov_b64 s[6:7], 0xffff
	v_mov_b32_e32 v5, s0
	s_waitcnt lgkmcnt(0)
	s_and_b32 s1, s1, 0xffff
	s_lshl_b32 s8, s1, 2
	s_add_u32 s2, s12, s14
	s_addc_u32 s3, s13, s15
	v_add_lshl_u32 v2, v0, s1, 2
	v_mov_b32_e32 v0, s3
	v_add_co_u32_e32 v1, vcc, s2, v1
	v_addc_co_u32_e32 v4, vcc, 0, v0, vcc
	v_add_co_u32_e32 v0, vcc, 16, v1
	v_addc_co_u32_e32 v1, vcc, 0, v4, vcc
	s_lshl_b32 s9, s1, 5
	v_mov_b32_e32 v4, s0
.LBB20_24:                              ; =>This Inner Loop Header: Depth=1
	global_load_dwordx4 v[6:9], v[0:1], off offset:-16
	global_load_dwordx4 v[10:13], v[0:1], off
	v_cmp_le_i64_e32 vcc, s[10:11], v[2:3]
	v_cmp_lt_u64_e64 s[0:1], s[6:7], v[2:3]
	s_or_b64 s[0:1], vcc, s[0:1]
	v_add_co_u32_e64 v2, s[2:3], s8, v2
	s_and_b64 s[0:1], exec, s[0:1]
	v_addc_co_u32_e64 v3, s[2:3], v3, v4, s[2:3]
	s_or_b64 s[4:5], s[0:1], s[4:5]
	s_waitcnt vmcnt(1)
	v_trunc_f64_e32 v[6:7], v[6:7]
	v_trunc_f64_e32 v[8:9], v[8:9]
	s_waitcnt vmcnt(0)
	v_trunc_f64_e32 v[10:11], v[10:11]
	v_trunc_f64_e32 v[12:13], v[12:13]
	global_store_dwordx4 v[0:1], v[6:9], off offset:-16
	global_store_dwordx4 v[0:1], v[10:13], off
	v_add_co_u32_e32 v0, vcc, s9, v0
	v_addc_co_u32_e32 v1, vcc, v1, v5, vcc
	s_andn2_b64 exec, exec, s[4:5]
	s_cbranch_execnz .LBB20_24
.LBB20_25:
	s_endpgm
	.section	.rodata,"a",@progbits
	.p2align	6, 0x0
	.amdhsa_kernel _ZN2at6native12_GLOBAL__N_125multi_tensor_apply_kernelINS1_18TensorListMetadataILi1EEENS1_14UnaryOpFunctorIdLi1ELi1ELi0EEEJNS0_6TruncfIdEEEEEvT_T0_DpT1_
		.amdhsa_group_segment_fixed_size 0
		.amdhsa_private_segment_fixed_size 0
		.amdhsa_kernarg_size 3632
		.amdhsa_user_sgpr_count 6
		.amdhsa_user_sgpr_private_segment_buffer 1
		.amdhsa_user_sgpr_dispatch_ptr 0
		.amdhsa_user_sgpr_queue_ptr 0
		.amdhsa_user_sgpr_kernarg_segment_ptr 1
		.amdhsa_user_sgpr_dispatch_id 0
		.amdhsa_user_sgpr_flat_scratch_init 0
		.amdhsa_user_sgpr_kernarg_preload_length 0
		.amdhsa_user_sgpr_kernarg_preload_offset 0
		.amdhsa_user_sgpr_private_segment_size 0
		.amdhsa_uses_dynamic_stack 0
		.amdhsa_system_sgpr_private_segment_wavefront_offset 0
		.amdhsa_system_sgpr_workgroup_id_x 1
		.amdhsa_system_sgpr_workgroup_id_y 0
		.amdhsa_system_sgpr_workgroup_id_z 0
		.amdhsa_system_sgpr_workgroup_info 0
		.amdhsa_system_vgpr_workitem_id 0
		.amdhsa_next_free_vgpr 26
		.amdhsa_next_free_sgpr 28
		.amdhsa_accum_offset 28
		.amdhsa_reserve_vcc 1
		.amdhsa_reserve_flat_scratch 0
		.amdhsa_float_round_mode_32 0
		.amdhsa_float_round_mode_16_64 0
		.amdhsa_float_denorm_mode_32 3
		.amdhsa_float_denorm_mode_16_64 3
		.amdhsa_dx10_clamp 1
		.amdhsa_ieee_mode 1
		.amdhsa_fp16_overflow 0
		.amdhsa_tg_split 0
		.amdhsa_exception_fp_ieee_invalid_op 0
		.amdhsa_exception_fp_denorm_src 0
		.amdhsa_exception_fp_ieee_div_zero 0
		.amdhsa_exception_fp_ieee_overflow 0
		.amdhsa_exception_fp_ieee_underflow 0
		.amdhsa_exception_fp_ieee_inexact 0
		.amdhsa_exception_int_div_zero 0
	.end_amdhsa_kernel
	.section	.text._ZN2at6native12_GLOBAL__N_125multi_tensor_apply_kernelINS1_18TensorListMetadataILi1EEENS1_14UnaryOpFunctorIdLi1ELi1ELi0EEEJNS0_6TruncfIdEEEEEvT_T0_DpT1_,"axG",@progbits,_ZN2at6native12_GLOBAL__N_125multi_tensor_apply_kernelINS1_18TensorListMetadataILi1EEENS1_14UnaryOpFunctorIdLi1ELi1ELi0EEEJNS0_6TruncfIdEEEEEvT_T0_DpT1_,comdat
.Lfunc_end20:
	.size	_ZN2at6native12_GLOBAL__N_125multi_tensor_apply_kernelINS1_18TensorListMetadataILi1EEENS1_14UnaryOpFunctorIdLi1ELi1ELi0EEEJNS0_6TruncfIdEEEEEvT_T0_DpT1_, .Lfunc_end20-_ZN2at6native12_GLOBAL__N_125multi_tensor_apply_kernelINS1_18TensorListMetadataILi1EEENS1_14UnaryOpFunctorIdLi1ELi1ELi0EEEJNS0_6TruncfIdEEEEEvT_T0_DpT1_
                                        ; -- End function
	.section	.AMDGPU.csdata,"",@progbits
; Kernel info:
; codeLenInByte = 1056
; NumSgprs: 32
; NumVgprs: 26
; NumAgprs: 0
; TotalNumVgprs: 26
; ScratchSize: 0
; MemoryBound: 0
; FloatMode: 240
; IeeeMode: 1
; LDSByteSize: 0 bytes/workgroup (compile time only)
; SGPRBlocks: 3
; VGPRBlocks: 3
; NumSGPRsForWavesPerEU: 32
; NumVGPRsForWavesPerEU: 26
; AccumOffset: 28
; Occupancy: 8
; WaveLimiterHint : 0
; COMPUTE_PGM_RSRC2:SCRATCH_EN: 0
; COMPUTE_PGM_RSRC2:USER_SGPR: 6
; COMPUTE_PGM_RSRC2:TRAP_HANDLER: 0
; COMPUTE_PGM_RSRC2:TGID_X_EN: 1
; COMPUTE_PGM_RSRC2:TGID_Y_EN: 0
; COMPUTE_PGM_RSRC2:TGID_Z_EN: 0
; COMPUTE_PGM_RSRC2:TIDIG_COMP_CNT: 0
; COMPUTE_PGM_RSRC3_GFX90A:ACCUM_OFFSET: 6
; COMPUTE_PGM_RSRC3_GFX90A:TG_SPLIT: 0
	.section	.text._ZN2at6native12_GLOBAL__N_125multi_tensor_apply_kernelINS1_18TensorListMetadataILi1EEENS1_14UnaryOpFunctorIfLi1ELi1ELi0EEEJNS0_6TruncfIfEEEEEvT_T0_DpT1_,"axG",@progbits,_ZN2at6native12_GLOBAL__N_125multi_tensor_apply_kernelINS1_18TensorListMetadataILi1EEENS1_14UnaryOpFunctorIfLi1ELi1ELi0EEEJNS0_6TruncfIfEEEEEvT_T0_DpT1_,comdat
	.globl	_ZN2at6native12_GLOBAL__N_125multi_tensor_apply_kernelINS1_18TensorListMetadataILi1EEENS1_14UnaryOpFunctorIfLi1ELi1ELi0EEEJNS0_6TruncfIfEEEEEvT_T0_DpT1_ ; -- Begin function _ZN2at6native12_GLOBAL__N_125multi_tensor_apply_kernelINS1_18TensorListMetadataILi1EEENS1_14UnaryOpFunctorIfLi1ELi1ELi0EEEJNS0_6TruncfIfEEEEEvT_T0_DpT1_
	.p2align	8
	.type	_ZN2at6native12_GLOBAL__N_125multi_tensor_apply_kernelINS1_18TensorListMetadataILi1EEENS1_14UnaryOpFunctorIfLi1ELi1ELi0EEEJNS0_6TruncfIfEEEEEvT_T0_DpT1_,@function
_ZN2at6native12_GLOBAL__N_125multi_tensor_apply_kernelINS1_18TensorListMetadataILi1EEENS1_14UnaryOpFunctorIfLi1ELi1ELi0EEEJNS0_6TruncfIfEEEEEvT_T0_DpT1_: ; @_ZN2at6native12_GLOBAL__N_125multi_tensor_apply_kernelINS1_18TensorListMetadataILi1EEENS1_14UnaryOpFunctorIfLi1ELi1ELi0EEEJNS0_6TruncfIfEEEEEvT_T0_DpT1_
; %bb.0:
	v_mov_b32_e32 v1, s6
	global_load_ubyte v1, v1, s[4:5] offset:1760
	s_add_u32 s0, s4, s6
	s_mul_hi_u32 s1, s6, 3
	s_mul_i32 s6, s6, 3
	s_addc_u32 s2, s5, 0
	s_add_u32 s0, s0, s6
	s_addc_u32 s1, s2, s1
	s_load_dword s0, s[0:1], 0x820
	s_mov_b32 s7, 0
	s_waitcnt vmcnt(0)
	v_readfirstlane_b32 s2, v1
	s_lshl_b32 s1, s2, 3
	s_load_dwordx2 s[2:3], s[4:5], s1 offset:0x370
	s_load_dwordx2 s[12:13], s[4:5], s1 offset:0x0
	s_waitcnt lgkmcnt(0)
	s_ashr_i32 s1, s0, 31
	s_lshl_b64 s[14:15], s[0:1], 18
	s_lshl_b64 s[0:1], s[0:1], 16
	s_and_b32 s6, s12, 15
	s_sub_u32 s10, s2, s0
	s_subb_u32 s11, s3, s1
	s_and_b32 s0, s2, 3
	s_mov_b32 s1, s7
	s_or_b64 s[0:1], s[6:7], s[0:1]
	s_cmp_eq_u64 s[0:1], 0
	s_cbranch_scc1 .LBB21_21
; %bb.1:
	v_cmp_lt_i64_e64 s[0:1], s[10:11], 1
	s_and_b64 vcc, exec, s[0:1]
	s_cbranch_vccnz .LBB21_20
; %bb.2:
	s_load_dword s0, s[4:5], 0xd3c
	v_mov_b32_e32 v2, 0x10000
	v_mov_b32_e32 v3, 0
	v_cmp_lt_u64_e32 vcc, s[10:11], v[2:3]
	v_lshlrev_b32_e32 v1, 2, v0
	s_waitcnt lgkmcnt(0)
	s_and_b32 s3, s0, 0xffff
	s_and_b64 s[0:1], vcc, exec
	s_cselect_b32 s17, s11, 0
	s_cselect_b32 s16, s10, 0x10000
	s_lshl_b32 s6, s3, 1
	s_lshl_b32 s22, s3, 2
	s_add_u32 s7, s12, s14
	s_addc_u32 s8, s13, s15
	v_mov_b32_e32 v5, s8
	v_add_co_u32_e32 v4, vcc, s7, v1
	s_mul_i32 s0, s3, 3
	v_addc_co_u32_e32 v5, vcc, 0, v5, vcc
	v_add_co_u32_e32 v1, vcc, s0, v0
	v_addc_co_u32_e64 v10, s[0:1], 0, 0, vcc
	v_add_co_u32_e32 v11, vcc, s6, v0
	v_addc_co_u32_e64 v12, s[0:1], 0, 0, vcc
	v_add_co_u32_e32 v13, vcc, s3, v0
	v_lshlrev_b32_e32 v6, 2, v13
	s_mov_b32 s2, 0
	v_addc_co_u32_e64 v14, s[0:1], 0, 0, vcc
	v_mov_b32_e32 v7, s8
	v_add_co_u32_e32 v6, vcc, s7, v6
	s_lshl_b32 s23, s3, 4
	s_mul_i32 s24, s3, 12
	s_mov_b32 s25, s2
	s_lshl_b32 s26, s3, 3
	s_mov_b32 s27, s2
	v_addc_co_u32_e32 v7, vcc, 0, v7, vcc
	s_mov_b64 s[18:19], 0
	v_pk_mov_b32 v[8:9], s[10:11], s[10:11] op_sel:[0,1]
	v_mov_b32_e32 v15, s2
	s_branch .LBB21_4
.LBB21_3:                               ;   in Loop: Header=BB21_4 Depth=1
	s_or_b64 exec, exec, s[0:1]
	s_add_u32 s18, s18, s22
	s_addc_u32 s19, s19, 0
	v_cmp_lt_i64_e32 vcc, s[18:19], v[8:9]
	v_cmp_lt_u64_e64 s[0:1], s[18:19], v[2:3]
	s_and_b64 s[0:1], vcc, s[0:1]
	v_add_co_u32_e32 v4, vcc, s23, v4
	v_addc_co_u32_e32 v5, vcc, v5, v15, vcc
	v_add_co_u32_e32 v6, vcc, s23, v6
	v_addc_co_u32_e32 v7, vcc, v7, v15, vcc
	s_and_b64 vcc, exec, s[0:1]
	s_cbranch_vccz .LBB21_20
.LBB21_4:                               ; =>This Inner Loop Header: Depth=1
	s_waitcnt vmcnt(0)
	v_mov_b32_e32 v17, s19
	v_add_co_u32_e32 v16, vcc, s18, v0
	v_addc_co_u32_e32 v17, vcc, 0, v17, vcc
	v_cmp_gt_u64_e32 vcc, s[16:17], v[16:17]
	v_mov_b32_e32 v16, 0
	s_and_saveexec_b64 s[0:1], vcc
	s_cbranch_execz .LBB21_6
; %bb.5:                                ;   in Loop: Header=BB21_4 Depth=1
	global_load_dword v16, v[4:5], off
.LBB21_6:                               ;   in Loop: Header=BB21_4 Depth=1
	s_or_b64 exec, exec, s[0:1]
	v_mov_b32_e32 v17, s19
	v_add_co_u32_e64 v18, s[0:1], s18, v13
	v_addc_co_u32_e64 v19, s[0:1], v14, v17, s[0:1]
	v_cmp_gt_u64_e64 s[0:1], s[16:17], v[18:19]
	v_mov_b32_e32 v18, 0
	s_and_saveexec_b64 s[2:3], s[0:1]
	s_cbranch_execz .LBB21_8
; %bb.7:                                ;   in Loop: Header=BB21_4 Depth=1
	global_load_dword v18, v[6:7], off
.LBB21_8:                               ;   in Loop: Header=BB21_4 Depth=1
	s_or_b64 exec, exec, s[2:3]
	v_mov_b32_e32 v17, s19
	v_add_co_u32_e64 v20, s[2:3], s18, v11
	v_addc_co_u32_e64 v21, s[2:3], v12, v17, s[2:3]
	v_cmp_gt_u64_e64 s[2:3], s[16:17], v[20:21]
	v_mov_b32_e32 v17, 0
	v_mov_b32_e32 v19, 0
	s_and_saveexec_b64 s[8:9], s[2:3]
	s_cbranch_execz .LBB21_10
; %bb.9:                                ;   in Loop: Header=BB21_4 Depth=1
	v_mov_b32_e32 v19, s27
	v_add_co_u32_e64 v20, s[6:7], s26, v4
	v_addc_co_u32_e64 v21, s[6:7], v5, v19, s[6:7]
	global_load_dword v19, v[20:21], off
.LBB21_10:                              ;   in Loop: Header=BB21_4 Depth=1
	s_or_b64 exec, exec, s[8:9]
	v_mov_b32_e32 v21, s19
	v_add_co_u32_e64 v20, s[6:7], s18, v1
	v_addc_co_u32_e64 v21, s[6:7], v10, v21, s[6:7]
	v_cmp_gt_u64_e64 s[6:7], s[16:17], v[20:21]
	s_and_saveexec_b64 s[20:21], s[6:7]
	s_cbranch_execnz .LBB21_15
; %bb.11:                               ;   in Loop: Header=BB21_4 Depth=1
	s_or_b64 exec, exec, s[20:21]
	s_and_saveexec_b64 s[8:9], vcc
	s_cbranch_execnz .LBB21_16
.LBB21_12:                              ;   in Loop: Header=BB21_4 Depth=1
	s_or_b64 exec, exec, s[8:9]
	s_and_saveexec_b64 s[8:9], s[0:1]
	s_cbranch_execnz .LBB21_17
.LBB21_13:                              ;   in Loop: Header=BB21_4 Depth=1
	s_or_b64 exec, exec, s[8:9]
	s_and_saveexec_b64 s[0:1], s[2:3]
	s_cbranch_execnz .LBB21_18
.LBB21_14:                              ;   in Loop: Header=BB21_4 Depth=1
	s_or_b64 exec, exec, s[0:1]
	s_and_saveexec_b64 s[0:1], s[6:7]
	s_cbranch_execz .LBB21_3
	s_branch .LBB21_19
.LBB21_15:                              ;   in Loop: Header=BB21_4 Depth=1
	v_mov_b32_e32 v17, s25
	v_add_co_u32_e64 v20, s[8:9], s24, v4
	v_addc_co_u32_e64 v21, s[8:9], v5, v17, s[8:9]
	global_load_dword v17, v[20:21], off
	s_or_b64 exec, exec, s[20:21]
	s_and_saveexec_b64 s[8:9], vcc
	s_cbranch_execz .LBB21_12
.LBB21_16:                              ;   in Loop: Header=BB21_4 Depth=1
	s_waitcnt vmcnt(0)
	v_trunc_f32_e32 v16, v16
	global_store_dword v[4:5], v16, off
	s_or_b64 exec, exec, s[8:9]
	s_and_saveexec_b64 s[8:9], s[0:1]
	s_cbranch_execz .LBB21_13
.LBB21_17:                              ;   in Loop: Header=BB21_4 Depth=1
	s_waitcnt vmcnt(0)
	v_trunc_f32_e32 v16, v18
	global_store_dword v[6:7], v16, off
	s_or_b64 exec, exec, s[8:9]
	s_and_saveexec_b64 s[0:1], s[2:3]
	s_cbranch_execz .LBB21_14
.LBB21_18:                              ;   in Loop: Header=BB21_4 Depth=1
	s_waitcnt vmcnt(0)
	v_trunc_f32_e32 v16, v19
	v_mov_b32_e32 v19, s27
	v_add_co_u32_e32 v18, vcc, s26, v4
	v_addc_co_u32_e32 v19, vcc, v5, v19, vcc
	global_store_dword v[18:19], v16, off
	s_or_b64 exec, exec, s[0:1]
	s_and_saveexec_b64 s[0:1], s[6:7]
	s_cbranch_execz .LBB21_3
.LBB21_19:                              ;   in Loop: Header=BB21_4 Depth=1
	s_waitcnt vmcnt(0)
	v_trunc_f32_e32 v18, v17
	v_mov_b32_e32 v17, s25
	v_add_co_u32_e32 v16, vcc, s24, v4
	v_addc_co_u32_e32 v17, vcc, v5, v17, vcc
	global_store_dword v[16:17], v18, off
	s_branch .LBB21_3
.LBB21_20:
	s_cbranch_execz .LBB21_22
	s_branch .LBB21_25
.LBB21_21:
.LBB21_22:
	v_mov_b32_e32 v3, 0
	v_lshlrev_b32_e32 v2, 2, v0
	s_mov_b32 s0, 0
	v_cmp_gt_i64_e32 vcc, s[10:11], v[2:3]
	s_and_saveexec_b64 s[2:3], vcc
	s_cbranch_execz .LBB21_25
; %bb.23:
	s_load_dword s1, s[4:5], 0xd3c
	v_lshlrev_b32_e32 v1, 4, v0
	s_mov_b64 s[4:5], 0xffff
	s_waitcnt lgkmcnt(0)
	s_and_b32 s1, s1, 0xffff
	s_add_u32 s2, s12, s14
	s_addc_u32 s3, s13, s15
	v_mov_b32_e32 v2, s3
	v_add_co_u32_e32 v1, vcc, s2, v1
	v_addc_co_u32_e32 v2, vcc, 0, v2, vcc
	v_add_co_u32_e32 v4, vcc, 8, v1
	v_addc_co_u32_e32 v5, vcc, 0, v2, vcc
	s_lshl_b32 s6, s1, 4
	v_add_lshl_u32 v2, v0, s1, 2
	s_lshl_b32 s7, s1, 2
	s_mov_b64 s[2:3], 0
	v_mov_b32_e32 v0, s0
	v_mov_b32_e32 v1, s0
.LBB21_24:                              ; =>This Inner Loop Header: Depth=1
	global_load_dwordx4 v[6:9], v[4:5], off offset:-8
	v_cmp_le_i64_e32 vcc, s[10:11], v[2:3]
	v_cmp_lt_u64_e64 s[0:1], s[4:5], v[2:3]
	s_or_b64 s[0:1], vcc, s[0:1]
	s_and_b64 s[0:1], exec, s[0:1]
	s_or_b64 s[2:3], s[0:1], s[2:3]
	s_waitcnt vmcnt(0)
	v_trunc_f32_e32 v7, v7
	v_trunc_f32_e32 v6, v6
	;; [unrolled: 1-line block ×4, first 2 shown]
	global_store_dwordx4 v[4:5], v[6:9], off offset:-8
	v_add_co_u32_e32 v4, vcc, s6, v4
	v_addc_co_u32_e32 v5, vcc, v5, v0, vcc
	v_add_co_u32_e32 v2, vcc, s7, v2
	v_addc_co_u32_e32 v3, vcc, v3, v1, vcc
	s_andn2_b64 exec, exec, s[2:3]
	s_cbranch_execnz .LBB21_24
.LBB21_25:
	s_endpgm
	.section	.rodata,"a",@progbits
	.p2align	6, 0x0
	.amdhsa_kernel _ZN2at6native12_GLOBAL__N_125multi_tensor_apply_kernelINS1_18TensorListMetadataILi1EEENS1_14UnaryOpFunctorIfLi1ELi1ELi0EEEJNS0_6TruncfIfEEEEEvT_T0_DpT1_
		.amdhsa_group_segment_fixed_size 0
		.amdhsa_private_segment_fixed_size 0
		.amdhsa_kernarg_size 3632
		.amdhsa_user_sgpr_count 6
		.amdhsa_user_sgpr_private_segment_buffer 1
		.amdhsa_user_sgpr_dispatch_ptr 0
		.amdhsa_user_sgpr_queue_ptr 0
		.amdhsa_user_sgpr_kernarg_segment_ptr 1
		.amdhsa_user_sgpr_dispatch_id 0
		.amdhsa_user_sgpr_flat_scratch_init 0
		.amdhsa_user_sgpr_kernarg_preload_length 0
		.amdhsa_user_sgpr_kernarg_preload_offset 0
		.amdhsa_user_sgpr_private_segment_size 0
		.amdhsa_uses_dynamic_stack 0
		.amdhsa_system_sgpr_private_segment_wavefront_offset 0
		.amdhsa_system_sgpr_workgroup_id_x 1
		.amdhsa_system_sgpr_workgroup_id_y 0
		.amdhsa_system_sgpr_workgroup_id_z 0
		.amdhsa_system_sgpr_workgroup_info 0
		.amdhsa_system_vgpr_workitem_id 0
		.amdhsa_next_free_vgpr 22
		.amdhsa_next_free_sgpr 28
		.amdhsa_accum_offset 24
		.amdhsa_reserve_vcc 1
		.amdhsa_reserve_flat_scratch 0
		.amdhsa_float_round_mode_32 0
		.amdhsa_float_round_mode_16_64 0
		.amdhsa_float_denorm_mode_32 3
		.amdhsa_float_denorm_mode_16_64 3
		.amdhsa_dx10_clamp 1
		.amdhsa_ieee_mode 1
		.amdhsa_fp16_overflow 0
		.amdhsa_tg_split 0
		.amdhsa_exception_fp_ieee_invalid_op 0
		.amdhsa_exception_fp_denorm_src 0
		.amdhsa_exception_fp_ieee_div_zero 0
		.amdhsa_exception_fp_ieee_overflow 0
		.amdhsa_exception_fp_ieee_underflow 0
		.amdhsa_exception_fp_ieee_inexact 0
		.amdhsa_exception_int_div_zero 0
	.end_amdhsa_kernel
	.section	.text._ZN2at6native12_GLOBAL__N_125multi_tensor_apply_kernelINS1_18TensorListMetadataILi1EEENS1_14UnaryOpFunctorIfLi1ELi1ELi0EEEJNS0_6TruncfIfEEEEEvT_T0_DpT1_,"axG",@progbits,_ZN2at6native12_GLOBAL__N_125multi_tensor_apply_kernelINS1_18TensorListMetadataILi1EEENS1_14UnaryOpFunctorIfLi1ELi1ELi0EEEJNS0_6TruncfIfEEEEEvT_T0_DpT1_,comdat
.Lfunc_end21:
	.size	_ZN2at6native12_GLOBAL__N_125multi_tensor_apply_kernelINS1_18TensorListMetadataILi1EEENS1_14UnaryOpFunctorIfLi1ELi1ELi0EEEJNS0_6TruncfIfEEEEEvT_T0_DpT1_, .Lfunc_end21-_ZN2at6native12_GLOBAL__N_125multi_tensor_apply_kernelINS1_18TensorListMetadataILi1EEENS1_14UnaryOpFunctorIfLi1ELi1ELi0EEEJNS0_6TruncfIfEEEEEvT_T0_DpT1_
                                        ; -- End function
	.section	.AMDGPU.csdata,"",@progbits
; Kernel info:
; codeLenInByte = 1012
; NumSgprs: 32
; NumVgprs: 22
; NumAgprs: 0
; TotalNumVgprs: 22
; ScratchSize: 0
; MemoryBound: 0
; FloatMode: 240
; IeeeMode: 1
; LDSByteSize: 0 bytes/workgroup (compile time only)
; SGPRBlocks: 3
; VGPRBlocks: 2
; NumSGPRsForWavesPerEU: 32
; NumVGPRsForWavesPerEU: 22
; AccumOffset: 24
; Occupancy: 8
; WaveLimiterHint : 0
; COMPUTE_PGM_RSRC2:SCRATCH_EN: 0
; COMPUTE_PGM_RSRC2:USER_SGPR: 6
; COMPUTE_PGM_RSRC2:TRAP_HANDLER: 0
; COMPUTE_PGM_RSRC2:TGID_X_EN: 1
; COMPUTE_PGM_RSRC2:TGID_Y_EN: 0
; COMPUTE_PGM_RSRC2:TGID_Z_EN: 0
; COMPUTE_PGM_RSRC2:TIDIG_COMP_CNT: 0
; COMPUTE_PGM_RSRC3_GFX90A:ACCUM_OFFSET: 5
; COMPUTE_PGM_RSRC3_GFX90A:TG_SPLIT: 0
	.section	.text._ZN2at6native12_GLOBAL__N_125multi_tensor_apply_kernelINS1_18TensorListMetadataILi1EEENS1_14UnaryOpFunctorIN3c104HalfELi1ELi1ELi0EEEJNS0_6TruncfIfEEEEEvT_T0_DpT1_,"axG",@progbits,_ZN2at6native12_GLOBAL__N_125multi_tensor_apply_kernelINS1_18TensorListMetadataILi1EEENS1_14UnaryOpFunctorIN3c104HalfELi1ELi1ELi0EEEJNS0_6TruncfIfEEEEEvT_T0_DpT1_,comdat
	.globl	_ZN2at6native12_GLOBAL__N_125multi_tensor_apply_kernelINS1_18TensorListMetadataILi1EEENS1_14UnaryOpFunctorIN3c104HalfELi1ELi1ELi0EEEJNS0_6TruncfIfEEEEEvT_T0_DpT1_ ; -- Begin function _ZN2at6native12_GLOBAL__N_125multi_tensor_apply_kernelINS1_18TensorListMetadataILi1EEENS1_14UnaryOpFunctorIN3c104HalfELi1ELi1ELi0EEEJNS0_6TruncfIfEEEEEvT_T0_DpT1_
	.p2align	8
	.type	_ZN2at6native12_GLOBAL__N_125multi_tensor_apply_kernelINS1_18TensorListMetadataILi1EEENS1_14UnaryOpFunctorIN3c104HalfELi1ELi1ELi0EEEJNS0_6TruncfIfEEEEEvT_T0_DpT1_,@function
_ZN2at6native12_GLOBAL__N_125multi_tensor_apply_kernelINS1_18TensorListMetadataILi1EEENS1_14UnaryOpFunctorIN3c104HalfELi1ELi1ELi0EEEJNS0_6TruncfIfEEEEEvT_T0_DpT1_: ; @_ZN2at6native12_GLOBAL__N_125multi_tensor_apply_kernelINS1_18TensorListMetadataILi1EEENS1_14UnaryOpFunctorIN3c104HalfELi1ELi1ELi0EEEJNS0_6TruncfIfEEEEEvT_T0_DpT1_
; %bb.0:
	v_mov_b32_e32 v1, s6
	global_load_ubyte v1, v1, s[4:5] offset:1760
	s_add_u32 s0, s4, s6
	s_mul_hi_u32 s1, s6, 3
	s_mul_i32 s6, s6, 3
	s_addc_u32 s2, s5, 0
	s_add_u32 s0, s0, s6
	s_addc_u32 s1, s2, s1
	s_load_dword s0, s[0:1], 0x820
	s_mov_b32 s7, 0
	s_waitcnt vmcnt(0)
	v_readfirstlane_b32 s2, v1
	s_lshl_b32 s1, s2, 3
	s_load_dwordx2 s[2:3], s[4:5], s1 offset:0x370
	s_load_dwordx2 s[12:13], s[4:5], s1 offset:0x0
	s_waitcnt lgkmcnt(0)
	s_ashr_i32 s1, s0, 31
	s_lshl_b64 s[14:15], s[0:1], 17
	s_lshl_b64 s[0:1], s[0:1], 16
	s_and_b32 s6, s12, 7
	s_sub_u32 s10, s2, s0
	s_subb_u32 s11, s3, s1
	s_and_b32 s0, s2, 3
	s_mov_b32 s1, s7
	s_or_b64 s[0:1], s[6:7], s[0:1]
	s_cmp_eq_u64 s[0:1], 0
	s_cbranch_scc1 .LBB22_21
; %bb.1:
	v_cmp_lt_i64_e64 s[0:1], s[10:11], 1
	s_and_b64 vcc, exec, s[0:1]
	s_cbranch_vccnz .LBB22_20
; %bb.2:
	s_load_dword s0, s[4:5], 0xd3c
	v_mov_b32_e32 v2, 0x10000
	v_mov_b32_e32 v3, 0
	v_cmp_lt_u64_e32 vcc, s[10:11], v[2:3]
	v_lshlrev_b32_e32 v1, 1, v0
	s_waitcnt lgkmcnt(0)
	s_and_b32 s2, s0, 0xffff
	s_and_b64 s[0:1], vcc, exec
	s_cselect_b32 s17, s11, 0
	s_cselect_b32 s16, s10, 0x10000
	s_lshl_b32 s3, s2, 1
	s_lshl_b32 s23, s2, 2
	s_add_u32 s6, s12, s14
	s_addc_u32 s7, s13, s15
	v_mov_b32_e32 v5, s7
	v_add_co_u32_e32 v4, vcc, s6, v1
	s_mul_i32 s0, s2, 3
	v_addc_co_u32_e32 v5, vcc, 0, v5, vcc
	v_add_co_u32_e32 v1, vcc, s0, v0
	v_addc_co_u32_e64 v10, s[0:1], 0, 0, vcc
	v_add_co_u32_e32 v11, vcc, s3, v0
	v_addc_co_u32_e64 v12, s[0:1], 0, 0, vcc
	v_add_co_u32_e32 v13, vcc, s2, v0
	v_lshlrev_b32_e32 v6, 1, v13
	s_mov_b32 s22, 0
	v_addc_co_u32_e64 v14, s[0:1], 0, 0, vcc
	v_mov_b32_e32 v7, s7
	v_add_co_u32_e32 v6, vcc, s6, v6
	s_lshl_b32 s24, s2, 3
	s_mul_i32 s25, s2, 6
	s_mov_b32 s26, s22
	v_addc_co_u32_e32 v7, vcc, 0, v7, vcc
	s_mov_b64 s[18:19], 0
	v_pk_mov_b32 v[8:9], s[10:11], s[10:11] op_sel:[0,1]
	v_mov_b32_e32 v15, s22
	s_branch .LBB22_4
.LBB22_3:                               ;   in Loop: Header=BB22_4 Depth=1
	s_or_b64 exec, exec, s[0:1]
	s_add_u32 s18, s18, s23
	s_addc_u32 s19, s19, 0
	v_cmp_lt_i64_e32 vcc, s[18:19], v[8:9]
	v_cmp_lt_u64_e64 s[0:1], s[18:19], v[2:3]
	s_and_b64 s[0:1], vcc, s[0:1]
	v_add_co_u32_e32 v4, vcc, s24, v4
	v_addc_co_u32_e32 v5, vcc, v5, v15, vcc
	v_add_co_u32_e32 v6, vcc, s24, v6
	v_addc_co_u32_e32 v7, vcc, v7, v15, vcc
	s_and_b64 vcc, exec, s[0:1]
	s_cbranch_vccz .LBB22_20
.LBB22_4:                               ; =>This Inner Loop Header: Depth=1
	s_waitcnt vmcnt(0)
	v_mov_b32_e32 v17, s19
	v_add_co_u32_e32 v16, vcc, s18, v0
	v_addc_co_u32_e32 v17, vcc, 0, v17, vcc
	v_cmp_gt_u64_e32 vcc, s[16:17], v[16:17]
	v_mov_b32_e32 v16, 0
	s_and_saveexec_b64 s[0:1], vcc
	s_cbranch_execz .LBB22_6
; %bb.5:                                ;   in Loop: Header=BB22_4 Depth=1
	global_load_ushort v16, v[4:5], off
.LBB22_6:                               ;   in Loop: Header=BB22_4 Depth=1
	s_or_b64 exec, exec, s[0:1]
	v_mov_b32_e32 v17, s19
	v_add_co_u32_e64 v18, s[0:1], s18, v13
	v_addc_co_u32_e64 v19, s[0:1], v14, v17, s[0:1]
	v_cmp_gt_u64_e64 s[0:1], s[16:17], v[18:19]
	v_mov_b32_e32 v18, 0
	s_and_saveexec_b64 s[2:3], s[0:1]
	s_cbranch_execz .LBB22_8
; %bb.7:                                ;   in Loop: Header=BB22_4 Depth=1
	global_load_ushort v18, v[6:7], off
.LBB22_8:                               ;   in Loop: Header=BB22_4 Depth=1
	s_or_b64 exec, exec, s[2:3]
	v_mov_b32_e32 v17, s19
	v_add_co_u32_e64 v20, s[2:3], s18, v11
	v_addc_co_u32_e64 v21, s[2:3], v12, v17, s[2:3]
	v_cmp_gt_u64_e64 s[2:3], s[16:17], v[20:21]
	v_mov_b32_e32 v17, 0
	v_mov_b32_e32 v19, 0
	s_and_saveexec_b64 s[8:9], s[2:3]
	s_cbranch_execz .LBB22_10
; %bb.9:                                ;   in Loop: Header=BB22_4 Depth=1
	v_mov_b32_e32 v19, s22
	v_add_co_u32_e64 v20, s[6:7], s23, v4
	v_addc_co_u32_e64 v21, s[6:7], v5, v19, s[6:7]
	global_load_ushort v19, v[20:21], off
.LBB22_10:                              ;   in Loop: Header=BB22_4 Depth=1
	s_or_b64 exec, exec, s[8:9]
	v_mov_b32_e32 v21, s19
	v_add_co_u32_e64 v20, s[6:7], s18, v1
	v_addc_co_u32_e64 v21, s[6:7], v10, v21, s[6:7]
	v_cmp_gt_u64_e64 s[6:7], s[16:17], v[20:21]
	s_and_saveexec_b64 s[20:21], s[6:7]
	s_cbranch_execnz .LBB22_15
; %bb.11:                               ;   in Loop: Header=BB22_4 Depth=1
	s_or_b64 exec, exec, s[20:21]
	s_and_saveexec_b64 s[8:9], vcc
	s_cbranch_execnz .LBB22_16
.LBB22_12:                              ;   in Loop: Header=BB22_4 Depth=1
	s_or_b64 exec, exec, s[8:9]
	s_and_saveexec_b64 s[8:9], s[0:1]
	s_cbranch_execnz .LBB22_17
.LBB22_13:                              ;   in Loop: Header=BB22_4 Depth=1
	s_or_b64 exec, exec, s[8:9]
	s_and_saveexec_b64 s[0:1], s[2:3]
	s_cbranch_execnz .LBB22_18
.LBB22_14:                              ;   in Loop: Header=BB22_4 Depth=1
	s_or_b64 exec, exec, s[0:1]
	s_and_saveexec_b64 s[0:1], s[6:7]
	s_cbranch_execz .LBB22_3
	s_branch .LBB22_19
.LBB22_15:                              ;   in Loop: Header=BB22_4 Depth=1
	v_mov_b32_e32 v17, s26
	v_add_co_u32_e64 v20, s[8:9], s25, v4
	v_addc_co_u32_e64 v21, s[8:9], v5, v17, s[8:9]
	global_load_ushort v17, v[20:21], off
	s_or_b64 exec, exec, s[20:21]
	s_and_saveexec_b64 s[8:9], vcc
	s_cbranch_execz .LBB22_12
.LBB22_16:                              ;   in Loop: Header=BB22_4 Depth=1
	s_waitcnt vmcnt(0)
	v_trunc_f16_e32 v16, v16
	global_store_short v[4:5], v16, off
	s_or_b64 exec, exec, s[8:9]
	s_and_saveexec_b64 s[8:9], s[0:1]
	s_cbranch_execz .LBB22_13
.LBB22_17:                              ;   in Loop: Header=BB22_4 Depth=1
	s_waitcnt vmcnt(0)
	v_trunc_f16_e32 v16, v18
	global_store_short v[6:7], v16, off
	s_or_b64 exec, exec, s[8:9]
	s_and_saveexec_b64 s[0:1], s[2:3]
	s_cbranch_execz .LBB22_14
.LBB22_18:                              ;   in Loop: Header=BB22_4 Depth=1
	s_waitcnt vmcnt(0)
	v_trunc_f16_e32 v16, v19
	v_mov_b32_e32 v19, s22
	v_add_co_u32_e32 v18, vcc, s23, v4
	v_addc_co_u32_e32 v19, vcc, v5, v19, vcc
	global_store_short v[18:19], v16, off
	s_or_b64 exec, exec, s[0:1]
	s_and_saveexec_b64 s[0:1], s[6:7]
	s_cbranch_execz .LBB22_3
.LBB22_19:                              ;   in Loop: Header=BB22_4 Depth=1
	s_waitcnt vmcnt(0)
	v_trunc_f16_e32 v18, v17
	v_mov_b32_e32 v17, s26
	v_add_co_u32_e32 v16, vcc, s25, v4
	v_addc_co_u32_e32 v17, vcc, v5, v17, vcc
	global_store_short v[16:17], v18, off
	s_branch .LBB22_3
.LBB22_20:
	s_cbranch_execz .LBB22_22
	s_branch .LBB22_25
.LBB22_21:
.LBB22_22:
	v_mov_b32_e32 v3, 0
	v_lshlrev_b32_e32 v2, 2, v0
	s_mov_b32 s0, 0
	v_cmp_gt_i64_e32 vcc, s[10:11], v[2:3]
	s_and_saveexec_b64 s[2:3], vcc
	s_cbranch_execz .LBB22_25
; %bb.23:
	s_load_dword s1, s[4:5], 0xd3c
	v_lshlrev_b32_e32 v1, 3, v0
	s_mov_b64 s[4:5], 0
	s_mov_b64 s[6:7], 0xffff
	v_mov_b32_e32 v5, s0
	s_waitcnt lgkmcnt(0)
	s_and_b32 s1, s1, 0xffff
	s_lshl_b32 s8, s1, 2
	s_add_u32 s2, s12, s14
	s_addc_u32 s3, s13, s15
	v_add_lshl_u32 v2, v0, s1, 2
	v_mov_b32_e32 v0, s3
	v_add_co_u32_e32 v1, vcc, s2, v1
	v_addc_co_u32_e32 v4, vcc, 0, v0, vcc
	v_add_co_u32_e32 v0, vcc, 4, v1
	v_addc_co_u32_e32 v1, vcc, 0, v4, vcc
	s_lshl_b32 s9, s1, 3
	v_mov_b32_e32 v4, s0
.LBB22_24:                              ; =>This Inner Loop Header: Depth=1
	global_load_dwordx2 v[6:7], v[0:1], off offset:-4
	v_cmp_le_i64_e32 vcc, s[10:11], v[2:3]
	v_cmp_lt_u64_e64 s[0:1], s[6:7], v[2:3]
	s_or_b64 s[0:1], vcc, s[0:1]
	v_add_co_u32_e64 v2, s[2:3], s8, v2
	s_and_b64 s[0:1], exec, s[0:1]
	v_addc_co_u32_e64 v3, s[2:3], v3, v4, s[2:3]
	s_or_b64 s[4:5], s[0:1], s[4:5]
	s_waitcnt vmcnt(0)
	v_trunc_f16_e32 v8, v6
	v_trunc_f16_sdwa v6, v6 dst_sel:DWORD dst_unused:UNUSED_PAD src0_sel:WORD_1
	v_trunc_f16_e32 v9, v7
	v_trunc_f16_sdwa v7, v7 dst_sel:DWORD dst_unused:UNUSED_PAD src0_sel:WORD_1
	v_pack_b32_f16 v7, v9, v7
	v_pack_b32_f16 v6, v8, v6
	global_store_dwordx2 v[0:1], v[6:7], off offset:-4
	v_add_co_u32_e32 v0, vcc, s9, v0
	v_addc_co_u32_e32 v1, vcc, v1, v5, vcc
	s_andn2_b64 exec, exec, s[4:5]
	s_cbranch_execnz .LBB22_24
.LBB22_25:
	s_endpgm
	.section	.rodata,"a",@progbits
	.p2align	6, 0x0
	.amdhsa_kernel _ZN2at6native12_GLOBAL__N_125multi_tensor_apply_kernelINS1_18TensorListMetadataILi1EEENS1_14UnaryOpFunctorIN3c104HalfELi1ELi1ELi0EEEJNS0_6TruncfIfEEEEEvT_T0_DpT1_
		.amdhsa_group_segment_fixed_size 0
		.amdhsa_private_segment_fixed_size 0
		.amdhsa_kernarg_size 3632
		.amdhsa_user_sgpr_count 6
		.amdhsa_user_sgpr_private_segment_buffer 1
		.amdhsa_user_sgpr_dispatch_ptr 0
		.amdhsa_user_sgpr_queue_ptr 0
		.amdhsa_user_sgpr_kernarg_segment_ptr 1
		.amdhsa_user_sgpr_dispatch_id 0
		.amdhsa_user_sgpr_flat_scratch_init 0
		.amdhsa_user_sgpr_kernarg_preload_length 0
		.amdhsa_user_sgpr_kernarg_preload_offset 0
		.amdhsa_user_sgpr_private_segment_size 0
		.amdhsa_uses_dynamic_stack 0
		.amdhsa_system_sgpr_private_segment_wavefront_offset 0
		.amdhsa_system_sgpr_workgroup_id_x 1
		.amdhsa_system_sgpr_workgroup_id_y 0
		.amdhsa_system_sgpr_workgroup_id_z 0
		.amdhsa_system_sgpr_workgroup_info 0
		.amdhsa_system_vgpr_workitem_id 0
		.amdhsa_next_free_vgpr 22
		.amdhsa_next_free_sgpr 27
		.amdhsa_accum_offset 24
		.amdhsa_reserve_vcc 1
		.amdhsa_reserve_flat_scratch 0
		.amdhsa_float_round_mode_32 0
		.amdhsa_float_round_mode_16_64 0
		.amdhsa_float_denorm_mode_32 3
		.amdhsa_float_denorm_mode_16_64 3
		.amdhsa_dx10_clamp 1
		.amdhsa_ieee_mode 1
		.amdhsa_fp16_overflow 0
		.amdhsa_tg_split 0
		.amdhsa_exception_fp_ieee_invalid_op 0
		.amdhsa_exception_fp_denorm_src 0
		.amdhsa_exception_fp_ieee_div_zero 0
		.amdhsa_exception_fp_ieee_overflow 0
		.amdhsa_exception_fp_ieee_underflow 0
		.amdhsa_exception_fp_ieee_inexact 0
		.amdhsa_exception_int_div_zero 0
	.end_amdhsa_kernel
	.section	.text._ZN2at6native12_GLOBAL__N_125multi_tensor_apply_kernelINS1_18TensorListMetadataILi1EEENS1_14UnaryOpFunctorIN3c104HalfELi1ELi1ELi0EEEJNS0_6TruncfIfEEEEEvT_T0_DpT1_,"axG",@progbits,_ZN2at6native12_GLOBAL__N_125multi_tensor_apply_kernelINS1_18TensorListMetadataILi1EEENS1_14UnaryOpFunctorIN3c104HalfELi1ELi1ELi0EEEJNS0_6TruncfIfEEEEEvT_T0_DpT1_,comdat
.Lfunc_end22:
	.size	_ZN2at6native12_GLOBAL__N_125multi_tensor_apply_kernelINS1_18TensorListMetadataILi1EEENS1_14UnaryOpFunctorIN3c104HalfELi1ELi1ELi0EEEJNS0_6TruncfIfEEEEEvT_T0_DpT1_, .Lfunc_end22-_ZN2at6native12_GLOBAL__N_125multi_tensor_apply_kernelINS1_18TensorListMetadataILi1EEENS1_14UnaryOpFunctorIN3c104HalfELi1ELi1ELi0EEEJNS0_6TruncfIfEEEEEvT_T0_DpT1_
                                        ; -- End function
	.section	.AMDGPU.csdata,"",@progbits
; Kernel info:
; codeLenInByte = 1036
; NumSgprs: 31
; NumVgprs: 22
; NumAgprs: 0
; TotalNumVgprs: 22
; ScratchSize: 0
; MemoryBound: 0
; FloatMode: 240
; IeeeMode: 1
; LDSByteSize: 0 bytes/workgroup (compile time only)
; SGPRBlocks: 3
; VGPRBlocks: 2
; NumSGPRsForWavesPerEU: 31
; NumVGPRsForWavesPerEU: 22
; AccumOffset: 24
; Occupancy: 8
; WaveLimiterHint : 0
; COMPUTE_PGM_RSRC2:SCRATCH_EN: 0
; COMPUTE_PGM_RSRC2:USER_SGPR: 6
; COMPUTE_PGM_RSRC2:TRAP_HANDLER: 0
; COMPUTE_PGM_RSRC2:TGID_X_EN: 1
; COMPUTE_PGM_RSRC2:TGID_Y_EN: 0
; COMPUTE_PGM_RSRC2:TGID_Z_EN: 0
; COMPUTE_PGM_RSRC2:TIDIG_COMP_CNT: 0
; COMPUTE_PGM_RSRC3_GFX90A:ACCUM_OFFSET: 5
; COMPUTE_PGM_RSRC3_GFX90A:TG_SPLIT: 0
	.section	.text._ZN2at6native12_GLOBAL__N_125multi_tensor_apply_kernelINS1_18TensorListMetadataILi1EEENS1_14UnaryOpFunctorIN3c108BFloat16ELi1ELi1ELi0EEEJNS0_6TruncfIfEEEEEvT_T0_DpT1_,"axG",@progbits,_ZN2at6native12_GLOBAL__N_125multi_tensor_apply_kernelINS1_18TensorListMetadataILi1EEENS1_14UnaryOpFunctorIN3c108BFloat16ELi1ELi1ELi0EEEJNS0_6TruncfIfEEEEEvT_T0_DpT1_,comdat
	.globl	_ZN2at6native12_GLOBAL__N_125multi_tensor_apply_kernelINS1_18TensorListMetadataILi1EEENS1_14UnaryOpFunctorIN3c108BFloat16ELi1ELi1ELi0EEEJNS0_6TruncfIfEEEEEvT_T0_DpT1_ ; -- Begin function _ZN2at6native12_GLOBAL__N_125multi_tensor_apply_kernelINS1_18TensorListMetadataILi1EEENS1_14UnaryOpFunctorIN3c108BFloat16ELi1ELi1ELi0EEEJNS0_6TruncfIfEEEEEvT_T0_DpT1_
	.p2align	8
	.type	_ZN2at6native12_GLOBAL__N_125multi_tensor_apply_kernelINS1_18TensorListMetadataILi1EEENS1_14UnaryOpFunctorIN3c108BFloat16ELi1ELi1ELi0EEEJNS0_6TruncfIfEEEEEvT_T0_DpT1_,@function
_ZN2at6native12_GLOBAL__N_125multi_tensor_apply_kernelINS1_18TensorListMetadataILi1EEENS1_14UnaryOpFunctorIN3c108BFloat16ELi1ELi1ELi0EEEJNS0_6TruncfIfEEEEEvT_T0_DpT1_: ; @_ZN2at6native12_GLOBAL__N_125multi_tensor_apply_kernelINS1_18TensorListMetadataILi1EEENS1_14UnaryOpFunctorIN3c108BFloat16ELi1ELi1ELi0EEEJNS0_6TruncfIfEEEEEvT_T0_DpT1_
; %bb.0:
	v_mov_b32_e32 v1, s6
	global_load_ubyte v1, v1, s[4:5] offset:1760
	s_add_u32 s0, s4, s6
	s_mul_hi_u32 s1, s6, 3
	s_mul_i32 s6, s6, 3
	s_addc_u32 s2, s5, 0
	s_add_u32 s0, s0, s6
	s_addc_u32 s1, s2, s1
	s_load_dword s0, s[0:1], 0x820
	s_mov_b32 s7, 0
	s_waitcnt vmcnt(0)
	v_readfirstlane_b32 s2, v1
	s_lshl_b32 s1, s2, 3
	s_load_dwordx2 s[2:3], s[4:5], s1 offset:0x370
	s_load_dwordx2 s[12:13], s[4:5], s1 offset:0x0
	s_waitcnt lgkmcnt(0)
	s_ashr_i32 s1, s0, 31
	s_lshl_b64 s[14:15], s[0:1], 17
	s_lshl_b64 s[0:1], s[0:1], 16
	s_and_b32 s6, s12, 7
	s_sub_u32 s10, s2, s0
	s_subb_u32 s11, s3, s1
	s_and_b32 s0, s2, 3
	s_mov_b32 s1, s7
	s_or_b64 s[0:1], s[6:7], s[0:1]
	s_cmp_eq_u64 s[0:1], 0
	s_cbranch_scc1 .LBB23_21
; %bb.1:
	v_cmp_lt_i64_e64 s[0:1], s[10:11], 1
	s_and_b64 vcc, exec, s[0:1]
	s_cbranch_vccnz .LBB23_20
; %bb.2:
	s_load_dword s0, s[4:5], 0xd3c
	v_mov_b32_e32 v2, 0x10000
	v_mov_b32_e32 v3, 0
	v_cmp_lt_u64_e32 vcc, s[10:11], v[2:3]
	v_lshlrev_b32_e32 v1, 1, v0
	s_waitcnt lgkmcnt(0)
	s_and_b32 s2, s0, 0xffff
	s_and_b64 s[0:1], vcc, exec
	s_cselect_b32 s17, s11, 0
	s_cselect_b32 s16, s10, 0x10000
	s_lshl_b32 s3, s2, 1
	s_lshl_b32 s23, s2, 2
	s_add_u32 s6, s12, s14
	s_addc_u32 s7, s13, s15
	v_mov_b32_e32 v5, s7
	v_add_co_u32_e32 v4, vcc, s6, v1
	s_mul_i32 s0, s2, 3
	v_addc_co_u32_e32 v5, vcc, 0, v5, vcc
	v_add_co_u32_e32 v1, vcc, s0, v0
	v_addc_co_u32_e64 v10, s[0:1], 0, 0, vcc
	v_add_co_u32_e32 v11, vcc, s3, v0
	v_addc_co_u32_e64 v12, s[0:1], 0, 0, vcc
	v_add_co_u32_e32 v13, vcc, s2, v0
	v_lshlrev_b32_e32 v6, 1, v13
	s_mov_b32 s22, 0
	v_addc_co_u32_e64 v14, s[0:1], 0, 0, vcc
	v_mov_b32_e32 v7, s7
	v_add_co_u32_e32 v6, vcc, s6, v6
	s_lshl_b32 s24, s2, 3
	s_mul_i32 s25, s2, 6
	s_mov_b32 s26, s22
	v_addc_co_u32_e32 v7, vcc, 0, v7, vcc
	s_mov_b64 s[18:19], 0
	s_movk_i32 s27, 0x7fff
	v_pk_mov_b32 v[8:9], s[10:11], s[10:11] op_sel:[0,1]
	v_mov_b32_e32 v15, s22
	v_mov_b32_e32 v16, 0x7fc0
	s_branch .LBB23_4
.LBB23_3:                               ;   in Loop: Header=BB23_4 Depth=1
	s_or_b64 exec, exec, s[0:1]
	s_add_u32 s18, s18, s23
	s_addc_u32 s19, s19, 0
	v_cmp_lt_i64_e32 vcc, s[18:19], v[8:9]
	v_cmp_lt_u64_e64 s[0:1], s[18:19], v[2:3]
	s_and_b64 s[0:1], vcc, s[0:1]
	v_add_co_u32_e32 v4, vcc, s24, v4
	v_addc_co_u32_e32 v5, vcc, v5, v15, vcc
	v_add_co_u32_e32 v6, vcc, s24, v6
	v_addc_co_u32_e32 v7, vcc, v7, v15, vcc
	s_and_b64 vcc, exec, s[0:1]
	s_cbranch_vccz .LBB23_20
.LBB23_4:                               ; =>This Inner Loop Header: Depth=1
	s_waitcnt vmcnt(0)
	v_mov_b32_e32 v17, s19
	v_add_co_u32_e32 v18, vcc, s18, v0
	v_addc_co_u32_e32 v19, vcc, 0, v17, vcc
	v_cmp_gt_u64_e32 vcc, s[16:17], v[18:19]
	v_mov_b32_e32 v18, 0
	s_and_saveexec_b64 s[0:1], vcc
	s_cbranch_execz .LBB23_6
; %bb.5:                                ;   in Loop: Header=BB23_4 Depth=1
	global_load_ushort v18, v[4:5], off
.LBB23_6:                               ;   in Loop: Header=BB23_4 Depth=1
	s_or_b64 exec, exec, s[0:1]
	v_mov_b32_e32 v17, s19
	v_add_co_u32_e64 v20, s[0:1], s18, v13
	v_addc_co_u32_e64 v21, s[0:1], v14, v17, s[0:1]
	v_cmp_gt_u64_e64 s[0:1], s[16:17], v[20:21]
	v_mov_b32_e32 v19, 0
	s_and_saveexec_b64 s[2:3], s[0:1]
	s_cbranch_execz .LBB23_8
; %bb.7:                                ;   in Loop: Header=BB23_4 Depth=1
	global_load_ushort v19, v[6:7], off
.LBB23_8:                               ;   in Loop: Header=BB23_4 Depth=1
	s_or_b64 exec, exec, s[2:3]
	v_mov_b32_e32 v17, s19
	v_add_co_u32_e64 v20, s[2:3], s18, v11
	v_addc_co_u32_e64 v21, s[2:3], v12, v17, s[2:3]
	v_cmp_gt_u64_e64 s[2:3], s[16:17], v[20:21]
	v_mov_b32_e32 v17, 0
	v_mov_b32_e32 v20, 0
	s_and_saveexec_b64 s[8:9], s[2:3]
	s_cbranch_execz .LBB23_10
; %bb.9:                                ;   in Loop: Header=BB23_4 Depth=1
	v_mov_b32_e32 v21, s22
	v_add_co_u32_e64 v20, s[6:7], s23, v4
	v_addc_co_u32_e64 v21, s[6:7], v5, v21, s[6:7]
	global_load_ushort v20, v[20:21], off
.LBB23_10:                              ;   in Loop: Header=BB23_4 Depth=1
	s_or_b64 exec, exec, s[8:9]
	v_mov_b32_e32 v21, s19
	v_add_co_u32_e64 v22, s[6:7], s18, v1
	v_addc_co_u32_e64 v23, s[6:7], v10, v21, s[6:7]
	v_cmp_gt_u64_e64 s[6:7], s[16:17], v[22:23]
	s_and_saveexec_b64 s[20:21], s[6:7]
	s_cbranch_execnz .LBB23_15
; %bb.11:                               ;   in Loop: Header=BB23_4 Depth=1
	s_or_b64 exec, exec, s[20:21]
	s_and_saveexec_b64 s[8:9], vcc
	s_cbranch_execnz .LBB23_16
.LBB23_12:                              ;   in Loop: Header=BB23_4 Depth=1
	s_or_b64 exec, exec, s[8:9]
	s_and_saveexec_b64 s[8:9], s[0:1]
	s_cbranch_execnz .LBB23_17
.LBB23_13:                              ;   in Loop: Header=BB23_4 Depth=1
	s_or_b64 exec, exec, s[8:9]
	s_and_saveexec_b64 s[0:1], s[2:3]
	s_cbranch_execnz .LBB23_18
.LBB23_14:                              ;   in Loop: Header=BB23_4 Depth=1
	s_or_b64 exec, exec, s[0:1]
	s_and_saveexec_b64 s[0:1], s[6:7]
	s_cbranch_execz .LBB23_3
	s_branch .LBB23_19
.LBB23_15:                              ;   in Loop: Header=BB23_4 Depth=1
	v_mov_b32_e32 v17, s26
	v_add_co_u32_e64 v22, s[8:9], s25, v4
	v_addc_co_u32_e64 v23, s[8:9], v5, v17, s[8:9]
	global_load_ushort v17, v[22:23], off
	s_or_b64 exec, exec, s[20:21]
	s_and_saveexec_b64 s[8:9], vcc
	s_cbranch_execz .LBB23_12
.LBB23_16:                              ;   in Loop: Header=BB23_4 Depth=1
	s_waitcnt vmcnt(0)
	v_lshlrev_b32_e32 v18, 16, v18
	v_trunc_f32_e32 v18, v18
	v_bfe_u32 v21, v18, 16, 1
	v_add3_u32 v21, v18, v21, s27
	v_lshrrev_b32_e32 v21, 16, v21
	v_cmp_o_f32_e32 vcc, v18, v18
	v_cndmask_b32_e32 v18, v16, v21, vcc
	global_store_short v[4:5], v18, off
	s_or_b64 exec, exec, s[8:9]
	s_and_saveexec_b64 s[8:9], s[0:1]
	s_cbranch_execz .LBB23_13
.LBB23_17:                              ;   in Loop: Header=BB23_4 Depth=1
	s_waitcnt vmcnt(0)
	v_lshlrev_b32_e32 v18, 16, v19
	v_trunc_f32_e32 v18, v18
	v_bfe_u32 v19, v18, 16, 1
	v_add3_u32 v19, v18, v19, s27
	v_lshrrev_b32_e32 v19, 16, v19
	v_cmp_o_f32_e32 vcc, v18, v18
	v_cndmask_b32_e32 v18, v16, v19, vcc
	global_store_short v[6:7], v18, off
	s_or_b64 exec, exec, s[8:9]
	s_and_saveexec_b64 s[0:1], s[2:3]
	s_cbranch_execz .LBB23_14
.LBB23_18:                              ;   in Loop: Header=BB23_4 Depth=1
	s_waitcnt vmcnt(0)
	v_lshlrev_b32_e32 v18, 16, v20
	v_trunc_f32_e32 v18, v18
	v_bfe_u32 v19, v18, 16, 1
	v_add3_u32 v19, v18, v19, s27
	v_lshrrev_b32_e32 v19, 16, v19
	v_cmp_o_f32_e32 vcc, v18, v18
	v_cndmask_b32_e32 v20, v16, v19, vcc
	v_mov_b32_e32 v19, s22
	v_add_co_u32_e32 v18, vcc, s23, v4
	v_addc_co_u32_e32 v19, vcc, v5, v19, vcc
	global_store_short v[18:19], v20, off
	s_or_b64 exec, exec, s[0:1]
	s_and_saveexec_b64 s[0:1], s[6:7]
	s_cbranch_execz .LBB23_3
.LBB23_19:                              ;   in Loop: Header=BB23_4 Depth=1
	s_waitcnt vmcnt(0)
	v_lshlrev_b32_e32 v17, 16, v17
	v_trunc_f32_e32 v17, v17
	v_bfe_u32 v18, v17, 16, 1
	v_add3_u32 v18, v17, v18, s27
	v_lshrrev_b32_e32 v18, 16, v18
	v_cmp_o_f32_e32 vcc, v17, v17
	v_cndmask_b32_e32 v17, v16, v18, vcc
	v_mov_b32_e32 v19, s26
	v_add_co_u32_e32 v18, vcc, s25, v4
	v_addc_co_u32_e32 v19, vcc, v5, v19, vcc
	global_store_short v[18:19], v17, off
	s_branch .LBB23_3
.LBB23_20:
	s_cbranch_execz .LBB23_22
	s_branch .LBB23_25
.LBB23_21:
.LBB23_22:
	v_mov_b32_e32 v3, 0
	v_lshlrev_b32_e32 v2, 2, v0
	s_mov_b32 s0, 0
	v_cmp_gt_i64_e32 vcc, s[10:11], v[2:3]
	s_and_saveexec_b64 s[2:3], vcc
	s_cbranch_execz .LBB23_25
; %bb.23:
	s_load_dword s1, s[4:5], 0xd3c
	v_lshlrev_b32_e32 v1, 3, v0
	s_movk_i32 s8, 0x7fff
	s_mov_b64 s[4:5], 0xffff
	v_mov_b32_e32 v6, s0
	s_waitcnt lgkmcnt(0)
	s_and_b32 s1, s1, 0xffff
	s_add_u32 s2, s12, s14
	s_addc_u32 s3, s13, s15
	v_mov_b32_e32 v2, s3
	v_add_co_u32_e32 v4, vcc, s2, v1
	v_addc_co_u32_e32 v5, vcc, 0, v2, vcc
	s_lshl_b32 s6, s1, 3
	v_add_lshl_u32 v2, v0, s1, 2
	s_lshl_b32 s7, s1, 2
	s_mov_b64 s[2:3], 0
	v_mov_b32_e32 v0, 0x7fc00000
	v_mov_b32_e32 v1, 0x7fc0
	v_mov_b32_e32 v7, s0
.LBB23_24:                              ; =>This Inner Loop Header: Depth=1
	global_load_dwordx2 v[8:9], v[4:5], off
	v_cmp_le_i64_e32 vcc, s[10:11], v[2:3]
	v_cmp_lt_u64_e64 s[0:1], s[4:5], v[2:3]
	s_or_b64 s[0:1], vcc, s[0:1]
	s_and_b64 s[0:1], exec, s[0:1]
	s_or_b64 s[2:3], s[0:1], s[2:3]
	s_waitcnt vmcnt(0)
	v_and_b32_e32 v10, 0xffff0000, v8
	v_lshlrev_b32_e32 v11, 16, v8
	v_alignbit_b32 v8, v9, v8, 16
	v_and_b32_e32 v9, 0xffff0000, v9
	v_trunc_f32_e32 v9, v9
	v_trunc_f32_e32 v10, v10
	v_bfe_u32 v14, v9, 16, 1
	v_trunc_f32_e32 v11, v11
	v_and_b32_e32 v8, 0xffff0000, v8
	v_bfe_u32 v13, v10, 16, 1
	v_add3_u32 v14, v9, v14, s8
	v_bfe_u32 v12, v11, 16, 1
	v_trunc_f32_e32 v8, v8
	v_add3_u32 v13, v10, v13, s8
	v_and_b32_e32 v14, 0xffff0000, v14
	v_cmp_o_f32_e32 vcc, v9, v9
	v_add3_u32 v12, v11, v12, s8
	v_bfe_u32 v15, v8, 16, 1
	v_and_b32_e32 v13, 0xffff0000, v13
	v_cndmask_b32_e32 v9, v0, v14, vcc
	v_cmp_o_f32_e32 vcc, v10, v10
	v_lshrrev_b32_e32 v12, 16, v12
	v_add3_u32 v15, v8, v15, s8
	v_cndmask_b32_e32 v10, v0, v13, vcc
	v_cmp_o_f32_e32 vcc, v11, v11
	v_lshrrev_b32_e32 v15, 16, v15
	v_cndmask_b32_e32 v11, v1, v12, vcc
	v_cmp_o_f32_e32 vcc, v8, v8
	v_cndmask_b32_e32 v8, v1, v15, vcc
	v_or_b32_e32 v10, v11, v10
	v_or3_b32 v9, 0, v8, v9
	v_or3_b32 v8, v10, 0, 0
	global_store_dwordx2 v[4:5], v[8:9], off
	v_add_co_u32_e32 v4, vcc, s6, v4
	v_addc_co_u32_e32 v5, vcc, v5, v6, vcc
	v_add_co_u32_e32 v2, vcc, s7, v2
	v_addc_co_u32_e32 v3, vcc, v3, v7, vcc
	s_andn2_b64 exec, exec, s[2:3]
	s_cbranch_execnz .LBB23_24
.LBB23_25:
	s_endpgm
	.section	.rodata,"a",@progbits
	.p2align	6, 0x0
	.amdhsa_kernel _ZN2at6native12_GLOBAL__N_125multi_tensor_apply_kernelINS1_18TensorListMetadataILi1EEENS1_14UnaryOpFunctorIN3c108BFloat16ELi1ELi1ELi0EEEJNS0_6TruncfIfEEEEEvT_T0_DpT1_
		.amdhsa_group_segment_fixed_size 0
		.amdhsa_private_segment_fixed_size 0
		.amdhsa_kernarg_size 3632
		.amdhsa_user_sgpr_count 6
		.amdhsa_user_sgpr_private_segment_buffer 1
		.amdhsa_user_sgpr_dispatch_ptr 0
		.amdhsa_user_sgpr_queue_ptr 0
		.amdhsa_user_sgpr_kernarg_segment_ptr 1
		.amdhsa_user_sgpr_dispatch_id 0
		.amdhsa_user_sgpr_flat_scratch_init 0
		.amdhsa_user_sgpr_kernarg_preload_length 0
		.amdhsa_user_sgpr_kernarg_preload_offset 0
		.amdhsa_user_sgpr_private_segment_size 0
		.amdhsa_uses_dynamic_stack 0
		.amdhsa_system_sgpr_private_segment_wavefront_offset 0
		.amdhsa_system_sgpr_workgroup_id_x 1
		.amdhsa_system_sgpr_workgroup_id_y 0
		.amdhsa_system_sgpr_workgroup_id_z 0
		.amdhsa_system_sgpr_workgroup_info 0
		.amdhsa_system_vgpr_workitem_id 0
		.amdhsa_next_free_vgpr 24
		.amdhsa_next_free_sgpr 28
		.amdhsa_accum_offset 24
		.amdhsa_reserve_vcc 1
		.amdhsa_reserve_flat_scratch 0
		.amdhsa_float_round_mode_32 0
		.amdhsa_float_round_mode_16_64 0
		.amdhsa_float_denorm_mode_32 3
		.amdhsa_float_denorm_mode_16_64 3
		.amdhsa_dx10_clamp 1
		.amdhsa_ieee_mode 1
		.amdhsa_fp16_overflow 0
		.amdhsa_tg_split 0
		.amdhsa_exception_fp_ieee_invalid_op 0
		.amdhsa_exception_fp_denorm_src 0
		.amdhsa_exception_fp_ieee_div_zero 0
		.amdhsa_exception_fp_ieee_overflow 0
		.amdhsa_exception_fp_ieee_underflow 0
		.amdhsa_exception_fp_ieee_inexact 0
		.amdhsa_exception_int_div_zero 0
	.end_amdhsa_kernel
	.section	.text._ZN2at6native12_GLOBAL__N_125multi_tensor_apply_kernelINS1_18TensorListMetadataILi1EEENS1_14UnaryOpFunctorIN3c108BFloat16ELi1ELi1ELi0EEEJNS0_6TruncfIfEEEEEvT_T0_DpT1_,"axG",@progbits,_ZN2at6native12_GLOBAL__N_125multi_tensor_apply_kernelINS1_18TensorListMetadataILi1EEENS1_14UnaryOpFunctorIN3c108BFloat16ELi1ELi1ELi0EEEJNS0_6TruncfIfEEEEEvT_T0_DpT1_,comdat
.Lfunc_end23:
	.size	_ZN2at6native12_GLOBAL__N_125multi_tensor_apply_kernelINS1_18TensorListMetadataILi1EEENS1_14UnaryOpFunctorIN3c108BFloat16ELi1ELi1ELi0EEEJNS0_6TruncfIfEEEEEvT_T0_DpT1_, .Lfunc_end23-_ZN2at6native12_GLOBAL__N_125multi_tensor_apply_kernelINS1_18TensorListMetadataILi1EEENS1_14UnaryOpFunctorIN3c108BFloat16ELi1ELi1ELi0EEEJNS0_6TruncfIfEEEEEvT_T0_DpT1_
                                        ; -- End function
	.section	.AMDGPU.csdata,"",@progbits
; Kernel info:
; codeLenInByte = 1332
; NumSgprs: 32
; NumVgprs: 24
; NumAgprs: 0
; TotalNumVgprs: 24
; ScratchSize: 0
; MemoryBound: 0
; FloatMode: 240
; IeeeMode: 1
; LDSByteSize: 0 bytes/workgroup (compile time only)
; SGPRBlocks: 3
; VGPRBlocks: 2
; NumSGPRsForWavesPerEU: 32
; NumVGPRsForWavesPerEU: 24
; AccumOffset: 24
; Occupancy: 8
; WaveLimiterHint : 0
; COMPUTE_PGM_RSRC2:SCRATCH_EN: 0
; COMPUTE_PGM_RSRC2:USER_SGPR: 6
; COMPUTE_PGM_RSRC2:TRAP_HANDLER: 0
; COMPUTE_PGM_RSRC2:TGID_X_EN: 1
; COMPUTE_PGM_RSRC2:TGID_Y_EN: 0
; COMPUTE_PGM_RSRC2:TGID_Z_EN: 0
; COMPUTE_PGM_RSRC2:TIDIG_COMP_CNT: 0
; COMPUTE_PGM_RSRC3_GFX90A:ACCUM_OFFSET: 5
; COMPUTE_PGM_RSRC3_GFX90A:TG_SPLIT: 0
	.section	.text._ZN2at6native12_GLOBAL__N_125multi_tensor_apply_kernelINS1_18TensorListMetadataILi2EEENS1_14UnaryOpFunctorIdLi2ELi1ELi1EEEJNS0_5FloorIdEEEEEvT_T0_DpT1_,"axG",@progbits,_ZN2at6native12_GLOBAL__N_125multi_tensor_apply_kernelINS1_18TensorListMetadataILi2EEENS1_14UnaryOpFunctorIdLi2ELi1ELi1EEEJNS0_5FloorIdEEEEEvT_T0_DpT1_,comdat
	.globl	_ZN2at6native12_GLOBAL__N_125multi_tensor_apply_kernelINS1_18TensorListMetadataILi2EEENS1_14UnaryOpFunctorIdLi2ELi1ELi1EEEJNS0_5FloorIdEEEEEvT_T0_DpT1_ ; -- Begin function _ZN2at6native12_GLOBAL__N_125multi_tensor_apply_kernelINS1_18TensorListMetadataILi2EEENS1_14UnaryOpFunctorIdLi2ELi1ELi1EEEJNS0_5FloorIdEEEEEvT_T0_DpT1_
	.p2align	8
	.type	_ZN2at6native12_GLOBAL__N_125multi_tensor_apply_kernelINS1_18TensorListMetadataILi2EEENS1_14UnaryOpFunctorIdLi2ELi1ELi1EEEJNS0_5FloorIdEEEEEvT_T0_DpT1_,@function
_ZN2at6native12_GLOBAL__N_125multi_tensor_apply_kernelINS1_18TensorListMetadataILi2EEENS1_14UnaryOpFunctorIdLi2ELi1ELi1EEEJNS0_5FloorIdEEEEEvT_T0_DpT1_: ; @_ZN2at6native12_GLOBAL__N_125multi_tensor_apply_kernelINS1_18TensorListMetadataILi2EEENS1_14UnaryOpFunctorIdLi2ELi1ELi1EEEJNS0_5FloorIdEEEEEvT_T0_DpT1_
; %bb.0:
	v_mov_b32_e32 v1, s6
	global_load_ubyte v1, v1, s[4:5] offset:1536
	s_add_u32 s0, s4, s6
	s_mul_hi_u32 s2, s6, 3
	s_mul_i32 s6, s6, 3
	s_addc_u32 s7, s5, 0
	s_add_u32 s6, s0, s6
	s_addc_u32 s7, s7, s2
	s_load_dword s12, s[6:7], 0x740
	s_mov_b32 s1, 0
	s_mov_b32 s11, s1
	;; [unrolled: 1-line block ×3, first 2 shown]
	s_waitcnt lgkmcnt(0)
	s_ashr_i32 s13, s12, 31
	s_lshl_b64 s[8:9], s[12:13], 19
	s_waitcnt vmcnt(0)
	v_readfirstlane_b32 s0, v1
	s_lshl_b32 s0, s0, 3
	s_load_dwordx2 s[14:15], s[4:5], s0 offset:0x0
	s_load_dwordx2 s[16:17], s[4:5], s0 offset:0x400
	;; [unrolled: 1-line block ×3, first 2 shown]
	s_waitcnt lgkmcnt(0)
	s_add_u32 s20, s14, s8
	s_addc_u32 s21, s15, s9
	s_and_b32 s0, s20, 31
	s_add_u32 s22, s6, s8
	s_addc_u32 s23, s7, s9
	s_and_b32 s10, s16, 3
	s_and_b32 s2, s22, 31
	s_or_b64 s[10:11], s[0:1], s[10:11]
	s_or_b64 s[2:3], s[2:3], s[10:11]
	s_lshl_b64 s[10:11], s[12:13], 16
	s_sub_u32 s10, s16, s10
	s_subb_u32 s11, s17, s11
	s_cmp_eq_u64 s[2:3], 0
	s_mov_b64 s[2:3], -1
	s_cbranch_scc0 .LBB24_5
; %bb.1:
	v_mov_b32_e32 v3, 0
	v_lshlrev_b32_e32 v2, 2, v0
	v_cmp_gt_i64_e32 vcc, s[10:11], v[2:3]
	s_and_saveexec_b64 s[12:13], vcc
	s_cbranch_execz .LBB24_4
; %bb.2:
	s_load_dword s0, s[4:5], 0xc5c
	v_lshlrev_b32_e32 v4, 5, v0
	s_mov_b64 s[16:17], 0
	s_mov_b64 s[18:19], 0xffff
	v_mov_b32_e32 v1, s1
	s_waitcnt lgkmcnt(0)
	s_and_b32 s0, s0, 0xffff
	v_add_lshl_u32 v2, v0, s0, 2
	s_lshl_b32 s24, s0, 2
	s_lshl_b32 s25, s0, 5
.LBB24_3:                               ; =>This Inner Loop Header: Depth=1
	v_mov_b32_e32 v5, s21
	v_add_co_u32_e32 v14, vcc, s20, v4
	v_addc_co_u32_e32 v15, vcc, 0, v5, vcc
	global_load_dwordx4 v[6:9], v[14:15], off
	global_load_dwordx4 v[10:13], v[14:15], off offset:16
	v_cmp_le_i64_e32 vcc, s[10:11], v[2:3]
	v_cmp_lt_u64_e64 s[0:1], s[18:19], v[2:3]
	s_or_b64 s[0:1], vcc, s[0:1]
	v_add_co_u32_e64 v2, s[2:3], s24, v2
	s_add_u32 s20, s20, s25
	v_addc_co_u32_e64 v3, s[2:3], v3, v1, s[2:3]
	s_addc_u32 s21, s21, 0
	v_add_co_u32_e64 v14, s[2:3], s22, v4
	s_add_u32 s22, s22, s25
	v_mov_b32_e32 v5, s23
	s_addc_u32 s23, s23, 0
	s_and_b64 s[0:1], exec, s[0:1]
	v_addc_co_u32_e64 v15, s[2:3], 0, v5, s[2:3]
	s_or_b64 s[16:17], s[0:1], s[16:17]
	s_waitcnt vmcnt(1)
	v_floor_f64_e32 v[6:7], v[6:7]
	v_floor_f64_e32 v[8:9], v[8:9]
	s_waitcnt vmcnt(0)
	v_floor_f64_e32 v[10:11], v[10:11]
	v_floor_f64_e32 v[12:13], v[12:13]
	global_store_dwordx4 v[14:15], v[6:9], off
	global_store_dwordx4 v[14:15], v[10:13], off offset:16
	s_andn2_b64 exec, exec, s[16:17]
	s_cbranch_execnz .LBB24_3
.LBB24_4:
	s_or_b64 exec, exec, s[12:13]
	s_mov_b64 s[2:3], 0
.LBB24_5:
	s_andn2_b64 vcc, exec, s[2:3]
	s_cbranch_vccnz .LBB24_25
; %bb.6:
	v_cmp_lt_i64_e64 s[0:1], s[10:11], 1
	s_and_b64 vcc, exec, s[0:1]
	s_cbranch_vccnz .LBB24_25
; %bb.7:
	s_load_dword s0, s[4:5], 0xc5c
	v_mov_b32_e32 v2, 0x10000
	v_mov_b32_e32 v3, 0
	v_cmp_lt_u64_e32 vcc, s[10:11], v[2:3]
	v_lshlrev_b32_e32 v10, 3, v0
	s_waitcnt lgkmcnt(0)
	s_and_b32 s2, s0, 0xffff
	s_and_b64 s[0:1], vcc, exec
	v_mov_b32_e32 v13, s15
	v_add_co_u32_e32 v2, vcc, s14, v10
	v_addc_co_u32_e32 v1, vcc, 0, v13, vcc
	v_mov_b32_e32 v11, 0
	v_mov_b32_e32 v15, s7
	v_add_co_u32_e32 v4, vcc, s6, v10
	v_addc_co_u32_e32 v3, vcc, 0, v15, vcc
	v_mad_u64_u32 v[8:9], s[0:1], s2, 24, v[10:11]
	v_add_co_u32_e32 v6, vcc, s14, v8
	v_addc_co_u32_e32 v5, vcc, v13, v9, vcc
	v_add_co_u32_e32 v8, vcc, s6, v8
	s_mul_i32 s4, s2, 3
	v_addc_co_u32_e32 v7, vcc, v15, v9, vcc
	v_add_co_u32_e32 v17, vcc, s4, v0
	v_addc_co_u32_e64 v26, s[0:1], 0, 0, vcc
	s_cselect_b32 s13, s11, 0
	s_cselect_b32 s12, s10, 0x10000
	s_lshl_b32 s0, s2, 4
	v_add_co_u32_e32 v11, vcc, s0, v10
	v_addc_co_u32_e64 v14, s[0:1], 0, 0, vcc
	v_add_co_u32_e32 v10, vcc, s14, v11
	v_addc_co_u32_e32 v9, vcc, v13, v14, vcc
	v_add_co_u32_e32 v12, vcc, s6, v11
	s_lshl_b32 s3, s2, 1
	v_addc_co_u32_e32 v11, vcc, v15, v14, vcc
	v_add_co_u32_e32 v27, vcc, s3, v0
	v_addc_co_u32_e64 v28, s[0:1], 0, 0, vcc
	v_add_co_u32_e32 v29, vcc, s2, v0
	v_lshlrev_b32_e32 v16, 3, v29
	v_addc_co_u32_e64 v30, s[0:1], 0, 0, vcc
	v_add_co_u32_e32 v14, vcc, s14, v16
	v_addc_co_u32_e32 v13, vcc, 0, v13, vcc
	v_add_co_u32_e32 v16, vcc, s6, v16
	s_mov_b32 s18, 0
	s_lshl_b32 s19, s2, 2
	s_lshl_b32 s20, s2, 5
	v_addc_co_u32_e32 v15, vcc, 0, v15, vcc
	s_mov_b64 s[14:15], 0
	s_branch .LBB24_9
.LBB24_8:                               ;   in Loop: Header=BB24_9 Depth=1
	s_or_b64 exec, exec, s[0:1]
	s_add_u32 s14, s14, s19
	s_addc_u32 s15, s15, 0
	s_waitcnt vmcnt(0)
	v_pk_mov_b32 v[18:19], s[10:11], s[10:11] op_sel:[0,1]
	v_cmp_ge_i64_e32 vcc, s[14:15], v[18:19]
	v_mov_b32_e32 v18, 0xffff
	v_mov_b32_e32 v19, 0
	v_cmp_gt_u64_e64 s[0:1], s[14:15], v[18:19]
	s_or_b64 s[0:1], vcc, s[0:1]
	v_mov_b32_e32 v18, s18
	v_add_co_u32_e32 v2, vcc, s20, v2
	v_addc_co_u32_e32 v1, vcc, v1, v18, vcc
	v_add_co_u32_e32 v4, vcc, s20, v4
	v_addc_co_u32_e32 v3, vcc, v3, v18, vcc
	;; [unrolled: 2-line block ×8, first 2 shown]
	s_and_b64 vcc, exec, s[0:1]
	s_cbranch_vccnz .LBB24_25
.LBB24_9:                               ; =>This Inner Loop Header: Depth=1
	v_mov_b32_e32 v19, s15
	v_add_co_u32_e32 v18, vcc, s14, v0
	v_addc_co_u32_e32 v19, vcc, 0, v19, vcc
	v_cmp_gt_u64_e32 vcc, s[12:13], v[18:19]
	v_pk_mov_b32 v[18:19], 0, 0
	v_pk_mov_b32 v[20:21], v[18:19], v[18:19] op_sel:[0,1]
	s_and_saveexec_b64 s[2:3], vcc
	s_cbranch_execz .LBB24_11
; %bb.10:                               ;   in Loop: Header=BB24_9 Depth=1
	v_mov_b32_e32 v21, s9
	v_add_co_u32_e64 v20, s[0:1], s8, v2
	v_addc_co_u32_e64 v21, s[0:1], v1, v21, s[0:1]
	global_load_dwordx2 v[20:21], v[20:21], off
.LBB24_11:                              ;   in Loop: Header=BB24_9 Depth=1
	s_or_b64 exec, exec, s[2:3]
	v_mov_b32_e32 v23, s15
	v_add_co_u32_e64 v22, s[0:1], s14, v29
	v_addc_co_u32_e64 v23, s[0:1], v30, v23, s[0:1]
	v_cmp_gt_u64_e64 s[0:1], s[12:13], v[22:23]
	s_and_saveexec_b64 s[4:5], s[0:1]
	s_cbranch_execz .LBB24_13
; %bb.12:                               ;   in Loop: Header=BB24_9 Depth=1
	v_mov_b32_e32 v19, s9
	v_add_co_u32_e64 v18, s[2:3], s8, v14
	v_addc_co_u32_e64 v19, s[2:3], v13, v19, s[2:3]
	global_load_dwordx2 v[18:19], v[18:19], off
.LBB24_13:                              ;   in Loop: Header=BB24_9 Depth=1
	s_or_b64 exec, exec, s[4:5]
	v_mov_b32_e32 v23, s15
	v_add_co_u32_e64 v22, s[2:3], s14, v27
	v_addc_co_u32_e64 v23, s[2:3], v28, v23, s[2:3]
	v_cmp_gt_u64_e64 s[2:3], s[12:13], v[22:23]
	v_pk_mov_b32 v[22:23], 0, 0
	v_pk_mov_b32 v[24:25], v[22:23], v[22:23] op_sel:[0,1]
	s_and_saveexec_b64 s[6:7], s[2:3]
	s_cbranch_execz .LBB24_15
; %bb.14:                               ;   in Loop: Header=BB24_9 Depth=1
	v_mov_b32_e32 v25, s9
	v_add_co_u32_e64 v24, s[4:5], s8, v10
	v_addc_co_u32_e64 v25, s[4:5], v9, v25, s[4:5]
	global_load_dwordx2 v[24:25], v[24:25], off
.LBB24_15:                              ;   in Loop: Header=BB24_9 Depth=1
	s_or_b64 exec, exec, s[6:7]
	v_mov_b32_e32 v31, s15
	v_add_co_u32_e64 v32, s[4:5], s14, v17
	v_addc_co_u32_e64 v33, s[4:5], v26, v31, s[4:5]
	v_cmp_gt_u64_e64 s[4:5], s[12:13], v[32:33]
	s_and_saveexec_b64 s[16:17], s[4:5]
	s_cbranch_execnz .LBB24_20
; %bb.16:                               ;   in Loop: Header=BB24_9 Depth=1
	s_or_b64 exec, exec, s[16:17]
	s_and_saveexec_b64 s[6:7], vcc
	s_cbranch_execnz .LBB24_21
.LBB24_17:                              ;   in Loop: Header=BB24_9 Depth=1
	s_or_b64 exec, exec, s[6:7]
	s_and_saveexec_b64 s[6:7], s[0:1]
	s_cbranch_execnz .LBB24_22
.LBB24_18:                              ;   in Loop: Header=BB24_9 Depth=1
	s_or_b64 exec, exec, s[6:7]
	s_and_saveexec_b64 s[0:1], s[2:3]
	s_cbranch_execnz .LBB24_23
.LBB24_19:                              ;   in Loop: Header=BB24_9 Depth=1
	s_or_b64 exec, exec, s[0:1]
	s_and_saveexec_b64 s[0:1], s[4:5]
	s_cbranch_execz .LBB24_8
	s_branch .LBB24_24
.LBB24_20:                              ;   in Loop: Header=BB24_9 Depth=1
	v_mov_b32_e32 v23, s9
	v_add_co_u32_e64 v22, s[6:7], s8, v6
	v_addc_co_u32_e64 v23, s[6:7], v5, v23, s[6:7]
	global_load_dwordx2 v[22:23], v[22:23], off
	s_or_b64 exec, exec, s[16:17]
	s_and_saveexec_b64 s[6:7], vcc
	s_cbranch_execz .LBB24_17
.LBB24_21:                              ;   in Loop: Header=BB24_9 Depth=1
	v_mov_b32_e32 v31, s9
	v_add_co_u32_e32 v32, vcc, s8, v4
	v_addc_co_u32_e32 v33, vcc, v3, v31, vcc
	s_waitcnt vmcnt(0)
	v_floor_f64_e32 v[20:21], v[20:21]
	global_store_dwordx2 v[32:33], v[20:21], off
	s_or_b64 exec, exec, s[6:7]
	s_and_saveexec_b64 s[6:7], s[0:1]
	s_cbranch_execz .LBB24_18
.LBB24_22:                              ;   in Loop: Header=BB24_9 Depth=1
	s_waitcnt vmcnt(0)
	v_mov_b32_e32 v21, s9
	v_add_co_u32_e32 v20, vcc, s8, v16
	v_floor_f64_e32 v[18:19], v[18:19]
	v_addc_co_u32_e32 v21, vcc, v15, v21, vcc
	global_store_dwordx2 v[20:21], v[18:19], off
	s_or_b64 exec, exec, s[6:7]
	s_and_saveexec_b64 s[0:1], s[2:3]
	s_cbranch_execz .LBB24_19
.LBB24_23:                              ;   in Loop: Header=BB24_9 Depth=1
	s_waitcnt vmcnt(0)
	v_mov_b32_e32 v21, s9
	v_add_co_u32_e32 v20, vcc, s8, v12
	v_floor_f64_e32 v[18:19], v[24:25]
	v_addc_co_u32_e32 v21, vcc, v11, v21, vcc
	global_store_dwordx2 v[20:21], v[18:19], off
	s_or_b64 exec, exec, s[0:1]
	s_and_saveexec_b64 s[0:1], s[4:5]
	s_cbranch_execz .LBB24_8
.LBB24_24:                              ;   in Loop: Header=BB24_9 Depth=1
	s_waitcnt vmcnt(0)
	v_mov_b32_e32 v21, s9
	v_add_co_u32_e32 v20, vcc, s8, v8
	v_floor_f64_e32 v[18:19], v[22:23]
	v_addc_co_u32_e32 v21, vcc, v7, v21, vcc
	global_store_dwordx2 v[20:21], v[18:19], off
	s_branch .LBB24_8
.LBB24_25:
	s_endpgm
	.section	.rodata,"a",@progbits
	.p2align	6, 0x0
	.amdhsa_kernel _ZN2at6native12_GLOBAL__N_125multi_tensor_apply_kernelINS1_18TensorListMetadataILi2EEENS1_14UnaryOpFunctorIdLi2ELi1ELi1EEEJNS0_5FloorIdEEEEEvT_T0_DpT1_
		.amdhsa_group_segment_fixed_size 0
		.amdhsa_private_segment_fixed_size 0
		.amdhsa_kernarg_size 3408
		.amdhsa_user_sgpr_count 6
		.amdhsa_user_sgpr_private_segment_buffer 1
		.amdhsa_user_sgpr_dispatch_ptr 0
		.amdhsa_user_sgpr_queue_ptr 0
		.amdhsa_user_sgpr_kernarg_segment_ptr 1
		.amdhsa_user_sgpr_dispatch_id 0
		.amdhsa_user_sgpr_flat_scratch_init 0
		.amdhsa_user_sgpr_kernarg_preload_length 0
		.amdhsa_user_sgpr_kernarg_preload_offset 0
		.amdhsa_user_sgpr_private_segment_size 0
		.amdhsa_uses_dynamic_stack 0
		.amdhsa_system_sgpr_private_segment_wavefront_offset 0
		.amdhsa_system_sgpr_workgroup_id_x 1
		.amdhsa_system_sgpr_workgroup_id_y 0
		.amdhsa_system_sgpr_workgroup_id_z 0
		.amdhsa_system_sgpr_workgroup_info 0
		.amdhsa_system_vgpr_workitem_id 0
		.amdhsa_next_free_vgpr 34
		.amdhsa_next_free_sgpr 26
		.amdhsa_accum_offset 36
		.amdhsa_reserve_vcc 1
		.amdhsa_reserve_flat_scratch 0
		.amdhsa_float_round_mode_32 0
		.amdhsa_float_round_mode_16_64 0
		.amdhsa_float_denorm_mode_32 3
		.amdhsa_float_denorm_mode_16_64 3
		.amdhsa_dx10_clamp 1
		.amdhsa_ieee_mode 1
		.amdhsa_fp16_overflow 0
		.amdhsa_tg_split 0
		.amdhsa_exception_fp_ieee_invalid_op 0
		.amdhsa_exception_fp_denorm_src 0
		.amdhsa_exception_fp_ieee_div_zero 0
		.amdhsa_exception_fp_ieee_overflow 0
		.amdhsa_exception_fp_ieee_underflow 0
		.amdhsa_exception_fp_ieee_inexact 0
		.amdhsa_exception_int_div_zero 0
	.end_amdhsa_kernel
	.section	.text._ZN2at6native12_GLOBAL__N_125multi_tensor_apply_kernelINS1_18TensorListMetadataILi2EEENS1_14UnaryOpFunctorIdLi2ELi1ELi1EEEJNS0_5FloorIdEEEEEvT_T0_DpT1_,"axG",@progbits,_ZN2at6native12_GLOBAL__N_125multi_tensor_apply_kernelINS1_18TensorListMetadataILi2EEENS1_14UnaryOpFunctorIdLi2ELi1ELi1EEEJNS0_5FloorIdEEEEEvT_T0_DpT1_,comdat
.Lfunc_end24:
	.size	_ZN2at6native12_GLOBAL__N_125multi_tensor_apply_kernelINS1_18TensorListMetadataILi2EEENS1_14UnaryOpFunctorIdLi2ELi1ELi1EEEJNS0_5FloorIdEEEEEvT_T0_DpT1_, .Lfunc_end24-_ZN2at6native12_GLOBAL__N_125multi_tensor_apply_kernelINS1_18TensorListMetadataILi2EEENS1_14UnaryOpFunctorIdLi2ELi1ELi1EEEJNS0_5FloorIdEEEEEvT_T0_DpT1_
                                        ; -- End function
	.section	.AMDGPU.csdata,"",@progbits
; Kernel info:
; codeLenInByte = 1288
; NumSgprs: 30
; NumVgprs: 34
; NumAgprs: 0
; TotalNumVgprs: 34
; ScratchSize: 0
; MemoryBound: 0
; FloatMode: 240
; IeeeMode: 1
; LDSByteSize: 0 bytes/workgroup (compile time only)
; SGPRBlocks: 3
; VGPRBlocks: 4
; NumSGPRsForWavesPerEU: 30
; NumVGPRsForWavesPerEU: 34
; AccumOffset: 36
; Occupancy: 8
; WaveLimiterHint : 0
; COMPUTE_PGM_RSRC2:SCRATCH_EN: 0
; COMPUTE_PGM_RSRC2:USER_SGPR: 6
; COMPUTE_PGM_RSRC2:TRAP_HANDLER: 0
; COMPUTE_PGM_RSRC2:TGID_X_EN: 1
; COMPUTE_PGM_RSRC2:TGID_Y_EN: 0
; COMPUTE_PGM_RSRC2:TGID_Z_EN: 0
; COMPUTE_PGM_RSRC2:TIDIG_COMP_CNT: 0
; COMPUTE_PGM_RSRC3_GFX90A:ACCUM_OFFSET: 8
; COMPUTE_PGM_RSRC3_GFX90A:TG_SPLIT: 0
	.section	.text._ZN2at6native12_GLOBAL__N_125multi_tensor_apply_kernelINS1_18TensorListMetadataILi2EEENS1_14UnaryOpFunctorIfLi2ELi1ELi1EEEJNS0_5FloorIfEEEEEvT_T0_DpT1_,"axG",@progbits,_ZN2at6native12_GLOBAL__N_125multi_tensor_apply_kernelINS1_18TensorListMetadataILi2EEENS1_14UnaryOpFunctorIfLi2ELi1ELi1EEEJNS0_5FloorIfEEEEEvT_T0_DpT1_,comdat
	.globl	_ZN2at6native12_GLOBAL__N_125multi_tensor_apply_kernelINS1_18TensorListMetadataILi2EEENS1_14UnaryOpFunctorIfLi2ELi1ELi1EEEJNS0_5FloorIfEEEEEvT_T0_DpT1_ ; -- Begin function _ZN2at6native12_GLOBAL__N_125multi_tensor_apply_kernelINS1_18TensorListMetadataILi2EEENS1_14UnaryOpFunctorIfLi2ELi1ELi1EEEJNS0_5FloorIfEEEEEvT_T0_DpT1_
	.p2align	8
	.type	_ZN2at6native12_GLOBAL__N_125multi_tensor_apply_kernelINS1_18TensorListMetadataILi2EEENS1_14UnaryOpFunctorIfLi2ELi1ELi1EEEJNS0_5FloorIfEEEEEvT_T0_DpT1_,@function
_ZN2at6native12_GLOBAL__N_125multi_tensor_apply_kernelINS1_18TensorListMetadataILi2EEENS1_14UnaryOpFunctorIfLi2ELi1ELi1EEEJNS0_5FloorIfEEEEEvT_T0_DpT1_: ; @_ZN2at6native12_GLOBAL__N_125multi_tensor_apply_kernelINS1_18TensorListMetadataILi2EEENS1_14UnaryOpFunctorIfLi2ELi1ELi1EEEJNS0_5FloorIfEEEEEvT_T0_DpT1_
; %bb.0:
	v_mov_b32_e32 v1, s6
	global_load_ubyte v1, v1, s[4:5] offset:1536
	s_add_u32 s0, s4, s6
	s_mul_hi_u32 s2, s6, 3
	s_mul_i32 s6, s6, 3
	s_addc_u32 s7, s5, 0
	s_add_u32 s8, s0, s6
	s_addc_u32 s9, s7, s2
	s_mov_b32 s1, 0
	s_mov_b32 s17, s1
	;; [unrolled: 1-line block ×3, first 2 shown]
	s_waitcnt vmcnt(0)
	v_readfirstlane_b32 s0, v1
	s_lshl_b32 s0, s0, 3
	s_load_dword s10, s[8:9], 0x740
	s_load_dwordx2 s[14:15], s[4:5], s0 offset:0x0
	s_load_dwordx2 s[12:13], s[4:5], s0 offset:0x400
	;; [unrolled: 1-line block ×3, first 2 shown]
	s_waitcnt lgkmcnt(0)
	s_ashr_i32 s11, s10, 31
	s_and_b32 s0, s14, 15
	s_and_b32 s16, s12, 3
	;; [unrolled: 1-line block ×3, first 2 shown]
	s_or_b64 s[16:17], s[0:1], s[16:17]
	s_lshl_b64 s[8:9], s[10:11], 18
	s_or_b64 s[2:3], s[2:3], s[16:17]
	s_lshl_b64 s[10:11], s[10:11], 16
	s_sub_u32 s10, s12, s10
	s_subb_u32 s11, s13, s11
	s_cmp_eq_u64 s[2:3], 0
	s_mov_b64 s[2:3], -1
	s_cbranch_scc0 .LBB25_5
; %bb.1:
	v_mov_b32_e32 v3, 0
	v_lshlrev_b32_e32 v2, 2, v0
	v_cmp_gt_i64_e32 vcc, s[10:11], v[2:3]
	s_and_saveexec_b64 s[12:13], vcc
	s_cbranch_execz .LBB25_4
; %bb.2:
	s_load_dword s0, s[4:5], 0xc5c
	v_lshlrev_b32_e32 v1, 4, v0
	v_mov_b32_e32 v4, s9
	v_add_co_u32_e32 v1, vcc, s8, v1
	v_addc_co_u32_e32 v5, vcc, 0, v4, vcc
	s_waitcnt lgkmcnt(0)
	s_and_b32 s0, s0, 0xffff
	v_add_co_u32_e32 v4, vcc, 8, v1
	v_add_lshl_u32 v2, v0, s0, 2
	s_lshl_b32 s20, s0, 2
	v_addc_co_u32_e32 v1, vcc, 0, v5, vcc
	s_lshl_b32 s21, s0, 4
	s_mov_b64 s[16:17], 0
	v_mov_b32_e32 v5, s15
	v_mov_b32_e32 v6, s7
	s_mov_b64 s[18:19], 0xffff
	v_mov_b32_e32 v7, s1
	v_mov_b32_e32 v8, s1
.LBB25_3:                               ; =>This Inner Loop Header: Depth=1
	v_add_co_u32_e32 v10, vcc, s14, v4
	v_addc_co_u32_e32 v11, vcc, v5, v1, vcc
	global_load_dwordx4 v[10:13], v[10:11], off offset:-8
	v_add_co_u32_e32 v14, vcc, s6, v4
	v_addc_co_u32_e32 v15, vcc, v6, v1, vcc
	v_cmp_le_i64_e32 vcc, s[10:11], v[2:3]
	v_cmp_lt_u64_e64 s[0:1], s[18:19], v[2:3]
	v_add_co_u32_e64 v2, s[2:3], s20, v2
	v_addc_co_u32_e64 v3, s[2:3], v3, v7, s[2:3]
	s_or_b64 s[0:1], vcc, s[0:1]
	v_add_co_u32_e64 v4, s[2:3], s21, v4
	s_and_b64 s[0:1], exec, s[0:1]
	v_addc_co_u32_e64 v1, s[2:3], v1, v8, s[2:3]
	s_or_b64 s[16:17], s[0:1], s[16:17]
	s_waitcnt vmcnt(0)
	v_floor_f32_e32 v11, v11
	v_floor_f32_e32 v10, v10
	;; [unrolled: 1-line block ×4, first 2 shown]
	global_store_dwordx4 v[14:15], v[10:13], off offset:-8
	s_andn2_b64 exec, exec, s[16:17]
	s_cbranch_execnz .LBB25_3
.LBB25_4:
	s_or_b64 exec, exec, s[12:13]
	s_mov_b64 s[2:3], 0
.LBB25_5:
	s_andn2_b64 vcc, exec, s[2:3]
	s_cbranch_vccnz .LBB25_25
; %bb.6:
	v_cmp_lt_i64_e64 s[0:1], s[10:11], 1
	s_and_b64 vcc, exec, s[0:1]
	s_cbranch_vccnz .LBB25_25
; %bb.7:
	s_load_dword s0, s[4:5], 0xc5c
	v_mov_b32_e32 v2, 0x10000
	v_mov_b32_e32 v3, 0
	v_cmp_lt_u64_e32 vcc, s[10:11], v[2:3]
	v_lshlrev_b32_e32 v10, 2, v0
	s_waitcnt lgkmcnt(0)
	s_and_b32 s2, s0, 0xffff
	s_and_b64 s[0:1], vcc, exec
	v_mov_b32_e32 v13, s15
	v_add_co_u32_e32 v2, vcc, s14, v10
	v_addc_co_u32_e32 v1, vcc, 0, v13, vcc
	v_mov_b32_e32 v11, 0
	v_mov_b32_e32 v15, s7
	v_add_co_u32_e32 v4, vcc, s6, v10
	v_addc_co_u32_e32 v3, vcc, 0, v15, vcc
	v_mad_u64_u32 v[8:9], s[0:1], s2, 12, v[10:11]
	v_add_co_u32_e32 v6, vcc, s14, v8
	v_addc_co_u32_e32 v5, vcc, v13, v9, vcc
	v_add_co_u32_e32 v8, vcc, s6, v8
	s_mul_i32 s4, s2, 3
	v_addc_co_u32_e32 v7, vcc, v15, v9, vcc
	v_add_co_u32_e32 v17, vcc, s4, v0
	v_addc_co_u32_e64 v18, s[0:1], 0, 0, vcc
	s_cselect_b32 s13, s11, 0
	s_cselect_b32 s12, s10, 0x10000
	s_lshl_b32 s0, s2, 3
	v_add_co_u32_e32 v11, vcc, s0, v10
	v_addc_co_u32_e64 v14, s[0:1], 0, 0, vcc
	v_add_co_u32_e32 v10, vcc, s14, v11
	v_addc_co_u32_e32 v9, vcc, v13, v14, vcc
	v_add_co_u32_e32 v12, vcc, s6, v11
	s_lshl_b32 s3, s2, 1
	v_addc_co_u32_e32 v11, vcc, v15, v14, vcc
	v_add_co_u32_e32 v19, vcc, s3, v0
	v_addc_co_u32_e64 v20, s[0:1], 0, 0, vcc
	v_add_co_u32_e32 v21, vcc, s2, v0
	v_lshlrev_b32_e32 v16, 2, v21
	v_addc_co_u32_e64 v22, s[0:1], 0, 0, vcc
	v_add_co_u32_e32 v14, vcc, s14, v16
	v_addc_co_u32_e32 v13, vcc, 0, v13, vcc
	v_add_co_u32_e32 v16, vcc, s6, v16
	s_mov_b32 s18, 0
	s_lshl_b32 s19, s2, 2
	s_lshl_b32 s20, s2, 4
	v_addc_co_u32_e32 v15, vcc, 0, v15, vcc
	s_mov_b64 s[14:15], 0
	s_branch .LBB25_9
.LBB25_8:                               ;   in Loop: Header=BB25_9 Depth=1
	s_or_b64 exec, exec, s[0:1]
	s_add_u32 s14, s14, s19
	s_addc_u32 s15, s15, 0
	s_waitcnt vmcnt(0)
	v_pk_mov_b32 v[24:25], s[10:11], s[10:11] op_sel:[0,1]
	v_cmp_ge_i64_e32 vcc, s[14:15], v[24:25]
	v_mov_b32_e32 v24, 0xffff
	v_mov_b32_e32 v25, 0
	v_cmp_gt_u64_e64 s[0:1], s[14:15], v[24:25]
	s_or_b64 s[0:1], vcc, s[0:1]
	v_mov_b32_e32 v23, s18
	v_add_co_u32_e32 v2, vcc, s20, v2
	v_addc_co_u32_e32 v1, vcc, v1, v23, vcc
	v_add_co_u32_e32 v4, vcc, s20, v4
	v_addc_co_u32_e32 v3, vcc, v3, v23, vcc
	;; [unrolled: 2-line block ×8, first 2 shown]
	s_and_b64 vcc, exec, s[0:1]
	s_cbranch_vccnz .LBB25_25
.LBB25_9:                               ; =>This Inner Loop Header: Depth=1
	v_mov_b32_e32 v23, s15
	v_add_co_u32_e32 v24, vcc, s14, v0
	v_addc_co_u32_e32 v25, vcc, 0, v23, vcc
	v_cmp_gt_u64_e32 vcc, s[12:13], v[24:25]
	v_mov_b32_e32 v23, 0
	s_and_saveexec_b64 s[2:3], vcc
	s_cbranch_execz .LBB25_11
; %bb.10:                               ;   in Loop: Header=BB25_9 Depth=1
	v_mov_b32_e32 v23, s9
	v_add_co_u32_e64 v24, s[0:1], s8, v2
	v_addc_co_u32_e64 v25, s[0:1], v1, v23, s[0:1]
	global_load_dword v23, v[24:25], off
.LBB25_11:                              ;   in Loop: Header=BB25_9 Depth=1
	s_or_b64 exec, exec, s[2:3]
	v_mov_b32_e32 v25, s15
	v_add_co_u32_e64 v24, s[0:1], s14, v21
	v_addc_co_u32_e64 v25, s[0:1], v22, v25, s[0:1]
	v_cmp_gt_u64_e64 s[0:1], s[12:13], v[24:25]
	v_mov_b32_e32 v25, 0
	s_and_saveexec_b64 s[4:5], s[0:1]
	s_cbranch_execz .LBB25_13
; %bb.12:                               ;   in Loop: Header=BB25_9 Depth=1
	v_mov_b32_e32 v25, s9
	v_add_co_u32_e64 v24, s[2:3], s8, v14
	v_addc_co_u32_e64 v25, s[2:3], v13, v25, s[2:3]
	global_load_dword v25, v[24:25], off
.LBB25_13:                              ;   in Loop: Header=BB25_9 Depth=1
	s_or_b64 exec, exec, s[4:5]
	v_mov_b32_e32 v24, s15
	v_add_co_u32_e64 v26, s[2:3], s14, v19
	v_addc_co_u32_e64 v27, s[2:3], v20, v24, s[2:3]
	v_cmp_gt_u64_e64 s[2:3], s[12:13], v[26:27]
	v_mov_b32_e32 v24, 0
	v_mov_b32_e32 v26, 0
	s_and_saveexec_b64 s[6:7], s[2:3]
	s_cbranch_execz .LBB25_15
; %bb.14:                               ;   in Loop: Header=BB25_9 Depth=1
	v_mov_b32_e32 v27, s9
	v_add_co_u32_e64 v26, s[4:5], s8, v10
	v_addc_co_u32_e64 v27, s[4:5], v9, v27, s[4:5]
	global_load_dword v26, v[26:27], off
.LBB25_15:                              ;   in Loop: Header=BB25_9 Depth=1
	s_or_b64 exec, exec, s[6:7]
	v_mov_b32_e32 v27, s15
	v_add_co_u32_e64 v28, s[4:5], s14, v17
	v_addc_co_u32_e64 v29, s[4:5], v18, v27, s[4:5]
	v_cmp_gt_u64_e64 s[4:5], s[12:13], v[28:29]
	s_and_saveexec_b64 s[16:17], s[4:5]
	s_cbranch_execnz .LBB25_20
; %bb.16:                               ;   in Loop: Header=BB25_9 Depth=1
	s_or_b64 exec, exec, s[16:17]
	s_and_saveexec_b64 s[6:7], vcc
	s_cbranch_execnz .LBB25_21
.LBB25_17:                              ;   in Loop: Header=BB25_9 Depth=1
	s_or_b64 exec, exec, s[6:7]
	s_and_saveexec_b64 s[6:7], s[0:1]
	s_cbranch_execnz .LBB25_22
.LBB25_18:                              ;   in Loop: Header=BB25_9 Depth=1
	s_or_b64 exec, exec, s[6:7]
	s_and_saveexec_b64 s[0:1], s[2:3]
	s_cbranch_execnz .LBB25_23
.LBB25_19:                              ;   in Loop: Header=BB25_9 Depth=1
	s_or_b64 exec, exec, s[0:1]
	s_and_saveexec_b64 s[0:1], s[4:5]
	s_cbranch_execz .LBB25_8
	s_branch .LBB25_24
.LBB25_20:                              ;   in Loop: Header=BB25_9 Depth=1
	v_mov_b32_e32 v24, s9
	v_add_co_u32_e64 v28, s[6:7], s8, v6
	v_addc_co_u32_e64 v29, s[6:7], v5, v24, s[6:7]
	global_load_dword v24, v[28:29], off
	s_or_b64 exec, exec, s[16:17]
	s_and_saveexec_b64 s[6:7], vcc
	s_cbranch_execz .LBB25_17
.LBB25_21:                              ;   in Loop: Header=BB25_9 Depth=1
	v_mov_b32_e32 v27, s9
	v_add_co_u32_e32 v28, vcc, s8, v4
	v_addc_co_u32_e32 v29, vcc, v3, v27, vcc
	s_waitcnt vmcnt(0)
	v_floor_f32_e32 v23, v23
	global_store_dword v[28:29], v23, off
	s_or_b64 exec, exec, s[6:7]
	s_and_saveexec_b64 s[6:7], s[0:1]
	s_cbranch_execz .LBB25_18
.LBB25_22:                              ;   in Loop: Header=BB25_9 Depth=1
	s_waitcnt vmcnt(0)
	v_floor_f32_e32 v23, v25
	v_mov_b32_e32 v25, s9
	v_add_co_u32_e32 v28, vcc, s8, v16
	v_addc_co_u32_e32 v29, vcc, v15, v25, vcc
	global_store_dword v[28:29], v23, off
	s_or_b64 exec, exec, s[6:7]
	s_and_saveexec_b64 s[0:1], s[2:3]
	s_cbranch_execz .LBB25_19
.LBB25_23:                              ;   in Loop: Header=BB25_9 Depth=1
	s_waitcnt vmcnt(0)
	v_floor_f32_e32 v23, v26
	v_mov_b32_e32 v25, s9
	v_add_co_u32_e32 v26, vcc, s8, v12
	v_addc_co_u32_e32 v27, vcc, v11, v25, vcc
	global_store_dword v[26:27], v23, off
	s_or_b64 exec, exec, s[0:1]
	s_and_saveexec_b64 s[0:1], s[4:5]
	s_cbranch_execz .LBB25_8
.LBB25_24:                              ;   in Loop: Header=BB25_9 Depth=1
	s_waitcnt vmcnt(0)
	v_floor_f32_e32 v23, v24
	v_mov_b32_e32 v25, s9
	v_add_co_u32_e32 v24, vcc, s8, v8
	v_addc_co_u32_e32 v25, vcc, v7, v25, vcc
	global_store_dword v[24:25], v23, off
	s_branch .LBB25_8
.LBB25_25:
	s_endpgm
	.section	.rodata,"a",@progbits
	.p2align	6, 0x0
	.amdhsa_kernel _ZN2at6native12_GLOBAL__N_125multi_tensor_apply_kernelINS1_18TensorListMetadataILi2EEENS1_14UnaryOpFunctorIfLi2ELi1ELi1EEEJNS0_5FloorIfEEEEEvT_T0_DpT1_
		.amdhsa_group_segment_fixed_size 0
		.amdhsa_private_segment_fixed_size 0
		.amdhsa_kernarg_size 3408
		.amdhsa_user_sgpr_count 6
		.amdhsa_user_sgpr_private_segment_buffer 1
		.amdhsa_user_sgpr_dispatch_ptr 0
		.amdhsa_user_sgpr_queue_ptr 0
		.amdhsa_user_sgpr_kernarg_segment_ptr 1
		.amdhsa_user_sgpr_dispatch_id 0
		.amdhsa_user_sgpr_flat_scratch_init 0
		.amdhsa_user_sgpr_kernarg_preload_length 0
		.amdhsa_user_sgpr_kernarg_preload_offset 0
		.amdhsa_user_sgpr_private_segment_size 0
		.amdhsa_uses_dynamic_stack 0
		.amdhsa_system_sgpr_private_segment_wavefront_offset 0
		.amdhsa_system_sgpr_workgroup_id_x 1
		.amdhsa_system_sgpr_workgroup_id_y 0
		.amdhsa_system_sgpr_workgroup_id_z 0
		.amdhsa_system_sgpr_workgroup_info 0
		.amdhsa_system_vgpr_workitem_id 0
		.amdhsa_next_free_vgpr 30
		.amdhsa_next_free_sgpr 22
		.amdhsa_accum_offset 32
		.amdhsa_reserve_vcc 1
		.amdhsa_reserve_flat_scratch 0
		.amdhsa_float_round_mode_32 0
		.amdhsa_float_round_mode_16_64 0
		.amdhsa_float_denorm_mode_32 3
		.amdhsa_float_denorm_mode_16_64 3
		.amdhsa_dx10_clamp 1
		.amdhsa_ieee_mode 1
		.amdhsa_fp16_overflow 0
		.amdhsa_tg_split 0
		.amdhsa_exception_fp_ieee_invalid_op 0
		.amdhsa_exception_fp_denorm_src 0
		.amdhsa_exception_fp_ieee_div_zero 0
		.amdhsa_exception_fp_ieee_overflow 0
		.amdhsa_exception_fp_ieee_underflow 0
		.amdhsa_exception_fp_ieee_inexact 0
		.amdhsa_exception_int_div_zero 0
	.end_amdhsa_kernel
	.section	.text._ZN2at6native12_GLOBAL__N_125multi_tensor_apply_kernelINS1_18TensorListMetadataILi2EEENS1_14UnaryOpFunctorIfLi2ELi1ELi1EEEJNS0_5FloorIfEEEEEvT_T0_DpT1_,"axG",@progbits,_ZN2at6native12_GLOBAL__N_125multi_tensor_apply_kernelINS1_18TensorListMetadataILi2EEENS1_14UnaryOpFunctorIfLi2ELi1ELi1EEEJNS0_5FloorIfEEEEEvT_T0_DpT1_,comdat
.Lfunc_end25:
	.size	_ZN2at6native12_GLOBAL__N_125multi_tensor_apply_kernelINS1_18TensorListMetadataILi2EEENS1_14UnaryOpFunctorIfLi2ELi1ELi1EEEJNS0_5FloorIfEEEEEvT_T0_DpT1_, .Lfunc_end25-_ZN2at6native12_GLOBAL__N_125multi_tensor_apply_kernelINS1_18TensorListMetadataILi2EEENS1_14UnaryOpFunctorIfLi2ELi1ELi1EEEJNS0_5FloorIfEEEEEvT_T0_DpT1_
                                        ; -- End function
	.section	.AMDGPU.csdata,"",@progbits
; Kernel info:
; codeLenInByte = 1248
; NumSgprs: 26
; NumVgprs: 30
; NumAgprs: 0
; TotalNumVgprs: 30
; ScratchSize: 0
; MemoryBound: 0
; FloatMode: 240
; IeeeMode: 1
; LDSByteSize: 0 bytes/workgroup (compile time only)
; SGPRBlocks: 3
; VGPRBlocks: 3
; NumSGPRsForWavesPerEU: 26
; NumVGPRsForWavesPerEU: 30
; AccumOffset: 32
; Occupancy: 8
; WaveLimiterHint : 0
; COMPUTE_PGM_RSRC2:SCRATCH_EN: 0
; COMPUTE_PGM_RSRC2:USER_SGPR: 6
; COMPUTE_PGM_RSRC2:TRAP_HANDLER: 0
; COMPUTE_PGM_RSRC2:TGID_X_EN: 1
; COMPUTE_PGM_RSRC2:TGID_Y_EN: 0
; COMPUTE_PGM_RSRC2:TGID_Z_EN: 0
; COMPUTE_PGM_RSRC2:TIDIG_COMP_CNT: 0
; COMPUTE_PGM_RSRC3_GFX90A:ACCUM_OFFSET: 7
; COMPUTE_PGM_RSRC3_GFX90A:TG_SPLIT: 0
	.section	.text._ZN2at6native12_GLOBAL__N_125multi_tensor_apply_kernelINS1_18TensorListMetadataILi2EEENS1_14UnaryOpFunctorIN3c104HalfELi2ELi1ELi1EEEJNS0_5FloorIfEEEEEvT_T0_DpT1_,"axG",@progbits,_ZN2at6native12_GLOBAL__N_125multi_tensor_apply_kernelINS1_18TensorListMetadataILi2EEENS1_14UnaryOpFunctorIN3c104HalfELi2ELi1ELi1EEEJNS0_5FloorIfEEEEEvT_T0_DpT1_,comdat
	.globl	_ZN2at6native12_GLOBAL__N_125multi_tensor_apply_kernelINS1_18TensorListMetadataILi2EEENS1_14UnaryOpFunctorIN3c104HalfELi2ELi1ELi1EEEJNS0_5FloorIfEEEEEvT_T0_DpT1_ ; -- Begin function _ZN2at6native12_GLOBAL__N_125multi_tensor_apply_kernelINS1_18TensorListMetadataILi2EEENS1_14UnaryOpFunctorIN3c104HalfELi2ELi1ELi1EEEJNS0_5FloorIfEEEEEvT_T0_DpT1_
	.p2align	8
	.type	_ZN2at6native12_GLOBAL__N_125multi_tensor_apply_kernelINS1_18TensorListMetadataILi2EEENS1_14UnaryOpFunctorIN3c104HalfELi2ELi1ELi1EEEJNS0_5FloorIfEEEEEvT_T0_DpT1_,@function
_ZN2at6native12_GLOBAL__N_125multi_tensor_apply_kernelINS1_18TensorListMetadataILi2EEENS1_14UnaryOpFunctorIN3c104HalfELi2ELi1ELi1EEEJNS0_5FloorIfEEEEEvT_T0_DpT1_: ; @_ZN2at6native12_GLOBAL__N_125multi_tensor_apply_kernelINS1_18TensorListMetadataILi2EEENS1_14UnaryOpFunctorIN3c104HalfELi2ELi1ELi1EEEJNS0_5FloorIfEEEEEvT_T0_DpT1_
; %bb.0:
	v_mov_b32_e32 v1, s6
	global_load_ubyte v1, v1, s[4:5] offset:1536
	s_add_u32 s0, s4, s6
	s_mul_hi_u32 s2, s6, 3
	s_mul_i32 s6, s6, 3
	s_addc_u32 s7, s5, 0
	s_add_u32 s6, s0, s6
	s_addc_u32 s7, s7, s2
	s_load_dword s12, s[6:7], 0x740
	s_mov_b32 s1, 0
	s_mov_b32 s11, s1
	;; [unrolled: 1-line block ×3, first 2 shown]
	s_waitcnt lgkmcnt(0)
	s_ashr_i32 s13, s12, 31
	s_lshl_b64 s[8:9], s[12:13], 17
	s_waitcnt vmcnt(0)
	v_readfirstlane_b32 s0, v1
	s_lshl_b32 s0, s0, 3
	s_load_dwordx2 s[14:15], s[4:5], s0 offset:0x0
	s_load_dwordx2 s[16:17], s[4:5], s0 offset:0x400
	s_load_dwordx2 s[6:7], s[4:5], s0 offset:0x200
	s_waitcnt lgkmcnt(0)
	s_add_u32 s20, s14, s8
	s_addc_u32 s21, s15, s9
	s_and_b32 s0, s20, 7
	s_add_u32 s22, s6, s8
	s_addc_u32 s23, s7, s9
	s_and_b32 s10, s16, 3
	s_and_b32 s2, s22, 7
	s_or_b64 s[10:11], s[0:1], s[10:11]
	s_or_b64 s[2:3], s[2:3], s[10:11]
	s_lshl_b64 s[10:11], s[12:13], 16
	s_sub_u32 s10, s16, s10
	s_subb_u32 s11, s17, s11
	s_cmp_eq_u64 s[2:3], 0
	s_mov_b64 s[2:3], -1
	s_cbranch_scc0 .LBB26_5
; %bb.1:
	v_mov_b32_e32 v3, 0
	v_lshlrev_b32_e32 v2, 2, v0
	v_cmp_gt_i64_e32 vcc, s[10:11], v[2:3]
	s_and_saveexec_b64 s[12:13], vcc
	s_cbranch_execz .LBB26_4
; %bb.2:
	s_load_dword s0, s[4:5], 0xc5c
	v_lshlrev_b32_e32 v4, 3, v0
	s_mov_b64 s[16:17], 0
	s_mov_b64 s[18:19], 0xffff
	v_mov_b32_e32 v1, s1
	s_waitcnt lgkmcnt(0)
	s_and_b32 s0, s0, 0xffff
	v_add_lshl_u32 v2, v0, s0, 2
	s_lshl_b32 s24, s0, 2
	s_lshl_b32 s25, s0, 3
.LBB26_3:                               ; =>This Inner Loop Header: Depth=1
	v_mov_b32_e32 v5, s21
	v_add_co_u32_e32 v6, vcc, s20, v4
	v_addc_co_u32_e32 v7, vcc, 0, v5, vcc
	global_load_dwordx2 v[6:7], v[6:7], off
	v_cmp_le_i64_e32 vcc, s[10:11], v[2:3]
	v_cmp_lt_u64_e64 s[0:1], s[18:19], v[2:3]
	s_or_b64 s[0:1], vcc, s[0:1]
	v_add_co_u32_e64 v2, s[2:3], s24, v2
	s_add_u32 s20, s20, s25
	v_addc_co_u32_e64 v3, s[2:3], v3, v1, s[2:3]
	s_addc_u32 s21, s21, 0
	v_add_co_u32_e64 v8, s[2:3], s22, v4
	s_add_u32 s22, s22, s25
	v_mov_b32_e32 v5, s23
	s_addc_u32 s23, s23, 0
	v_addc_co_u32_e64 v9, s[2:3], 0, v5, s[2:3]
	s_and_b64 s[0:1], exec, s[0:1]
	s_or_b64 s[16:17], s[0:1], s[16:17]
	s_waitcnt vmcnt(0)
	v_floor_f16_e32 v5, v6
	v_floor_f16_sdwa v6, v6 dst_sel:DWORD dst_unused:UNUSED_PAD src0_sel:WORD_1
	v_floor_f16_e32 v10, v7
	v_floor_f16_sdwa v7, v7 dst_sel:DWORD dst_unused:UNUSED_PAD src0_sel:WORD_1
	v_pack_b32_f16 v7, v10, v7
	v_pack_b32_f16 v6, v5, v6
	global_store_dwordx2 v[8:9], v[6:7], off
	s_andn2_b64 exec, exec, s[16:17]
	s_cbranch_execnz .LBB26_3
.LBB26_4:
	s_or_b64 exec, exec, s[12:13]
	s_mov_b64 s[2:3], 0
.LBB26_5:
	s_andn2_b64 vcc, exec, s[2:3]
	s_cbranch_vccnz .LBB26_25
; %bb.6:
	v_cmp_lt_i64_e64 s[0:1], s[10:11], 1
	s_and_b64 vcc, exec, s[0:1]
	s_cbranch_vccnz .LBB26_25
; %bb.7:
	s_load_dword s0, s[4:5], 0xc5c
	v_mov_b32_e32 v2, 0x10000
	v_mov_b32_e32 v3, 0
	v_cmp_lt_u64_e32 vcc, s[10:11], v[2:3]
	v_lshlrev_b32_e32 v10, 1, v0
	s_waitcnt lgkmcnt(0)
	s_and_b32 s2, s0, 0xffff
	s_and_b64 s[0:1], vcc, exec
	v_mov_b32_e32 v13, s15
	v_add_co_u32_e32 v2, vcc, s14, v10
	v_addc_co_u32_e32 v1, vcc, 0, v13, vcc
	v_mov_b32_e32 v11, 0
	v_mov_b32_e32 v15, s7
	v_add_co_u32_e32 v4, vcc, s6, v10
	v_addc_co_u32_e32 v3, vcc, 0, v15, vcc
	v_mad_u64_u32 v[8:9], s[0:1], s2, 6, v[10:11]
	v_add_co_u32_e32 v6, vcc, s14, v8
	v_addc_co_u32_e32 v5, vcc, v13, v9, vcc
	v_add_co_u32_e32 v8, vcc, s6, v8
	s_mul_i32 s4, s2, 3
	v_addc_co_u32_e32 v7, vcc, v15, v9, vcc
	s_cselect_b32 s13, s11, 0
	s_cselect_b32 s12, s10, 0x10000
	s_lshl_b32 s19, s2, 2
	v_add_co_u32_e32 v17, vcc, s4, v0
	v_addc_co_u32_e64 v18, s[0:1], 0, 0, vcc
	v_add_co_u32_e32 v11, vcc, s19, v10
	v_addc_co_u32_e64 v14, s[0:1], 0, 0, vcc
	v_add_co_u32_e32 v10, vcc, s14, v11
	v_addc_co_u32_e32 v9, vcc, v13, v14, vcc
	v_add_co_u32_e32 v12, vcc, s6, v11
	s_lshl_b32 s3, s2, 1
	v_addc_co_u32_e32 v11, vcc, v15, v14, vcc
	v_add_co_u32_e32 v19, vcc, s3, v0
	v_addc_co_u32_e64 v20, s[0:1], 0, 0, vcc
	v_add_co_u32_e32 v21, vcc, s2, v0
	v_lshlrev_b32_e32 v16, 1, v21
	v_addc_co_u32_e64 v22, s[0:1], 0, 0, vcc
	v_add_co_u32_e32 v14, vcc, s14, v16
	v_addc_co_u32_e32 v13, vcc, 0, v13, vcc
	v_add_co_u32_e32 v16, vcc, s6, v16
	s_mov_b32 s18, 0
	s_lshl_b32 s20, s2, 3
	v_addc_co_u32_e32 v15, vcc, 0, v15, vcc
	s_mov_b64 s[14:15], 0
	s_branch .LBB26_9
.LBB26_8:                               ;   in Loop: Header=BB26_9 Depth=1
	s_or_b64 exec, exec, s[0:1]
	s_add_u32 s14, s14, s19
	s_addc_u32 s15, s15, 0
	s_waitcnt vmcnt(0)
	v_pk_mov_b32 v[24:25], s[10:11], s[10:11] op_sel:[0,1]
	v_cmp_ge_i64_e32 vcc, s[14:15], v[24:25]
	v_mov_b32_e32 v24, 0xffff
	v_mov_b32_e32 v25, 0
	v_cmp_gt_u64_e64 s[0:1], s[14:15], v[24:25]
	s_or_b64 s[0:1], vcc, s[0:1]
	v_mov_b32_e32 v23, s18
	v_add_co_u32_e32 v2, vcc, s20, v2
	v_addc_co_u32_e32 v1, vcc, v1, v23, vcc
	v_add_co_u32_e32 v4, vcc, s20, v4
	v_addc_co_u32_e32 v3, vcc, v3, v23, vcc
	v_add_co_u32_e32 v6, vcc, s20, v6
	v_addc_co_u32_e32 v5, vcc, v5, v23, vcc
	v_add_co_u32_e32 v8, vcc, s20, v8
	v_addc_co_u32_e32 v7, vcc, v7, v23, vcc
	v_add_co_u32_e32 v10, vcc, s20, v10
	v_addc_co_u32_e32 v9, vcc, v9, v23, vcc
	v_add_co_u32_e32 v12, vcc, s20, v12
	v_addc_co_u32_e32 v11, vcc, v11, v23, vcc
	v_add_co_u32_e32 v14, vcc, s20, v14
	v_addc_co_u32_e32 v13, vcc, v13, v23, vcc
	v_add_co_u32_e32 v16, vcc, s20, v16
	v_addc_co_u32_e32 v15, vcc, v15, v23, vcc
	s_and_b64 vcc, exec, s[0:1]
	s_cbranch_vccnz .LBB26_25
.LBB26_9:                               ; =>This Inner Loop Header: Depth=1
	v_mov_b32_e32 v23, s15
	v_add_co_u32_e32 v24, vcc, s14, v0
	v_addc_co_u32_e32 v25, vcc, 0, v23, vcc
	v_cmp_gt_u64_e32 vcc, s[12:13], v[24:25]
	v_mov_b32_e32 v23, 0
	s_and_saveexec_b64 s[2:3], vcc
	s_cbranch_execz .LBB26_11
; %bb.10:                               ;   in Loop: Header=BB26_9 Depth=1
	v_mov_b32_e32 v23, s9
	v_add_co_u32_e64 v24, s[0:1], s8, v2
	v_addc_co_u32_e64 v25, s[0:1], v1, v23, s[0:1]
	global_load_ushort v23, v[24:25], off
.LBB26_11:                              ;   in Loop: Header=BB26_9 Depth=1
	s_or_b64 exec, exec, s[2:3]
	v_mov_b32_e32 v25, s15
	v_add_co_u32_e64 v24, s[0:1], s14, v21
	v_addc_co_u32_e64 v25, s[0:1], v22, v25, s[0:1]
	v_cmp_gt_u64_e64 s[0:1], s[12:13], v[24:25]
	v_mov_b32_e32 v25, 0
	s_and_saveexec_b64 s[4:5], s[0:1]
	s_cbranch_execz .LBB26_13
; %bb.12:                               ;   in Loop: Header=BB26_9 Depth=1
	v_mov_b32_e32 v25, s9
	v_add_co_u32_e64 v24, s[2:3], s8, v14
	v_addc_co_u32_e64 v25, s[2:3], v13, v25, s[2:3]
	global_load_ushort v25, v[24:25], off
.LBB26_13:                              ;   in Loop: Header=BB26_9 Depth=1
	s_or_b64 exec, exec, s[4:5]
	v_mov_b32_e32 v24, s15
	v_add_co_u32_e64 v26, s[2:3], s14, v19
	v_addc_co_u32_e64 v27, s[2:3], v20, v24, s[2:3]
	v_cmp_gt_u64_e64 s[2:3], s[12:13], v[26:27]
	v_mov_b32_e32 v24, 0
	v_mov_b32_e32 v26, 0
	s_and_saveexec_b64 s[6:7], s[2:3]
	s_cbranch_execz .LBB26_15
; %bb.14:                               ;   in Loop: Header=BB26_9 Depth=1
	v_mov_b32_e32 v27, s9
	v_add_co_u32_e64 v26, s[4:5], s8, v10
	v_addc_co_u32_e64 v27, s[4:5], v9, v27, s[4:5]
	global_load_ushort v26, v[26:27], off
.LBB26_15:                              ;   in Loop: Header=BB26_9 Depth=1
	s_or_b64 exec, exec, s[6:7]
	v_mov_b32_e32 v27, s15
	v_add_co_u32_e64 v28, s[4:5], s14, v17
	v_addc_co_u32_e64 v29, s[4:5], v18, v27, s[4:5]
	v_cmp_gt_u64_e64 s[4:5], s[12:13], v[28:29]
	s_and_saveexec_b64 s[16:17], s[4:5]
	s_cbranch_execnz .LBB26_20
; %bb.16:                               ;   in Loop: Header=BB26_9 Depth=1
	s_or_b64 exec, exec, s[16:17]
	s_and_saveexec_b64 s[6:7], vcc
	s_cbranch_execnz .LBB26_21
.LBB26_17:                              ;   in Loop: Header=BB26_9 Depth=1
	s_or_b64 exec, exec, s[6:7]
	s_and_saveexec_b64 s[6:7], s[0:1]
	s_cbranch_execnz .LBB26_22
.LBB26_18:                              ;   in Loop: Header=BB26_9 Depth=1
	s_or_b64 exec, exec, s[6:7]
	s_and_saveexec_b64 s[0:1], s[2:3]
	s_cbranch_execnz .LBB26_23
.LBB26_19:                              ;   in Loop: Header=BB26_9 Depth=1
	s_or_b64 exec, exec, s[0:1]
	s_and_saveexec_b64 s[0:1], s[4:5]
	s_cbranch_execz .LBB26_8
	s_branch .LBB26_24
.LBB26_20:                              ;   in Loop: Header=BB26_9 Depth=1
	v_mov_b32_e32 v24, s9
	v_add_co_u32_e64 v28, s[6:7], s8, v6
	v_addc_co_u32_e64 v29, s[6:7], v5, v24, s[6:7]
	global_load_ushort v24, v[28:29], off
	s_or_b64 exec, exec, s[16:17]
	s_and_saveexec_b64 s[6:7], vcc
	s_cbranch_execz .LBB26_17
.LBB26_21:                              ;   in Loop: Header=BB26_9 Depth=1
	v_mov_b32_e32 v27, s9
	v_add_co_u32_e32 v28, vcc, s8, v4
	v_addc_co_u32_e32 v29, vcc, v3, v27, vcc
	s_waitcnt vmcnt(0)
	v_floor_f16_e32 v23, v23
	global_store_short v[28:29], v23, off
	s_or_b64 exec, exec, s[6:7]
	s_and_saveexec_b64 s[6:7], s[0:1]
	s_cbranch_execz .LBB26_18
.LBB26_22:                              ;   in Loop: Header=BB26_9 Depth=1
	s_waitcnt vmcnt(0)
	v_floor_f16_e32 v23, v25
	v_mov_b32_e32 v25, s9
	v_add_co_u32_e32 v28, vcc, s8, v16
	v_addc_co_u32_e32 v29, vcc, v15, v25, vcc
	global_store_short v[28:29], v23, off
	s_or_b64 exec, exec, s[6:7]
	s_and_saveexec_b64 s[0:1], s[2:3]
	s_cbranch_execz .LBB26_19
.LBB26_23:                              ;   in Loop: Header=BB26_9 Depth=1
	s_waitcnt vmcnt(0)
	v_floor_f16_e32 v23, v26
	v_mov_b32_e32 v25, s9
	v_add_co_u32_e32 v26, vcc, s8, v12
	v_addc_co_u32_e32 v27, vcc, v11, v25, vcc
	global_store_short v[26:27], v23, off
	s_or_b64 exec, exec, s[0:1]
	s_and_saveexec_b64 s[0:1], s[4:5]
	s_cbranch_execz .LBB26_8
.LBB26_24:                              ;   in Loop: Header=BB26_9 Depth=1
	s_waitcnt vmcnt(0)
	v_floor_f16_e32 v23, v24
	v_mov_b32_e32 v25, s9
	v_add_co_u32_e32 v24, vcc, s8, v8
	v_addc_co_u32_e32 v25, vcc, v7, v25, vcc
	global_store_short v[24:25], v23, off
	s_branch .LBB26_8
.LBB26_25:
	s_endpgm
	.section	.rodata,"a",@progbits
	.p2align	6, 0x0
	.amdhsa_kernel _ZN2at6native12_GLOBAL__N_125multi_tensor_apply_kernelINS1_18TensorListMetadataILi2EEENS1_14UnaryOpFunctorIN3c104HalfELi2ELi1ELi1EEEJNS0_5FloorIfEEEEEvT_T0_DpT1_
		.amdhsa_group_segment_fixed_size 0
		.amdhsa_private_segment_fixed_size 0
		.amdhsa_kernarg_size 3408
		.amdhsa_user_sgpr_count 6
		.amdhsa_user_sgpr_private_segment_buffer 1
		.amdhsa_user_sgpr_dispatch_ptr 0
		.amdhsa_user_sgpr_queue_ptr 0
		.amdhsa_user_sgpr_kernarg_segment_ptr 1
		.amdhsa_user_sgpr_dispatch_id 0
		.amdhsa_user_sgpr_flat_scratch_init 0
		.amdhsa_user_sgpr_kernarg_preload_length 0
		.amdhsa_user_sgpr_kernarg_preload_offset 0
		.amdhsa_user_sgpr_private_segment_size 0
		.amdhsa_uses_dynamic_stack 0
		.amdhsa_system_sgpr_private_segment_wavefront_offset 0
		.amdhsa_system_sgpr_workgroup_id_x 1
		.amdhsa_system_sgpr_workgroup_id_y 0
		.amdhsa_system_sgpr_workgroup_id_z 0
		.amdhsa_system_sgpr_workgroup_info 0
		.amdhsa_system_vgpr_workitem_id 0
		.amdhsa_next_free_vgpr 30
		.amdhsa_next_free_sgpr 26
		.amdhsa_accum_offset 32
		.amdhsa_reserve_vcc 1
		.amdhsa_reserve_flat_scratch 0
		.amdhsa_float_round_mode_32 0
		.amdhsa_float_round_mode_16_64 0
		.amdhsa_float_denorm_mode_32 3
		.amdhsa_float_denorm_mode_16_64 3
		.amdhsa_dx10_clamp 1
		.amdhsa_ieee_mode 1
		.amdhsa_fp16_overflow 0
		.amdhsa_tg_split 0
		.amdhsa_exception_fp_ieee_invalid_op 0
		.amdhsa_exception_fp_denorm_src 0
		.amdhsa_exception_fp_ieee_div_zero 0
		.amdhsa_exception_fp_ieee_overflow 0
		.amdhsa_exception_fp_ieee_underflow 0
		.amdhsa_exception_fp_ieee_inexact 0
		.amdhsa_exception_int_div_zero 0
	.end_amdhsa_kernel
	.section	.text._ZN2at6native12_GLOBAL__N_125multi_tensor_apply_kernelINS1_18TensorListMetadataILi2EEENS1_14UnaryOpFunctorIN3c104HalfELi2ELi1ELi1EEEJNS0_5FloorIfEEEEEvT_T0_DpT1_,"axG",@progbits,_ZN2at6native12_GLOBAL__N_125multi_tensor_apply_kernelINS1_18TensorListMetadataILi2EEENS1_14UnaryOpFunctorIN3c104HalfELi2ELi1ELi1EEEJNS0_5FloorIfEEEEEvT_T0_DpT1_,comdat
.Lfunc_end26:
	.size	_ZN2at6native12_GLOBAL__N_125multi_tensor_apply_kernelINS1_18TensorListMetadataILi2EEENS1_14UnaryOpFunctorIN3c104HalfELi2ELi1ELi1EEEJNS0_5FloorIfEEEEEvT_T0_DpT1_, .Lfunc_end26-_ZN2at6native12_GLOBAL__N_125multi_tensor_apply_kernelINS1_18TensorListMetadataILi2EEENS1_14UnaryOpFunctorIN3c104HalfELi2ELi1ELi1EEEJNS0_5FloorIfEEEEEvT_T0_DpT1_
                                        ; -- End function
	.section	.AMDGPU.csdata,"",@progbits
; Kernel info:
; codeLenInByte = 1272
; NumSgprs: 30
; NumVgprs: 30
; NumAgprs: 0
; TotalNumVgprs: 30
; ScratchSize: 0
; MemoryBound: 0
; FloatMode: 240
; IeeeMode: 1
; LDSByteSize: 0 bytes/workgroup (compile time only)
; SGPRBlocks: 3
; VGPRBlocks: 3
; NumSGPRsForWavesPerEU: 30
; NumVGPRsForWavesPerEU: 30
; AccumOffset: 32
; Occupancy: 8
; WaveLimiterHint : 0
; COMPUTE_PGM_RSRC2:SCRATCH_EN: 0
; COMPUTE_PGM_RSRC2:USER_SGPR: 6
; COMPUTE_PGM_RSRC2:TRAP_HANDLER: 0
; COMPUTE_PGM_RSRC2:TGID_X_EN: 1
; COMPUTE_PGM_RSRC2:TGID_Y_EN: 0
; COMPUTE_PGM_RSRC2:TGID_Z_EN: 0
; COMPUTE_PGM_RSRC2:TIDIG_COMP_CNT: 0
; COMPUTE_PGM_RSRC3_GFX90A:ACCUM_OFFSET: 7
; COMPUTE_PGM_RSRC3_GFX90A:TG_SPLIT: 0
	.section	.text._ZN2at6native12_GLOBAL__N_125multi_tensor_apply_kernelINS1_18TensorListMetadataILi2EEENS1_14UnaryOpFunctorIN3c108BFloat16ELi2ELi1ELi1EEEJNS0_5FloorIfEEEEEvT_T0_DpT1_,"axG",@progbits,_ZN2at6native12_GLOBAL__N_125multi_tensor_apply_kernelINS1_18TensorListMetadataILi2EEENS1_14UnaryOpFunctorIN3c108BFloat16ELi2ELi1ELi1EEEJNS0_5FloorIfEEEEEvT_T0_DpT1_,comdat
	.globl	_ZN2at6native12_GLOBAL__N_125multi_tensor_apply_kernelINS1_18TensorListMetadataILi2EEENS1_14UnaryOpFunctorIN3c108BFloat16ELi2ELi1ELi1EEEJNS0_5FloorIfEEEEEvT_T0_DpT1_ ; -- Begin function _ZN2at6native12_GLOBAL__N_125multi_tensor_apply_kernelINS1_18TensorListMetadataILi2EEENS1_14UnaryOpFunctorIN3c108BFloat16ELi2ELi1ELi1EEEJNS0_5FloorIfEEEEEvT_T0_DpT1_
	.p2align	8
	.type	_ZN2at6native12_GLOBAL__N_125multi_tensor_apply_kernelINS1_18TensorListMetadataILi2EEENS1_14UnaryOpFunctorIN3c108BFloat16ELi2ELi1ELi1EEEJNS0_5FloorIfEEEEEvT_T0_DpT1_,@function
_ZN2at6native12_GLOBAL__N_125multi_tensor_apply_kernelINS1_18TensorListMetadataILi2EEENS1_14UnaryOpFunctorIN3c108BFloat16ELi2ELi1ELi1EEEJNS0_5FloorIfEEEEEvT_T0_DpT1_: ; @_ZN2at6native12_GLOBAL__N_125multi_tensor_apply_kernelINS1_18TensorListMetadataILi2EEENS1_14UnaryOpFunctorIN3c108BFloat16ELi2ELi1ELi1EEEJNS0_5FloorIfEEEEEvT_T0_DpT1_
; %bb.0:
	v_mov_b32_e32 v1, s6
	global_load_ubyte v1, v1, s[4:5] offset:1536
	s_add_u32 s0, s4, s6
	s_mul_hi_u32 s2, s6, 3
	s_mul_i32 s6, s6, 3
	s_addc_u32 s7, s5, 0
	s_add_u32 s8, s0, s6
	s_addc_u32 s9, s7, s2
	s_mov_b32 s1, 0
	s_mov_b32 s17, s1
	;; [unrolled: 1-line block ×3, first 2 shown]
	s_waitcnt vmcnt(0)
	v_readfirstlane_b32 s0, v1
	s_lshl_b32 s0, s0, 3
	s_load_dword s10, s[8:9], 0x740
	s_load_dwordx2 s[14:15], s[4:5], s0 offset:0x0
	s_load_dwordx2 s[12:13], s[4:5], s0 offset:0x400
	;; [unrolled: 1-line block ×3, first 2 shown]
	s_waitcnt lgkmcnt(0)
	s_ashr_i32 s11, s10, 31
	s_and_b32 s0, s14, 7
	s_and_b32 s16, s12, 3
	;; [unrolled: 1-line block ×3, first 2 shown]
	s_or_b64 s[16:17], s[0:1], s[16:17]
	s_lshl_b64 s[8:9], s[10:11], 17
	s_or_b64 s[2:3], s[2:3], s[16:17]
	s_lshl_b64 s[10:11], s[10:11], 16
	s_sub_u32 s10, s12, s10
	s_subb_u32 s11, s13, s11
	s_cmp_eq_u64 s[2:3], 0
	s_mov_b64 s[2:3], -1
	s_cbranch_scc0 .LBB27_5
; %bb.1:
	v_mov_b32_e32 v3, 0
	v_lshlrev_b32_e32 v2, 2, v0
	v_cmp_gt_i64_e32 vcc, s[10:11], v[2:3]
	s_and_saveexec_b64 s[12:13], vcc
	s_cbranch_execz .LBB27_4
; %bb.2:
	s_load_dword s0, s[4:5], 0xc5c
	v_lshlrev_b32_e32 v1, 3, v0
	v_mov_b32_e32 v2, s9
	v_add_co_u32_e32 v4, vcc, s8, v1
	s_waitcnt lgkmcnt(0)
	s_and_b32 s0, s0, 0xffff
	v_addc_co_u32_e32 v1, vcc, 0, v2, vcc
	s_lshl_b32 s20, s0, 3
	v_add_lshl_u32 v2, v0, s0, 2
	s_lshl_b32 s21, s0, 2
	s_mov_b64 s[16:17], 0
	v_mov_b32_e32 v5, s15
	s_movk_i32 s22, 0x7fff
	v_mov_b32_e32 v6, s7
	v_mov_b32_e32 v7, 0x7fc00000
	;; [unrolled: 1-line block ×3, first 2 shown]
	s_mov_b64 s[18:19], 0xffff
	v_mov_b32_e32 v9, s1
	v_mov_b32_e32 v10, s1
.LBB27_3:                               ; =>This Inner Loop Header: Depth=1
	v_add_co_u32_e32 v12, vcc, s14, v4
	v_addc_co_u32_e32 v13, vcc, v5, v1, vcc
	global_load_dwordx2 v[12:13], v[12:13], off
	v_add_co_u32_e32 v14, vcc, s6, v4
	v_addc_co_u32_e32 v15, vcc, v6, v1, vcc
	v_cmp_le_i64_e32 vcc, s[10:11], v[2:3]
	v_cmp_lt_u64_e64 s[0:1], s[18:19], v[2:3]
	v_add_co_u32_e64 v4, s[2:3], s20, v4
	v_addc_co_u32_e64 v1, s[2:3], v1, v9, s[2:3]
	s_or_b64 s[0:1], vcc, s[0:1]
	v_add_co_u32_e64 v2, s[2:3], s21, v2
	s_and_b64 s[0:1], exec, s[0:1]
	v_addc_co_u32_e64 v3, s[2:3], v3, v10, s[2:3]
	s_or_b64 s[16:17], s[0:1], s[16:17]
	s_waitcnt vmcnt(0)
	v_and_b32_e32 v11, 0xffff0000, v12
	v_lshlrev_b32_e32 v16, 16, v12
	v_alignbit_b32 v12, v13, v12, 16
	v_and_b32_e32 v13, 0xffff0000, v13
	v_floor_f32_e32 v16, v16
	v_floor_f32_e32 v11, v11
	v_and_b32_e32 v12, 0xffff0000, v12
	v_floor_f32_e32 v13, v13
	v_bfe_u32 v17, v16, 16, 1
	v_bfe_u32 v18, v11, 16, 1
	v_floor_f32_e32 v12, v12
	v_bfe_u32 v19, v13, 16, 1
	v_add3_u32 v17, v16, v17, s22
	v_add3_u32 v18, v11, v18, s22
	v_bfe_u32 v20, v12, 16, 1
	v_add3_u32 v19, v13, v19, s22
	v_lshrrev_b32_e32 v17, 16, v17
	v_and_b32_e32 v18, 0xffff0000, v18
	v_add3_u32 v20, v12, v20, s22
	v_cmp_o_f32_e32 vcc, v11, v11
	v_cmp_o_f32_e64 s[0:1], v16, v16
	v_and_b32_e32 v19, 0xffff0000, v19
	v_cmp_o_f32_e64 s[2:3], v13, v13
	v_lshrrev_b32_e32 v11, 16, v20
	v_cndmask_b32_e32 v16, v7, v18, vcc
	v_cndmask_b32_e64 v17, v8, v17, s[0:1]
	v_cmp_o_f32_e32 vcc, v12, v12
	v_cndmask_b32_e64 v13, v7, v19, s[2:3]
	v_cndmask_b32_e32 v11, v8, v11, vcc
	v_or_b32_e32 v12, v17, v16
	v_or3_b32 v13, 0, v11, v13
	v_or3_b32 v12, v12, 0, 0
	global_store_dwordx2 v[14:15], v[12:13], off
	s_andn2_b64 exec, exec, s[16:17]
	s_cbranch_execnz .LBB27_3
.LBB27_4:
	s_or_b64 exec, exec, s[12:13]
	s_mov_b64 s[2:3], 0
.LBB27_5:
	s_andn2_b64 vcc, exec, s[2:3]
	s_cbranch_vccnz .LBB27_25
; %bb.6:
	v_cmp_lt_i64_e64 s[0:1], s[10:11], 1
	s_and_b64 vcc, exec, s[0:1]
	s_cbranch_vccnz .LBB27_25
; %bb.7:
	s_load_dword s0, s[4:5], 0xc5c
	v_mov_b32_e32 v2, 0x10000
	v_mov_b32_e32 v3, 0
	v_cmp_lt_u64_e32 vcc, s[10:11], v[2:3]
	v_lshlrev_b32_e32 v10, 1, v0
	s_waitcnt lgkmcnt(0)
	s_and_b32 s2, s0, 0xffff
	s_and_b64 s[0:1], vcc, exec
	v_mov_b32_e32 v13, s15
	v_add_co_u32_e32 v2, vcc, s14, v10
	v_addc_co_u32_e32 v1, vcc, 0, v13, vcc
	v_mov_b32_e32 v11, 0
	v_mov_b32_e32 v15, s7
	v_add_co_u32_e32 v4, vcc, s6, v10
	v_addc_co_u32_e32 v3, vcc, 0, v15, vcc
	v_mad_u64_u32 v[8:9], s[0:1], s2, 6, v[10:11]
	v_add_co_u32_e32 v6, vcc, s14, v8
	v_addc_co_u32_e32 v5, vcc, v13, v9, vcc
	v_add_co_u32_e32 v8, vcc, s6, v8
	s_mul_i32 s4, s2, 3
	v_addc_co_u32_e32 v7, vcc, v15, v9, vcc
	s_cselect_b32 s13, s11, 0
	s_cselect_b32 s12, s10, 0x10000
	s_lshl_b32 s19, s2, 2
	v_add_co_u32_e32 v17, vcc, s4, v0
	v_addc_co_u32_e64 v18, s[0:1], 0, 0, vcc
	v_add_co_u32_e32 v11, vcc, s19, v10
	v_addc_co_u32_e64 v14, s[0:1], 0, 0, vcc
	v_add_co_u32_e32 v10, vcc, s14, v11
	v_addc_co_u32_e32 v9, vcc, v13, v14, vcc
	v_add_co_u32_e32 v12, vcc, s6, v11
	s_lshl_b32 s3, s2, 1
	v_addc_co_u32_e32 v11, vcc, v15, v14, vcc
	v_add_co_u32_e32 v19, vcc, s3, v0
	v_addc_co_u32_e64 v20, s[0:1], 0, 0, vcc
	v_add_co_u32_e32 v21, vcc, s2, v0
	v_lshlrev_b32_e32 v16, 1, v21
	v_addc_co_u32_e64 v22, s[0:1], 0, 0, vcc
	v_add_co_u32_e32 v14, vcc, s14, v16
	v_addc_co_u32_e32 v13, vcc, 0, v13, vcc
	v_add_co_u32_e32 v16, vcc, s6, v16
	s_mov_b32 s18, 0
	s_lshl_b32 s20, s2, 3
	v_addc_co_u32_e32 v15, vcc, 0, v15, vcc
	s_mov_b64 s[14:15], 0
	s_movk_i32 s21, 0x7fff
	v_mov_b32_e32 v23, 0x7fc0
	s_branch .LBB27_9
.LBB27_8:                               ;   in Loop: Header=BB27_9 Depth=1
	s_or_b64 exec, exec, s[0:1]
	s_add_u32 s14, s14, s19
	s_addc_u32 s15, s15, 0
	s_waitcnt vmcnt(0)
	v_pk_mov_b32 v[24:25], s[10:11], s[10:11] op_sel:[0,1]
	v_cmp_ge_i64_e32 vcc, s[14:15], v[24:25]
	v_mov_b32_e32 v24, 0xffff
	v_mov_b32_e32 v25, 0
	v_cmp_gt_u64_e64 s[0:1], s[14:15], v[24:25]
	s_or_b64 s[0:1], vcc, s[0:1]
	v_mov_b32_e32 v24, s18
	v_add_co_u32_e32 v2, vcc, s20, v2
	v_addc_co_u32_e32 v1, vcc, v1, v24, vcc
	v_add_co_u32_e32 v4, vcc, s20, v4
	v_addc_co_u32_e32 v3, vcc, v3, v24, vcc
	;; [unrolled: 2-line block ×8, first 2 shown]
	s_and_b64 vcc, exec, s[0:1]
	s_cbranch_vccnz .LBB27_25
.LBB27_9:                               ; =>This Inner Loop Header: Depth=1
	v_mov_b32_e32 v25, s15
	v_add_co_u32_e32 v24, vcc, s14, v0
	v_addc_co_u32_e32 v25, vcc, 0, v25, vcc
	v_cmp_gt_u64_e32 vcc, s[12:13], v[24:25]
	v_mov_b32_e32 v25, 0
	s_and_saveexec_b64 s[2:3], vcc
	s_cbranch_execz .LBB27_11
; %bb.10:                               ;   in Loop: Header=BB27_9 Depth=1
	v_mov_b32_e32 v25, s9
	v_add_co_u32_e64 v24, s[0:1], s8, v2
	v_addc_co_u32_e64 v25, s[0:1], v1, v25, s[0:1]
	global_load_ushort v25, v[24:25], off
.LBB27_11:                              ;   in Loop: Header=BB27_9 Depth=1
	s_or_b64 exec, exec, s[2:3]
	v_mov_b32_e32 v24, s15
	v_add_co_u32_e64 v26, s[0:1], s14, v21
	v_addc_co_u32_e64 v27, s[0:1], v22, v24, s[0:1]
	v_cmp_gt_u64_e64 s[0:1], s[12:13], v[26:27]
	v_mov_b32_e32 v26, 0
	s_and_saveexec_b64 s[4:5], s[0:1]
	s_cbranch_execz .LBB27_13
; %bb.12:                               ;   in Loop: Header=BB27_9 Depth=1
	v_mov_b32_e32 v24, s9
	v_add_co_u32_e64 v26, s[2:3], s8, v14
	v_addc_co_u32_e64 v27, s[2:3], v13, v24, s[2:3]
	global_load_ushort v26, v[26:27], off
.LBB27_13:                              ;   in Loop: Header=BB27_9 Depth=1
	s_or_b64 exec, exec, s[4:5]
	v_mov_b32_e32 v24, s15
	v_add_co_u32_e64 v28, s[2:3], s14, v19
	v_addc_co_u32_e64 v29, s[2:3], v20, v24, s[2:3]
	v_cmp_gt_u64_e64 s[2:3], s[12:13], v[28:29]
	v_mov_b32_e32 v24, 0
	v_mov_b32_e32 v27, 0
	s_and_saveexec_b64 s[6:7], s[2:3]
	s_cbranch_execz .LBB27_15
; %bb.14:                               ;   in Loop: Header=BB27_9 Depth=1
	v_mov_b32_e32 v27, s9
	v_add_co_u32_e64 v28, s[4:5], s8, v10
	v_addc_co_u32_e64 v29, s[4:5], v9, v27, s[4:5]
	global_load_ushort v27, v[28:29], off
.LBB27_15:                              ;   in Loop: Header=BB27_9 Depth=1
	s_or_b64 exec, exec, s[6:7]
	v_mov_b32_e32 v29, s15
	v_add_co_u32_e64 v28, s[4:5], s14, v17
	v_addc_co_u32_e64 v29, s[4:5], v18, v29, s[4:5]
	v_cmp_gt_u64_e64 s[4:5], s[12:13], v[28:29]
	s_and_saveexec_b64 s[16:17], s[4:5]
	s_cbranch_execnz .LBB27_20
; %bb.16:                               ;   in Loop: Header=BB27_9 Depth=1
	s_or_b64 exec, exec, s[16:17]
	s_and_saveexec_b64 s[6:7], vcc
	s_cbranch_execnz .LBB27_21
.LBB27_17:                              ;   in Loop: Header=BB27_9 Depth=1
	s_or_b64 exec, exec, s[6:7]
	s_and_saveexec_b64 s[6:7], s[0:1]
	s_cbranch_execnz .LBB27_22
.LBB27_18:                              ;   in Loop: Header=BB27_9 Depth=1
	s_or_b64 exec, exec, s[6:7]
	s_and_saveexec_b64 s[0:1], s[2:3]
	s_cbranch_execnz .LBB27_23
.LBB27_19:                              ;   in Loop: Header=BB27_9 Depth=1
	s_or_b64 exec, exec, s[0:1]
	s_and_saveexec_b64 s[0:1], s[4:5]
	s_cbranch_execz .LBB27_8
	s_branch .LBB27_24
.LBB27_20:                              ;   in Loop: Header=BB27_9 Depth=1
	v_mov_b32_e32 v24, s9
	v_add_co_u32_e64 v28, s[6:7], s8, v6
	v_addc_co_u32_e64 v29, s[6:7], v5, v24, s[6:7]
	global_load_ushort v24, v[28:29], off
	s_or_b64 exec, exec, s[16:17]
	s_and_saveexec_b64 s[6:7], vcc
	s_cbranch_execz .LBB27_17
.LBB27_21:                              ;   in Loop: Header=BB27_9 Depth=1
	s_waitcnt vmcnt(0)
	v_lshlrev_b32_e32 v25, 16, v25
	v_floor_f32_e32 v25, v25
	v_bfe_u32 v28, v25, 16, 1
	v_add3_u32 v28, v25, v28, s21
	v_lshrrev_b32_e32 v28, 16, v28
	v_cmp_o_f32_e32 vcc, v25, v25
	v_cndmask_b32_e32 v25, v23, v28, vcc
	v_mov_b32_e32 v29, s9
	v_add_co_u32_e32 v28, vcc, s8, v4
	v_addc_co_u32_e32 v29, vcc, v3, v29, vcc
	global_store_short v[28:29], v25, off
	s_or_b64 exec, exec, s[6:7]
	s_and_saveexec_b64 s[6:7], s[0:1]
	s_cbranch_execz .LBB27_18
.LBB27_22:                              ;   in Loop: Header=BB27_9 Depth=1
	s_waitcnt vmcnt(0)
	v_lshlrev_b32_e32 v25, 16, v26
	v_floor_f32_e32 v25, v25
	v_bfe_u32 v26, v25, 16, 1
	v_add3_u32 v26, v25, v26, s21
	v_lshrrev_b32_e32 v26, 16, v26
	v_cmp_o_f32_e32 vcc, v25, v25
	v_cndmask_b32_e32 v25, v23, v26, vcc
	v_mov_b32_e32 v26, s9
	v_add_co_u32_e32 v28, vcc, s8, v16
	v_addc_co_u32_e32 v29, vcc, v15, v26, vcc
	global_store_short v[28:29], v25, off
	s_or_b64 exec, exec, s[6:7]
	s_and_saveexec_b64 s[0:1], s[2:3]
	s_cbranch_execz .LBB27_19
.LBB27_23:                              ;   in Loop: Header=BB27_9 Depth=1
	s_waitcnt vmcnt(0)
	v_lshlrev_b32_e32 v25, 16, v27
	v_floor_f32_e32 v25, v25
	v_bfe_u32 v26, v25, 16, 1
	v_add3_u32 v26, v25, v26, s21
	v_lshrrev_b32_e32 v26, 16, v26
	v_cmp_o_f32_e32 vcc, v25, v25
	v_cndmask_b32_e32 v25, v23, v26, vcc
	v_mov_b32_e32 v27, s9
	v_add_co_u32_e32 v26, vcc, s8, v12
	v_addc_co_u32_e32 v27, vcc, v11, v27, vcc
	global_store_short v[26:27], v25, off
	s_or_b64 exec, exec, s[0:1]
	s_and_saveexec_b64 s[0:1], s[4:5]
	s_cbranch_execz .LBB27_8
.LBB27_24:                              ;   in Loop: Header=BB27_9 Depth=1
	s_waitcnt vmcnt(0)
	v_lshlrev_b32_e32 v24, 16, v24
	v_floor_f32_e32 v24, v24
	v_bfe_u32 v25, v24, 16, 1
	v_add3_u32 v25, v24, v25, s21
	v_lshrrev_b32_e32 v25, 16, v25
	v_cmp_o_f32_e32 vcc, v24, v24
	v_cndmask_b32_e32 v26, v23, v25, vcc
	v_mov_b32_e32 v25, s9
	v_add_co_u32_e32 v24, vcc, s8, v8
	v_addc_co_u32_e32 v25, vcc, v7, v25, vcc
	global_store_short v[24:25], v26, off
	s_branch .LBB27_8
.LBB27_25:
	s_endpgm
	.section	.rodata,"a",@progbits
	.p2align	6, 0x0
	.amdhsa_kernel _ZN2at6native12_GLOBAL__N_125multi_tensor_apply_kernelINS1_18TensorListMetadataILi2EEENS1_14UnaryOpFunctorIN3c108BFloat16ELi2ELi1ELi1EEEJNS0_5FloorIfEEEEEvT_T0_DpT1_
		.amdhsa_group_segment_fixed_size 0
		.amdhsa_private_segment_fixed_size 0
		.amdhsa_kernarg_size 3408
		.amdhsa_user_sgpr_count 6
		.amdhsa_user_sgpr_private_segment_buffer 1
		.amdhsa_user_sgpr_dispatch_ptr 0
		.amdhsa_user_sgpr_queue_ptr 0
		.amdhsa_user_sgpr_kernarg_segment_ptr 1
		.amdhsa_user_sgpr_dispatch_id 0
		.amdhsa_user_sgpr_flat_scratch_init 0
		.amdhsa_user_sgpr_kernarg_preload_length 0
		.amdhsa_user_sgpr_kernarg_preload_offset 0
		.amdhsa_user_sgpr_private_segment_size 0
		.amdhsa_uses_dynamic_stack 0
		.amdhsa_system_sgpr_private_segment_wavefront_offset 0
		.amdhsa_system_sgpr_workgroup_id_x 1
		.amdhsa_system_sgpr_workgroup_id_y 0
		.amdhsa_system_sgpr_workgroup_id_z 0
		.amdhsa_system_sgpr_workgroup_info 0
		.amdhsa_system_vgpr_workitem_id 0
		.amdhsa_next_free_vgpr 30
		.amdhsa_next_free_sgpr 23
		.amdhsa_accum_offset 32
		.amdhsa_reserve_vcc 1
		.amdhsa_reserve_flat_scratch 0
		.amdhsa_float_round_mode_32 0
		.amdhsa_float_round_mode_16_64 0
		.amdhsa_float_denorm_mode_32 3
		.amdhsa_float_denorm_mode_16_64 3
		.amdhsa_dx10_clamp 1
		.amdhsa_ieee_mode 1
		.amdhsa_fp16_overflow 0
		.amdhsa_tg_split 0
		.amdhsa_exception_fp_ieee_invalid_op 0
		.amdhsa_exception_fp_denorm_src 0
		.amdhsa_exception_fp_ieee_div_zero 0
		.amdhsa_exception_fp_ieee_overflow 0
		.amdhsa_exception_fp_ieee_underflow 0
		.amdhsa_exception_fp_ieee_inexact 0
		.amdhsa_exception_int_div_zero 0
	.end_amdhsa_kernel
	.section	.text._ZN2at6native12_GLOBAL__N_125multi_tensor_apply_kernelINS1_18TensorListMetadataILi2EEENS1_14UnaryOpFunctorIN3c108BFloat16ELi2ELi1ELi1EEEJNS0_5FloorIfEEEEEvT_T0_DpT1_,"axG",@progbits,_ZN2at6native12_GLOBAL__N_125multi_tensor_apply_kernelINS1_18TensorListMetadataILi2EEENS1_14UnaryOpFunctorIN3c108BFloat16ELi2ELi1ELi1EEEJNS0_5FloorIfEEEEEvT_T0_DpT1_,comdat
.Lfunc_end27:
	.size	_ZN2at6native12_GLOBAL__N_125multi_tensor_apply_kernelINS1_18TensorListMetadataILi2EEENS1_14UnaryOpFunctorIN3c108BFloat16ELi2ELi1ELi1EEEJNS0_5FloorIfEEEEEvT_T0_DpT1_, .Lfunc_end27-_ZN2at6native12_GLOBAL__N_125multi_tensor_apply_kernelINS1_18TensorListMetadataILi2EEENS1_14UnaryOpFunctorIN3c108BFloat16ELi2ELi1ELi1EEEJNS0_5FloorIfEEEEEvT_T0_DpT1_
                                        ; -- End function
	.section	.AMDGPU.csdata,"",@progbits
; Kernel info:
; codeLenInByte = 1588
; NumSgprs: 27
; NumVgprs: 30
; NumAgprs: 0
; TotalNumVgprs: 30
; ScratchSize: 0
; MemoryBound: 0
; FloatMode: 240
; IeeeMode: 1
; LDSByteSize: 0 bytes/workgroup (compile time only)
; SGPRBlocks: 3
; VGPRBlocks: 3
; NumSGPRsForWavesPerEU: 27
; NumVGPRsForWavesPerEU: 30
; AccumOffset: 32
; Occupancy: 8
; WaveLimiterHint : 0
; COMPUTE_PGM_RSRC2:SCRATCH_EN: 0
; COMPUTE_PGM_RSRC2:USER_SGPR: 6
; COMPUTE_PGM_RSRC2:TRAP_HANDLER: 0
; COMPUTE_PGM_RSRC2:TGID_X_EN: 1
; COMPUTE_PGM_RSRC2:TGID_Y_EN: 0
; COMPUTE_PGM_RSRC2:TGID_Z_EN: 0
; COMPUTE_PGM_RSRC2:TIDIG_COMP_CNT: 0
; COMPUTE_PGM_RSRC3_GFX90A:ACCUM_OFFSET: 7
; COMPUTE_PGM_RSRC3_GFX90A:TG_SPLIT: 0
	.section	.text._ZN2at6native12_GLOBAL__N_125multi_tensor_apply_kernelINS1_18TensorListMetadataILi1EEENS1_14UnaryOpFunctorIdLi1ELi1ELi0EEEJNS0_5FloorIdEEEEEvT_T0_DpT1_,"axG",@progbits,_ZN2at6native12_GLOBAL__N_125multi_tensor_apply_kernelINS1_18TensorListMetadataILi1EEENS1_14UnaryOpFunctorIdLi1ELi1ELi0EEEJNS0_5FloorIdEEEEEvT_T0_DpT1_,comdat
	.globl	_ZN2at6native12_GLOBAL__N_125multi_tensor_apply_kernelINS1_18TensorListMetadataILi1EEENS1_14UnaryOpFunctorIdLi1ELi1ELi0EEEJNS0_5FloorIdEEEEEvT_T0_DpT1_ ; -- Begin function _ZN2at6native12_GLOBAL__N_125multi_tensor_apply_kernelINS1_18TensorListMetadataILi1EEENS1_14UnaryOpFunctorIdLi1ELi1ELi0EEEJNS0_5FloorIdEEEEEvT_T0_DpT1_
	.p2align	8
	.type	_ZN2at6native12_GLOBAL__N_125multi_tensor_apply_kernelINS1_18TensorListMetadataILi1EEENS1_14UnaryOpFunctorIdLi1ELi1ELi0EEEJNS0_5FloorIdEEEEEvT_T0_DpT1_,@function
_ZN2at6native12_GLOBAL__N_125multi_tensor_apply_kernelINS1_18TensorListMetadataILi1EEENS1_14UnaryOpFunctorIdLi1ELi1ELi0EEEJNS0_5FloorIdEEEEEvT_T0_DpT1_: ; @_ZN2at6native12_GLOBAL__N_125multi_tensor_apply_kernelINS1_18TensorListMetadataILi1EEENS1_14UnaryOpFunctorIdLi1ELi1ELi0EEEJNS0_5FloorIdEEEEEvT_T0_DpT1_
; %bb.0:
	v_mov_b32_e32 v1, s6
	global_load_ubyte v1, v1, s[4:5] offset:1760
	s_add_u32 s0, s4, s6
	s_mul_hi_u32 s1, s6, 3
	s_mul_i32 s6, s6, 3
	s_addc_u32 s2, s5, 0
	s_add_u32 s0, s0, s6
	s_addc_u32 s1, s2, s1
	s_load_dword s0, s[0:1], 0x820
	s_mov_b32 s7, 0
	s_waitcnt vmcnt(0)
	v_readfirstlane_b32 s2, v1
	s_lshl_b32 s1, s2, 3
	s_load_dwordx2 s[2:3], s[4:5], s1 offset:0x370
	s_load_dwordx2 s[12:13], s[4:5], s1 offset:0x0
	s_waitcnt lgkmcnt(0)
	s_ashr_i32 s1, s0, 31
	s_lshl_b64 s[14:15], s[0:1], 19
	s_lshl_b64 s[0:1], s[0:1], 16
	s_and_b32 s6, s12, 31
	s_sub_u32 s10, s2, s0
	s_subb_u32 s11, s3, s1
	s_and_b32 s0, s2, 3
	s_mov_b32 s1, s7
	s_or_b64 s[0:1], s[6:7], s[0:1]
	s_cmp_eq_u64 s[0:1], 0
	s_cbranch_scc1 .LBB28_21
; %bb.1:
	v_cmp_lt_i64_e64 s[0:1], s[10:11], 1
	s_and_b64 vcc, exec, s[0:1]
	s_cbranch_vccnz .LBB28_20
; %bb.2:
	s_load_dword s0, s[4:5], 0xd3c
	v_mov_b32_e32 v2, 0x10000
	v_mov_b32_e32 v3, 0
	v_cmp_lt_u64_e32 vcc, s[10:11], v[2:3]
	v_lshlrev_b32_e32 v1, 3, v0
	s_waitcnt lgkmcnt(0)
	s_and_b32 s3, s0, 0xffff
	s_and_b64 s[0:1], vcc, exec
	s_cselect_b32 s17, s11, 0
	s_cselect_b32 s16, s10, 0x10000
	s_lshl_b32 s6, s3, 1
	s_lshl_b32 s22, s3, 2
	s_add_u32 s7, s12, s14
	s_addc_u32 s8, s13, s15
	v_mov_b32_e32 v5, s8
	v_add_co_u32_e32 v4, vcc, s7, v1
	s_mul_i32 s0, s3, 3
	v_addc_co_u32_e32 v5, vcc, 0, v5, vcc
	v_add_co_u32_e32 v1, vcc, s0, v0
	v_addc_co_u32_e64 v18, s[0:1], 0, 0, vcc
	v_add_co_u32_e32 v19, vcc, s6, v0
	v_addc_co_u32_e64 v20, s[0:1], 0, 0, vcc
	v_add_co_u32_e32 v21, vcc, s3, v0
	v_lshlrev_b32_e32 v6, 3, v21
	s_mov_b32 s2, 0
	v_addc_co_u32_e64 v22, s[0:1], 0, 0, vcc
	v_mov_b32_e32 v7, s8
	v_add_co_u32_e32 v6, vcc, s7, v6
	s_lshl_b32 s23, s3, 5
	s_mul_i32 s24, s3, 24
	s_mov_b32 s25, s2
	s_lshl_b32 s26, s3, 4
	s_mov_b32 s27, s2
	v_addc_co_u32_e32 v7, vcc, 0, v7, vcc
	s_mov_b64 s[18:19], 0
	v_pk_mov_b32 v[8:9], s[10:11], s[10:11] op_sel:[0,1]
	v_mov_b32_e32 v23, s2
	s_branch .LBB28_4
.LBB28_3:                               ;   in Loop: Header=BB28_4 Depth=1
	s_or_b64 exec, exec, s[0:1]
	s_add_u32 s18, s18, s22
	s_addc_u32 s19, s19, 0
	v_cmp_lt_i64_e32 vcc, s[18:19], v[8:9]
	v_cmp_lt_u64_e64 s[0:1], s[18:19], v[2:3]
	s_and_b64 s[0:1], vcc, s[0:1]
	v_add_co_u32_e32 v4, vcc, s23, v4
	v_addc_co_u32_e32 v5, vcc, v5, v23, vcc
	v_add_co_u32_e32 v6, vcc, s23, v6
	v_addc_co_u32_e32 v7, vcc, v7, v23, vcc
	s_and_b64 vcc, exec, s[0:1]
	s_cbranch_vccz .LBB28_20
.LBB28_4:                               ; =>This Inner Loop Header: Depth=1
	s_waitcnt vmcnt(0)
	v_mov_b32_e32 v11, s19
	v_add_co_u32_e32 v10, vcc, s18, v0
	v_addc_co_u32_e32 v11, vcc, 0, v11, vcc
	v_cmp_gt_u64_e32 vcc, s[16:17], v[10:11]
	v_pk_mov_b32 v[10:11], 0, 0
	v_pk_mov_b32 v[12:13], v[10:11], v[10:11] op_sel:[0,1]
	s_and_saveexec_b64 s[0:1], vcc
	s_cbranch_execz .LBB28_6
; %bb.5:                                ;   in Loop: Header=BB28_4 Depth=1
	global_load_dwordx2 v[12:13], v[4:5], off
.LBB28_6:                               ;   in Loop: Header=BB28_4 Depth=1
	s_or_b64 exec, exec, s[0:1]
	v_mov_b32_e32 v15, s19
	v_add_co_u32_e64 v14, s[0:1], s18, v21
	v_addc_co_u32_e64 v15, s[0:1], v22, v15, s[0:1]
	v_cmp_gt_u64_e64 s[0:1], s[16:17], v[14:15]
	s_and_saveexec_b64 s[2:3], s[0:1]
	s_cbranch_execz .LBB28_8
; %bb.7:                                ;   in Loop: Header=BB28_4 Depth=1
	global_load_dwordx2 v[10:11], v[6:7], off
.LBB28_8:                               ;   in Loop: Header=BB28_4 Depth=1
	s_or_b64 exec, exec, s[2:3]
	v_mov_b32_e32 v15, s19
	v_add_co_u32_e64 v14, s[2:3], s18, v19
	v_addc_co_u32_e64 v15, s[2:3], v20, v15, s[2:3]
	v_cmp_gt_u64_e64 s[2:3], s[16:17], v[14:15]
	v_pk_mov_b32 v[14:15], 0, 0
	v_pk_mov_b32 v[16:17], v[14:15], v[14:15] op_sel:[0,1]
	s_and_saveexec_b64 s[8:9], s[2:3]
	s_cbranch_execz .LBB28_10
; %bb.9:                                ;   in Loop: Header=BB28_4 Depth=1
	v_mov_b32_e32 v17, s27
	v_add_co_u32_e64 v16, s[6:7], s26, v4
	v_addc_co_u32_e64 v17, s[6:7], v5, v17, s[6:7]
	global_load_dwordx2 v[16:17], v[16:17], off
.LBB28_10:                              ;   in Loop: Header=BB28_4 Depth=1
	s_or_b64 exec, exec, s[8:9]
	v_mov_b32_e32 v25, s19
	v_add_co_u32_e64 v24, s[6:7], s18, v1
	v_addc_co_u32_e64 v25, s[6:7], v18, v25, s[6:7]
	v_cmp_gt_u64_e64 s[6:7], s[16:17], v[24:25]
	s_and_saveexec_b64 s[20:21], s[6:7]
	s_cbranch_execnz .LBB28_15
; %bb.11:                               ;   in Loop: Header=BB28_4 Depth=1
	s_or_b64 exec, exec, s[20:21]
	s_and_saveexec_b64 s[8:9], vcc
	s_cbranch_execnz .LBB28_16
.LBB28_12:                              ;   in Loop: Header=BB28_4 Depth=1
	s_or_b64 exec, exec, s[8:9]
	s_and_saveexec_b64 s[8:9], s[0:1]
	s_cbranch_execnz .LBB28_17
.LBB28_13:                              ;   in Loop: Header=BB28_4 Depth=1
	s_or_b64 exec, exec, s[8:9]
	s_and_saveexec_b64 s[0:1], s[2:3]
	s_cbranch_execnz .LBB28_18
.LBB28_14:                              ;   in Loop: Header=BB28_4 Depth=1
	s_or_b64 exec, exec, s[0:1]
	s_and_saveexec_b64 s[0:1], s[6:7]
	s_cbranch_execz .LBB28_3
	s_branch .LBB28_19
.LBB28_15:                              ;   in Loop: Header=BB28_4 Depth=1
	v_mov_b32_e32 v15, s25
	v_add_co_u32_e64 v14, s[8:9], s24, v4
	v_addc_co_u32_e64 v15, s[8:9], v5, v15, s[8:9]
	global_load_dwordx2 v[14:15], v[14:15], off
	s_or_b64 exec, exec, s[20:21]
	s_and_saveexec_b64 s[8:9], vcc
	s_cbranch_execz .LBB28_12
.LBB28_16:                              ;   in Loop: Header=BB28_4 Depth=1
	s_waitcnt vmcnt(0)
	v_floor_f64_e32 v[12:13], v[12:13]
	global_store_dwordx2 v[4:5], v[12:13], off
	s_or_b64 exec, exec, s[8:9]
	s_and_saveexec_b64 s[8:9], s[0:1]
	s_cbranch_execz .LBB28_13
.LBB28_17:                              ;   in Loop: Header=BB28_4 Depth=1
	s_waitcnt vmcnt(0)
	v_floor_f64_e32 v[10:11], v[10:11]
	global_store_dwordx2 v[6:7], v[10:11], off
	s_or_b64 exec, exec, s[8:9]
	s_and_saveexec_b64 s[0:1], s[2:3]
	s_cbranch_execz .LBB28_14
.LBB28_18:                              ;   in Loop: Header=BB28_4 Depth=1
	s_waitcnt vmcnt(0)
	v_mov_b32_e32 v13, s27
	v_add_co_u32_e32 v12, vcc, s26, v4
	v_floor_f64_e32 v[10:11], v[16:17]
	v_addc_co_u32_e32 v13, vcc, v5, v13, vcc
	global_store_dwordx2 v[12:13], v[10:11], off
	s_or_b64 exec, exec, s[0:1]
	s_and_saveexec_b64 s[0:1], s[6:7]
	s_cbranch_execz .LBB28_3
.LBB28_19:                              ;   in Loop: Header=BB28_4 Depth=1
	s_waitcnt vmcnt(0)
	v_mov_b32_e32 v13, s25
	v_add_co_u32_e32 v12, vcc, s24, v4
	v_floor_f64_e32 v[10:11], v[14:15]
	v_addc_co_u32_e32 v13, vcc, v5, v13, vcc
	global_store_dwordx2 v[12:13], v[10:11], off
	s_branch .LBB28_3
.LBB28_20:
	s_cbranch_execz .LBB28_22
	s_branch .LBB28_25
.LBB28_21:
.LBB28_22:
	v_mov_b32_e32 v3, 0
	v_lshlrev_b32_e32 v2, 2, v0
	s_mov_b32 s0, 0
	v_cmp_gt_i64_e32 vcc, s[10:11], v[2:3]
	s_and_saveexec_b64 s[2:3], vcc
	s_cbranch_execz .LBB28_25
; %bb.23:
	s_load_dword s1, s[4:5], 0xd3c
	v_lshlrev_b32_e32 v1, 5, v0
	s_mov_b64 s[4:5], 0
	s_mov_b64 s[6:7], 0xffff
	v_mov_b32_e32 v5, s0
	s_waitcnt lgkmcnt(0)
	s_and_b32 s1, s1, 0xffff
	s_lshl_b32 s8, s1, 2
	s_add_u32 s2, s12, s14
	s_addc_u32 s3, s13, s15
	v_add_lshl_u32 v2, v0, s1, 2
	v_mov_b32_e32 v0, s3
	v_add_co_u32_e32 v1, vcc, s2, v1
	v_addc_co_u32_e32 v4, vcc, 0, v0, vcc
	v_add_co_u32_e32 v0, vcc, 16, v1
	v_addc_co_u32_e32 v1, vcc, 0, v4, vcc
	s_lshl_b32 s9, s1, 5
	v_mov_b32_e32 v4, s0
.LBB28_24:                              ; =>This Inner Loop Header: Depth=1
	global_load_dwordx4 v[6:9], v[0:1], off offset:-16
	global_load_dwordx4 v[10:13], v[0:1], off
	v_cmp_le_i64_e32 vcc, s[10:11], v[2:3]
	v_cmp_lt_u64_e64 s[0:1], s[6:7], v[2:3]
	s_or_b64 s[0:1], vcc, s[0:1]
	v_add_co_u32_e64 v2, s[2:3], s8, v2
	s_and_b64 s[0:1], exec, s[0:1]
	v_addc_co_u32_e64 v3, s[2:3], v3, v4, s[2:3]
	s_or_b64 s[4:5], s[0:1], s[4:5]
	s_waitcnt vmcnt(1)
	v_floor_f64_e32 v[6:7], v[6:7]
	v_floor_f64_e32 v[8:9], v[8:9]
	s_waitcnt vmcnt(0)
	v_floor_f64_e32 v[10:11], v[10:11]
	v_floor_f64_e32 v[12:13], v[12:13]
	global_store_dwordx4 v[0:1], v[6:9], off offset:-16
	global_store_dwordx4 v[0:1], v[10:13], off
	v_add_co_u32_e32 v0, vcc, s9, v0
	v_addc_co_u32_e32 v1, vcc, v1, v5, vcc
	s_andn2_b64 exec, exec, s[4:5]
	s_cbranch_execnz .LBB28_24
.LBB28_25:
	s_endpgm
	.section	.rodata,"a",@progbits
	.p2align	6, 0x0
	.amdhsa_kernel _ZN2at6native12_GLOBAL__N_125multi_tensor_apply_kernelINS1_18TensorListMetadataILi1EEENS1_14UnaryOpFunctorIdLi1ELi1ELi0EEEJNS0_5FloorIdEEEEEvT_T0_DpT1_
		.amdhsa_group_segment_fixed_size 0
		.amdhsa_private_segment_fixed_size 0
		.amdhsa_kernarg_size 3632
		.amdhsa_user_sgpr_count 6
		.amdhsa_user_sgpr_private_segment_buffer 1
		.amdhsa_user_sgpr_dispatch_ptr 0
		.amdhsa_user_sgpr_queue_ptr 0
		.amdhsa_user_sgpr_kernarg_segment_ptr 1
		.amdhsa_user_sgpr_dispatch_id 0
		.amdhsa_user_sgpr_flat_scratch_init 0
		.amdhsa_user_sgpr_kernarg_preload_length 0
		.amdhsa_user_sgpr_kernarg_preload_offset 0
		.amdhsa_user_sgpr_private_segment_size 0
		.amdhsa_uses_dynamic_stack 0
		.amdhsa_system_sgpr_private_segment_wavefront_offset 0
		.amdhsa_system_sgpr_workgroup_id_x 1
		.amdhsa_system_sgpr_workgroup_id_y 0
		.amdhsa_system_sgpr_workgroup_id_z 0
		.amdhsa_system_sgpr_workgroup_info 0
		.amdhsa_system_vgpr_workitem_id 0
		.amdhsa_next_free_vgpr 26
		.amdhsa_next_free_sgpr 28
		.amdhsa_accum_offset 28
		.amdhsa_reserve_vcc 1
		.amdhsa_reserve_flat_scratch 0
		.amdhsa_float_round_mode_32 0
		.amdhsa_float_round_mode_16_64 0
		.amdhsa_float_denorm_mode_32 3
		.amdhsa_float_denorm_mode_16_64 3
		.amdhsa_dx10_clamp 1
		.amdhsa_ieee_mode 1
		.amdhsa_fp16_overflow 0
		.amdhsa_tg_split 0
		.amdhsa_exception_fp_ieee_invalid_op 0
		.amdhsa_exception_fp_denorm_src 0
		.amdhsa_exception_fp_ieee_div_zero 0
		.amdhsa_exception_fp_ieee_overflow 0
		.amdhsa_exception_fp_ieee_underflow 0
		.amdhsa_exception_fp_ieee_inexact 0
		.amdhsa_exception_int_div_zero 0
	.end_amdhsa_kernel
	.section	.text._ZN2at6native12_GLOBAL__N_125multi_tensor_apply_kernelINS1_18TensorListMetadataILi1EEENS1_14UnaryOpFunctorIdLi1ELi1ELi0EEEJNS0_5FloorIdEEEEEvT_T0_DpT1_,"axG",@progbits,_ZN2at6native12_GLOBAL__N_125multi_tensor_apply_kernelINS1_18TensorListMetadataILi1EEENS1_14UnaryOpFunctorIdLi1ELi1ELi0EEEJNS0_5FloorIdEEEEEvT_T0_DpT1_,comdat
.Lfunc_end28:
	.size	_ZN2at6native12_GLOBAL__N_125multi_tensor_apply_kernelINS1_18TensorListMetadataILi1EEENS1_14UnaryOpFunctorIdLi1ELi1ELi0EEEJNS0_5FloorIdEEEEEvT_T0_DpT1_, .Lfunc_end28-_ZN2at6native12_GLOBAL__N_125multi_tensor_apply_kernelINS1_18TensorListMetadataILi1EEENS1_14UnaryOpFunctorIdLi1ELi1ELi0EEEJNS0_5FloorIdEEEEEvT_T0_DpT1_
                                        ; -- End function
	.section	.AMDGPU.csdata,"",@progbits
; Kernel info:
; codeLenInByte = 1056
; NumSgprs: 32
; NumVgprs: 26
; NumAgprs: 0
; TotalNumVgprs: 26
; ScratchSize: 0
; MemoryBound: 0
; FloatMode: 240
; IeeeMode: 1
; LDSByteSize: 0 bytes/workgroup (compile time only)
; SGPRBlocks: 3
; VGPRBlocks: 3
; NumSGPRsForWavesPerEU: 32
; NumVGPRsForWavesPerEU: 26
; AccumOffset: 28
; Occupancy: 8
; WaveLimiterHint : 0
; COMPUTE_PGM_RSRC2:SCRATCH_EN: 0
; COMPUTE_PGM_RSRC2:USER_SGPR: 6
; COMPUTE_PGM_RSRC2:TRAP_HANDLER: 0
; COMPUTE_PGM_RSRC2:TGID_X_EN: 1
; COMPUTE_PGM_RSRC2:TGID_Y_EN: 0
; COMPUTE_PGM_RSRC2:TGID_Z_EN: 0
; COMPUTE_PGM_RSRC2:TIDIG_COMP_CNT: 0
; COMPUTE_PGM_RSRC3_GFX90A:ACCUM_OFFSET: 6
; COMPUTE_PGM_RSRC3_GFX90A:TG_SPLIT: 0
	.section	.text._ZN2at6native12_GLOBAL__N_125multi_tensor_apply_kernelINS1_18TensorListMetadataILi1EEENS1_14UnaryOpFunctorIfLi1ELi1ELi0EEEJNS0_5FloorIfEEEEEvT_T0_DpT1_,"axG",@progbits,_ZN2at6native12_GLOBAL__N_125multi_tensor_apply_kernelINS1_18TensorListMetadataILi1EEENS1_14UnaryOpFunctorIfLi1ELi1ELi0EEEJNS0_5FloorIfEEEEEvT_T0_DpT1_,comdat
	.globl	_ZN2at6native12_GLOBAL__N_125multi_tensor_apply_kernelINS1_18TensorListMetadataILi1EEENS1_14UnaryOpFunctorIfLi1ELi1ELi0EEEJNS0_5FloorIfEEEEEvT_T0_DpT1_ ; -- Begin function _ZN2at6native12_GLOBAL__N_125multi_tensor_apply_kernelINS1_18TensorListMetadataILi1EEENS1_14UnaryOpFunctorIfLi1ELi1ELi0EEEJNS0_5FloorIfEEEEEvT_T0_DpT1_
	.p2align	8
	.type	_ZN2at6native12_GLOBAL__N_125multi_tensor_apply_kernelINS1_18TensorListMetadataILi1EEENS1_14UnaryOpFunctorIfLi1ELi1ELi0EEEJNS0_5FloorIfEEEEEvT_T0_DpT1_,@function
_ZN2at6native12_GLOBAL__N_125multi_tensor_apply_kernelINS1_18TensorListMetadataILi1EEENS1_14UnaryOpFunctorIfLi1ELi1ELi0EEEJNS0_5FloorIfEEEEEvT_T0_DpT1_: ; @_ZN2at6native12_GLOBAL__N_125multi_tensor_apply_kernelINS1_18TensorListMetadataILi1EEENS1_14UnaryOpFunctorIfLi1ELi1ELi0EEEJNS0_5FloorIfEEEEEvT_T0_DpT1_
; %bb.0:
	v_mov_b32_e32 v1, s6
	global_load_ubyte v1, v1, s[4:5] offset:1760
	s_add_u32 s0, s4, s6
	s_mul_hi_u32 s1, s6, 3
	s_mul_i32 s6, s6, 3
	s_addc_u32 s2, s5, 0
	s_add_u32 s0, s0, s6
	s_addc_u32 s1, s2, s1
	s_load_dword s0, s[0:1], 0x820
	s_mov_b32 s7, 0
	s_waitcnt vmcnt(0)
	v_readfirstlane_b32 s2, v1
	s_lshl_b32 s1, s2, 3
	s_load_dwordx2 s[2:3], s[4:5], s1 offset:0x370
	s_load_dwordx2 s[12:13], s[4:5], s1 offset:0x0
	s_waitcnt lgkmcnt(0)
	s_ashr_i32 s1, s0, 31
	s_lshl_b64 s[14:15], s[0:1], 18
	s_lshl_b64 s[0:1], s[0:1], 16
	s_and_b32 s6, s12, 15
	s_sub_u32 s10, s2, s0
	s_subb_u32 s11, s3, s1
	s_and_b32 s0, s2, 3
	s_mov_b32 s1, s7
	s_or_b64 s[0:1], s[6:7], s[0:1]
	s_cmp_eq_u64 s[0:1], 0
	s_cbranch_scc1 .LBB29_21
; %bb.1:
	v_cmp_lt_i64_e64 s[0:1], s[10:11], 1
	s_and_b64 vcc, exec, s[0:1]
	s_cbranch_vccnz .LBB29_20
; %bb.2:
	s_load_dword s0, s[4:5], 0xd3c
	v_mov_b32_e32 v2, 0x10000
	v_mov_b32_e32 v3, 0
	v_cmp_lt_u64_e32 vcc, s[10:11], v[2:3]
	v_lshlrev_b32_e32 v1, 2, v0
	s_waitcnt lgkmcnt(0)
	s_and_b32 s3, s0, 0xffff
	s_and_b64 s[0:1], vcc, exec
	s_cselect_b32 s17, s11, 0
	s_cselect_b32 s16, s10, 0x10000
	s_lshl_b32 s6, s3, 1
	s_lshl_b32 s22, s3, 2
	s_add_u32 s7, s12, s14
	s_addc_u32 s8, s13, s15
	v_mov_b32_e32 v5, s8
	v_add_co_u32_e32 v4, vcc, s7, v1
	s_mul_i32 s0, s3, 3
	v_addc_co_u32_e32 v5, vcc, 0, v5, vcc
	v_add_co_u32_e32 v1, vcc, s0, v0
	v_addc_co_u32_e64 v10, s[0:1], 0, 0, vcc
	v_add_co_u32_e32 v11, vcc, s6, v0
	v_addc_co_u32_e64 v12, s[0:1], 0, 0, vcc
	v_add_co_u32_e32 v13, vcc, s3, v0
	v_lshlrev_b32_e32 v6, 2, v13
	s_mov_b32 s2, 0
	v_addc_co_u32_e64 v14, s[0:1], 0, 0, vcc
	v_mov_b32_e32 v7, s8
	v_add_co_u32_e32 v6, vcc, s7, v6
	s_lshl_b32 s23, s3, 4
	s_mul_i32 s24, s3, 12
	s_mov_b32 s25, s2
	s_lshl_b32 s26, s3, 3
	s_mov_b32 s27, s2
	v_addc_co_u32_e32 v7, vcc, 0, v7, vcc
	s_mov_b64 s[18:19], 0
	v_pk_mov_b32 v[8:9], s[10:11], s[10:11] op_sel:[0,1]
	v_mov_b32_e32 v15, s2
	s_branch .LBB29_4
.LBB29_3:                               ;   in Loop: Header=BB29_4 Depth=1
	s_or_b64 exec, exec, s[0:1]
	s_add_u32 s18, s18, s22
	s_addc_u32 s19, s19, 0
	v_cmp_lt_i64_e32 vcc, s[18:19], v[8:9]
	v_cmp_lt_u64_e64 s[0:1], s[18:19], v[2:3]
	s_and_b64 s[0:1], vcc, s[0:1]
	v_add_co_u32_e32 v4, vcc, s23, v4
	v_addc_co_u32_e32 v5, vcc, v5, v15, vcc
	v_add_co_u32_e32 v6, vcc, s23, v6
	v_addc_co_u32_e32 v7, vcc, v7, v15, vcc
	s_and_b64 vcc, exec, s[0:1]
	s_cbranch_vccz .LBB29_20
.LBB29_4:                               ; =>This Inner Loop Header: Depth=1
	s_waitcnt vmcnt(0)
	v_mov_b32_e32 v17, s19
	v_add_co_u32_e32 v16, vcc, s18, v0
	v_addc_co_u32_e32 v17, vcc, 0, v17, vcc
	v_cmp_gt_u64_e32 vcc, s[16:17], v[16:17]
	v_mov_b32_e32 v16, 0
	s_and_saveexec_b64 s[0:1], vcc
	s_cbranch_execz .LBB29_6
; %bb.5:                                ;   in Loop: Header=BB29_4 Depth=1
	global_load_dword v16, v[4:5], off
.LBB29_6:                               ;   in Loop: Header=BB29_4 Depth=1
	s_or_b64 exec, exec, s[0:1]
	v_mov_b32_e32 v17, s19
	v_add_co_u32_e64 v18, s[0:1], s18, v13
	v_addc_co_u32_e64 v19, s[0:1], v14, v17, s[0:1]
	v_cmp_gt_u64_e64 s[0:1], s[16:17], v[18:19]
	v_mov_b32_e32 v18, 0
	s_and_saveexec_b64 s[2:3], s[0:1]
	s_cbranch_execz .LBB29_8
; %bb.7:                                ;   in Loop: Header=BB29_4 Depth=1
	global_load_dword v18, v[6:7], off
.LBB29_8:                               ;   in Loop: Header=BB29_4 Depth=1
	s_or_b64 exec, exec, s[2:3]
	v_mov_b32_e32 v17, s19
	v_add_co_u32_e64 v20, s[2:3], s18, v11
	v_addc_co_u32_e64 v21, s[2:3], v12, v17, s[2:3]
	v_cmp_gt_u64_e64 s[2:3], s[16:17], v[20:21]
	v_mov_b32_e32 v17, 0
	v_mov_b32_e32 v19, 0
	s_and_saveexec_b64 s[8:9], s[2:3]
	s_cbranch_execz .LBB29_10
; %bb.9:                                ;   in Loop: Header=BB29_4 Depth=1
	v_mov_b32_e32 v19, s27
	v_add_co_u32_e64 v20, s[6:7], s26, v4
	v_addc_co_u32_e64 v21, s[6:7], v5, v19, s[6:7]
	global_load_dword v19, v[20:21], off
.LBB29_10:                              ;   in Loop: Header=BB29_4 Depth=1
	s_or_b64 exec, exec, s[8:9]
	v_mov_b32_e32 v21, s19
	v_add_co_u32_e64 v20, s[6:7], s18, v1
	v_addc_co_u32_e64 v21, s[6:7], v10, v21, s[6:7]
	v_cmp_gt_u64_e64 s[6:7], s[16:17], v[20:21]
	s_and_saveexec_b64 s[20:21], s[6:7]
	s_cbranch_execnz .LBB29_15
; %bb.11:                               ;   in Loop: Header=BB29_4 Depth=1
	s_or_b64 exec, exec, s[20:21]
	s_and_saveexec_b64 s[8:9], vcc
	s_cbranch_execnz .LBB29_16
.LBB29_12:                              ;   in Loop: Header=BB29_4 Depth=1
	s_or_b64 exec, exec, s[8:9]
	s_and_saveexec_b64 s[8:9], s[0:1]
	s_cbranch_execnz .LBB29_17
.LBB29_13:                              ;   in Loop: Header=BB29_4 Depth=1
	s_or_b64 exec, exec, s[8:9]
	s_and_saveexec_b64 s[0:1], s[2:3]
	s_cbranch_execnz .LBB29_18
.LBB29_14:                              ;   in Loop: Header=BB29_4 Depth=1
	s_or_b64 exec, exec, s[0:1]
	s_and_saveexec_b64 s[0:1], s[6:7]
	s_cbranch_execz .LBB29_3
	s_branch .LBB29_19
.LBB29_15:                              ;   in Loop: Header=BB29_4 Depth=1
	v_mov_b32_e32 v17, s25
	v_add_co_u32_e64 v20, s[8:9], s24, v4
	v_addc_co_u32_e64 v21, s[8:9], v5, v17, s[8:9]
	global_load_dword v17, v[20:21], off
	s_or_b64 exec, exec, s[20:21]
	s_and_saveexec_b64 s[8:9], vcc
	s_cbranch_execz .LBB29_12
.LBB29_16:                              ;   in Loop: Header=BB29_4 Depth=1
	s_waitcnt vmcnt(0)
	v_floor_f32_e32 v16, v16
	global_store_dword v[4:5], v16, off
	s_or_b64 exec, exec, s[8:9]
	s_and_saveexec_b64 s[8:9], s[0:1]
	s_cbranch_execz .LBB29_13
.LBB29_17:                              ;   in Loop: Header=BB29_4 Depth=1
	s_waitcnt vmcnt(0)
	v_floor_f32_e32 v16, v18
	global_store_dword v[6:7], v16, off
	s_or_b64 exec, exec, s[8:9]
	s_and_saveexec_b64 s[0:1], s[2:3]
	s_cbranch_execz .LBB29_14
.LBB29_18:                              ;   in Loop: Header=BB29_4 Depth=1
	s_waitcnt vmcnt(0)
	v_floor_f32_e32 v16, v19
	v_mov_b32_e32 v19, s27
	v_add_co_u32_e32 v18, vcc, s26, v4
	v_addc_co_u32_e32 v19, vcc, v5, v19, vcc
	global_store_dword v[18:19], v16, off
	s_or_b64 exec, exec, s[0:1]
	s_and_saveexec_b64 s[0:1], s[6:7]
	s_cbranch_execz .LBB29_3
.LBB29_19:                              ;   in Loop: Header=BB29_4 Depth=1
	s_waitcnt vmcnt(0)
	v_floor_f32_e32 v18, v17
	v_mov_b32_e32 v17, s25
	v_add_co_u32_e32 v16, vcc, s24, v4
	v_addc_co_u32_e32 v17, vcc, v5, v17, vcc
	global_store_dword v[16:17], v18, off
	s_branch .LBB29_3
.LBB29_20:
	s_cbranch_execz .LBB29_22
	s_branch .LBB29_25
.LBB29_21:
.LBB29_22:
	v_mov_b32_e32 v3, 0
	v_lshlrev_b32_e32 v2, 2, v0
	s_mov_b32 s0, 0
	v_cmp_gt_i64_e32 vcc, s[10:11], v[2:3]
	s_and_saveexec_b64 s[2:3], vcc
	s_cbranch_execz .LBB29_25
; %bb.23:
	s_load_dword s1, s[4:5], 0xd3c
	v_lshlrev_b32_e32 v1, 4, v0
	s_mov_b64 s[4:5], 0xffff
	s_waitcnt lgkmcnt(0)
	s_and_b32 s1, s1, 0xffff
	s_add_u32 s2, s12, s14
	s_addc_u32 s3, s13, s15
	v_mov_b32_e32 v2, s3
	v_add_co_u32_e32 v1, vcc, s2, v1
	v_addc_co_u32_e32 v2, vcc, 0, v2, vcc
	v_add_co_u32_e32 v4, vcc, 8, v1
	v_addc_co_u32_e32 v5, vcc, 0, v2, vcc
	s_lshl_b32 s6, s1, 4
	v_add_lshl_u32 v2, v0, s1, 2
	s_lshl_b32 s7, s1, 2
	s_mov_b64 s[2:3], 0
	v_mov_b32_e32 v0, s0
	v_mov_b32_e32 v1, s0
.LBB29_24:                              ; =>This Inner Loop Header: Depth=1
	global_load_dwordx4 v[6:9], v[4:5], off offset:-8
	v_cmp_le_i64_e32 vcc, s[10:11], v[2:3]
	v_cmp_lt_u64_e64 s[0:1], s[4:5], v[2:3]
	s_or_b64 s[0:1], vcc, s[0:1]
	s_and_b64 s[0:1], exec, s[0:1]
	s_or_b64 s[2:3], s[0:1], s[2:3]
	s_waitcnt vmcnt(0)
	v_floor_f32_e32 v7, v7
	v_floor_f32_e32 v6, v6
	;; [unrolled: 1-line block ×4, first 2 shown]
	global_store_dwordx4 v[4:5], v[6:9], off offset:-8
	v_add_co_u32_e32 v4, vcc, s6, v4
	v_addc_co_u32_e32 v5, vcc, v5, v0, vcc
	v_add_co_u32_e32 v2, vcc, s7, v2
	v_addc_co_u32_e32 v3, vcc, v3, v1, vcc
	s_andn2_b64 exec, exec, s[2:3]
	s_cbranch_execnz .LBB29_24
.LBB29_25:
	s_endpgm
	.section	.rodata,"a",@progbits
	.p2align	6, 0x0
	.amdhsa_kernel _ZN2at6native12_GLOBAL__N_125multi_tensor_apply_kernelINS1_18TensorListMetadataILi1EEENS1_14UnaryOpFunctorIfLi1ELi1ELi0EEEJNS0_5FloorIfEEEEEvT_T0_DpT1_
		.amdhsa_group_segment_fixed_size 0
		.amdhsa_private_segment_fixed_size 0
		.amdhsa_kernarg_size 3632
		.amdhsa_user_sgpr_count 6
		.amdhsa_user_sgpr_private_segment_buffer 1
		.amdhsa_user_sgpr_dispatch_ptr 0
		.amdhsa_user_sgpr_queue_ptr 0
		.amdhsa_user_sgpr_kernarg_segment_ptr 1
		.amdhsa_user_sgpr_dispatch_id 0
		.amdhsa_user_sgpr_flat_scratch_init 0
		.amdhsa_user_sgpr_kernarg_preload_length 0
		.amdhsa_user_sgpr_kernarg_preload_offset 0
		.amdhsa_user_sgpr_private_segment_size 0
		.amdhsa_uses_dynamic_stack 0
		.amdhsa_system_sgpr_private_segment_wavefront_offset 0
		.amdhsa_system_sgpr_workgroup_id_x 1
		.amdhsa_system_sgpr_workgroup_id_y 0
		.amdhsa_system_sgpr_workgroup_id_z 0
		.amdhsa_system_sgpr_workgroup_info 0
		.amdhsa_system_vgpr_workitem_id 0
		.amdhsa_next_free_vgpr 22
		.amdhsa_next_free_sgpr 28
		.amdhsa_accum_offset 24
		.amdhsa_reserve_vcc 1
		.amdhsa_reserve_flat_scratch 0
		.amdhsa_float_round_mode_32 0
		.amdhsa_float_round_mode_16_64 0
		.amdhsa_float_denorm_mode_32 3
		.amdhsa_float_denorm_mode_16_64 3
		.amdhsa_dx10_clamp 1
		.amdhsa_ieee_mode 1
		.amdhsa_fp16_overflow 0
		.amdhsa_tg_split 0
		.amdhsa_exception_fp_ieee_invalid_op 0
		.amdhsa_exception_fp_denorm_src 0
		.amdhsa_exception_fp_ieee_div_zero 0
		.amdhsa_exception_fp_ieee_overflow 0
		.amdhsa_exception_fp_ieee_underflow 0
		.amdhsa_exception_fp_ieee_inexact 0
		.amdhsa_exception_int_div_zero 0
	.end_amdhsa_kernel
	.section	.text._ZN2at6native12_GLOBAL__N_125multi_tensor_apply_kernelINS1_18TensorListMetadataILi1EEENS1_14UnaryOpFunctorIfLi1ELi1ELi0EEEJNS0_5FloorIfEEEEEvT_T0_DpT1_,"axG",@progbits,_ZN2at6native12_GLOBAL__N_125multi_tensor_apply_kernelINS1_18TensorListMetadataILi1EEENS1_14UnaryOpFunctorIfLi1ELi1ELi0EEEJNS0_5FloorIfEEEEEvT_T0_DpT1_,comdat
.Lfunc_end29:
	.size	_ZN2at6native12_GLOBAL__N_125multi_tensor_apply_kernelINS1_18TensorListMetadataILi1EEENS1_14UnaryOpFunctorIfLi1ELi1ELi0EEEJNS0_5FloorIfEEEEEvT_T0_DpT1_, .Lfunc_end29-_ZN2at6native12_GLOBAL__N_125multi_tensor_apply_kernelINS1_18TensorListMetadataILi1EEENS1_14UnaryOpFunctorIfLi1ELi1ELi0EEEJNS0_5FloorIfEEEEEvT_T0_DpT1_
                                        ; -- End function
	.section	.AMDGPU.csdata,"",@progbits
; Kernel info:
; codeLenInByte = 1012
; NumSgprs: 32
; NumVgprs: 22
; NumAgprs: 0
; TotalNumVgprs: 22
; ScratchSize: 0
; MemoryBound: 0
; FloatMode: 240
; IeeeMode: 1
; LDSByteSize: 0 bytes/workgroup (compile time only)
; SGPRBlocks: 3
; VGPRBlocks: 2
; NumSGPRsForWavesPerEU: 32
; NumVGPRsForWavesPerEU: 22
; AccumOffset: 24
; Occupancy: 8
; WaveLimiterHint : 0
; COMPUTE_PGM_RSRC2:SCRATCH_EN: 0
; COMPUTE_PGM_RSRC2:USER_SGPR: 6
; COMPUTE_PGM_RSRC2:TRAP_HANDLER: 0
; COMPUTE_PGM_RSRC2:TGID_X_EN: 1
; COMPUTE_PGM_RSRC2:TGID_Y_EN: 0
; COMPUTE_PGM_RSRC2:TGID_Z_EN: 0
; COMPUTE_PGM_RSRC2:TIDIG_COMP_CNT: 0
; COMPUTE_PGM_RSRC3_GFX90A:ACCUM_OFFSET: 5
; COMPUTE_PGM_RSRC3_GFX90A:TG_SPLIT: 0
	.section	.text._ZN2at6native12_GLOBAL__N_125multi_tensor_apply_kernelINS1_18TensorListMetadataILi1EEENS1_14UnaryOpFunctorIN3c104HalfELi1ELi1ELi0EEEJNS0_5FloorIfEEEEEvT_T0_DpT1_,"axG",@progbits,_ZN2at6native12_GLOBAL__N_125multi_tensor_apply_kernelINS1_18TensorListMetadataILi1EEENS1_14UnaryOpFunctorIN3c104HalfELi1ELi1ELi0EEEJNS0_5FloorIfEEEEEvT_T0_DpT1_,comdat
	.globl	_ZN2at6native12_GLOBAL__N_125multi_tensor_apply_kernelINS1_18TensorListMetadataILi1EEENS1_14UnaryOpFunctorIN3c104HalfELi1ELi1ELi0EEEJNS0_5FloorIfEEEEEvT_T0_DpT1_ ; -- Begin function _ZN2at6native12_GLOBAL__N_125multi_tensor_apply_kernelINS1_18TensorListMetadataILi1EEENS1_14UnaryOpFunctorIN3c104HalfELi1ELi1ELi0EEEJNS0_5FloorIfEEEEEvT_T0_DpT1_
	.p2align	8
	.type	_ZN2at6native12_GLOBAL__N_125multi_tensor_apply_kernelINS1_18TensorListMetadataILi1EEENS1_14UnaryOpFunctorIN3c104HalfELi1ELi1ELi0EEEJNS0_5FloorIfEEEEEvT_T0_DpT1_,@function
_ZN2at6native12_GLOBAL__N_125multi_tensor_apply_kernelINS1_18TensorListMetadataILi1EEENS1_14UnaryOpFunctorIN3c104HalfELi1ELi1ELi0EEEJNS0_5FloorIfEEEEEvT_T0_DpT1_: ; @_ZN2at6native12_GLOBAL__N_125multi_tensor_apply_kernelINS1_18TensorListMetadataILi1EEENS1_14UnaryOpFunctorIN3c104HalfELi1ELi1ELi0EEEJNS0_5FloorIfEEEEEvT_T0_DpT1_
; %bb.0:
	v_mov_b32_e32 v1, s6
	global_load_ubyte v1, v1, s[4:5] offset:1760
	s_add_u32 s0, s4, s6
	s_mul_hi_u32 s1, s6, 3
	s_mul_i32 s6, s6, 3
	s_addc_u32 s2, s5, 0
	s_add_u32 s0, s0, s6
	s_addc_u32 s1, s2, s1
	s_load_dword s0, s[0:1], 0x820
	s_mov_b32 s7, 0
	s_waitcnt vmcnt(0)
	v_readfirstlane_b32 s2, v1
	s_lshl_b32 s1, s2, 3
	s_load_dwordx2 s[2:3], s[4:5], s1 offset:0x370
	s_load_dwordx2 s[12:13], s[4:5], s1 offset:0x0
	s_waitcnt lgkmcnt(0)
	s_ashr_i32 s1, s0, 31
	s_lshl_b64 s[14:15], s[0:1], 17
	s_lshl_b64 s[0:1], s[0:1], 16
	s_and_b32 s6, s12, 7
	s_sub_u32 s10, s2, s0
	s_subb_u32 s11, s3, s1
	s_and_b32 s0, s2, 3
	s_mov_b32 s1, s7
	s_or_b64 s[0:1], s[6:7], s[0:1]
	s_cmp_eq_u64 s[0:1], 0
	s_cbranch_scc1 .LBB30_21
; %bb.1:
	v_cmp_lt_i64_e64 s[0:1], s[10:11], 1
	s_and_b64 vcc, exec, s[0:1]
	s_cbranch_vccnz .LBB30_20
; %bb.2:
	s_load_dword s0, s[4:5], 0xd3c
	v_mov_b32_e32 v2, 0x10000
	v_mov_b32_e32 v3, 0
	v_cmp_lt_u64_e32 vcc, s[10:11], v[2:3]
	v_lshlrev_b32_e32 v1, 1, v0
	s_waitcnt lgkmcnt(0)
	s_and_b32 s2, s0, 0xffff
	s_and_b64 s[0:1], vcc, exec
	s_cselect_b32 s17, s11, 0
	s_cselect_b32 s16, s10, 0x10000
	s_lshl_b32 s3, s2, 1
	s_lshl_b32 s23, s2, 2
	s_add_u32 s6, s12, s14
	s_addc_u32 s7, s13, s15
	v_mov_b32_e32 v5, s7
	v_add_co_u32_e32 v4, vcc, s6, v1
	s_mul_i32 s0, s2, 3
	v_addc_co_u32_e32 v5, vcc, 0, v5, vcc
	v_add_co_u32_e32 v1, vcc, s0, v0
	v_addc_co_u32_e64 v10, s[0:1], 0, 0, vcc
	v_add_co_u32_e32 v11, vcc, s3, v0
	v_addc_co_u32_e64 v12, s[0:1], 0, 0, vcc
	v_add_co_u32_e32 v13, vcc, s2, v0
	v_lshlrev_b32_e32 v6, 1, v13
	s_mov_b32 s22, 0
	v_addc_co_u32_e64 v14, s[0:1], 0, 0, vcc
	v_mov_b32_e32 v7, s7
	v_add_co_u32_e32 v6, vcc, s6, v6
	s_lshl_b32 s24, s2, 3
	s_mul_i32 s25, s2, 6
	s_mov_b32 s26, s22
	v_addc_co_u32_e32 v7, vcc, 0, v7, vcc
	s_mov_b64 s[18:19], 0
	v_pk_mov_b32 v[8:9], s[10:11], s[10:11] op_sel:[0,1]
	v_mov_b32_e32 v15, s22
	s_branch .LBB30_4
.LBB30_3:                               ;   in Loop: Header=BB30_4 Depth=1
	s_or_b64 exec, exec, s[0:1]
	s_add_u32 s18, s18, s23
	s_addc_u32 s19, s19, 0
	v_cmp_lt_i64_e32 vcc, s[18:19], v[8:9]
	v_cmp_lt_u64_e64 s[0:1], s[18:19], v[2:3]
	s_and_b64 s[0:1], vcc, s[0:1]
	v_add_co_u32_e32 v4, vcc, s24, v4
	v_addc_co_u32_e32 v5, vcc, v5, v15, vcc
	v_add_co_u32_e32 v6, vcc, s24, v6
	v_addc_co_u32_e32 v7, vcc, v7, v15, vcc
	s_and_b64 vcc, exec, s[0:1]
	s_cbranch_vccz .LBB30_20
.LBB30_4:                               ; =>This Inner Loop Header: Depth=1
	s_waitcnt vmcnt(0)
	v_mov_b32_e32 v17, s19
	v_add_co_u32_e32 v16, vcc, s18, v0
	v_addc_co_u32_e32 v17, vcc, 0, v17, vcc
	v_cmp_gt_u64_e32 vcc, s[16:17], v[16:17]
	v_mov_b32_e32 v16, 0
	s_and_saveexec_b64 s[0:1], vcc
	s_cbranch_execz .LBB30_6
; %bb.5:                                ;   in Loop: Header=BB30_4 Depth=1
	global_load_ushort v16, v[4:5], off
.LBB30_6:                               ;   in Loop: Header=BB30_4 Depth=1
	s_or_b64 exec, exec, s[0:1]
	v_mov_b32_e32 v17, s19
	v_add_co_u32_e64 v18, s[0:1], s18, v13
	v_addc_co_u32_e64 v19, s[0:1], v14, v17, s[0:1]
	v_cmp_gt_u64_e64 s[0:1], s[16:17], v[18:19]
	v_mov_b32_e32 v18, 0
	s_and_saveexec_b64 s[2:3], s[0:1]
	s_cbranch_execz .LBB30_8
; %bb.7:                                ;   in Loop: Header=BB30_4 Depth=1
	global_load_ushort v18, v[6:7], off
.LBB30_8:                               ;   in Loop: Header=BB30_4 Depth=1
	s_or_b64 exec, exec, s[2:3]
	v_mov_b32_e32 v17, s19
	v_add_co_u32_e64 v20, s[2:3], s18, v11
	v_addc_co_u32_e64 v21, s[2:3], v12, v17, s[2:3]
	v_cmp_gt_u64_e64 s[2:3], s[16:17], v[20:21]
	v_mov_b32_e32 v17, 0
	v_mov_b32_e32 v19, 0
	s_and_saveexec_b64 s[8:9], s[2:3]
	s_cbranch_execz .LBB30_10
; %bb.9:                                ;   in Loop: Header=BB30_4 Depth=1
	v_mov_b32_e32 v19, s22
	v_add_co_u32_e64 v20, s[6:7], s23, v4
	v_addc_co_u32_e64 v21, s[6:7], v5, v19, s[6:7]
	global_load_ushort v19, v[20:21], off
.LBB30_10:                              ;   in Loop: Header=BB30_4 Depth=1
	s_or_b64 exec, exec, s[8:9]
	v_mov_b32_e32 v21, s19
	v_add_co_u32_e64 v20, s[6:7], s18, v1
	v_addc_co_u32_e64 v21, s[6:7], v10, v21, s[6:7]
	v_cmp_gt_u64_e64 s[6:7], s[16:17], v[20:21]
	s_and_saveexec_b64 s[20:21], s[6:7]
	s_cbranch_execnz .LBB30_15
; %bb.11:                               ;   in Loop: Header=BB30_4 Depth=1
	s_or_b64 exec, exec, s[20:21]
	s_and_saveexec_b64 s[8:9], vcc
	s_cbranch_execnz .LBB30_16
.LBB30_12:                              ;   in Loop: Header=BB30_4 Depth=1
	s_or_b64 exec, exec, s[8:9]
	s_and_saveexec_b64 s[8:9], s[0:1]
	s_cbranch_execnz .LBB30_17
.LBB30_13:                              ;   in Loop: Header=BB30_4 Depth=1
	s_or_b64 exec, exec, s[8:9]
	s_and_saveexec_b64 s[0:1], s[2:3]
	s_cbranch_execnz .LBB30_18
.LBB30_14:                              ;   in Loop: Header=BB30_4 Depth=1
	s_or_b64 exec, exec, s[0:1]
	s_and_saveexec_b64 s[0:1], s[6:7]
	s_cbranch_execz .LBB30_3
	s_branch .LBB30_19
.LBB30_15:                              ;   in Loop: Header=BB30_4 Depth=1
	v_mov_b32_e32 v17, s26
	v_add_co_u32_e64 v20, s[8:9], s25, v4
	v_addc_co_u32_e64 v21, s[8:9], v5, v17, s[8:9]
	global_load_ushort v17, v[20:21], off
	s_or_b64 exec, exec, s[20:21]
	s_and_saveexec_b64 s[8:9], vcc
	s_cbranch_execz .LBB30_12
.LBB30_16:                              ;   in Loop: Header=BB30_4 Depth=1
	s_waitcnt vmcnt(0)
	v_floor_f16_e32 v16, v16
	global_store_short v[4:5], v16, off
	s_or_b64 exec, exec, s[8:9]
	s_and_saveexec_b64 s[8:9], s[0:1]
	s_cbranch_execz .LBB30_13
.LBB30_17:                              ;   in Loop: Header=BB30_4 Depth=1
	s_waitcnt vmcnt(0)
	v_floor_f16_e32 v16, v18
	global_store_short v[6:7], v16, off
	s_or_b64 exec, exec, s[8:9]
	s_and_saveexec_b64 s[0:1], s[2:3]
	s_cbranch_execz .LBB30_14
.LBB30_18:                              ;   in Loop: Header=BB30_4 Depth=1
	s_waitcnt vmcnt(0)
	v_floor_f16_e32 v16, v19
	v_mov_b32_e32 v19, s22
	v_add_co_u32_e32 v18, vcc, s23, v4
	v_addc_co_u32_e32 v19, vcc, v5, v19, vcc
	global_store_short v[18:19], v16, off
	s_or_b64 exec, exec, s[0:1]
	s_and_saveexec_b64 s[0:1], s[6:7]
	s_cbranch_execz .LBB30_3
.LBB30_19:                              ;   in Loop: Header=BB30_4 Depth=1
	s_waitcnt vmcnt(0)
	v_floor_f16_e32 v18, v17
	v_mov_b32_e32 v17, s26
	v_add_co_u32_e32 v16, vcc, s25, v4
	v_addc_co_u32_e32 v17, vcc, v5, v17, vcc
	global_store_short v[16:17], v18, off
	s_branch .LBB30_3
.LBB30_20:
	s_cbranch_execz .LBB30_22
	s_branch .LBB30_25
.LBB30_21:
.LBB30_22:
	v_mov_b32_e32 v3, 0
	v_lshlrev_b32_e32 v2, 2, v0
	s_mov_b32 s0, 0
	v_cmp_gt_i64_e32 vcc, s[10:11], v[2:3]
	s_and_saveexec_b64 s[2:3], vcc
	s_cbranch_execz .LBB30_25
; %bb.23:
	s_load_dword s1, s[4:5], 0xd3c
	v_lshlrev_b32_e32 v1, 3, v0
	s_mov_b64 s[4:5], 0
	s_mov_b64 s[6:7], 0xffff
	v_mov_b32_e32 v5, s0
	s_waitcnt lgkmcnt(0)
	s_and_b32 s1, s1, 0xffff
	s_lshl_b32 s8, s1, 2
	s_add_u32 s2, s12, s14
	s_addc_u32 s3, s13, s15
	v_add_lshl_u32 v2, v0, s1, 2
	v_mov_b32_e32 v0, s3
	v_add_co_u32_e32 v1, vcc, s2, v1
	v_addc_co_u32_e32 v4, vcc, 0, v0, vcc
	v_add_co_u32_e32 v0, vcc, 4, v1
	v_addc_co_u32_e32 v1, vcc, 0, v4, vcc
	s_lshl_b32 s9, s1, 3
	v_mov_b32_e32 v4, s0
.LBB30_24:                              ; =>This Inner Loop Header: Depth=1
	global_load_dwordx2 v[6:7], v[0:1], off offset:-4
	v_cmp_le_i64_e32 vcc, s[10:11], v[2:3]
	v_cmp_lt_u64_e64 s[0:1], s[6:7], v[2:3]
	s_or_b64 s[0:1], vcc, s[0:1]
	v_add_co_u32_e64 v2, s[2:3], s8, v2
	s_and_b64 s[0:1], exec, s[0:1]
	v_addc_co_u32_e64 v3, s[2:3], v3, v4, s[2:3]
	s_or_b64 s[4:5], s[0:1], s[4:5]
	s_waitcnt vmcnt(0)
	v_floor_f16_e32 v8, v6
	v_floor_f16_sdwa v6, v6 dst_sel:DWORD dst_unused:UNUSED_PAD src0_sel:WORD_1
	v_floor_f16_e32 v9, v7
	v_floor_f16_sdwa v7, v7 dst_sel:DWORD dst_unused:UNUSED_PAD src0_sel:WORD_1
	v_pack_b32_f16 v7, v9, v7
	v_pack_b32_f16 v6, v8, v6
	global_store_dwordx2 v[0:1], v[6:7], off offset:-4
	v_add_co_u32_e32 v0, vcc, s9, v0
	v_addc_co_u32_e32 v1, vcc, v1, v5, vcc
	s_andn2_b64 exec, exec, s[4:5]
	s_cbranch_execnz .LBB30_24
.LBB30_25:
	s_endpgm
	.section	.rodata,"a",@progbits
	.p2align	6, 0x0
	.amdhsa_kernel _ZN2at6native12_GLOBAL__N_125multi_tensor_apply_kernelINS1_18TensorListMetadataILi1EEENS1_14UnaryOpFunctorIN3c104HalfELi1ELi1ELi0EEEJNS0_5FloorIfEEEEEvT_T0_DpT1_
		.amdhsa_group_segment_fixed_size 0
		.amdhsa_private_segment_fixed_size 0
		.amdhsa_kernarg_size 3632
		.amdhsa_user_sgpr_count 6
		.amdhsa_user_sgpr_private_segment_buffer 1
		.amdhsa_user_sgpr_dispatch_ptr 0
		.amdhsa_user_sgpr_queue_ptr 0
		.amdhsa_user_sgpr_kernarg_segment_ptr 1
		.amdhsa_user_sgpr_dispatch_id 0
		.amdhsa_user_sgpr_flat_scratch_init 0
		.amdhsa_user_sgpr_kernarg_preload_length 0
		.amdhsa_user_sgpr_kernarg_preload_offset 0
		.amdhsa_user_sgpr_private_segment_size 0
		.amdhsa_uses_dynamic_stack 0
		.amdhsa_system_sgpr_private_segment_wavefront_offset 0
		.amdhsa_system_sgpr_workgroup_id_x 1
		.amdhsa_system_sgpr_workgroup_id_y 0
		.amdhsa_system_sgpr_workgroup_id_z 0
		.amdhsa_system_sgpr_workgroup_info 0
		.amdhsa_system_vgpr_workitem_id 0
		.amdhsa_next_free_vgpr 22
		.amdhsa_next_free_sgpr 27
		.amdhsa_accum_offset 24
		.amdhsa_reserve_vcc 1
		.amdhsa_reserve_flat_scratch 0
		.amdhsa_float_round_mode_32 0
		.amdhsa_float_round_mode_16_64 0
		.amdhsa_float_denorm_mode_32 3
		.amdhsa_float_denorm_mode_16_64 3
		.amdhsa_dx10_clamp 1
		.amdhsa_ieee_mode 1
		.amdhsa_fp16_overflow 0
		.amdhsa_tg_split 0
		.amdhsa_exception_fp_ieee_invalid_op 0
		.amdhsa_exception_fp_denorm_src 0
		.amdhsa_exception_fp_ieee_div_zero 0
		.amdhsa_exception_fp_ieee_overflow 0
		.amdhsa_exception_fp_ieee_underflow 0
		.amdhsa_exception_fp_ieee_inexact 0
		.amdhsa_exception_int_div_zero 0
	.end_amdhsa_kernel
	.section	.text._ZN2at6native12_GLOBAL__N_125multi_tensor_apply_kernelINS1_18TensorListMetadataILi1EEENS1_14UnaryOpFunctorIN3c104HalfELi1ELi1ELi0EEEJNS0_5FloorIfEEEEEvT_T0_DpT1_,"axG",@progbits,_ZN2at6native12_GLOBAL__N_125multi_tensor_apply_kernelINS1_18TensorListMetadataILi1EEENS1_14UnaryOpFunctorIN3c104HalfELi1ELi1ELi0EEEJNS0_5FloorIfEEEEEvT_T0_DpT1_,comdat
.Lfunc_end30:
	.size	_ZN2at6native12_GLOBAL__N_125multi_tensor_apply_kernelINS1_18TensorListMetadataILi1EEENS1_14UnaryOpFunctorIN3c104HalfELi1ELi1ELi0EEEJNS0_5FloorIfEEEEEvT_T0_DpT1_, .Lfunc_end30-_ZN2at6native12_GLOBAL__N_125multi_tensor_apply_kernelINS1_18TensorListMetadataILi1EEENS1_14UnaryOpFunctorIN3c104HalfELi1ELi1ELi0EEEJNS0_5FloorIfEEEEEvT_T0_DpT1_
                                        ; -- End function
	.section	.AMDGPU.csdata,"",@progbits
; Kernel info:
; codeLenInByte = 1036
; NumSgprs: 31
; NumVgprs: 22
; NumAgprs: 0
; TotalNumVgprs: 22
; ScratchSize: 0
; MemoryBound: 0
; FloatMode: 240
; IeeeMode: 1
; LDSByteSize: 0 bytes/workgroup (compile time only)
; SGPRBlocks: 3
; VGPRBlocks: 2
; NumSGPRsForWavesPerEU: 31
; NumVGPRsForWavesPerEU: 22
; AccumOffset: 24
; Occupancy: 8
; WaveLimiterHint : 0
; COMPUTE_PGM_RSRC2:SCRATCH_EN: 0
; COMPUTE_PGM_RSRC2:USER_SGPR: 6
; COMPUTE_PGM_RSRC2:TRAP_HANDLER: 0
; COMPUTE_PGM_RSRC2:TGID_X_EN: 1
; COMPUTE_PGM_RSRC2:TGID_Y_EN: 0
; COMPUTE_PGM_RSRC2:TGID_Z_EN: 0
; COMPUTE_PGM_RSRC2:TIDIG_COMP_CNT: 0
; COMPUTE_PGM_RSRC3_GFX90A:ACCUM_OFFSET: 5
; COMPUTE_PGM_RSRC3_GFX90A:TG_SPLIT: 0
	.section	.text._ZN2at6native12_GLOBAL__N_125multi_tensor_apply_kernelINS1_18TensorListMetadataILi1EEENS1_14UnaryOpFunctorIN3c108BFloat16ELi1ELi1ELi0EEEJNS0_5FloorIfEEEEEvT_T0_DpT1_,"axG",@progbits,_ZN2at6native12_GLOBAL__N_125multi_tensor_apply_kernelINS1_18TensorListMetadataILi1EEENS1_14UnaryOpFunctorIN3c108BFloat16ELi1ELi1ELi0EEEJNS0_5FloorIfEEEEEvT_T0_DpT1_,comdat
	.globl	_ZN2at6native12_GLOBAL__N_125multi_tensor_apply_kernelINS1_18TensorListMetadataILi1EEENS1_14UnaryOpFunctorIN3c108BFloat16ELi1ELi1ELi0EEEJNS0_5FloorIfEEEEEvT_T0_DpT1_ ; -- Begin function _ZN2at6native12_GLOBAL__N_125multi_tensor_apply_kernelINS1_18TensorListMetadataILi1EEENS1_14UnaryOpFunctorIN3c108BFloat16ELi1ELi1ELi0EEEJNS0_5FloorIfEEEEEvT_T0_DpT1_
	.p2align	8
	.type	_ZN2at6native12_GLOBAL__N_125multi_tensor_apply_kernelINS1_18TensorListMetadataILi1EEENS1_14UnaryOpFunctorIN3c108BFloat16ELi1ELi1ELi0EEEJNS0_5FloorIfEEEEEvT_T0_DpT1_,@function
_ZN2at6native12_GLOBAL__N_125multi_tensor_apply_kernelINS1_18TensorListMetadataILi1EEENS1_14UnaryOpFunctorIN3c108BFloat16ELi1ELi1ELi0EEEJNS0_5FloorIfEEEEEvT_T0_DpT1_: ; @_ZN2at6native12_GLOBAL__N_125multi_tensor_apply_kernelINS1_18TensorListMetadataILi1EEENS1_14UnaryOpFunctorIN3c108BFloat16ELi1ELi1ELi0EEEJNS0_5FloorIfEEEEEvT_T0_DpT1_
; %bb.0:
	v_mov_b32_e32 v1, s6
	global_load_ubyte v1, v1, s[4:5] offset:1760
	s_add_u32 s0, s4, s6
	s_mul_hi_u32 s1, s6, 3
	s_mul_i32 s6, s6, 3
	s_addc_u32 s2, s5, 0
	s_add_u32 s0, s0, s6
	s_addc_u32 s1, s2, s1
	s_load_dword s0, s[0:1], 0x820
	s_mov_b32 s7, 0
	s_waitcnt vmcnt(0)
	v_readfirstlane_b32 s2, v1
	s_lshl_b32 s1, s2, 3
	s_load_dwordx2 s[2:3], s[4:5], s1 offset:0x370
	s_load_dwordx2 s[12:13], s[4:5], s1 offset:0x0
	s_waitcnt lgkmcnt(0)
	s_ashr_i32 s1, s0, 31
	s_lshl_b64 s[14:15], s[0:1], 17
	s_lshl_b64 s[0:1], s[0:1], 16
	s_and_b32 s6, s12, 7
	s_sub_u32 s10, s2, s0
	s_subb_u32 s11, s3, s1
	s_and_b32 s0, s2, 3
	s_mov_b32 s1, s7
	s_or_b64 s[0:1], s[6:7], s[0:1]
	s_cmp_eq_u64 s[0:1], 0
	s_cbranch_scc1 .LBB31_21
; %bb.1:
	v_cmp_lt_i64_e64 s[0:1], s[10:11], 1
	s_and_b64 vcc, exec, s[0:1]
	s_cbranch_vccnz .LBB31_20
; %bb.2:
	s_load_dword s0, s[4:5], 0xd3c
	v_mov_b32_e32 v2, 0x10000
	v_mov_b32_e32 v3, 0
	v_cmp_lt_u64_e32 vcc, s[10:11], v[2:3]
	v_lshlrev_b32_e32 v1, 1, v0
	s_waitcnt lgkmcnt(0)
	s_and_b32 s2, s0, 0xffff
	s_and_b64 s[0:1], vcc, exec
	s_cselect_b32 s17, s11, 0
	s_cselect_b32 s16, s10, 0x10000
	s_lshl_b32 s3, s2, 1
	s_lshl_b32 s23, s2, 2
	s_add_u32 s6, s12, s14
	s_addc_u32 s7, s13, s15
	v_mov_b32_e32 v5, s7
	v_add_co_u32_e32 v4, vcc, s6, v1
	s_mul_i32 s0, s2, 3
	v_addc_co_u32_e32 v5, vcc, 0, v5, vcc
	v_add_co_u32_e32 v1, vcc, s0, v0
	v_addc_co_u32_e64 v10, s[0:1], 0, 0, vcc
	v_add_co_u32_e32 v11, vcc, s3, v0
	v_addc_co_u32_e64 v12, s[0:1], 0, 0, vcc
	v_add_co_u32_e32 v13, vcc, s2, v0
	v_lshlrev_b32_e32 v6, 1, v13
	s_mov_b32 s22, 0
	v_addc_co_u32_e64 v14, s[0:1], 0, 0, vcc
	v_mov_b32_e32 v7, s7
	v_add_co_u32_e32 v6, vcc, s6, v6
	s_lshl_b32 s24, s2, 3
	s_mul_i32 s25, s2, 6
	s_mov_b32 s26, s22
	v_addc_co_u32_e32 v7, vcc, 0, v7, vcc
	s_mov_b64 s[18:19], 0
	s_movk_i32 s27, 0x7fff
	v_pk_mov_b32 v[8:9], s[10:11], s[10:11] op_sel:[0,1]
	v_mov_b32_e32 v15, s22
	v_mov_b32_e32 v16, 0x7fc0
	s_branch .LBB31_4
.LBB31_3:                               ;   in Loop: Header=BB31_4 Depth=1
	s_or_b64 exec, exec, s[0:1]
	s_add_u32 s18, s18, s23
	s_addc_u32 s19, s19, 0
	v_cmp_lt_i64_e32 vcc, s[18:19], v[8:9]
	v_cmp_lt_u64_e64 s[0:1], s[18:19], v[2:3]
	s_and_b64 s[0:1], vcc, s[0:1]
	v_add_co_u32_e32 v4, vcc, s24, v4
	v_addc_co_u32_e32 v5, vcc, v5, v15, vcc
	v_add_co_u32_e32 v6, vcc, s24, v6
	v_addc_co_u32_e32 v7, vcc, v7, v15, vcc
	s_and_b64 vcc, exec, s[0:1]
	s_cbranch_vccz .LBB31_20
.LBB31_4:                               ; =>This Inner Loop Header: Depth=1
	s_waitcnt vmcnt(0)
	v_mov_b32_e32 v17, s19
	v_add_co_u32_e32 v18, vcc, s18, v0
	v_addc_co_u32_e32 v19, vcc, 0, v17, vcc
	v_cmp_gt_u64_e32 vcc, s[16:17], v[18:19]
	v_mov_b32_e32 v18, 0
	s_and_saveexec_b64 s[0:1], vcc
	s_cbranch_execz .LBB31_6
; %bb.5:                                ;   in Loop: Header=BB31_4 Depth=1
	global_load_ushort v18, v[4:5], off
.LBB31_6:                               ;   in Loop: Header=BB31_4 Depth=1
	s_or_b64 exec, exec, s[0:1]
	v_mov_b32_e32 v17, s19
	v_add_co_u32_e64 v20, s[0:1], s18, v13
	v_addc_co_u32_e64 v21, s[0:1], v14, v17, s[0:1]
	v_cmp_gt_u64_e64 s[0:1], s[16:17], v[20:21]
	v_mov_b32_e32 v19, 0
	s_and_saveexec_b64 s[2:3], s[0:1]
	s_cbranch_execz .LBB31_8
; %bb.7:                                ;   in Loop: Header=BB31_4 Depth=1
	global_load_ushort v19, v[6:7], off
.LBB31_8:                               ;   in Loop: Header=BB31_4 Depth=1
	s_or_b64 exec, exec, s[2:3]
	v_mov_b32_e32 v17, s19
	v_add_co_u32_e64 v20, s[2:3], s18, v11
	v_addc_co_u32_e64 v21, s[2:3], v12, v17, s[2:3]
	v_cmp_gt_u64_e64 s[2:3], s[16:17], v[20:21]
	v_mov_b32_e32 v17, 0
	v_mov_b32_e32 v20, 0
	s_and_saveexec_b64 s[8:9], s[2:3]
	s_cbranch_execz .LBB31_10
; %bb.9:                                ;   in Loop: Header=BB31_4 Depth=1
	v_mov_b32_e32 v21, s22
	v_add_co_u32_e64 v20, s[6:7], s23, v4
	v_addc_co_u32_e64 v21, s[6:7], v5, v21, s[6:7]
	global_load_ushort v20, v[20:21], off
.LBB31_10:                              ;   in Loop: Header=BB31_4 Depth=1
	s_or_b64 exec, exec, s[8:9]
	v_mov_b32_e32 v21, s19
	v_add_co_u32_e64 v22, s[6:7], s18, v1
	v_addc_co_u32_e64 v23, s[6:7], v10, v21, s[6:7]
	v_cmp_gt_u64_e64 s[6:7], s[16:17], v[22:23]
	s_and_saveexec_b64 s[20:21], s[6:7]
	s_cbranch_execnz .LBB31_15
; %bb.11:                               ;   in Loop: Header=BB31_4 Depth=1
	s_or_b64 exec, exec, s[20:21]
	s_and_saveexec_b64 s[8:9], vcc
	s_cbranch_execnz .LBB31_16
.LBB31_12:                              ;   in Loop: Header=BB31_4 Depth=1
	s_or_b64 exec, exec, s[8:9]
	s_and_saveexec_b64 s[8:9], s[0:1]
	s_cbranch_execnz .LBB31_17
.LBB31_13:                              ;   in Loop: Header=BB31_4 Depth=1
	s_or_b64 exec, exec, s[8:9]
	s_and_saveexec_b64 s[0:1], s[2:3]
	s_cbranch_execnz .LBB31_18
.LBB31_14:                              ;   in Loop: Header=BB31_4 Depth=1
	s_or_b64 exec, exec, s[0:1]
	s_and_saveexec_b64 s[0:1], s[6:7]
	s_cbranch_execz .LBB31_3
	s_branch .LBB31_19
.LBB31_15:                              ;   in Loop: Header=BB31_4 Depth=1
	v_mov_b32_e32 v17, s26
	v_add_co_u32_e64 v22, s[8:9], s25, v4
	v_addc_co_u32_e64 v23, s[8:9], v5, v17, s[8:9]
	global_load_ushort v17, v[22:23], off
	s_or_b64 exec, exec, s[20:21]
	s_and_saveexec_b64 s[8:9], vcc
	s_cbranch_execz .LBB31_12
.LBB31_16:                              ;   in Loop: Header=BB31_4 Depth=1
	s_waitcnt vmcnt(0)
	v_lshlrev_b32_e32 v18, 16, v18
	v_floor_f32_e32 v18, v18
	v_bfe_u32 v21, v18, 16, 1
	v_add3_u32 v21, v18, v21, s27
	v_lshrrev_b32_e32 v21, 16, v21
	v_cmp_o_f32_e32 vcc, v18, v18
	v_cndmask_b32_e32 v18, v16, v21, vcc
	global_store_short v[4:5], v18, off
	s_or_b64 exec, exec, s[8:9]
	s_and_saveexec_b64 s[8:9], s[0:1]
	s_cbranch_execz .LBB31_13
.LBB31_17:                              ;   in Loop: Header=BB31_4 Depth=1
	s_waitcnt vmcnt(0)
	v_lshlrev_b32_e32 v18, 16, v19
	v_floor_f32_e32 v18, v18
	v_bfe_u32 v19, v18, 16, 1
	v_add3_u32 v19, v18, v19, s27
	v_lshrrev_b32_e32 v19, 16, v19
	v_cmp_o_f32_e32 vcc, v18, v18
	v_cndmask_b32_e32 v18, v16, v19, vcc
	global_store_short v[6:7], v18, off
	s_or_b64 exec, exec, s[8:9]
	s_and_saveexec_b64 s[0:1], s[2:3]
	s_cbranch_execz .LBB31_14
.LBB31_18:                              ;   in Loop: Header=BB31_4 Depth=1
	s_waitcnt vmcnt(0)
	v_lshlrev_b32_e32 v18, 16, v20
	v_floor_f32_e32 v18, v18
	v_bfe_u32 v19, v18, 16, 1
	v_add3_u32 v19, v18, v19, s27
	v_lshrrev_b32_e32 v19, 16, v19
	v_cmp_o_f32_e32 vcc, v18, v18
	v_cndmask_b32_e32 v20, v16, v19, vcc
	v_mov_b32_e32 v19, s22
	v_add_co_u32_e32 v18, vcc, s23, v4
	v_addc_co_u32_e32 v19, vcc, v5, v19, vcc
	global_store_short v[18:19], v20, off
	s_or_b64 exec, exec, s[0:1]
	s_and_saveexec_b64 s[0:1], s[6:7]
	s_cbranch_execz .LBB31_3
.LBB31_19:                              ;   in Loop: Header=BB31_4 Depth=1
	s_waitcnt vmcnt(0)
	v_lshlrev_b32_e32 v17, 16, v17
	v_floor_f32_e32 v17, v17
	v_bfe_u32 v18, v17, 16, 1
	v_add3_u32 v18, v17, v18, s27
	v_lshrrev_b32_e32 v18, 16, v18
	v_cmp_o_f32_e32 vcc, v17, v17
	v_cndmask_b32_e32 v17, v16, v18, vcc
	v_mov_b32_e32 v19, s26
	v_add_co_u32_e32 v18, vcc, s25, v4
	v_addc_co_u32_e32 v19, vcc, v5, v19, vcc
	global_store_short v[18:19], v17, off
	s_branch .LBB31_3
.LBB31_20:
	s_cbranch_execz .LBB31_22
	s_branch .LBB31_25
.LBB31_21:
.LBB31_22:
	v_mov_b32_e32 v3, 0
	v_lshlrev_b32_e32 v2, 2, v0
	s_mov_b32 s0, 0
	v_cmp_gt_i64_e32 vcc, s[10:11], v[2:3]
	s_and_saveexec_b64 s[2:3], vcc
	s_cbranch_execz .LBB31_25
; %bb.23:
	s_load_dword s1, s[4:5], 0xd3c
	v_lshlrev_b32_e32 v1, 3, v0
	s_movk_i32 s8, 0x7fff
	s_mov_b64 s[4:5], 0xffff
	v_mov_b32_e32 v6, s0
	s_waitcnt lgkmcnt(0)
	s_and_b32 s1, s1, 0xffff
	s_add_u32 s2, s12, s14
	s_addc_u32 s3, s13, s15
	v_mov_b32_e32 v2, s3
	v_add_co_u32_e32 v4, vcc, s2, v1
	v_addc_co_u32_e32 v5, vcc, 0, v2, vcc
	s_lshl_b32 s6, s1, 3
	v_add_lshl_u32 v2, v0, s1, 2
	s_lshl_b32 s7, s1, 2
	s_mov_b64 s[2:3], 0
	v_mov_b32_e32 v0, 0x7fc00000
	v_mov_b32_e32 v1, 0x7fc0
	;; [unrolled: 1-line block ×3, first 2 shown]
.LBB31_24:                              ; =>This Inner Loop Header: Depth=1
	global_load_dwordx2 v[8:9], v[4:5], off
	v_cmp_le_i64_e32 vcc, s[10:11], v[2:3]
	v_cmp_lt_u64_e64 s[0:1], s[4:5], v[2:3]
	s_or_b64 s[0:1], vcc, s[0:1]
	s_and_b64 s[0:1], exec, s[0:1]
	s_or_b64 s[2:3], s[0:1], s[2:3]
	s_waitcnt vmcnt(0)
	v_and_b32_e32 v10, 0xffff0000, v8
	v_lshlrev_b32_e32 v11, 16, v8
	v_alignbit_b32 v8, v9, v8, 16
	v_and_b32_e32 v9, 0xffff0000, v9
	v_floor_f32_e32 v9, v9
	v_floor_f32_e32 v10, v10
	v_bfe_u32 v14, v9, 16, 1
	v_floor_f32_e32 v11, v11
	v_and_b32_e32 v8, 0xffff0000, v8
	v_bfe_u32 v13, v10, 16, 1
	v_add3_u32 v14, v9, v14, s8
	v_bfe_u32 v12, v11, 16, 1
	v_floor_f32_e32 v8, v8
	v_add3_u32 v13, v10, v13, s8
	v_and_b32_e32 v14, 0xffff0000, v14
	v_cmp_o_f32_e32 vcc, v9, v9
	v_add3_u32 v12, v11, v12, s8
	v_bfe_u32 v15, v8, 16, 1
	v_and_b32_e32 v13, 0xffff0000, v13
	v_cndmask_b32_e32 v9, v0, v14, vcc
	v_cmp_o_f32_e32 vcc, v10, v10
	v_lshrrev_b32_e32 v12, 16, v12
	v_add3_u32 v15, v8, v15, s8
	v_cndmask_b32_e32 v10, v0, v13, vcc
	v_cmp_o_f32_e32 vcc, v11, v11
	v_lshrrev_b32_e32 v15, 16, v15
	v_cndmask_b32_e32 v11, v1, v12, vcc
	v_cmp_o_f32_e32 vcc, v8, v8
	v_cndmask_b32_e32 v8, v1, v15, vcc
	v_or_b32_e32 v10, v11, v10
	v_or3_b32 v9, 0, v8, v9
	v_or3_b32 v8, v10, 0, 0
	global_store_dwordx2 v[4:5], v[8:9], off
	v_add_co_u32_e32 v4, vcc, s6, v4
	v_addc_co_u32_e32 v5, vcc, v5, v6, vcc
	v_add_co_u32_e32 v2, vcc, s7, v2
	v_addc_co_u32_e32 v3, vcc, v3, v7, vcc
	s_andn2_b64 exec, exec, s[2:3]
	s_cbranch_execnz .LBB31_24
.LBB31_25:
	s_endpgm
	.section	.rodata,"a",@progbits
	.p2align	6, 0x0
	.amdhsa_kernel _ZN2at6native12_GLOBAL__N_125multi_tensor_apply_kernelINS1_18TensorListMetadataILi1EEENS1_14UnaryOpFunctorIN3c108BFloat16ELi1ELi1ELi0EEEJNS0_5FloorIfEEEEEvT_T0_DpT1_
		.amdhsa_group_segment_fixed_size 0
		.amdhsa_private_segment_fixed_size 0
		.amdhsa_kernarg_size 3632
		.amdhsa_user_sgpr_count 6
		.amdhsa_user_sgpr_private_segment_buffer 1
		.amdhsa_user_sgpr_dispatch_ptr 0
		.amdhsa_user_sgpr_queue_ptr 0
		.amdhsa_user_sgpr_kernarg_segment_ptr 1
		.amdhsa_user_sgpr_dispatch_id 0
		.amdhsa_user_sgpr_flat_scratch_init 0
		.amdhsa_user_sgpr_kernarg_preload_length 0
		.amdhsa_user_sgpr_kernarg_preload_offset 0
		.amdhsa_user_sgpr_private_segment_size 0
		.amdhsa_uses_dynamic_stack 0
		.amdhsa_system_sgpr_private_segment_wavefront_offset 0
		.amdhsa_system_sgpr_workgroup_id_x 1
		.amdhsa_system_sgpr_workgroup_id_y 0
		.amdhsa_system_sgpr_workgroup_id_z 0
		.amdhsa_system_sgpr_workgroup_info 0
		.amdhsa_system_vgpr_workitem_id 0
		.amdhsa_next_free_vgpr 24
		.amdhsa_next_free_sgpr 28
		.amdhsa_accum_offset 24
		.amdhsa_reserve_vcc 1
		.amdhsa_reserve_flat_scratch 0
		.amdhsa_float_round_mode_32 0
		.amdhsa_float_round_mode_16_64 0
		.amdhsa_float_denorm_mode_32 3
		.amdhsa_float_denorm_mode_16_64 3
		.amdhsa_dx10_clamp 1
		.amdhsa_ieee_mode 1
		.amdhsa_fp16_overflow 0
		.amdhsa_tg_split 0
		.amdhsa_exception_fp_ieee_invalid_op 0
		.amdhsa_exception_fp_denorm_src 0
		.amdhsa_exception_fp_ieee_div_zero 0
		.amdhsa_exception_fp_ieee_overflow 0
		.amdhsa_exception_fp_ieee_underflow 0
		.amdhsa_exception_fp_ieee_inexact 0
		.amdhsa_exception_int_div_zero 0
	.end_amdhsa_kernel
	.section	.text._ZN2at6native12_GLOBAL__N_125multi_tensor_apply_kernelINS1_18TensorListMetadataILi1EEENS1_14UnaryOpFunctorIN3c108BFloat16ELi1ELi1ELi0EEEJNS0_5FloorIfEEEEEvT_T0_DpT1_,"axG",@progbits,_ZN2at6native12_GLOBAL__N_125multi_tensor_apply_kernelINS1_18TensorListMetadataILi1EEENS1_14UnaryOpFunctorIN3c108BFloat16ELi1ELi1ELi0EEEJNS0_5FloorIfEEEEEvT_T0_DpT1_,comdat
.Lfunc_end31:
	.size	_ZN2at6native12_GLOBAL__N_125multi_tensor_apply_kernelINS1_18TensorListMetadataILi1EEENS1_14UnaryOpFunctorIN3c108BFloat16ELi1ELi1ELi0EEEJNS0_5FloorIfEEEEEvT_T0_DpT1_, .Lfunc_end31-_ZN2at6native12_GLOBAL__N_125multi_tensor_apply_kernelINS1_18TensorListMetadataILi1EEENS1_14UnaryOpFunctorIN3c108BFloat16ELi1ELi1ELi0EEEJNS0_5FloorIfEEEEEvT_T0_DpT1_
                                        ; -- End function
	.section	.AMDGPU.csdata,"",@progbits
; Kernel info:
; codeLenInByte = 1332
; NumSgprs: 32
; NumVgprs: 24
; NumAgprs: 0
; TotalNumVgprs: 24
; ScratchSize: 0
; MemoryBound: 0
; FloatMode: 240
; IeeeMode: 1
; LDSByteSize: 0 bytes/workgroup (compile time only)
; SGPRBlocks: 3
; VGPRBlocks: 2
; NumSGPRsForWavesPerEU: 32
; NumVGPRsForWavesPerEU: 24
; AccumOffset: 24
; Occupancy: 8
; WaveLimiterHint : 0
; COMPUTE_PGM_RSRC2:SCRATCH_EN: 0
; COMPUTE_PGM_RSRC2:USER_SGPR: 6
; COMPUTE_PGM_RSRC2:TRAP_HANDLER: 0
; COMPUTE_PGM_RSRC2:TGID_X_EN: 1
; COMPUTE_PGM_RSRC2:TGID_Y_EN: 0
; COMPUTE_PGM_RSRC2:TGID_Z_EN: 0
; COMPUTE_PGM_RSRC2:TIDIG_COMP_CNT: 0
; COMPUTE_PGM_RSRC3_GFX90A:ACCUM_OFFSET: 5
; COMPUTE_PGM_RSRC3_GFX90A:TG_SPLIT: 0
	.section	.text._ZN2at6native12_GLOBAL__N_125multi_tensor_apply_kernelINS1_18TensorListMetadataILi2EEENS1_14UnaryOpFunctorIdLi2ELi1ELi1EEEJNS0_4CeilIdEEEEEvT_T0_DpT1_,"axG",@progbits,_ZN2at6native12_GLOBAL__N_125multi_tensor_apply_kernelINS1_18TensorListMetadataILi2EEENS1_14UnaryOpFunctorIdLi2ELi1ELi1EEEJNS0_4CeilIdEEEEEvT_T0_DpT1_,comdat
	.globl	_ZN2at6native12_GLOBAL__N_125multi_tensor_apply_kernelINS1_18TensorListMetadataILi2EEENS1_14UnaryOpFunctorIdLi2ELi1ELi1EEEJNS0_4CeilIdEEEEEvT_T0_DpT1_ ; -- Begin function _ZN2at6native12_GLOBAL__N_125multi_tensor_apply_kernelINS1_18TensorListMetadataILi2EEENS1_14UnaryOpFunctorIdLi2ELi1ELi1EEEJNS0_4CeilIdEEEEEvT_T0_DpT1_
	.p2align	8
	.type	_ZN2at6native12_GLOBAL__N_125multi_tensor_apply_kernelINS1_18TensorListMetadataILi2EEENS1_14UnaryOpFunctorIdLi2ELi1ELi1EEEJNS0_4CeilIdEEEEEvT_T0_DpT1_,@function
_ZN2at6native12_GLOBAL__N_125multi_tensor_apply_kernelINS1_18TensorListMetadataILi2EEENS1_14UnaryOpFunctorIdLi2ELi1ELi1EEEJNS0_4CeilIdEEEEEvT_T0_DpT1_: ; @_ZN2at6native12_GLOBAL__N_125multi_tensor_apply_kernelINS1_18TensorListMetadataILi2EEENS1_14UnaryOpFunctorIdLi2ELi1ELi1EEEJNS0_4CeilIdEEEEEvT_T0_DpT1_
; %bb.0:
	v_mov_b32_e32 v1, s6
	global_load_ubyte v1, v1, s[4:5] offset:1536
	s_add_u32 s0, s4, s6
	s_mul_hi_u32 s2, s6, 3
	s_mul_i32 s6, s6, 3
	s_addc_u32 s7, s5, 0
	s_add_u32 s6, s0, s6
	s_addc_u32 s7, s7, s2
	s_load_dword s12, s[6:7], 0x740
	s_mov_b32 s1, 0
	s_mov_b32 s11, s1
	;; [unrolled: 1-line block ×3, first 2 shown]
	s_waitcnt lgkmcnt(0)
	s_ashr_i32 s13, s12, 31
	s_lshl_b64 s[8:9], s[12:13], 19
	s_waitcnt vmcnt(0)
	v_readfirstlane_b32 s0, v1
	s_lshl_b32 s0, s0, 3
	s_load_dwordx2 s[14:15], s[4:5], s0 offset:0x0
	s_load_dwordx2 s[16:17], s[4:5], s0 offset:0x400
	;; [unrolled: 1-line block ×3, first 2 shown]
	s_waitcnt lgkmcnt(0)
	s_add_u32 s20, s14, s8
	s_addc_u32 s21, s15, s9
	s_and_b32 s0, s20, 31
	s_add_u32 s22, s6, s8
	s_addc_u32 s23, s7, s9
	s_and_b32 s10, s16, 3
	s_and_b32 s2, s22, 31
	s_or_b64 s[10:11], s[0:1], s[10:11]
	s_or_b64 s[2:3], s[2:3], s[10:11]
	s_lshl_b64 s[10:11], s[12:13], 16
	s_sub_u32 s10, s16, s10
	s_subb_u32 s11, s17, s11
	s_cmp_eq_u64 s[2:3], 0
	s_mov_b64 s[2:3], -1
	s_cbranch_scc0 .LBB32_5
; %bb.1:
	v_mov_b32_e32 v3, 0
	v_lshlrev_b32_e32 v2, 2, v0
	v_cmp_gt_i64_e32 vcc, s[10:11], v[2:3]
	s_and_saveexec_b64 s[12:13], vcc
	s_cbranch_execz .LBB32_4
; %bb.2:
	s_load_dword s0, s[4:5], 0xc5c
	v_lshlrev_b32_e32 v4, 5, v0
	s_mov_b64 s[16:17], 0
	s_mov_b64 s[18:19], 0xffff
	v_mov_b32_e32 v1, s1
	s_waitcnt lgkmcnt(0)
	s_and_b32 s0, s0, 0xffff
	v_add_lshl_u32 v2, v0, s0, 2
	s_lshl_b32 s24, s0, 2
	s_lshl_b32 s25, s0, 5
.LBB32_3:                               ; =>This Inner Loop Header: Depth=1
	v_mov_b32_e32 v5, s21
	v_add_co_u32_e32 v14, vcc, s20, v4
	v_addc_co_u32_e32 v15, vcc, 0, v5, vcc
	global_load_dwordx4 v[6:9], v[14:15], off
	global_load_dwordx4 v[10:13], v[14:15], off offset:16
	v_cmp_le_i64_e32 vcc, s[10:11], v[2:3]
	v_cmp_lt_u64_e64 s[0:1], s[18:19], v[2:3]
	s_or_b64 s[0:1], vcc, s[0:1]
	v_add_co_u32_e64 v2, s[2:3], s24, v2
	s_add_u32 s20, s20, s25
	v_addc_co_u32_e64 v3, s[2:3], v3, v1, s[2:3]
	s_addc_u32 s21, s21, 0
	v_add_co_u32_e64 v14, s[2:3], s22, v4
	s_add_u32 s22, s22, s25
	v_mov_b32_e32 v5, s23
	s_addc_u32 s23, s23, 0
	s_and_b64 s[0:1], exec, s[0:1]
	v_addc_co_u32_e64 v15, s[2:3], 0, v5, s[2:3]
	s_or_b64 s[16:17], s[0:1], s[16:17]
	s_waitcnt vmcnt(1)
	v_ceil_f64_e32 v[6:7], v[6:7]
	v_ceil_f64_e32 v[8:9], v[8:9]
	s_waitcnt vmcnt(0)
	v_ceil_f64_e32 v[10:11], v[10:11]
	v_ceil_f64_e32 v[12:13], v[12:13]
	global_store_dwordx4 v[14:15], v[6:9], off
	global_store_dwordx4 v[14:15], v[10:13], off offset:16
	s_andn2_b64 exec, exec, s[16:17]
	s_cbranch_execnz .LBB32_3
.LBB32_4:
	s_or_b64 exec, exec, s[12:13]
	s_mov_b64 s[2:3], 0
.LBB32_5:
	s_andn2_b64 vcc, exec, s[2:3]
	s_cbranch_vccnz .LBB32_25
; %bb.6:
	v_cmp_lt_i64_e64 s[0:1], s[10:11], 1
	s_and_b64 vcc, exec, s[0:1]
	s_cbranch_vccnz .LBB32_25
; %bb.7:
	s_load_dword s0, s[4:5], 0xc5c
	v_mov_b32_e32 v2, 0x10000
	v_mov_b32_e32 v3, 0
	v_cmp_lt_u64_e32 vcc, s[10:11], v[2:3]
	v_lshlrev_b32_e32 v10, 3, v0
	s_waitcnt lgkmcnt(0)
	s_and_b32 s2, s0, 0xffff
	s_and_b64 s[0:1], vcc, exec
	v_mov_b32_e32 v13, s15
	v_add_co_u32_e32 v2, vcc, s14, v10
	v_addc_co_u32_e32 v1, vcc, 0, v13, vcc
	v_mov_b32_e32 v11, 0
	v_mov_b32_e32 v15, s7
	v_add_co_u32_e32 v4, vcc, s6, v10
	v_addc_co_u32_e32 v3, vcc, 0, v15, vcc
	v_mad_u64_u32 v[8:9], s[0:1], s2, 24, v[10:11]
	v_add_co_u32_e32 v6, vcc, s14, v8
	v_addc_co_u32_e32 v5, vcc, v13, v9, vcc
	v_add_co_u32_e32 v8, vcc, s6, v8
	s_mul_i32 s4, s2, 3
	v_addc_co_u32_e32 v7, vcc, v15, v9, vcc
	v_add_co_u32_e32 v17, vcc, s4, v0
	v_addc_co_u32_e64 v26, s[0:1], 0, 0, vcc
	s_cselect_b32 s13, s11, 0
	s_cselect_b32 s12, s10, 0x10000
	s_lshl_b32 s0, s2, 4
	v_add_co_u32_e32 v11, vcc, s0, v10
	v_addc_co_u32_e64 v14, s[0:1], 0, 0, vcc
	v_add_co_u32_e32 v10, vcc, s14, v11
	v_addc_co_u32_e32 v9, vcc, v13, v14, vcc
	v_add_co_u32_e32 v12, vcc, s6, v11
	s_lshl_b32 s3, s2, 1
	v_addc_co_u32_e32 v11, vcc, v15, v14, vcc
	v_add_co_u32_e32 v27, vcc, s3, v0
	v_addc_co_u32_e64 v28, s[0:1], 0, 0, vcc
	v_add_co_u32_e32 v29, vcc, s2, v0
	v_lshlrev_b32_e32 v16, 3, v29
	v_addc_co_u32_e64 v30, s[0:1], 0, 0, vcc
	v_add_co_u32_e32 v14, vcc, s14, v16
	v_addc_co_u32_e32 v13, vcc, 0, v13, vcc
	v_add_co_u32_e32 v16, vcc, s6, v16
	s_mov_b32 s18, 0
	s_lshl_b32 s19, s2, 2
	s_lshl_b32 s20, s2, 5
	v_addc_co_u32_e32 v15, vcc, 0, v15, vcc
	s_mov_b64 s[14:15], 0
	s_branch .LBB32_9
.LBB32_8:                               ;   in Loop: Header=BB32_9 Depth=1
	s_or_b64 exec, exec, s[0:1]
	s_add_u32 s14, s14, s19
	s_addc_u32 s15, s15, 0
	s_waitcnt vmcnt(0)
	v_pk_mov_b32 v[18:19], s[10:11], s[10:11] op_sel:[0,1]
	v_cmp_ge_i64_e32 vcc, s[14:15], v[18:19]
	v_mov_b32_e32 v18, 0xffff
	v_mov_b32_e32 v19, 0
	v_cmp_gt_u64_e64 s[0:1], s[14:15], v[18:19]
	s_or_b64 s[0:1], vcc, s[0:1]
	v_mov_b32_e32 v18, s18
	v_add_co_u32_e32 v2, vcc, s20, v2
	v_addc_co_u32_e32 v1, vcc, v1, v18, vcc
	v_add_co_u32_e32 v4, vcc, s20, v4
	v_addc_co_u32_e32 v3, vcc, v3, v18, vcc
	;; [unrolled: 2-line block ×8, first 2 shown]
	s_and_b64 vcc, exec, s[0:1]
	s_cbranch_vccnz .LBB32_25
.LBB32_9:                               ; =>This Inner Loop Header: Depth=1
	v_mov_b32_e32 v19, s15
	v_add_co_u32_e32 v18, vcc, s14, v0
	v_addc_co_u32_e32 v19, vcc, 0, v19, vcc
	v_cmp_gt_u64_e32 vcc, s[12:13], v[18:19]
	v_pk_mov_b32 v[18:19], 0, 0
	v_pk_mov_b32 v[20:21], v[18:19], v[18:19] op_sel:[0,1]
	s_and_saveexec_b64 s[2:3], vcc
	s_cbranch_execz .LBB32_11
; %bb.10:                               ;   in Loop: Header=BB32_9 Depth=1
	v_mov_b32_e32 v21, s9
	v_add_co_u32_e64 v20, s[0:1], s8, v2
	v_addc_co_u32_e64 v21, s[0:1], v1, v21, s[0:1]
	global_load_dwordx2 v[20:21], v[20:21], off
.LBB32_11:                              ;   in Loop: Header=BB32_9 Depth=1
	s_or_b64 exec, exec, s[2:3]
	v_mov_b32_e32 v23, s15
	v_add_co_u32_e64 v22, s[0:1], s14, v29
	v_addc_co_u32_e64 v23, s[0:1], v30, v23, s[0:1]
	v_cmp_gt_u64_e64 s[0:1], s[12:13], v[22:23]
	s_and_saveexec_b64 s[4:5], s[0:1]
	s_cbranch_execz .LBB32_13
; %bb.12:                               ;   in Loop: Header=BB32_9 Depth=1
	v_mov_b32_e32 v19, s9
	v_add_co_u32_e64 v18, s[2:3], s8, v14
	v_addc_co_u32_e64 v19, s[2:3], v13, v19, s[2:3]
	global_load_dwordx2 v[18:19], v[18:19], off
.LBB32_13:                              ;   in Loop: Header=BB32_9 Depth=1
	s_or_b64 exec, exec, s[4:5]
	v_mov_b32_e32 v23, s15
	v_add_co_u32_e64 v22, s[2:3], s14, v27
	v_addc_co_u32_e64 v23, s[2:3], v28, v23, s[2:3]
	v_cmp_gt_u64_e64 s[2:3], s[12:13], v[22:23]
	v_pk_mov_b32 v[22:23], 0, 0
	v_pk_mov_b32 v[24:25], v[22:23], v[22:23] op_sel:[0,1]
	s_and_saveexec_b64 s[6:7], s[2:3]
	s_cbranch_execz .LBB32_15
; %bb.14:                               ;   in Loop: Header=BB32_9 Depth=1
	v_mov_b32_e32 v25, s9
	v_add_co_u32_e64 v24, s[4:5], s8, v10
	v_addc_co_u32_e64 v25, s[4:5], v9, v25, s[4:5]
	global_load_dwordx2 v[24:25], v[24:25], off
.LBB32_15:                              ;   in Loop: Header=BB32_9 Depth=1
	s_or_b64 exec, exec, s[6:7]
	v_mov_b32_e32 v31, s15
	v_add_co_u32_e64 v32, s[4:5], s14, v17
	v_addc_co_u32_e64 v33, s[4:5], v26, v31, s[4:5]
	v_cmp_gt_u64_e64 s[4:5], s[12:13], v[32:33]
	s_and_saveexec_b64 s[16:17], s[4:5]
	s_cbranch_execnz .LBB32_20
; %bb.16:                               ;   in Loop: Header=BB32_9 Depth=1
	s_or_b64 exec, exec, s[16:17]
	s_and_saveexec_b64 s[6:7], vcc
	s_cbranch_execnz .LBB32_21
.LBB32_17:                              ;   in Loop: Header=BB32_9 Depth=1
	s_or_b64 exec, exec, s[6:7]
	s_and_saveexec_b64 s[6:7], s[0:1]
	s_cbranch_execnz .LBB32_22
.LBB32_18:                              ;   in Loop: Header=BB32_9 Depth=1
	s_or_b64 exec, exec, s[6:7]
	s_and_saveexec_b64 s[0:1], s[2:3]
	s_cbranch_execnz .LBB32_23
.LBB32_19:                              ;   in Loop: Header=BB32_9 Depth=1
	s_or_b64 exec, exec, s[0:1]
	s_and_saveexec_b64 s[0:1], s[4:5]
	s_cbranch_execz .LBB32_8
	s_branch .LBB32_24
.LBB32_20:                              ;   in Loop: Header=BB32_9 Depth=1
	v_mov_b32_e32 v23, s9
	v_add_co_u32_e64 v22, s[6:7], s8, v6
	v_addc_co_u32_e64 v23, s[6:7], v5, v23, s[6:7]
	global_load_dwordx2 v[22:23], v[22:23], off
	s_or_b64 exec, exec, s[16:17]
	s_and_saveexec_b64 s[6:7], vcc
	s_cbranch_execz .LBB32_17
.LBB32_21:                              ;   in Loop: Header=BB32_9 Depth=1
	v_mov_b32_e32 v31, s9
	v_add_co_u32_e32 v32, vcc, s8, v4
	v_addc_co_u32_e32 v33, vcc, v3, v31, vcc
	s_waitcnt vmcnt(0)
	v_ceil_f64_e32 v[20:21], v[20:21]
	global_store_dwordx2 v[32:33], v[20:21], off
	s_or_b64 exec, exec, s[6:7]
	s_and_saveexec_b64 s[6:7], s[0:1]
	s_cbranch_execz .LBB32_18
.LBB32_22:                              ;   in Loop: Header=BB32_9 Depth=1
	s_waitcnt vmcnt(0)
	v_mov_b32_e32 v21, s9
	v_add_co_u32_e32 v20, vcc, s8, v16
	v_ceil_f64_e32 v[18:19], v[18:19]
	v_addc_co_u32_e32 v21, vcc, v15, v21, vcc
	global_store_dwordx2 v[20:21], v[18:19], off
	s_or_b64 exec, exec, s[6:7]
	s_and_saveexec_b64 s[0:1], s[2:3]
	s_cbranch_execz .LBB32_19
.LBB32_23:                              ;   in Loop: Header=BB32_9 Depth=1
	s_waitcnt vmcnt(0)
	v_mov_b32_e32 v21, s9
	v_add_co_u32_e32 v20, vcc, s8, v12
	v_ceil_f64_e32 v[18:19], v[24:25]
	v_addc_co_u32_e32 v21, vcc, v11, v21, vcc
	global_store_dwordx2 v[20:21], v[18:19], off
	s_or_b64 exec, exec, s[0:1]
	s_and_saveexec_b64 s[0:1], s[4:5]
	s_cbranch_execz .LBB32_8
.LBB32_24:                              ;   in Loop: Header=BB32_9 Depth=1
	s_waitcnt vmcnt(0)
	v_mov_b32_e32 v21, s9
	v_add_co_u32_e32 v20, vcc, s8, v8
	v_ceil_f64_e32 v[18:19], v[22:23]
	v_addc_co_u32_e32 v21, vcc, v7, v21, vcc
	global_store_dwordx2 v[20:21], v[18:19], off
	s_branch .LBB32_8
.LBB32_25:
	s_endpgm
	.section	.rodata,"a",@progbits
	.p2align	6, 0x0
	.amdhsa_kernel _ZN2at6native12_GLOBAL__N_125multi_tensor_apply_kernelINS1_18TensorListMetadataILi2EEENS1_14UnaryOpFunctorIdLi2ELi1ELi1EEEJNS0_4CeilIdEEEEEvT_T0_DpT1_
		.amdhsa_group_segment_fixed_size 0
		.amdhsa_private_segment_fixed_size 0
		.amdhsa_kernarg_size 3408
		.amdhsa_user_sgpr_count 6
		.amdhsa_user_sgpr_private_segment_buffer 1
		.amdhsa_user_sgpr_dispatch_ptr 0
		.amdhsa_user_sgpr_queue_ptr 0
		.amdhsa_user_sgpr_kernarg_segment_ptr 1
		.amdhsa_user_sgpr_dispatch_id 0
		.amdhsa_user_sgpr_flat_scratch_init 0
		.amdhsa_user_sgpr_kernarg_preload_length 0
		.amdhsa_user_sgpr_kernarg_preload_offset 0
		.amdhsa_user_sgpr_private_segment_size 0
		.amdhsa_uses_dynamic_stack 0
		.amdhsa_system_sgpr_private_segment_wavefront_offset 0
		.amdhsa_system_sgpr_workgroup_id_x 1
		.amdhsa_system_sgpr_workgroup_id_y 0
		.amdhsa_system_sgpr_workgroup_id_z 0
		.amdhsa_system_sgpr_workgroup_info 0
		.amdhsa_system_vgpr_workitem_id 0
		.amdhsa_next_free_vgpr 34
		.amdhsa_next_free_sgpr 26
		.amdhsa_accum_offset 36
		.amdhsa_reserve_vcc 1
		.amdhsa_reserve_flat_scratch 0
		.amdhsa_float_round_mode_32 0
		.amdhsa_float_round_mode_16_64 0
		.amdhsa_float_denorm_mode_32 3
		.amdhsa_float_denorm_mode_16_64 3
		.amdhsa_dx10_clamp 1
		.amdhsa_ieee_mode 1
		.amdhsa_fp16_overflow 0
		.amdhsa_tg_split 0
		.amdhsa_exception_fp_ieee_invalid_op 0
		.amdhsa_exception_fp_denorm_src 0
		.amdhsa_exception_fp_ieee_div_zero 0
		.amdhsa_exception_fp_ieee_overflow 0
		.amdhsa_exception_fp_ieee_underflow 0
		.amdhsa_exception_fp_ieee_inexact 0
		.amdhsa_exception_int_div_zero 0
	.end_amdhsa_kernel
	.section	.text._ZN2at6native12_GLOBAL__N_125multi_tensor_apply_kernelINS1_18TensorListMetadataILi2EEENS1_14UnaryOpFunctorIdLi2ELi1ELi1EEEJNS0_4CeilIdEEEEEvT_T0_DpT1_,"axG",@progbits,_ZN2at6native12_GLOBAL__N_125multi_tensor_apply_kernelINS1_18TensorListMetadataILi2EEENS1_14UnaryOpFunctorIdLi2ELi1ELi1EEEJNS0_4CeilIdEEEEEvT_T0_DpT1_,comdat
.Lfunc_end32:
	.size	_ZN2at6native12_GLOBAL__N_125multi_tensor_apply_kernelINS1_18TensorListMetadataILi2EEENS1_14UnaryOpFunctorIdLi2ELi1ELi1EEEJNS0_4CeilIdEEEEEvT_T0_DpT1_, .Lfunc_end32-_ZN2at6native12_GLOBAL__N_125multi_tensor_apply_kernelINS1_18TensorListMetadataILi2EEENS1_14UnaryOpFunctorIdLi2ELi1ELi1EEEJNS0_4CeilIdEEEEEvT_T0_DpT1_
                                        ; -- End function
	.section	.AMDGPU.csdata,"",@progbits
; Kernel info:
; codeLenInByte = 1288
; NumSgprs: 30
; NumVgprs: 34
; NumAgprs: 0
; TotalNumVgprs: 34
; ScratchSize: 0
; MemoryBound: 0
; FloatMode: 240
; IeeeMode: 1
; LDSByteSize: 0 bytes/workgroup (compile time only)
; SGPRBlocks: 3
; VGPRBlocks: 4
; NumSGPRsForWavesPerEU: 30
; NumVGPRsForWavesPerEU: 34
; AccumOffset: 36
; Occupancy: 8
; WaveLimiterHint : 0
; COMPUTE_PGM_RSRC2:SCRATCH_EN: 0
; COMPUTE_PGM_RSRC2:USER_SGPR: 6
; COMPUTE_PGM_RSRC2:TRAP_HANDLER: 0
; COMPUTE_PGM_RSRC2:TGID_X_EN: 1
; COMPUTE_PGM_RSRC2:TGID_Y_EN: 0
; COMPUTE_PGM_RSRC2:TGID_Z_EN: 0
; COMPUTE_PGM_RSRC2:TIDIG_COMP_CNT: 0
; COMPUTE_PGM_RSRC3_GFX90A:ACCUM_OFFSET: 8
; COMPUTE_PGM_RSRC3_GFX90A:TG_SPLIT: 0
	.section	.text._ZN2at6native12_GLOBAL__N_125multi_tensor_apply_kernelINS1_18TensorListMetadataILi2EEENS1_14UnaryOpFunctorIfLi2ELi1ELi1EEEJNS0_4CeilIfEEEEEvT_T0_DpT1_,"axG",@progbits,_ZN2at6native12_GLOBAL__N_125multi_tensor_apply_kernelINS1_18TensorListMetadataILi2EEENS1_14UnaryOpFunctorIfLi2ELi1ELi1EEEJNS0_4CeilIfEEEEEvT_T0_DpT1_,comdat
	.globl	_ZN2at6native12_GLOBAL__N_125multi_tensor_apply_kernelINS1_18TensorListMetadataILi2EEENS1_14UnaryOpFunctorIfLi2ELi1ELi1EEEJNS0_4CeilIfEEEEEvT_T0_DpT1_ ; -- Begin function _ZN2at6native12_GLOBAL__N_125multi_tensor_apply_kernelINS1_18TensorListMetadataILi2EEENS1_14UnaryOpFunctorIfLi2ELi1ELi1EEEJNS0_4CeilIfEEEEEvT_T0_DpT1_
	.p2align	8
	.type	_ZN2at6native12_GLOBAL__N_125multi_tensor_apply_kernelINS1_18TensorListMetadataILi2EEENS1_14UnaryOpFunctorIfLi2ELi1ELi1EEEJNS0_4CeilIfEEEEEvT_T0_DpT1_,@function
_ZN2at6native12_GLOBAL__N_125multi_tensor_apply_kernelINS1_18TensorListMetadataILi2EEENS1_14UnaryOpFunctorIfLi2ELi1ELi1EEEJNS0_4CeilIfEEEEEvT_T0_DpT1_: ; @_ZN2at6native12_GLOBAL__N_125multi_tensor_apply_kernelINS1_18TensorListMetadataILi2EEENS1_14UnaryOpFunctorIfLi2ELi1ELi1EEEJNS0_4CeilIfEEEEEvT_T0_DpT1_
; %bb.0:
	v_mov_b32_e32 v1, s6
	global_load_ubyte v1, v1, s[4:5] offset:1536
	s_add_u32 s0, s4, s6
	s_mul_hi_u32 s2, s6, 3
	s_mul_i32 s6, s6, 3
	s_addc_u32 s7, s5, 0
	s_add_u32 s8, s0, s6
	s_addc_u32 s9, s7, s2
	s_mov_b32 s1, 0
	s_mov_b32 s17, s1
	;; [unrolled: 1-line block ×3, first 2 shown]
	s_waitcnt vmcnt(0)
	v_readfirstlane_b32 s0, v1
	s_lshl_b32 s0, s0, 3
	s_load_dword s10, s[8:9], 0x740
	s_load_dwordx2 s[14:15], s[4:5], s0 offset:0x0
	s_load_dwordx2 s[12:13], s[4:5], s0 offset:0x400
	;; [unrolled: 1-line block ×3, first 2 shown]
	s_waitcnt lgkmcnt(0)
	s_ashr_i32 s11, s10, 31
	s_and_b32 s0, s14, 15
	s_and_b32 s16, s12, 3
	;; [unrolled: 1-line block ×3, first 2 shown]
	s_or_b64 s[16:17], s[0:1], s[16:17]
	s_lshl_b64 s[8:9], s[10:11], 18
	s_or_b64 s[2:3], s[2:3], s[16:17]
	s_lshl_b64 s[10:11], s[10:11], 16
	s_sub_u32 s10, s12, s10
	s_subb_u32 s11, s13, s11
	s_cmp_eq_u64 s[2:3], 0
	s_mov_b64 s[2:3], -1
	s_cbranch_scc0 .LBB33_5
; %bb.1:
	v_mov_b32_e32 v3, 0
	v_lshlrev_b32_e32 v2, 2, v0
	v_cmp_gt_i64_e32 vcc, s[10:11], v[2:3]
	s_and_saveexec_b64 s[12:13], vcc
	s_cbranch_execz .LBB33_4
; %bb.2:
	s_load_dword s0, s[4:5], 0xc5c
	v_lshlrev_b32_e32 v1, 4, v0
	v_mov_b32_e32 v4, s9
	v_add_co_u32_e32 v1, vcc, s8, v1
	v_addc_co_u32_e32 v5, vcc, 0, v4, vcc
	s_waitcnt lgkmcnt(0)
	s_and_b32 s0, s0, 0xffff
	v_add_co_u32_e32 v4, vcc, 8, v1
	v_add_lshl_u32 v2, v0, s0, 2
	s_lshl_b32 s20, s0, 2
	v_addc_co_u32_e32 v1, vcc, 0, v5, vcc
	s_lshl_b32 s21, s0, 4
	s_mov_b64 s[16:17], 0
	v_mov_b32_e32 v5, s15
	v_mov_b32_e32 v6, s7
	s_mov_b64 s[18:19], 0xffff
	v_mov_b32_e32 v7, s1
	v_mov_b32_e32 v8, s1
.LBB33_3:                               ; =>This Inner Loop Header: Depth=1
	v_add_co_u32_e32 v10, vcc, s14, v4
	v_addc_co_u32_e32 v11, vcc, v5, v1, vcc
	global_load_dwordx4 v[10:13], v[10:11], off offset:-8
	v_add_co_u32_e32 v14, vcc, s6, v4
	v_addc_co_u32_e32 v15, vcc, v6, v1, vcc
	v_cmp_le_i64_e32 vcc, s[10:11], v[2:3]
	v_cmp_lt_u64_e64 s[0:1], s[18:19], v[2:3]
	v_add_co_u32_e64 v2, s[2:3], s20, v2
	v_addc_co_u32_e64 v3, s[2:3], v3, v7, s[2:3]
	s_or_b64 s[0:1], vcc, s[0:1]
	v_add_co_u32_e64 v4, s[2:3], s21, v4
	s_and_b64 s[0:1], exec, s[0:1]
	v_addc_co_u32_e64 v1, s[2:3], v1, v8, s[2:3]
	s_or_b64 s[16:17], s[0:1], s[16:17]
	s_waitcnt vmcnt(0)
	v_ceil_f32_e32 v11, v11
	v_ceil_f32_e32 v10, v10
	;; [unrolled: 1-line block ×4, first 2 shown]
	global_store_dwordx4 v[14:15], v[10:13], off offset:-8
	s_andn2_b64 exec, exec, s[16:17]
	s_cbranch_execnz .LBB33_3
.LBB33_4:
	s_or_b64 exec, exec, s[12:13]
	s_mov_b64 s[2:3], 0
.LBB33_5:
	s_andn2_b64 vcc, exec, s[2:3]
	s_cbranch_vccnz .LBB33_25
; %bb.6:
	v_cmp_lt_i64_e64 s[0:1], s[10:11], 1
	s_and_b64 vcc, exec, s[0:1]
	s_cbranch_vccnz .LBB33_25
; %bb.7:
	s_load_dword s0, s[4:5], 0xc5c
	v_mov_b32_e32 v2, 0x10000
	v_mov_b32_e32 v3, 0
	v_cmp_lt_u64_e32 vcc, s[10:11], v[2:3]
	v_lshlrev_b32_e32 v10, 2, v0
	s_waitcnt lgkmcnt(0)
	s_and_b32 s2, s0, 0xffff
	s_and_b64 s[0:1], vcc, exec
	v_mov_b32_e32 v13, s15
	v_add_co_u32_e32 v2, vcc, s14, v10
	v_addc_co_u32_e32 v1, vcc, 0, v13, vcc
	v_mov_b32_e32 v11, 0
	v_mov_b32_e32 v15, s7
	v_add_co_u32_e32 v4, vcc, s6, v10
	v_addc_co_u32_e32 v3, vcc, 0, v15, vcc
	v_mad_u64_u32 v[8:9], s[0:1], s2, 12, v[10:11]
	v_add_co_u32_e32 v6, vcc, s14, v8
	v_addc_co_u32_e32 v5, vcc, v13, v9, vcc
	v_add_co_u32_e32 v8, vcc, s6, v8
	s_mul_i32 s4, s2, 3
	v_addc_co_u32_e32 v7, vcc, v15, v9, vcc
	v_add_co_u32_e32 v17, vcc, s4, v0
	v_addc_co_u32_e64 v18, s[0:1], 0, 0, vcc
	s_cselect_b32 s13, s11, 0
	s_cselect_b32 s12, s10, 0x10000
	s_lshl_b32 s0, s2, 3
	v_add_co_u32_e32 v11, vcc, s0, v10
	v_addc_co_u32_e64 v14, s[0:1], 0, 0, vcc
	v_add_co_u32_e32 v10, vcc, s14, v11
	v_addc_co_u32_e32 v9, vcc, v13, v14, vcc
	v_add_co_u32_e32 v12, vcc, s6, v11
	s_lshl_b32 s3, s2, 1
	v_addc_co_u32_e32 v11, vcc, v15, v14, vcc
	v_add_co_u32_e32 v19, vcc, s3, v0
	v_addc_co_u32_e64 v20, s[0:1], 0, 0, vcc
	v_add_co_u32_e32 v21, vcc, s2, v0
	v_lshlrev_b32_e32 v16, 2, v21
	v_addc_co_u32_e64 v22, s[0:1], 0, 0, vcc
	v_add_co_u32_e32 v14, vcc, s14, v16
	v_addc_co_u32_e32 v13, vcc, 0, v13, vcc
	v_add_co_u32_e32 v16, vcc, s6, v16
	s_mov_b32 s18, 0
	s_lshl_b32 s19, s2, 2
	s_lshl_b32 s20, s2, 4
	v_addc_co_u32_e32 v15, vcc, 0, v15, vcc
	s_mov_b64 s[14:15], 0
	s_branch .LBB33_9
.LBB33_8:                               ;   in Loop: Header=BB33_9 Depth=1
	s_or_b64 exec, exec, s[0:1]
	s_add_u32 s14, s14, s19
	s_addc_u32 s15, s15, 0
	s_waitcnt vmcnt(0)
	v_pk_mov_b32 v[24:25], s[10:11], s[10:11] op_sel:[0,1]
	v_cmp_ge_i64_e32 vcc, s[14:15], v[24:25]
	v_mov_b32_e32 v24, 0xffff
	v_mov_b32_e32 v25, 0
	v_cmp_gt_u64_e64 s[0:1], s[14:15], v[24:25]
	s_or_b64 s[0:1], vcc, s[0:1]
	v_mov_b32_e32 v23, s18
	v_add_co_u32_e32 v2, vcc, s20, v2
	v_addc_co_u32_e32 v1, vcc, v1, v23, vcc
	v_add_co_u32_e32 v4, vcc, s20, v4
	v_addc_co_u32_e32 v3, vcc, v3, v23, vcc
	v_add_co_u32_e32 v6, vcc, s20, v6
	v_addc_co_u32_e32 v5, vcc, v5, v23, vcc
	v_add_co_u32_e32 v8, vcc, s20, v8
	v_addc_co_u32_e32 v7, vcc, v7, v23, vcc
	v_add_co_u32_e32 v10, vcc, s20, v10
	v_addc_co_u32_e32 v9, vcc, v9, v23, vcc
	v_add_co_u32_e32 v12, vcc, s20, v12
	v_addc_co_u32_e32 v11, vcc, v11, v23, vcc
	v_add_co_u32_e32 v14, vcc, s20, v14
	v_addc_co_u32_e32 v13, vcc, v13, v23, vcc
	v_add_co_u32_e32 v16, vcc, s20, v16
	v_addc_co_u32_e32 v15, vcc, v15, v23, vcc
	s_and_b64 vcc, exec, s[0:1]
	s_cbranch_vccnz .LBB33_25
.LBB33_9:                               ; =>This Inner Loop Header: Depth=1
	v_mov_b32_e32 v23, s15
	v_add_co_u32_e32 v24, vcc, s14, v0
	v_addc_co_u32_e32 v25, vcc, 0, v23, vcc
	v_cmp_gt_u64_e32 vcc, s[12:13], v[24:25]
	v_mov_b32_e32 v23, 0
	s_and_saveexec_b64 s[2:3], vcc
	s_cbranch_execz .LBB33_11
; %bb.10:                               ;   in Loop: Header=BB33_9 Depth=1
	v_mov_b32_e32 v23, s9
	v_add_co_u32_e64 v24, s[0:1], s8, v2
	v_addc_co_u32_e64 v25, s[0:1], v1, v23, s[0:1]
	global_load_dword v23, v[24:25], off
.LBB33_11:                              ;   in Loop: Header=BB33_9 Depth=1
	s_or_b64 exec, exec, s[2:3]
	v_mov_b32_e32 v25, s15
	v_add_co_u32_e64 v24, s[0:1], s14, v21
	v_addc_co_u32_e64 v25, s[0:1], v22, v25, s[0:1]
	v_cmp_gt_u64_e64 s[0:1], s[12:13], v[24:25]
	v_mov_b32_e32 v25, 0
	s_and_saveexec_b64 s[4:5], s[0:1]
	s_cbranch_execz .LBB33_13
; %bb.12:                               ;   in Loop: Header=BB33_9 Depth=1
	v_mov_b32_e32 v25, s9
	v_add_co_u32_e64 v24, s[2:3], s8, v14
	v_addc_co_u32_e64 v25, s[2:3], v13, v25, s[2:3]
	global_load_dword v25, v[24:25], off
.LBB33_13:                              ;   in Loop: Header=BB33_9 Depth=1
	s_or_b64 exec, exec, s[4:5]
	v_mov_b32_e32 v24, s15
	v_add_co_u32_e64 v26, s[2:3], s14, v19
	v_addc_co_u32_e64 v27, s[2:3], v20, v24, s[2:3]
	v_cmp_gt_u64_e64 s[2:3], s[12:13], v[26:27]
	v_mov_b32_e32 v24, 0
	v_mov_b32_e32 v26, 0
	s_and_saveexec_b64 s[6:7], s[2:3]
	s_cbranch_execz .LBB33_15
; %bb.14:                               ;   in Loop: Header=BB33_9 Depth=1
	v_mov_b32_e32 v27, s9
	v_add_co_u32_e64 v26, s[4:5], s8, v10
	v_addc_co_u32_e64 v27, s[4:5], v9, v27, s[4:5]
	global_load_dword v26, v[26:27], off
.LBB33_15:                              ;   in Loop: Header=BB33_9 Depth=1
	s_or_b64 exec, exec, s[6:7]
	v_mov_b32_e32 v27, s15
	v_add_co_u32_e64 v28, s[4:5], s14, v17
	v_addc_co_u32_e64 v29, s[4:5], v18, v27, s[4:5]
	v_cmp_gt_u64_e64 s[4:5], s[12:13], v[28:29]
	s_and_saveexec_b64 s[16:17], s[4:5]
	s_cbranch_execnz .LBB33_20
; %bb.16:                               ;   in Loop: Header=BB33_9 Depth=1
	s_or_b64 exec, exec, s[16:17]
	s_and_saveexec_b64 s[6:7], vcc
	s_cbranch_execnz .LBB33_21
.LBB33_17:                              ;   in Loop: Header=BB33_9 Depth=1
	s_or_b64 exec, exec, s[6:7]
	s_and_saveexec_b64 s[6:7], s[0:1]
	s_cbranch_execnz .LBB33_22
.LBB33_18:                              ;   in Loop: Header=BB33_9 Depth=1
	s_or_b64 exec, exec, s[6:7]
	s_and_saveexec_b64 s[0:1], s[2:3]
	s_cbranch_execnz .LBB33_23
.LBB33_19:                              ;   in Loop: Header=BB33_9 Depth=1
	s_or_b64 exec, exec, s[0:1]
	s_and_saveexec_b64 s[0:1], s[4:5]
	s_cbranch_execz .LBB33_8
	s_branch .LBB33_24
.LBB33_20:                              ;   in Loop: Header=BB33_9 Depth=1
	v_mov_b32_e32 v24, s9
	v_add_co_u32_e64 v28, s[6:7], s8, v6
	v_addc_co_u32_e64 v29, s[6:7], v5, v24, s[6:7]
	global_load_dword v24, v[28:29], off
	s_or_b64 exec, exec, s[16:17]
	s_and_saveexec_b64 s[6:7], vcc
	s_cbranch_execz .LBB33_17
.LBB33_21:                              ;   in Loop: Header=BB33_9 Depth=1
	v_mov_b32_e32 v27, s9
	v_add_co_u32_e32 v28, vcc, s8, v4
	v_addc_co_u32_e32 v29, vcc, v3, v27, vcc
	s_waitcnt vmcnt(0)
	v_ceil_f32_e32 v23, v23
	global_store_dword v[28:29], v23, off
	s_or_b64 exec, exec, s[6:7]
	s_and_saveexec_b64 s[6:7], s[0:1]
	s_cbranch_execz .LBB33_18
.LBB33_22:                              ;   in Loop: Header=BB33_9 Depth=1
	s_waitcnt vmcnt(0)
	v_ceil_f32_e32 v23, v25
	v_mov_b32_e32 v25, s9
	v_add_co_u32_e32 v28, vcc, s8, v16
	v_addc_co_u32_e32 v29, vcc, v15, v25, vcc
	global_store_dword v[28:29], v23, off
	s_or_b64 exec, exec, s[6:7]
	s_and_saveexec_b64 s[0:1], s[2:3]
	s_cbranch_execz .LBB33_19
.LBB33_23:                              ;   in Loop: Header=BB33_9 Depth=1
	s_waitcnt vmcnt(0)
	v_ceil_f32_e32 v23, v26
	v_mov_b32_e32 v25, s9
	v_add_co_u32_e32 v26, vcc, s8, v12
	v_addc_co_u32_e32 v27, vcc, v11, v25, vcc
	global_store_dword v[26:27], v23, off
	s_or_b64 exec, exec, s[0:1]
	s_and_saveexec_b64 s[0:1], s[4:5]
	s_cbranch_execz .LBB33_8
.LBB33_24:                              ;   in Loop: Header=BB33_9 Depth=1
	s_waitcnt vmcnt(0)
	v_ceil_f32_e32 v23, v24
	v_mov_b32_e32 v25, s9
	v_add_co_u32_e32 v24, vcc, s8, v8
	v_addc_co_u32_e32 v25, vcc, v7, v25, vcc
	global_store_dword v[24:25], v23, off
	s_branch .LBB33_8
.LBB33_25:
	s_endpgm
	.section	.rodata,"a",@progbits
	.p2align	6, 0x0
	.amdhsa_kernel _ZN2at6native12_GLOBAL__N_125multi_tensor_apply_kernelINS1_18TensorListMetadataILi2EEENS1_14UnaryOpFunctorIfLi2ELi1ELi1EEEJNS0_4CeilIfEEEEEvT_T0_DpT1_
		.amdhsa_group_segment_fixed_size 0
		.amdhsa_private_segment_fixed_size 0
		.amdhsa_kernarg_size 3408
		.amdhsa_user_sgpr_count 6
		.amdhsa_user_sgpr_private_segment_buffer 1
		.amdhsa_user_sgpr_dispatch_ptr 0
		.amdhsa_user_sgpr_queue_ptr 0
		.amdhsa_user_sgpr_kernarg_segment_ptr 1
		.amdhsa_user_sgpr_dispatch_id 0
		.amdhsa_user_sgpr_flat_scratch_init 0
		.amdhsa_user_sgpr_kernarg_preload_length 0
		.amdhsa_user_sgpr_kernarg_preload_offset 0
		.amdhsa_user_sgpr_private_segment_size 0
		.amdhsa_uses_dynamic_stack 0
		.amdhsa_system_sgpr_private_segment_wavefront_offset 0
		.amdhsa_system_sgpr_workgroup_id_x 1
		.amdhsa_system_sgpr_workgroup_id_y 0
		.amdhsa_system_sgpr_workgroup_id_z 0
		.amdhsa_system_sgpr_workgroup_info 0
		.amdhsa_system_vgpr_workitem_id 0
		.amdhsa_next_free_vgpr 30
		.amdhsa_next_free_sgpr 22
		.amdhsa_accum_offset 32
		.amdhsa_reserve_vcc 1
		.amdhsa_reserve_flat_scratch 0
		.amdhsa_float_round_mode_32 0
		.amdhsa_float_round_mode_16_64 0
		.amdhsa_float_denorm_mode_32 3
		.amdhsa_float_denorm_mode_16_64 3
		.amdhsa_dx10_clamp 1
		.amdhsa_ieee_mode 1
		.amdhsa_fp16_overflow 0
		.amdhsa_tg_split 0
		.amdhsa_exception_fp_ieee_invalid_op 0
		.amdhsa_exception_fp_denorm_src 0
		.amdhsa_exception_fp_ieee_div_zero 0
		.amdhsa_exception_fp_ieee_overflow 0
		.amdhsa_exception_fp_ieee_underflow 0
		.amdhsa_exception_fp_ieee_inexact 0
		.amdhsa_exception_int_div_zero 0
	.end_amdhsa_kernel
	.section	.text._ZN2at6native12_GLOBAL__N_125multi_tensor_apply_kernelINS1_18TensorListMetadataILi2EEENS1_14UnaryOpFunctorIfLi2ELi1ELi1EEEJNS0_4CeilIfEEEEEvT_T0_DpT1_,"axG",@progbits,_ZN2at6native12_GLOBAL__N_125multi_tensor_apply_kernelINS1_18TensorListMetadataILi2EEENS1_14UnaryOpFunctorIfLi2ELi1ELi1EEEJNS0_4CeilIfEEEEEvT_T0_DpT1_,comdat
.Lfunc_end33:
	.size	_ZN2at6native12_GLOBAL__N_125multi_tensor_apply_kernelINS1_18TensorListMetadataILi2EEENS1_14UnaryOpFunctorIfLi2ELi1ELi1EEEJNS0_4CeilIfEEEEEvT_T0_DpT1_, .Lfunc_end33-_ZN2at6native12_GLOBAL__N_125multi_tensor_apply_kernelINS1_18TensorListMetadataILi2EEENS1_14UnaryOpFunctorIfLi2ELi1ELi1EEEJNS0_4CeilIfEEEEEvT_T0_DpT1_
                                        ; -- End function
	.section	.AMDGPU.csdata,"",@progbits
; Kernel info:
; codeLenInByte = 1248
; NumSgprs: 26
; NumVgprs: 30
; NumAgprs: 0
; TotalNumVgprs: 30
; ScratchSize: 0
; MemoryBound: 0
; FloatMode: 240
; IeeeMode: 1
; LDSByteSize: 0 bytes/workgroup (compile time only)
; SGPRBlocks: 3
; VGPRBlocks: 3
; NumSGPRsForWavesPerEU: 26
; NumVGPRsForWavesPerEU: 30
; AccumOffset: 32
; Occupancy: 8
; WaveLimiterHint : 0
; COMPUTE_PGM_RSRC2:SCRATCH_EN: 0
; COMPUTE_PGM_RSRC2:USER_SGPR: 6
; COMPUTE_PGM_RSRC2:TRAP_HANDLER: 0
; COMPUTE_PGM_RSRC2:TGID_X_EN: 1
; COMPUTE_PGM_RSRC2:TGID_Y_EN: 0
; COMPUTE_PGM_RSRC2:TGID_Z_EN: 0
; COMPUTE_PGM_RSRC2:TIDIG_COMP_CNT: 0
; COMPUTE_PGM_RSRC3_GFX90A:ACCUM_OFFSET: 7
; COMPUTE_PGM_RSRC3_GFX90A:TG_SPLIT: 0
	.section	.text._ZN2at6native12_GLOBAL__N_125multi_tensor_apply_kernelINS1_18TensorListMetadataILi2EEENS1_14UnaryOpFunctorIN3c104HalfELi2ELi1ELi1EEEJNS0_4CeilIfEEEEEvT_T0_DpT1_,"axG",@progbits,_ZN2at6native12_GLOBAL__N_125multi_tensor_apply_kernelINS1_18TensorListMetadataILi2EEENS1_14UnaryOpFunctorIN3c104HalfELi2ELi1ELi1EEEJNS0_4CeilIfEEEEEvT_T0_DpT1_,comdat
	.globl	_ZN2at6native12_GLOBAL__N_125multi_tensor_apply_kernelINS1_18TensorListMetadataILi2EEENS1_14UnaryOpFunctorIN3c104HalfELi2ELi1ELi1EEEJNS0_4CeilIfEEEEEvT_T0_DpT1_ ; -- Begin function _ZN2at6native12_GLOBAL__N_125multi_tensor_apply_kernelINS1_18TensorListMetadataILi2EEENS1_14UnaryOpFunctorIN3c104HalfELi2ELi1ELi1EEEJNS0_4CeilIfEEEEEvT_T0_DpT1_
	.p2align	8
	.type	_ZN2at6native12_GLOBAL__N_125multi_tensor_apply_kernelINS1_18TensorListMetadataILi2EEENS1_14UnaryOpFunctorIN3c104HalfELi2ELi1ELi1EEEJNS0_4CeilIfEEEEEvT_T0_DpT1_,@function
_ZN2at6native12_GLOBAL__N_125multi_tensor_apply_kernelINS1_18TensorListMetadataILi2EEENS1_14UnaryOpFunctorIN3c104HalfELi2ELi1ELi1EEEJNS0_4CeilIfEEEEEvT_T0_DpT1_: ; @_ZN2at6native12_GLOBAL__N_125multi_tensor_apply_kernelINS1_18TensorListMetadataILi2EEENS1_14UnaryOpFunctorIN3c104HalfELi2ELi1ELi1EEEJNS0_4CeilIfEEEEEvT_T0_DpT1_
; %bb.0:
	v_mov_b32_e32 v1, s6
	global_load_ubyte v1, v1, s[4:5] offset:1536
	s_add_u32 s0, s4, s6
	s_mul_hi_u32 s2, s6, 3
	s_mul_i32 s6, s6, 3
	s_addc_u32 s7, s5, 0
	s_add_u32 s6, s0, s6
	s_addc_u32 s7, s7, s2
	s_load_dword s12, s[6:7], 0x740
	s_mov_b32 s1, 0
	s_mov_b32 s11, s1
	;; [unrolled: 1-line block ×3, first 2 shown]
	s_waitcnt lgkmcnt(0)
	s_ashr_i32 s13, s12, 31
	s_lshl_b64 s[8:9], s[12:13], 17
	s_waitcnt vmcnt(0)
	v_readfirstlane_b32 s0, v1
	s_lshl_b32 s0, s0, 3
	s_load_dwordx2 s[14:15], s[4:5], s0 offset:0x0
	s_load_dwordx2 s[16:17], s[4:5], s0 offset:0x400
	;; [unrolled: 1-line block ×3, first 2 shown]
	s_waitcnt lgkmcnt(0)
	s_add_u32 s20, s14, s8
	s_addc_u32 s21, s15, s9
	s_and_b32 s0, s20, 7
	s_add_u32 s22, s6, s8
	s_addc_u32 s23, s7, s9
	s_and_b32 s10, s16, 3
	s_and_b32 s2, s22, 7
	s_or_b64 s[10:11], s[0:1], s[10:11]
	s_or_b64 s[2:3], s[2:3], s[10:11]
	s_lshl_b64 s[10:11], s[12:13], 16
	s_sub_u32 s10, s16, s10
	s_subb_u32 s11, s17, s11
	s_cmp_eq_u64 s[2:3], 0
	s_mov_b64 s[2:3], -1
	s_cbranch_scc0 .LBB34_5
; %bb.1:
	v_mov_b32_e32 v3, 0
	v_lshlrev_b32_e32 v2, 2, v0
	v_cmp_gt_i64_e32 vcc, s[10:11], v[2:3]
	s_and_saveexec_b64 s[12:13], vcc
	s_cbranch_execz .LBB34_4
; %bb.2:
	s_load_dword s0, s[4:5], 0xc5c
	v_lshlrev_b32_e32 v4, 3, v0
	s_mov_b64 s[16:17], 0
	s_mov_b64 s[18:19], 0xffff
	v_mov_b32_e32 v1, s1
	s_waitcnt lgkmcnt(0)
	s_and_b32 s0, s0, 0xffff
	v_add_lshl_u32 v2, v0, s0, 2
	s_lshl_b32 s24, s0, 2
	s_lshl_b32 s25, s0, 3
.LBB34_3:                               ; =>This Inner Loop Header: Depth=1
	v_mov_b32_e32 v5, s21
	v_add_co_u32_e32 v6, vcc, s20, v4
	v_addc_co_u32_e32 v7, vcc, 0, v5, vcc
	global_load_dwordx2 v[6:7], v[6:7], off
	v_cmp_le_i64_e32 vcc, s[10:11], v[2:3]
	v_cmp_lt_u64_e64 s[0:1], s[18:19], v[2:3]
	s_or_b64 s[0:1], vcc, s[0:1]
	v_add_co_u32_e64 v2, s[2:3], s24, v2
	s_add_u32 s20, s20, s25
	v_addc_co_u32_e64 v3, s[2:3], v3, v1, s[2:3]
	s_addc_u32 s21, s21, 0
	v_add_co_u32_e64 v8, s[2:3], s22, v4
	s_add_u32 s22, s22, s25
	v_mov_b32_e32 v5, s23
	s_addc_u32 s23, s23, 0
	v_addc_co_u32_e64 v9, s[2:3], 0, v5, s[2:3]
	s_and_b64 s[0:1], exec, s[0:1]
	s_or_b64 s[16:17], s[0:1], s[16:17]
	s_waitcnt vmcnt(0)
	v_ceil_f16_e32 v5, v6
	v_ceil_f16_sdwa v6, v6 dst_sel:DWORD dst_unused:UNUSED_PAD src0_sel:WORD_1
	v_ceil_f16_e32 v10, v7
	v_ceil_f16_sdwa v7, v7 dst_sel:DWORD dst_unused:UNUSED_PAD src0_sel:WORD_1
	v_pack_b32_f16 v7, v10, v7
	v_pack_b32_f16 v6, v5, v6
	global_store_dwordx2 v[8:9], v[6:7], off
	s_andn2_b64 exec, exec, s[16:17]
	s_cbranch_execnz .LBB34_3
.LBB34_4:
	s_or_b64 exec, exec, s[12:13]
	s_mov_b64 s[2:3], 0
.LBB34_5:
	s_andn2_b64 vcc, exec, s[2:3]
	s_cbranch_vccnz .LBB34_25
; %bb.6:
	v_cmp_lt_i64_e64 s[0:1], s[10:11], 1
	s_and_b64 vcc, exec, s[0:1]
	s_cbranch_vccnz .LBB34_25
; %bb.7:
	s_load_dword s0, s[4:5], 0xc5c
	v_mov_b32_e32 v2, 0x10000
	v_mov_b32_e32 v3, 0
	v_cmp_lt_u64_e32 vcc, s[10:11], v[2:3]
	v_lshlrev_b32_e32 v10, 1, v0
	s_waitcnt lgkmcnt(0)
	s_and_b32 s2, s0, 0xffff
	s_and_b64 s[0:1], vcc, exec
	v_mov_b32_e32 v13, s15
	v_add_co_u32_e32 v2, vcc, s14, v10
	v_addc_co_u32_e32 v1, vcc, 0, v13, vcc
	v_mov_b32_e32 v11, 0
	v_mov_b32_e32 v15, s7
	v_add_co_u32_e32 v4, vcc, s6, v10
	v_addc_co_u32_e32 v3, vcc, 0, v15, vcc
	v_mad_u64_u32 v[8:9], s[0:1], s2, 6, v[10:11]
	v_add_co_u32_e32 v6, vcc, s14, v8
	v_addc_co_u32_e32 v5, vcc, v13, v9, vcc
	v_add_co_u32_e32 v8, vcc, s6, v8
	s_mul_i32 s4, s2, 3
	v_addc_co_u32_e32 v7, vcc, v15, v9, vcc
	s_cselect_b32 s13, s11, 0
	s_cselect_b32 s12, s10, 0x10000
	s_lshl_b32 s19, s2, 2
	v_add_co_u32_e32 v17, vcc, s4, v0
	v_addc_co_u32_e64 v18, s[0:1], 0, 0, vcc
	v_add_co_u32_e32 v11, vcc, s19, v10
	v_addc_co_u32_e64 v14, s[0:1], 0, 0, vcc
	v_add_co_u32_e32 v10, vcc, s14, v11
	v_addc_co_u32_e32 v9, vcc, v13, v14, vcc
	v_add_co_u32_e32 v12, vcc, s6, v11
	s_lshl_b32 s3, s2, 1
	v_addc_co_u32_e32 v11, vcc, v15, v14, vcc
	v_add_co_u32_e32 v19, vcc, s3, v0
	v_addc_co_u32_e64 v20, s[0:1], 0, 0, vcc
	v_add_co_u32_e32 v21, vcc, s2, v0
	v_lshlrev_b32_e32 v16, 1, v21
	v_addc_co_u32_e64 v22, s[0:1], 0, 0, vcc
	v_add_co_u32_e32 v14, vcc, s14, v16
	v_addc_co_u32_e32 v13, vcc, 0, v13, vcc
	v_add_co_u32_e32 v16, vcc, s6, v16
	s_mov_b32 s18, 0
	s_lshl_b32 s20, s2, 3
	v_addc_co_u32_e32 v15, vcc, 0, v15, vcc
	s_mov_b64 s[14:15], 0
	s_branch .LBB34_9
.LBB34_8:                               ;   in Loop: Header=BB34_9 Depth=1
	s_or_b64 exec, exec, s[0:1]
	s_add_u32 s14, s14, s19
	s_addc_u32 s15, s15, 0
	s_waitcnt vmcnt(0)
	v_pk_mov_b32 v[24:25], s[10:11], s[10:11] op_sel:[0,1]
	v_cmp_ge_i64_e32 vcc, s[14:15], v[24:25]
	v_mov_b32_e32 v24, 0xffff
	v_mov_b32_e32 v25, 0
	v_cmp_gt_u64_e64 s[0:1], s[14:15], v[24:25]
	s_or_b64 s[0:1], vcc, s[0:1]
	v_mov_b32_e32 v23, s18
	v_add_co_u32_e32 v2, vcc, s20, v2
	v_addc_co_u32_e32 v1, vcc, v1, v23, vcc
	v_add_co_u32_e32 v4, vcc, s20, v4
	v_addc_co_u32_e32 v3, vcc, v3, v23, vcc
	;; [unrolled: 2-line block ×8, first 2 shown]
	s_and_b64 vcc, exec, s[0:1]
	s_cbranch_vccnz .LBB34_25
.LBB34_9:                               ; =>This Inner Loop Header: Depth=1
	v_mov_b32_e32 v23, s15
	v_add_co_u32_e32 v24, vcc, s14, v0
	v_addc_co_u32_e32 v25, vcc, 0, v23, vcc
	v_cmp_gt_u64_e32 vcc, s[12:13], v[24:25]
	v_mov_b32_e32 v23, 0
	s_and_saveexec_b64 s[2:3], vcc
	s_cbranch_execz .LBB34_11
; %bb.10:                               ;   in Loop: Header=BB34_9 Depth=1
	v_mov_b32_e32 v23, s9
	v_add_co_u32_e64 v24, s[0:1], s8, v2
	v_addc_co_u32_e64 v25, s[0:1], v1, v23, s[0:1]
	global_load_ushort v23, v[24:25], off
.LBB34_11:                              ;   in Loop: Header=BB34_9 Depth=1
	s_or_b64 exec, exec, s[2:3]
	v_mov_b32_e32 v25, s15
	v_add_co_u32_e64 v24, s[0:1], s14, v21
	v_addc_co_u32_e64 v25, s[0:1], v22, v25, s[0:1]
	v_cmp_gt_u64_e64 s[0:1], s[12:13], v[24:25]
	v_mov_b32_e32 v25, 0
	s_and_saveexec_b64 s[4:5], s[0:1]
	s_cbranch_execz .LBB34_13
; %bb.12:                               ;   in Loop: Header=BB34_9 Depth=1
	v_mov_b32_e32 v25, s9
	v_add_co_u32_e64 v24, s[2:3], s8, v14
	v_addc_co_u32_e64 v25, s[2:3], v13, v25, s[2:3]
	global_load_ushort v25, v[24:25], off
.LBB34_13:                              ;   in Loop: Header=BB34_9 Depth=1
	s_or_b64 exec, exec, s[4:5]
	v_mov_b32_e32 v24, s15
	v_add_co_u32_e64 v26, s[2:3], s14, v19
	v_addc_co_u32_e64 v27, s[2:3], v20, v24, s[2:3]
	v_cmp_gt_u64_e64 s[2:3], s[12:13], v[26:27]
	v_mov_b32_e32 v24, 0
	v_mov_b32_e32 v26, 0
	s_and_saveexec_b64 s[6:7], s[2:3]
	s_cbranch_execz .LBB34_15
; %bb.14:                               ;   in Loop: Header=BB34_9 Depth=1
	v_mov_b32_e32 v27, s9
	v_add_co_u32_e64 v26, s[4:5], s8, v10
	v_addc_co_u32_e64 v27, s[4:5], v9, v27, s[4:5]
	global_load_ushort v26, v[26:27], off
.LBB34_15:                              ;   in Loop: Header=BB34_9 Depth=1
	s_or_b64 exec, exec, s[6:7]
	v_mov_b32_e32 v27, s15
	v_add_co_u32_e64 v28, s[4:5], s14, v17
	v_addc_co_u32_e64 v29, s[4:5], v18, v27, s[4:5]
	v_cmp_gt_u64_e64 s[4:5], s[12:13], v[28:29]
	s_and_saveexec_b64 s[16:17], s[4:5]
	s_cbranch_execnz .LBB34_20
; %bb.16:                               ;   in Loop: Header=BB34_9 Depth=1
	s_or_b64 exec, exec, s[16:17]
	s_and_saveexec_b64 s[6:7], vcc
	s_cbranch_execnz .LBB34_21
.LBB34_17:                              ;   in Loop: Header=BB34_9 Depth=1
	s_or_b64 exec, exec, s[6:7]
	s_and_saveexec_b64 s[6:7], s[0:1]
	s_cbranch_execnz .LBB34_22
.LBB34_18:                              ;   in Loop: Header=BB34_9 Depth=1
	s_or_b64 exec, exec, s[6:7]
	s_and_saveexec_b64 s[0:1], s[2:3]
	s_cbranch_execnz .LBB34_23
.LBB34_19:                              ;   in Loop: Header=BB34_9 Depth=1
	s_or_b64 exec, exec, s[0:1]
	s_and_saveexec_b64 s[0:1], s[4:5]
	s_cbranch_execz .LBB34_8
	s_branch .LBB34_24
.LBB34_20:                              ;   in Loop: Header=BB34_9 Depth=1
	v_mov_b32_e32 v24, s9
	v_add_co_u32_e64 v28, s[6:7], s8, v6
	v_addc_co_u32_e64 v29, s[6:7], v5, v24, s[6:7]
	global_load_ushort v24, v[28:29], off
	s_or_b64 exec, exec, s[16:17]
	s_and_saveexec_b64 s[6:7], vcc
	s_cbranch_execz .LBB34_17
.LBB34_21:                              ;   in Loop: Header=BB34_9 Depth=1
	v_mov_b32_e32 v27, s9
	v_add_co_u32_e32 v28, vcc, s8, v4
	v_addc_co_u32_e32 v29, vcc, v3, v27, vcc
	s_waitcnt vmcnt(0)
	v_ceil_f16_e32 v23, v23
	global_store_short v[28:29], v23, off
	s_or_b64 exec, exec, s[6:7]
	s_and_saveexec_b64 s[6:7], s[0:1]
	s_cbranch_execz .LBB34_18
.LBB34_22:                              ;   in Loop: Header=BB34_9 Depth=1
	s_waitcnt vmcnt(0)
	v_ceil_f16_e32 v23, v25
	v_mov_b32_e32 v25, s9
	v_add_co_u32_e32 v28, vcc, s8, v16
	v_addc_co_u32_e32 v29, vcc, v15, v25, vcc
	global_store_short v[28:29], v23, off
	s_or_b64 exec, exec, s[6:7]
	s_and_saveexec_b64 s[0:1], s[2:3]
	s_cbranch_execz .LBB34_19
.LBB34_23:                              ;   in Loop: Header=BB34_9 Depth=1
	s_waitcnt vmcnt(0)
	v_ceil_f16_e32 v23, v26
	v_mov_b32_e32 v25, s9
	v_add_co_u32_e32 v26, vcc, s8, v12
	v_addc_co_u32_e32 v27, vcc, v11, v25, vcc
	global_store_short v[26:27], v23, off
	s_or_b64 exec, exec, s[0:1]
	s_and_saveexec_b64 s[0:1], s[4:5]
	s_cbranch_execz .LBB34_8
.LBB34_24:                              ;   in Loop: Header=BB34_9 Depth=1
	s_waitcnt vmcnt(0)
	v_ceil_f16_e32 v23, v24
	v_mov_b32_e32 v25, s9
	v_add_co_u32_e32 v24, vcc, s8, v8
	v_addc_co_u32_e32 v25, vcc, v7, v25, vcc
	global_store_short v[24:25], v23, off
	s_branch .LBB34_8
.LBB34_25:
	s_endpgm
	.section	.rodata,"a",@progbits
	.p2align	6, 0x0
	.amdhsa_kernel _ZN2at6native12_GLOBAL__N_125multi_tensor_apply_kernelINS1_18TensorListMetadataILi2EEENS1_14UnaryOpFunctorIN3c104HalfELi2ELi1ELi1EEEJNS0_4CeilIfEEEEEvT_T0_DpT1_
		.amdhsa_group_segment_fixed_size 0
		.amdhsa_private_segment_fixed_size 0
		.amdhsa_kernarg_size 3408
		.amdhsa_user_sgpr_count 6
		.amdhsa_user_sgpr_private_segment_buffer 1
		.amdhsa_user_sgpr_dispatch_ptr 0
		.amdhsa_user_sgpr_queue_ptr 0
		.amdhsa_user_sgpr_kernarg_segment_ptr 1
		.amdhsa_user_sgpr_dispatch_id 0
		.amdhsa_user_sgpr_flat_scratch_init 0
		.amdhsa_user_sgpr_kernarg_preload_length 0
		.amdhsa_user_sgpr_kernarg_preload_offset 0
		.amdhsa_user_sgpr_private_segment_size 0
		.amdhsa_uses_dynamic_stack 0
		.amdhsa_system_sgpr_private_segment_wavefront_offset 0
		.amdhsa_system_sgpr_workgroup_id_x 1
		.amdhsa_system_sgpr_workgroup_id_y 0
		.amdhsa_system_sgpr_workgroup_id_z 0
		.amdhsa_system_sgpr_workgroup_info 0
		.amdhsa_system_vgpr_workitem_id 0
		.amdhsa_next_free_vgpr 30
		.amdhsa_next_free_sgpr 26
		.amdhsa_accum_offset 32
		.amdhsa_reserve_vcc 1
		.amdhsa_reserve_flat_scratch 0
		.amdhsa_float_round_mode_32 0
		.amdhsa_float_round_mode_16_64 0
		.amdhsa_float_denorm_mode_32 3
		.amdhsa_float_denorm_mode_16_64 3
		.amdhsa_dx10_clamp 1
		.amdhsa_ieee_mode 1
		.amdhsa_fp16_overflow 0
		.amdhsa_tg_split 0
		.amdhsa_exception_fp_ieee_invalid_op 0
		.amdhsa_exception_fp_denorm_src 0
		.amdhsa_exception_fp_ieee_div_zero 0
		.amdhsa_exception_fp_ieee_overflow 0
		.amdhsa_exception_fp_ieee_underflow 0
		.amdhsa_exception_fp_ieee_inexact 0
		.amdhsa_exception_int_div_zero 0
	.end_amdhsa_kernel
	.section	.text._ZN2at6native12_GLOBAL__N_125multi_tensor_apply_kernelINS1_18TensorListMetadataILi2EEENS1_14UnaryOpFunctorIN3c104HalfELi2ELi1ELi1EEEJNS0_4CeilIfEEEEEvT_T0_DpT1_,"axG",@progbits,_ZN2at6native12_GLOBAL__N_125multi_tensor_apply_kernelINS1_18TensorListMetadataILi2EEENS1_14UnaryOpFunctorIN3c104HalfELi2ELi1ELi1EEEJNS0_4CeilIfEEEEEvT_T0_DpT1_,comdat
.Lfunc_end34:
	.size	_ZN2at6native12_GLOBAL__N_125multi_tensor_apply_kernelINS1_18TensorListMetadataILi2EEENS1_14UnaryOpFunctorIN3c104HalfELi2ELi1ELi1EEEJNS0_4CeilIfEEEEEvT_T0_DpT1_, .Lfunc_end34-_ZN2at6native12_GLOBAL__N_125multi_tensor_apply_kernelINS1_18TensorListMetadataILi2EEENS1_14UnaryOpFunctorIN3c104HalfELi2ELi1ELi1EEEJNS0_4CeilIfEEEEEvT_T0_DpT1_
                                        ; -- End function
	.section	.AMDGPU.csdata,"",@progbits
; Kernel info:
; codeLenInByte = 1272
; NumSgprs: 30
; NumVgprs: 30
; NumAgprs: 0
; TotalNumVgprs: 30
; ScratchSize: 0
; MemoryBound: 0
; FloatMode: 240
; IeeeMode: 1
; LDSByteSize: 0 bytes/workgroup (compile time only)
; SGPRBlocks: 3
; VGPRBlocks: 3
; NumSGPRsForWavesPerEU: 30
; NumVGPRsForWavesPerEU: 30
; AccumOffset: 32
; Occupancy: 8
; WaveLimiterHint : 0
; COMPUTE_PGM_RSRC2:SCRATCH_EN: 0
; COMPUTE_PGM_RSRC2:USER_SGPR: 6
; COMPUTE_PGM_RSRC2:TRAP_HANDLER: 0
; COMPUTE_PGM_RSRC2:TGID_X_EN: 1
; COMPUTE_PGM_RSRC2:TGID_Y_EN: 0
; COMPUTE_PGM_RSRC2:TGID_Z_EN: 0
; COMPUTE_PGM_RSRC2:TIDIG_COMP_CNT: 0
; COMPUTE_PGM_RSRC3_GFX90A:ACCUM_OFFSET: 7
; COMPUTE_PGM_RSRC3_GFX90A:TG_SPLIT: 0
	.section	.text._ZN2at6native12_GLOBAL__N_125multi_tensor_apply_kernelINS1_18TensorListMetadataILi2EEENS1_14UnaryOpFunctorIN3c108BFloat16ELi2ELi1ELi1EEEJNS0_4CeilIfEEEEEvT_T0_DpT1_,"axG",@progbits,_ZN2at6native12_GLOBAL__N_125multi_tensor_apply_kernelINS1_18TensorListMetadataILi2EEENS1_14UnaryOpFunctorIN3c108BFloat16ELi2ELi1ELi1EEEJNS0_4CeilIfEEEEEvT_T0_DpT1_,comdat
	.globl	_ZN2at6native12_GLOBAL__N_125multi_tensor_apply_kernelINS1_18TensorListMetadataILi2EEENS1_14UnaryOpFunctorIN3c108BFloat16ELi2ELi1ELi1EEEJNS0_4CeilIfEEEEEvT_T0_DpT1_ ; -- Begin function _ZN2at6native12_GLOBAL__N_125multi_tensor_apply_kernelINS1_18TensorListMetadataILi2EEENS1_14UnaryOpFunctorIN3c108BFloat16ELi2ELi1ELi1EEEJNS0_4CeilIfEEEEEvT_T0_DpT1_
	.p2align	8
	.type	_ZN2at6native12_GLOBAL__N_125multi_tensor_apply_kernelINS1_18TensorListMetadataILi2EEENS1_14UnaryOpFunctorIN3c108BFloat16ELi2ELi1ELi1EEEJNS0_4CeilIfEEEEEvT_T0_DpT1_,@function
_ZN2at6native12_GLOBAL__N_125multi_tensor_apply_kernelINS1_18TensorListMetadataILi2EEENS1_14UnaryOpFunctorIN3c108BFloat16ELi2ELi1ELi1EEEJNS0_4CeilIfEEEEEvT_T0_DpT1_: ; @_ZN2at6native12_GLOBAL__N_125multi_tensor_apply_kernelINS1_18TensorListMetadataILi2EEENS1_14UnaryOpFunctorIN3c108BFloat16ELi2ELi1ELi1EEEJNS0_4CeilIfEEEEEvT_T0_DpT1_
; %bb.0:
	v_mov_b32_e32 v1, s6
	global_load_ubyte v1, v1, s[4:5] offset:1536
	s_add_u32 s0, s4, s6
	s_mul_hi_u32 s2, s6, 3
	s_mul_i32 s6, s6, 3
	s_addc_u32 s7, s5, 0
	s_add_u32 s8, s0, s6
	s_addc_u32 s9, s7, s2
	s_mov_b32 s1, 0
	s_mov_b32 s17, s1
	;; [unrolled: 1-line block ×3, first 2 shown]
	s_waitcnt vmcnt(0)
	v_readfirstlane_b32 s0, v1
	s_lshl_b32 s0, s0, 3
	s_load_dword s10, s[8:9], 0x740
	s_load_dwordx2 s[14:15], s[4:5], s0 offset:0x0
	s_load_dwordx2 s[12:13], s[4:5], s0 offset:0x400
	;; [unrolled: 1-line block ×3, first 2 shown]
	s_waitcnt lgkmcnt(0)
	s_ashr_i32 s11, s10, 31
	s_and_b32 s0, s14, 7
	s_and_b32 s16, s12, 3
	;; [unrolled: 1-line block ×3, first 2 shown]
	s_or_b64 s[16:17], s[0:1], s[16:17]
	s_lshl_b64 s[8:9], s[10:11], 17
	s_or_b64 s[2:3], s[2:3], s[16:17]
	s_lshl_b64 s[10:11], s[10:11], 16
	s_sub_u32 s10, s12, s10
	s_subb_u32 s11, s13, s11
	s_cmp_eq_u64 s[2:3], 0
	s_mov_b64 s[2:3], -1
	s_cbranch_scc0 .LBB35_5
; %bb.1:
	v_mov_b32_e32 v3, 0
	v_lshlrev_b32_e32 v2, 2, v0
	v_cmp_gt_i64_e32 vcc, s[10:11], v[2:3]
	s_and_saveexec_b64 s[12:13], vcc
	s_cbranch_execz .LBB35_4
; %bb.2:
	s_load_dword s0, s[4:5], 0xc5c
	v_lshlrev_b32_e32 v1, 3, v0
	v_mov_b32_e32 v2, s9
	v_add_co_u32_e32 v4, vcc, s8, v1
	s_waitcnt lgkmcnt(0)
	s_and_b32 s0, s0, 0xffff
	v_addc_co_u32_e32 v1, vcc, 0, v2, vcc
	s_lshl_b32 s20, s0, 3
	v_add_lshl_u32 v2, v0, s0, 2
	s_lshl_b32 s21, s0, 2
	s_mov_b64 s[16:17], 0
	v_mov_b32_e32 v5, s15
	s_movk_i32 s22, 0x7fff
	v_mov_b32_e32 v6, s7
	v_mov_b32_e32 v7, 0x7fc00000
	;; [unrolled: 1-line block ×3, first 2 shown]
	s_mov_b64 s[18:19], 0xffff
	v_mov_b32_e32 v9, s1
	v_mov_b32_e32 v10, s1
.LBB35_3:                               ; =>This Inner Loop Header: Depth=1
	v_add_co_u32_e32 v12, vcc, s14, v4
	v_addc_co_u32_e32 v13, vcc, v5, v1, vcc
	global_load_dwordx2 v[12:13], v[12:13], off
	v_add_co_u32_e32 v14, vcc, s6, v4
	v_addc_co_u32_e32 v15, vcc, v6, v1, vcc
	v_cmp_le_i64_e32 vcc, s[10:11], v[2:3]
	v_cmp_lt_u64_e64 s[0:1], s[18:19], v[2:3]
	v_add_co_u32_e64 v4, s[2:3], s20, v4
	v_addc_co_u32_e64 v1, s[2:3], v1, v9, s[2:3]
	s_or_b64 s[0:1], vcc, s[0:1]
	v_add_co_u32_e64 v2, s[2:3], s21, v2
	s_and_b64 s[0:1], exec, s[0:1]
	v_addc_co_u32_e64 v3, s[2:3], v3, v10, s[2:3]
	s_or_b64 s[16:17], s[0:1], s[16:17]
	s_waitcnt vmcnt(0)
	v_and_b32_e32 v11, 0xffff0000, v12
	v_lshlrev_b32_e32 v16, 16, v12
	v_alignbit_b32 v12, v13, v12, 16
	v_and_b32_e32 v13, 0xffff0000, v13
	v_ceil_f32_e32 v16, v16
	v_ceil_f32_e32 v11, v11
	v_and_b32_e32 v12, 0xffff0000, v12
	v_ceil_f32_e32 v13, v13
	v_bfe_u32 v17, v16, 16, 1
	v_bfe_u32 v18, v11, 16, 1
	v_ceil_f32_e32 v12, v12
	v_bfe_u32 v19, v13, 16, 1
	v_add3_u32 v17, v16, v17, s22
	v_add3_u32 v18, v11, v18, s22
	v_bfe_u32 v20, v12, 16, 1
	v_add3_u32 v19, v13, v19, s22
	v_lshrrev_b32_e32 v17, 16, v17
	v_and_b32_e32 v18, 0xffff0000, v18
	v_add3_u32 v20, v12, v20, s22
	v_cmp_o_f32_e32 vcc, v11, v11
	v_cmp_o_f32_e64 s[0:1], v16, v16
	v_and_b32_e32 v19, 0xffff0000, v19
	v_cmp_o_f32_e64 s[2:3], v13, v13
	v_lshrrev_b32_e32 v11, 16, v20
	v_cndmask_b32_e32 v16, v7, v18, vcc
	v_cndmask_b32_e64 v17, v8, v17, s[0:1]
	v_cmp_o_f32_e32 vcc, v12, v12
	v_cndmask_b32_e64 v13, v7, v19, s[2:3]
	v_cndmask_b32_e32 v11, v8, v11, vcc
	v_or_b32_e32 v12, v17, v16
	v_or3_b32 v13, 0, v11, v13
	v_or3_b32 v12, v12, 0, 0
	global_store_dwordx2 v[14:15], v[12:13], off
	s_andn2_b64 exec, exec, s[16:17]
	s_cbranch_execnz .LBB35_3
.LBB35_4:
	s_or_b64 exec, exec, s[12:13]
	s_mov_b64 s[2:3], 0
.LBB35_5:
	s_andn2_b64 vcc, exec, s[2:3]
	s_cbranch_vccnz .LBB35_25
; %bb.6:
	v_cmp_lt_i64_e64 s[0:1], s[10:11], 1
	s_and_b64 vcc, exec, s[0:1]
	s_cbranch_vccnz .LBB35_25
; %bb.7:
	s_load_dword s0, s[4:5], 0xc5c
	v_mov_b32_e32 v2, 0x10000
	v_mov_b32_e32 v3, 0
	v_cmp_lt_u64_e32 vcc, s[10:11], v[2:3]
	v_lshlrev_b32_e32 v10, 1, v0
	s_waitcnt lgkmcnt(0)
	s_and_b32 s2, s0, 0xffff
	s_and_b64 s[0:1], vcc, exec
	v_mov_b32_e32 v13, s15
	v_add_co_u32_e32 v2, vcc, s14, v10
	v_addc_co_u32_e32 v1, vcc, 0, v13, vcc
	v_mov_b32_e32 v11, 0
	v_mov_b32_e32 v15, s7
	v_add_co_u32_e32 v4, vcc, s6, v10
	v_addc_co_u32_e32 v3, vcc, 0, v15, vcc
	v_mad_u64_u32 v[8:9], s[0:1], s2, 6, v[10:11]
	v_add_co_u32_e32 v6, vcc, s14, v8
	v_addc_co_u32_e32 v5, vcc, v13, v9, vcc
	v_add_co_u32_e32 v8, vcc, s6, v8
	s_mul_i32 s4, s2, 3
	v_addc_co_u32_e32 v7, vcc, v15, v9, vcc
	s_cselect_b32 s13, s11, 0
	s_cselect_b32 s12, s10, 0x10000
	s_lshl_b32 s19, s2, 2
	v_add_co_u32_e32 v17, vcc, s4, v0
	v_addc_co_u32_e64 v18, s[0:1], 0, 0, vcc
	v_add_co_u32_e32 v11, vcc, s19, v10
	v_addc_co_u32_e64 v14, s[0:1], 0, 0, vcc
	v_add_co_u32_e32 v10, vcc, s14, v11
	v_addc_co_u32_e32 v9, vcc, v13, v14, vcc
	v_add_co_u32_e32 v12, vcc, s6, v11
	s_lshl_b32 s3, s2, 1
	v_addc_co_u32_e32 v11, vcc, v15, v14, vcc
	v_add_co_u32_e32 v19, vcc, s3, v0
	v_addc_co_u32_e64 v20, s[0:1], 0, 0, vcc
	v_add_co_u32_e32 v21, vcc, s2, v0
	v_lshlrev_b32_e32 v16, 1, v21
	v_addc_co_u32_e64 v22, s[0:1], 0, 0, vcc
	v_add_co_u32_e32 v14, vcc, s14, v16
	v_addc_co_u32_e32 v13, vcc, 0, v13, vcc
	v_add_co_u32_e32 v16, vcc, s6, v16
	s_mov_b32 s18, 0
	s_lshl_b32 s20, s2, 3
	v_addc_co_u32_e32 v15, vcc, 0, v15, vcc
	s_mov_b64 s[14:15], 0
	s_movk_i32 s21, 0x7fff
	v_mov_b32_e32 v23, 0x7fc0
	s_branch .LBB35_9
.LBB35_8:                               ;   in Loop: Header=BB35_9 Depth=1
	s_or_b64 exec, exec, s[0:1]
	s_add_u32 s14, s14, s19
	s_addc_u32 s15, s15, 0
	s_waitcnt vmcnt(0)
	v_pk_mov_b32 v[24:25], s[10:11], s[10:11] op_sel:[0,1]
	v_cmp_ge_i64_e32 vcc, s[14:15], v[24:25]
	v_mov_b32_e32 v24, 0xffff
	v_mov_b32_e32 v25, 0
	v_cmp_gt_u64_e64 s[0:1], s[14:15], v[24:25]
	s_or_b64 s[0:1], vcc, s[0:1]
	v_mov_b32_e32 v24, s18
	v_add_co_u32_e32 v2, vcc, s20, v2
	v_addc_co_u32_e32 v1, vcc, v1, v24, vcc
	v_add_co_u32_e32 v4, vcc, s20, v4
	v_addc_co_u32_e32 v3, vcc, v3, v24, vcc
	;; [unrolled: 2-line block ×8, first 2 shown]
	s_and_b64 vcc, exec, s[0:1]
	s_cbranch_vccnz .LBB35_25
.LBB35_9:                               ; =>This Inner Loop Header: Depth=1
	v_mov_b32_e32 v25, s15
	v_add_co_u32_e32 v24, vcc, s14, v0
	v_addc_co_u32_e32 v25, vcc, 0, v25, vcc
	v_cmp_gt_u64_e32 vcc, s[12:13], v[24:25]
	v_mov_b32_e32 v25, 0
	s_and_saveexec_b64 s[2:3], vcc
	s_cbranch_execz .LBB35_11
; %bb.10:                               ;   in Loop: Header=BB35_9 Depth=1
	v_mov_b32_e32 v25, s9
	v_add_co_u32_e64 v24, s[0:1], s8, v2
	v_addc_co_u32_e64 v25, s[0:1], v1, v25, s[0:1]
	global_load_ushort v25, v[24:25], off
.LBB35_11:                              ;   in Loop: Header=BB35_9 Depth=1
	s_or_b64 exec, exec, s[2:3]
	v_mov_b32_e32 v24, s15
	v_add_co_u32_e64 v26, s[0:1], s14, v21
	v_addc_co_u32_e64 v27, s[0:1], v22, v24, s[0:1]
	v_cmp_gt_u64_e64 s[0:1], s[12:13], v[26:27]
	v_mov_b32_e32 v26, 0
	s_and_saveexec_b64 s[4:5], s[0:1]
	s_cbranch_execz .LBB35_13
; %bb.12:                               ;   in Loop: Header=BB35_9 Depth=1
	v_mov_b32_e32 v24, s9
	v_add_co_u32_e64 v26, s[2:3], s8, v14
	v_addc_co_u32_e64 v27, s[2:3], v13, v24, s[2:3]
	global_load_ushort v26, v[26:27], off
.LBB35_13:                              ;   in Loop: Header=BB35_9 Depth=1
	s_or_b64 exec, exec, s[4:5]
	v_mov_b32_e32 v24, s15
	v_add_co_u32_e64 v28, s[2:3], s14, v19
	v_addc_co_u32_e64 v29, s[2:3], v20, v24, s[2:3]
	v_cmp_gt_u64_e64 s[2:3], s[12:13], v[28:29]
	v_mov_b32_e32 v24, 0
	v_mov_b32_e32 v27, 0
	s_and_saveexec_b64 s[6:7], s[2:3]
	s_cbranch_execz .LBB35_15
; %bb.14:                               ;   in Loop: Header=BB35_9 Depth=1
	v_mov_b32_e32 v27, s9
	v_add_co_u32_e64 v28, s[4:5], s8, v10
	v_addc_co_u32_e64 v29, s[4:5], v9, v27, s[4:5]
	global_load_ushort v27, v[28:29], off
.LBB35_15:                              ;   in Loop: Header=BB35_9 Depth=1
	s_or_b64 exec, exec, s[6:7]
	v_mov_b32_e32 v29, s15
	v_add_co_u32_e64 v28, s[4:5], s14, v17
	v_addc_co_u32_e64 v29, s[4:5], v18, v29, s[4:5]
	v_cmp_gt_u64_e64 s[4:5], s[12:13], v[28:29]
	s_and_saveexec_b64 s[16:17], s[4:5]
	s_cbranch_execnz .LBB35_20
; %bb.16:                               ;   in Loop: Header=BB35_9 Depth=1
	s_or_b64 exec, exec, s[16:17]
	s_and_saveexec_b64 s[6:7], vcc
	s_cbranch_execnz .LBB35_21
.LBB35_17:                              ;   in Loop: Header=BB35_9 Depth=1
	s_or_b64 exec, exec, s[6:7]
	s_and_saveexec_b64 s[6:7], s[0:1]
	s_cbranch_execnz .LBB35_22
.LBB35_18:                              ;   in Loop: Header=BB35_9 Depth=1
	s_or_b64 exec, exec, s[6:7]
	s_and_saveexec_b64 s[0:1], s[2:3]
	s_cbranch_execnz .LBB35_23
.LBB35_19:                              ;   in Loop: Header=BB35_9 Depth=1
	s_or_b64 exec, exec, s[0:1]
	s_and_saveexec_b64 s[0:1], s[4:5]
	s_cbranch_execz .LBB35_8
	s_branch .LBB35_24
.LBB35_20:                              ;   in Loop: Header=BB35_9 Depth=1
	v_mov_b32_e32 v24, s9
	v_add_co_u32_e64 v28, s[6:7], s8, v6
	v_addc_co_u32_e64 v29, s[6:7], v5, v24, s[6:7]
	global_load_ushort v24, v[28:29], off
	s_or_b64 exec, exec, s[16:17]
	s_and_saveexec_b64 s[6:7], vcc
	s_cbranch_execz .LBB35_17
.LBB35_21:                              ;   in Loop: Header=BB35_9 Depth=1
	s_waitcnt vmcnt(0)
	v_lshlrev_b32_e32 v25, 16, v25
	v_ceil_f32_e32 v25, v25
	v_bfe_u32 v28, v25, 16, 1
	v_add3_u32 v28, v25, v28, s21
	v_lshrrev_b32_e32 v28, 16, v28
	v_cmp_o_f32_e32 vcc, v25, v25
	v_cndmask_b32_e32 v25, v23, v28, vcc
	v_mov_b32_e32 v29, s9
	v_add_co_u32_e32 v28, vcc, s8, v4
	v_addc_co_u32_e32 v29, vcc, v3, v29, vcc
	global_store_short v[28:29], v25, off
	s_or_b64 exec, exec, s[6:7]
	s_and_saveexec_b64 s[6:7], s[0:1]
	s_cbranch_execz .LBB35_18
.LBB35_22:                              ;   in Loop: Header=BB35_9 Depth=1
	s_waitcnt vmcnt(0)
	v_lshlrev_b32_e32 v25, 16, v26
	v_ceil_f32_e32 v25, v25
	v_bfe_u32 v26, v25, 16, 1
	v_add3_u32 v26, v25, v26, s21
	v_lshrrev_b32_e32 v26, 16, v26
	v_cmp_o_f32_e32 vcc, v25, v25
	v_cndmask_b32_e32 v25, v23, v26, vcc
	v_mov_b32_e32 v26, s9
	v_add_co_u32_e32 v28, vcc, s8, v16
	v_addc_co_u32_e32 v29, vcc, v15, v26, vcc
	global_store_short v[28:29], v25, off
	s_or_b64 exec, exec, s[6:7]
	s_and_saveexec_b64 s[0:1], s[2:3]
	s_cbranch_execz .LBB35_19
.LBB35_23:                              ;   in Loop: Header=BB35_9 Depth=1
	s_waitcnt vmcnt(0)
	v_lshlrev_b32_e32 v25, 16, v27
	v_ceil_f32_e32 v25, v25
	v_bfe_u32 v26, v25, 16, 1
	v_add3_u32 v26, v25, v26, s21
	v_lshrrev_b32_e32 v26, 16, v26
	v_cmp_o_f32_e32 vcc, v25, v25
	v_cndmask_b32_e32 v25, v23, v26, vcc
	v_mov_b32_e32 v27, s9
	v_add_co_u32_e32 v26, vcc, s8, v12
	v_addc_co_u32_e32 v27, vcc, v11, v27, vcc
	global_store_short v[26:27], v25, off
	s_or_b64 exec, exec, s[0:1]
	s_and_saveexec_b64 s[0:1], s[4:5]
	s_cbranch_execz .LBB35_8
.LBB35_24:                              ;   in Loop: Header=BB35_9 Depth=1
	s_waitcnt vmcnt(0)
	v_lshlrev_b32_e32 v24, 16, v24
	v_ceil_f32_e32 v24, v24
	v_bfe_u32 v25, v24, 16, 1
	v_add3_u32 v25, v24, v25, s21
	v_lshrrev_b32_e32 v25, 16, v25
	v_cmp_o_f32_e32 vcc, v24, v24
	v_cndmask_b32_e32 v26, v23, v25, vcc
	v_mov_b32_e32 v25, s9
	v_add_co_u32_e32 v24, vcc, s8, v8
	v_addc_co_u32_e32 v25, vcc, v7, v25, vcc
	global_store_short v[24:25], v26, off
	s_branch .LBB35_8
.LBB35_25:
	s_endpgm
	.section	.rodata,"a",@progbits
	.p2align	6, 0x0
	.amdhsa_kernel _ZN2at6native12_GLOBAL__N_125multi_tensor_apply_kernelINS1_18TensorListMetadataILi2EEENS1_14UnaryOpFunctorIN3c108BFloat16ELi2ELi1ELi1EEEJNS0_4CeilIfEEEEEvT_T0_DpT1_
		.amdhsa_group_segment_fixed_size 0
		.amdhsa_private_segment_fixed_size 0
		.amdhsa_kernarg_size 3408
		.amdhsa_user_sgpr_count 6
		.amdhsa_user_sgpr_private_segment_buffer 1
		.amdhsa_user_sgpr_dispatch_ptr 0
		.amdhsa_user_sgpr_queue_ptr 0
		.amdhsa_user_sgpr_kernarg_segment_ptr 1
		.amdhsa_user_sgpr_dispatch_id 0
		.amdhsa_user_sgpr_flat_scratch_init 0
		.amdhsa_user_sgpr_kernarg_preload_length 0
		.amdhsa_user_sgpr_kernarg_preload_offset 0
		.amdhsa_user_sgpr_private_segment_size 0
		.amdhsa_uses_dynamic_stack 0
		.amdhsa_system_sgpr_private_segment_wavefront_offset 0
		.amdhsa_system_sgpr_workgroup_id_x 1
		.amdhsa_system_sgpr_workgroup_id_y 0
		.amdhsa_system_sgpr_workgroup_id_z 0
		.amdhsa_system_sgpr_workgroup_info 0
		.amdhsa_system_vgpr_workitem_id 0
		.amdhsa_next_free_vgpr 30
		.amdhsa_next_free_sgpr 23
		.amdhsa_accum_offset 32
		.amdhsa_reserve_vcc 1
		.amdhsa_reserve_flat_scratch 0
		.amdhsa_float_round_mode_32 0
		.amdhsa_float_round_mode_16_64 0
		.amdhsa_float_denorm_mode_32 3
		.amdhsa_float_denorm_mode_16_64 3
		.amdhsa_dx10_clamp 1
		.amdhsa_ieee_mode 1
		.amdhsa_fp16_overflow 0
		.amdhsa_tg_split 0
		.amdhsa_exception_fp_ieee_invalid_op 0
		.amdhsa_exception_fp_denorm_src 0
		.amdhsa_exception_fp_ieee_div_zero 0
		.amdhsa_exception_fp_ieee_overflow 0
		.amdhsa_exception_fp_ieee_underflow 0
		.amdhsa_exception_fp_ieee_inexact 0
		.amdhsa_exception_int_div_zero 0
	.end_amdhsa_kernel
	.section	.text._ZN2at6native12_GLOBAL__N_125multi_tensor_apply_kernelINS1_18TensorListMetadataILi2EEENS1_14UnaryOpFunctorIN3c108BFloat16ELi2ELi1ELi1EEEJNS0_4CeilIfEEEEEvT_T0_DpT1_,"axG",@progbits,_ZN2at6native12_GLOBAL__N_125multi_tensor_apply_kernelINS1_18TensorListMetadataILi2EEENS1_14UnaryOpFunctorIN3c108BFloat16ELi2ELi1ELi1EEEJNS0_4CeilIfEEEEEvT_T0_DpT1_,comdat
.Lfunc_end35:
	.size	_ZN2at6native12_GLOBAL__N_125multi_tensor_apply_kernelINS1_18TensorListMetadataILi2EEENS1_14UnaryOpFunctorIN3c108BFloat16ELi2ELi1ELi1EEEJNS0_4CeilIfEEEEEvT_T0_DpT1_, .Lfunc_end35-_ZN2at6native12_GLOBAL__N_125multi_tensor_apply_kernelINS1_18TensorListMetadataILi2EEENS1_14UnaryOpFunctorIN3c108BFloat16ELi2ELi1ELi1EEEJNS0_4CeilIfEEEEEvT_T0_DpT1_
                                        ; -- End function
	.section	.AMDGPU.csdata,"",@progbits
; Kernel info:
; codeLenInByte = 1588
; NumSgprs: 27
; NumVgprs: 30
; NumAgprs: 0
; TotalNumVgprs: 30
; ScratchSize: 0
; MemoryBound: 0
; FloatMode: 240
; IeeeMode: 1
; LDSByteSize: 0 bytes/workgroup (compile time only)
; SGPRBlocks: 3
; VGPRBlocks: 3
; NumSGPRsForWavesPerEU: 27
; NumVGPRsForWavesPerEU: 30
; AccumOffset: 32
; Occupancy: 8
; WaveLimiterHint : 0
; COMPUTE_PGM_RSRC2:SCRATCH_EN: 0
; COMPUTE_PGM_RSRC2:USER_SGPR: 6
; COMPUTE_PGM_RSRC2:TRAP_HANDLER: 0
; COMPUTE_PGM_RSRC2:TGID_X_EN: 1
; COMPUTE_PGM_RSRC2:TGID_Y_EN: 0
; COMPUTE_PGM_RSRC2:TGID_Z_EN: 0
; COMPUTE_PGM_RSRC2:TIDIG_COMP_CNT: 0
; COMPUTE_PGM_RSRC3_GFX90A:ACCUM_OFFSET: 7
; COMPUTE_PGM_RSRC3_GFX90A:TG_SPLIT: 0
	.section	.text._ZN2at6native12_GLOBAL__N_125multi_tensor_apply_kernelINS1_18TensorListMetadataILi1EEENS1_14UnaryOpFunctorIdLi1ELi1ELi0EEEJNS0_4CeilIdEEEEEvT_T0_DpT1_,"axG",@progbits,_ZN2at6native12_GLOBAL__N_125multi_tensor_apply_kernelINS1_18TensorListMetadataILi1EEENS1_14UnaryOpFunctorIdLi1ELi1ELi0EEEJNS0_4CeilIdEEEEEvT_T0_DpT1_,comdat
	.globl	_ZN2at6native12_GLOBAL__N_125multi_tensor_apply_kernelINS1_18TensorListMetadataILi1EEENS1_14UnaryOpFunctorIdLi1ELi1ELi0EEEJNS0_4CeilIdEEEEEvT_T0_DpT1_ ; -- Begin function _ZN2at6native12_GLOBAL__N_125multi_tensor_apply_kernelINS1_18TensorListMetadataILi1EEENS1_14UnaryOpFunctorIdLi1ELi1ELi0EEEJNS0_4CeilIdEEEEEvT_T0_DpT1_
	.p2align	8
	.type	_ZN2at6native12_GLOBAL__N_125multi_tensor_apply_kernelINS1_18TensorListMetadataILi1EEENS1_14UnaryOpFunctorIdLi1ELi1ELi0EEEJNS0_4CeilIdEEEEEvT_T0_DpT1_,@function
_ZN2at6native12_GLOBAL__N_125multi_tensor_apply_kernelINS1_18TensorListMetadataILi1EEENS1_14UnaryOpFunctorIdLi1ELi1ELi0EEEJNS0_4CeilIdEEEEEvT_T0_DpT1_: ; @_ZN2at6native12_GLOBAL__N_125multi_tensor_apply_kernelINS1_18TensorListMetadataILi1EEENS1_14UnaryOpFunctorIdLi1ELi1ELi0EEEJNS0_4CeilIdEEEEEvT_T0_DpT1_
; %bb.0:
	v_mov_b32_e32 v1, s6
	global_load_ubyte v1, v1, s[4:5] offset:1760
	s_add_u32 s0, s4, s6
	s_mul_hi_u32 s1, s6, 3
	s_mul_i32 s6, s6, 3
	s_addc_u32 s2, s5, 0
	s_add_u32 s0, s0, s6
	s_addc_u32 s1, s2, s1
	s_load_dword s0, s[0:1], 0x820
	s_mov_b32 s7, 0
	s_waitcnt vmcnt(0)
	v_readfirstlane_b32 s2, v1
	s_lshl_b32 s1, s2, 3
	s_load_dwordx2 s[2:3], s[4:5], s1 offset:0x370
	s_load_dwordx2 s[12:13], s[4:5], s1 offset:0x0
	s_waitcnt lgkmcnt(0)
	s_ashr_i32 s1, s0, 31
	s_lshl_b64 s[14:15], s[0:1], 19
	s_lshl_b64 s[0:1], s[0:1], 16
	s_and_b32 s6, s12, 31
	s_sub_u32 s10, s2, s0
	s_subb_u32 s11, s3, s1
	s_and_b32 s0, s2, 3
	s_mov_b32 s1, s7
	s_or_b64 s[0:1], s[6:7], s[0:1]
	s_cmp_eq_u64 s[0:1], 0
	s_cbranch_scc1 .LBB36_21
; %bb.1:
	v_cmp_lt_i64_e64 s[0:1], s[10:11], 1
	s_and_b64 vcc, exec, s[0:1]
	s_cbranch_vccnz .LBB36_20
; %bb.2:
	s_load_dword s0, s[4:5], 0xd3c
	v_mov_b32_e32 v2, 0x10000
	v_mov_b32_e32 v3, 0
	v_cmp_lt_u64_e32 vcc, s[10:11], v[2:3]
	v_lshlrev_b32_e32 v1, 3, v0
	s_waitcnt lgkmcnt(0)
	s_and_b32 s3, s0, 0xffff
	s_and_b64 s[0:1], vcc, exec
	s_cselect_b32 s17, s11, 0
	s_cselect_b32 s16, s10, 0x10000
	s_lshl_b32 s6, s3, 1
	s_lshl_b32 s22, s3, 2
	s_add_u32 s7, s12, s14
	s_addc_u32 s8, s13, s15
	v_mov_b32_e32 v5, s8
	v_add_co_u32_e32 v4, vcc, s7, v1
	s_mul_i32 s0, s3, 3
	v_addc_co_u32_e32 v5, vcc, 0, v5, vcc
	v_add_co_u32_e32 v1, vcc, s0, v0
	v_addc_co_u32_e64 v18, s[0:1], 0, 0, vcc
	v_add_co_u32_e32 v19, vcc, s6, v0
	v_addc_co_u32_e64 v20, s[0:1], 0, 0, vcc
	v_add_co_u32_e32 v21, vcc, s3, v0
	v_lshlrev_b32_e32 v6, 3, v21
	s_mov_b32 s2, 0
	v_addc_co_u32_e64 v22, s[0:1], 0, 0, vcc
	v_mov_b32_e32 v7, s8
	v_add_co_u32_e32 v6, vcc, s7, v6
	s_lshl_b32 s23, s3, 5
	s_mul_i32 s24, s3, 24
	s_mov_b32 s25, s2
	s_lshl_b32 s26, s3, 4
	s_mov_b32 s27, s2
	v_addc_co_u32_e32 v7, vcc, 0, v7, vcc
	s_mov_b64 s[18:19], 0
	v_pk_mov_b32 v[8:9], s[10:11], s[10:11] op_sel:[0,1]
	v_mov_b32_e32 v23, s2
	s_branch .LBB36_4
.LBB36_3:                               ;   in Loop: Header=BB36_4 Depth=1
	s_or_b64 exec, exec, s[0:1]
	s_add_u32 s18, s18, s22
	s_addc_u32 s19, s19, 0
	v_cmp_lt_i64_e32 vcc, s[18:19], v[8:9]
	v_cmp_lt_u64_e64 s[0:1], s[18:19], v[2:3]
	s_and_b64 s[0:1], vcc, s[0:1]
	v_add_co_u32_e32 v4, vcc, s23, v4
	v_addc_co_u32_e32 v5, vcc, v5, v23, vcc
	v_add_co_u32_e32 v6, vcc, s23, v6
	v_addc_co_u32_e32 v7, vcc, v7, v23, vcc
	s_and_b64 vcc, exec, s[0:1]
	s_cbranch_vccz .LBB36_20
.LBB36_4:                               ; =>This Inner Loop Header: Depth=1
	s_waitcnt vmcnt(0)
	v_mov_b32_e32 v11, s19
	v_add_co_u32_e32 v10, vcc, s18, v0
	v_addc_co_u32_e32 v11, vcc, 0, v11, vcc
	v_cmp_gt_u64_e32 vcc, s[16:17], v[10:11]
	v_pk_mov_b32 v[10:11], 0, 0
	v_pk_mov_b32 v[12:13], v[10:11], v[10:11] op_sel:[0,1]
	s_and_saveexec_b64 s[0:1], vcc
	s_cbranch_execz .LBB36_6
; %bb.5:                                ;   in Loop: Header=BB36_4 Depth=1
	global_load_dwordx2 v[12:13], v[4:5], off
.LBB36_6:                               ;   in Loop: Header=BB36_4 Depth=1
	s_or_b64 exec, exec, s[0:1]
	v_mov_b32_e32 v15, s19
	v_add_co_u32_e64 v14, s[0:1], s18, v21
	v_addc_co_u32_e64 v15, s[0:1], v22, v15, s[0:1]
	v_cmp_gt_u64_e64 s[0:1], s[16:17], v[14:15]
	s_and_saveexec_b64 s[2:3], s[0:1]
	s_cbranch_execz .LBB36_8
; %bb.7:                                ;   in Loop: Header=BB36_4 Depth=1
	global_load_dwordx2 v[10:11], v[6:7], off
.LBB36_8:                               ;   in Loop: Header=BB36_4 Depth=1
	s_or_b64 exec, exec, s[2:3]
	v_mov_b32_e32 v15, s19
	v_add_co_u32_e64 v14, s[2:3], s18, v19
	v_addc_co_u32_e64 v15, s[2:3], v20, v15, s[2:3]
	v_cmp_gt_u64_e64 s[2:3], s[16:17], v[14:15]
	v_pk_mov_b32 v[14:15], 0, 0
	v_pk_mov_b32 v[16:17], v[14:15], v[14:15] op_sel:[0,1]
	s_and_saveexec_b64 s[8:9], s[2:3]
	s_cbranch_execz .LBB36_10
; %bb.9:                                ;   in Loop: Header=BB36_4 Depth=1
	v_mov_b32_e32 v17, s27
	v_add_co_u32_e64 v16, s[6:7], s26, v4
	v_addc_co_u32_e64 v17, s[6:7], v5, v17, s[6:7]
	global_load_dwordx2 v[16:17], v[16:17], off
.LBB36_10:                              ;   in Loop: Header=BB36_4 Depth=1
	s_or_b64 exec, exec, s[8:9]
	v_mov_b32_e32 v25, s19
	v_add_co_u32_e64 v24, s[6:7], s18, v1
	v_addc_co_u32_e64 v25, s[6:7], v18, v25, s[6:7]
	v_cmp_gt_u64_e64 s[6:7], s[16:17], v[24:25]
	s_and_saveexec_b64 s[20:21], s[6:7]
	s_cbranch_execnz .LBB36_15
; %bb.11:                               ;   in Loop: Header=BB36_4 Depth=1
	s_or_b64 exec, exec, s[20:21]
	s_and_saveexec_b64 s[8:9], vcc
	s_cbranch_execnz .LBB36_16
.LBB36_12:                              ;   in Loop: Header=BB36_4 Depth=1
	s_or_b64 exec, exec, s[8:9]
	s_and_saveexec_b64 s[8:9], s[0:1]
	s_cbranch_execnz .LBB36_17
.LBB36_13:                              ;   in Loop: Header=BB36_4 Depth=1
	s_or_b64 exec, exec, s[8:9]
	s_and_saveexec_b64 s[0:1], s[2:3]
	s_cbranch_execnz .LBB36_18
.LBB36_14:                              ;   in Loop: Header=BB36_4 Depth=1
	s_or_b64 exec, exec, s[0:1]
	s_and_saveexec_b64 s[0:1], s[6:7]
	s_cbranch_execz .LBB36_3
	s_branch .LBB36_19
.LBB36_15:                              ;   in Loop: Header=BB36_4 Depth=1
	v_mov_b32_e32 v15, s25
	v_add_co_u32_e64 v14, s[8:9], s24, v4
	v_addc_co_u32_e64 v15, s[8:9], v5, v15, s[8:9]
	global_load_dwordx2 v[14:15], v[14:15], off
	s_or_b64 exec, exec, s[20:21]
	s_and_saveexec_b64 s[8:9], vcc
	s_cbranch_execz .LBB36_12
.LBB36_16:                              ;   in Loop: Header=BB36_4 Depth=1
	s_waitcnt vmcnt(0)
	v_ceil_f64_e32 v[12:13], v[12:13]
	global_store_dwordx2 v[4:5], v[12:13], off
	s_or_b64 exec, exec, s[8:9]
	s_and_saveexec_b64 s[8:9], s[0:1]
	s_cbranch_execz .LBB36_13
.LBB36_17:                              ;   in Loop: Header=BB36_4 Depth=1
	s_waitcnt vmcnt(0)
	v_ceil_f64_e32 v[10:11], v[10:11]
	global_store_dwordx2 v[6:7], v[10:11], off
	s_or_b64 exec, exec, s[8:9]
	s_and_saveexec_b64 s[0:1], s[2:3]
	s_cbranch_execz .LBB36_14
.LBB36_18:                              ;   in Loop: Header=BB36_4 Depth=1
	s_waitcnt vmcnt(0)
	v_mov_b32_e32 v13, s27
	v_add_co_u32_e32 v12, vcc, s26, v4
	v_ceil_f64_e32 v[10:11], v[16:17]
	v_addc_co_u32_e32 v13, vcc, v5, v13, vcc
	global_store_dwordx2 v[12:13], v[10:11], off
	s_or_b64 exec, exec, s[0:1]
	s_and_saveexec_b64 s[0:1], s[6:7]
	s_cbranch_execz .LBB36_3
.LBB36_19:                              ;   in Loop: Header=BB36_4 Depth=1
	s_waitcnt vmcnt(0)
	v_mov_b32_e32 v13, s25
	v_add_co_u32_e32 v12, vcc, s24, v4
	v_ceil_f64_e32 v[10:11], v[14:15]
	v_addc_co_u32_e32 v13, vcc, v5, v13, vcc
	global_store_dwordx2 v[12:13], v[10:11], off
	s_branch .LBB36_3
.LBB36_20:
	s_cbranch_execz .LBB36_22
	s_branch .LBB36_25
.LBB36_21:
.LBB36_22:
	v_mov_b32_e32 v3, 0
	v_lshlrev_b32_e32 v2, 2, v0
	s_mov_b32 s0, 0
	v_cmp_gt_i64_e32 vcc, s[10:11], v[2:3]
	s_and_saveexec_b64 s[2:3], vcc
	s_cbranch_execz .LBB36_25
; %bb.23:
	s_load_dword s1, s[4:5], 0xd3c
	v_lshlrev_b32_e32 v1, 5, v0
	s_mov_b64 s[4:5], 0
	s_mov_b64 s[6:7], 0xffff
	v_mov_b32_e32 v5, s0
	s_waitcnt lgkmcnt(0)
	s_and_b32 s1, s1, 0xffff
	s_lshl_b32 s8, s1, 2
	s_add_u32 s2, s12, s14
	s_addc_u32 s3, s13, s15
	v_add_lshl_u32 v2, v0, s1, 2
	v_mov_b32_e32 v0, s3
	v_add_co_u32_e32 v1, vcc, s2, v1
	v_addc_co_u32_e32 v4, vcc, 0, v0, vcc
	v_add_co_u32_e32 v0, vcc, 16, v1
	v_addc_co_u32_e32 v1, vcc, 0, v4, vcc
	s_lshl_b32 s9, s1, 5
	v_mov_b32_e32 v4, s0
.LBB36_24:                              ; =>This Inner Loop Header: Depth=1
	global_load_dwordx4 v[6:9], v[0:1], off offset:-16
	global_load_dwordx4 v[10:13], v[0:1], off
	v_cmp_le_i64_e32 vcc, s[10:11], v[2:3]
	v_cmp_lt_u64_e64 s[0:1], s[6:7], v[2:3]
	s_or_b64 s[0:1], vcc, s[0:1]
	v_add_co_u32_e64 v2, s[2:3], s8, v2
	s_and_b64 s[0:1], exec, s[0:1]
	v_addc_co_u32_e64 v3, s[2:3], v3, v4, s[2:3]
	s_or_b64 s[4:5], s[0:1], s[4:5]
	s_waitcnt vmcnt(1)
	v_ceil_f64_e32 v[6:7], v[6:7]
	v_ceil_f64_e32 v[8:9], v[8:9]
	s_waitcnt vmcnt(0)
	v_ceil_f64_e32 v[10:11], v[10:11]
	v_ceil_f64_e32 v[12:13], v[12:13]
	global_store_dwordx4 v[0:1], v[6:9], off offset:-16
	global_store_dwordx4 v[0:1], v[10:13], off
	v_add_co_u32_e32 v0, vcc, s9, v0
	v_addc_co_u32_e32 v1, vcc, v1, v5, vcc
	s_andn2_b64 exec, exec, s[4:5]
	s_cbranch_execnz .LBB36_24
.LBB36_25:
	s_endpgm
	.section	.rodata,"a",@progbits
	.p2align	6, 0x0
	.amdhsa_kernel _ZN2at6native12_GLOBAL__N_125multi_tensor_apply_kernelINS1_18TensorListMetadataILi1EEENS1_14UnaryOpFunctorIdLi1ELi1ELi0EEEJNS0_4CeilIdEEEEEvT_T0_DpT1_
		.amdhsa_group_segment_fixed_size 0
		.amdhsa_private_segment_fixed_size 0
		.amdhsa_kernarg_size 3632
		.amdhsa_user_sgpr_count 6
		.amdhsa_user_sgpr_private_segment_buffer 1
		.amdhsa_user_sgpr_dispatch_ptr 0
		.amdhsa_user_sgpr_queue_ptr 0
		.amdhsa_user_sgpr_kernarg_segment_ptr 1
		.amdhsa_user_sgpr_dispatch_id 0
		.amdhsa_user_sgpr_flat_scratch_init 0
		.amdhsa_user_sgpr_kernarg_preload_length 0
		.amdhsa_user_sgpr_kernarg_preload_offset 0
		.amdhsa_user_sgpr_private_segment_size 0
		.amdhsa_uses_dynamic_stack 0
		.amdhsa_system_sgpr_private_segment_wavefront_offset 0
		.amdhsa_system_sgpr_workgroup_id_x 1
		.amdhsa_system_sgpr_workgroup_id_y 0
		.amdhsa_system_sgpr_workgroup_id_z 0
		.amdhsa_system_sgpr_workgroup_info 0
		.amdhsa_system_vgpr_workitem_id 0
		.amdhsa_next_free_vgpr 26
		.amdhsa_next_free_sgpr 28
		.amdhsa_accum_offset 28
		.amdhsa_reserve_vcc 1
		.amdhsa_reserve_flat_scratch 0
		.amdhsa_float_round_mode_32 0
		.amdhsa_float_round_mode_16_64 0
		.amdhsa_float_denorm_mode_32 3
		.amdhsa_float_denorm_mode_16_64 3
		.amdhsa_dx10_clamp 1
		.amdhsa_ieee_mode 1
		.amdhsa_fp16_overflow 0
		.amdhsa_tg_split 0
		.amdhsa_exception_fp_ieee_invalid_op 0
		.amdhsa_exception_fp_denorm_src 0
		.amdhsa_exception_fp_ieee_div_zero 0
		.amdhsa_exception_fp_ieee_overflow 0
		.amdhsa_exception_fp_ieee_underflow 0
		.amdhsa_exception_fp_ieee_inexact 0
		.amdhsa_exception_int_div_zero 0
	.end_amdhsa_kernel
	.section	.text._ZN2at6native12_GLOBAL__N_125multi_tensor_apply_kernelINS1_18TensorListMetadataILi1EEENS1_14UnaryOpFunctorIdLi1ELi1ELi0EEEJNS0_4CeilIdEEEEEvT_T0_DpT1_,"axG",@progbits,_ZN2at6native12_GLOBAL__N_125multi_tensor_apply_kernelINS1_18TensorListMetadataILi1EEENS1_14UnaryOpFunctorIdLi1ELi1ELi0EEEJNS0_4CeilIdEEEEEvT_T0_DpT1_,comdat
.Lfunc_end36:
	.size	_ZN2at6native12_GLOBAL__N_125multi_tensor_apply_kernelINS1_18TensorListMetadataILi1EEENS1_14UnaryOpFunctorIdLi1ELi1ELi0EEEJNS0_4CeilIdEEEEEvT_T0_DpT1_, .Lfunc_end36-_ZN2at6native12_GLOBAL__N_125multi_tensor_apply_kernelINS1_18TensorListMetadataILi1EEENS1_14UnaryOpFunctorIdLi1ELi1ELi0EEEJNS0_4CeilIdEEEEEvT_T0_DpT1_
                                        ; -- End function
	.section	.AMDGPU.csdata,"",@progbits
; Kernel info:
; codeLenInByte = 1056
; NumSgprs: 32
; NumVgprs: 26
; NumAgprs: 0
; TotalNumVgprs: 26
; ScratchSize: 0
; MemoryBound: 0
; FloatMode: 240
; IeeeMode: 1
; LDSByteSize: 0 bytes/workgroup (compile time only)
; SGPRBlocks: 3
; VGPRBlocks: 3
; NumSGPRsForWavesPerEU: 32
; NumVGPRsForWavesPerEU: 26
; AccumOffset: 28
; Occupancy: 8
; WaveLimiterHint : 0
; COMPUTE_PGM_RSRC2:SCRATCH_EN: 0
; COMPUTE_PGM_RSRC2:USER_SGPR: 6
; COMPUTE_PGM_RSRC2:TRAP_HANDLER: 0
; COMPUTE_PGM_RSRC2:TGID_X_EN: 1
; COMPUTE_PGM_RSRC2:TGID_Y_EN: 0
; COMPUTE_PGM_RSRC2:TGID_Z_EN: 0
; COMPUTE_PGM_RSRC2:TIDIG_COMP_CNT: 0
; COMPUTE_PGM_RSRC3_GFX90A:ACCUM_OFFSET: 6
; COMPUTE_PGM_RSRC3_GFX90A:TG_SPLIT: 0
	.section	.text._ZN2at6native12_GLOBAL__N_125multi_tensor_apply_kernelINS1_18TensorListMetadataILi1EEENS1_14UnaryOpFunctorIfLi1ELi1ELi0EEEJNS0_4CeilIfEEEEEvT_T0_DpT1_,"axG",@progbits,_ZN2at6native12_GLOBAL__N_125multi_tensor_apply_kernelINS1_18TensorListMetadataILi1EEENS1_14UnaryOpFunctorIfLi1ELi1ELi0EEEJNS0_4CeilIfEEEEEvT_T0_DpT1_,comdat
	.globl	_ZN2at6native12_GLOBAL__N_125multi_tensor_apply_kernelINS1_18TensorListMetadataILi1EEENS1_14UnaryOpFunctorIfLi1ELi1ELi0EEEJNS0_4CeilIfEEEEEvT_T0_DpT1_ ; -- Begin function _ZN2at6native12_GLOBAL__N_125multi_tensor_apply_kernelINS1_18TensorListMetadataILi1EEENS1_14UnaryOpFunctorIfLi1ELi1ELi0EEEJNS0_4CeilIfEEEEEvT_T0_DpT1_
	.p2align	8
	.type	_ZN2at6native12_GLOBAL__N_125multi_tensor_apply_kernelINS1_18TensorListMetadataILi1EEENS1_14UnaryOpFunctorIfLi1ELi1ELi0EEEJNS0_4CeilIfEEEEEvT_T0_DpT1_,@function
_ZN2at6native12_GLOBAL__N_125multi_tensor_apply_kernelINS1_18TensorListMetadataILi1EEENS1_14UnaryOpFunctorIfLi1ELi1ELi0EEEJNS0_4CeilIfEEEEEvT_T0_DpT1_: ; @_ZN2at6native12_GLOBAL__N_125multi_tensor_apply_kernelINS1_18TensorListMetadataILi1EEENS1_14UnaryOpFunctorIfLi1ELi1ELi0EEEJNS0_4CeilIfEEEEEvT_T0_DpT1_
; %bb.0:
	v_mov_b32_e32 v1, s6
	global_load_ubyte v1, v1, s[4:5] offset:1760
	s_add_u32 s0, s4, s6
	s_mul_hi_u32 s1, s6, 3
	s_mul_i32 s6, s6, 3
	s_addc_u32 s2, s5, 0
	s_add_u32 s0, s0, s6
	s_addc_u32 s1, s2, s1
	s_load_dword s0, s[0:1], 0x820
	s_mov_b32 s7, 0
	s_waitcnt vmcnt(0)
	v_readfirstlane_b32 s2, v1
	s_lshl_b32 s1, s2, 3
	s_load_dwordx2 s[2:3], s[4:5], s1 offset:0x370
	s_load_dwordx2 s[12:13], s[4:5], s1 offset:0x0
	s_waitcnt lgkmcnt(0)
	s_ashr_i32 s1, s0, 31
	s_lshl_b64 s[14:15], s[0:1], 18
	s_lshl_b64 s[0:1], s[0:1], 16
	s_and_b32 s6, s12, 15
	s_sub_u32 s10, s2, s0
	s_subb_u32 s11, s3, s1
	s_and_b32 s0, s2, 3
	s_mov_b32 s1, s7
	s_or_b64 s[0:1], s[6:7], s[0:1]
	s_cmp_eq_u64 s[0:1], 0
	s_cbranch_scc1 .LBB37_21
; %bb.1:
	v_cmp_lt_i64_e64 s[0:1], s[10:11], 1
	s_and_b64 vcc, exec, s[0:1]
	s_cbranch_vccnz .LBB37_20
; %bb.2:
	s_load_dword s0, s[4:5], 0xd3c
	v_mov_b32_e32 v2, 0x10000
	v_mov_b32_e32 v3, 0
	v_cmp_lt_u64_e32 vcc, s[10:11], v[2:3]
	v_lshlrev_b32_e32 v1, 2, v0
	s_waitcnt lgkmcnt(0)
	s_and_b32 s3, s0, 0xffff
	s_and_b64 s[0:1], vcc, exec
	s_cselect_b32 s17, s11, 0
	s_cselect_b32 s16, s10, 0x10000
	s_lshl_b32 s6, s3, 1
	s_lshl_b32 s22, s3, 2
	s_add_u32 s7, s12, s14
	s_addc_u32 s8, s13, s15
	v_mov_b32_e32 v5, s8
	v_add_co_u32_e32 v4, vcc, s7, v1
	s_mul_i32 s0, s3, 3
	v_addc_co_u32_e32 v5, vcc, 0, v5, vcc
	v_add_co_u32_e32 v1, vcc, s0, v0
	v_addc_co_u32_e64 v10, s[0:1], 0, 0, vcc
	v_add_co_u32_e32 v11, vcc, s6, v0
	v_addc_co_u32_e64 v12, s[0:1], 0, 0, vcc
	v_add_co_u32_e32 v13, vcc, s3, v0
	v_lshlrev_b32_e32 v6, 2, v13
	s_mov_b32 s2, 0
	v_addc_co_u32_e64 v14, s[0:1], 0, 0, vcc
	v_mov_b32_e32 v7, s8
	v_add_co_u32_e32 v6, vcc, s7, v6
	s_lshl_b32 s23, s3, 4
	s_mul_i32 s24, s3, 12
	s_mov_b32 s25, s2
	s_lshl_b32 s26, s3, 3
	s_mov_b32 s27, s2
	v_addc_co_u32_e32 v7, vcc, 0, v7, vcc
	s_mov_b64 s[18:19], 0
	v_pk_mov_b32 v[8:9], s[10:11], s[10:11] op_sel:[0,1]
	v_mov_b32_e32 v15, s2
	s_branch .LBB37_4
.LBB37_3:                               ;   in Loop: Header=BB37_4 Depth=1
	s_or_b64 exec, exec, s[0:1]
	s_add_u32 s18, s18, s22
	s_addc_u32 s19, s19, 0
	v_cmp_lt_i64_e32 vcc, s[18:19], v[8:9]
	v_cmp_lt_u64_e64 s[0:1], s[18:19], v[2:3]
	s_and_b64 s[0:1], vcc, s[0:1]
	v_add_co_u32_e32 v4, vcc, s23, v4
	v_addc_co_u32_e32 v5, vcc, v5, v15, vcc
	v_add_co_u32_e32 v6, vcc, s23, v6
	v_addc_co_u32_e32 v7, vcc, v7, v15, vcc
	s_and_b64 vcc, exec, s[0:1]
	s_cbranch_vccz .LBB37_20
.LBB37_4:                               ; =>This Inner Loop Header: Depth=1
	s_waitcnt vmcnt(0)
	v_mov_b32_e32 v17, s19
	v_add_co_u32_e32 v16, vcc, s18, v0
	v_addc_co_u32_e32 v17, vcc, 0, v17, vcc
	v_cmp_gt_u64_e32 vcc, s[16:17], v[16:17]
	v_mov_b32_e32 v16, 0
	s_and_saveexec_b64 s[0:1], vcc
	s_cbranch_execz .LBB37_6
; %bb.5:                                ;   in Loop: Header=BB37_4 Depth=1
	global_load_dword v16, v[4:5], off
.LBB37_6:                               ;   in Loop: Header=BB37_4 Depth=1
	s_or_b64 exec, exec, s[0:1]
	v_mov_b32_e32 v17, s19
	v_add_co_u32_e64 v18, s[0:1], s18, v13
	v_addc_co_u32_e64 v19, s[0:1], v14, v17, s[0:1]
	v_cmp_gt_u64_e64 s[0:1], s[16:17], v[18:19]
	v_mov_b32_e32 v18, 0
	s_and_saveexec_b64 s[2:3], s[0:1]
	s_cbranch_execz .LBB37_8
; %bb.7:                                ;   in Loop: Header=BB37_4 Depth=1
	global_load_dword v18, v[6:7], off
.LBB37_8:                               ;   in Loop: Header=BB37_4 Depth=1
	s_or_b64 exec, exec, s[2:3]
	v_mov_b32_e32 v17, s19
	v_add_co_u32_e64 v20, s[2:3], s18, v11
	v_addc_co_u32_e64 v21, s[2:3], v12, v17, s[2:3]
	v_cmp_gt_u64_e64 s[2:3], s[16:17], v[20:21]
	v_mov_b32_e32 v17, 0
	v_mov_b32_e32 v19, 0
	s_and_saveexec_b64 s[8:9], s[2:3]
	s_cbranch_execz .LBB37_10
; %bb.9:                                ;   in Loop: Header=BB37_4 Depth=1
	v_mov_b32_e32 v19, s27
	v_add_co_u32_e64 v20, s[6:7], s26, v4
	v_addc_co_u32_e64 v21, s[6:7], v5, v19, s[6:7]
	global_load_dword v19, v[20:21], off
.LBB37_10:                              ;   in Loop: Header=BB37_4 Depth=1
	s_or_b64 exec, exec, s[8:9]
	v_mov_b32_e32 v21, s19
	v_add_co_u32_e64 v20, s[6:7], s18, v1
	v_addc_co_u32_e64 v21, s[6:7], v10, v21, s[6:7]
	v_cmp_gt_u64_e64 s[6:7], s[16:17], v[20:21]
	s_and_saveexec_b64 s[20:21], s[6:7]
	s_cbranch_execnz .LBB37_15
; %bb.11:                               ;   in Loop: Header=BB37_4 Depth=1
	s_or_b64 exec, exec, s[20:21]
	s_and_saveexec_b64 s[8:9], vcc
	s_cbranch_execnz .LBB37_16
.LBB37_12:                              ;   in Loop: Header=BB37_4 Depth=1
	s_or_b64 exec, exec, s[8:9]
	s_and_saveexec_b64 s[8:9], s[0:1]
	s_cbranch_execnz .LBB37_17
.LBB37_13:                              ;   in Loop: Header=BB37_4 Depth=1
	s_or_b64 exec, exec, s[8:9]
	s_and_saveexec_b64 s[0:1], s[2:3]
	s_cbranch_execnz .LBB37_18
.LBB37_14:                              ;   in Loop: Header=BB37_4 Depth=1
	s_or_b64 exec, exec, s[0:1]
	s_and_saveexec_b64 s[0:1], s[6:7]
	s_cbranch_execz .LBB37_3
	s_branch .LBB37_19
.LBB37_15:                              ;   in Loop: Header=BB37_4 Depth=1
	v_mov_b32_e32 v17, s25
	v_add_co_u32_e64 v20, s[8:9], s24, v4
	v_addc_co_u32_e64 v21, s[8:9], v5, v17, s[8:9]
	global_load_dword v17, v[20:21], off
	s_or_b64 exec, exec, s[20:21]
	s_and_saveexec_b64 s[8:9], vcc
	s_cbranch_execz .LBB37_12
.LBB37_16:                              ;   in Loop: Header=BB37_4 Depth=1
	s_waitcnt vmcnt(0)
	v_ceil_f32_e32 v16, v16
	global_store_dword v[4:5], v16, off
	s_or_b64 exec, exec, s[8:9]
	s_and_saveexec_b64 s[8:9], s[0:1]
	s_cbranch_execz .LBB37_13
.LBB37_17:                              ;   in Loop: Header=BB37_4 Depth=1
	s_waitcnt vmcnt(0)
	v_ceil_f32_e32 v16, v18
	global_store_dword v[6:7], v16, off
	s_or_b64 exec, exec, s[8:9]
	s_and_saveexec_b64 s[0:1], s[2:3]
	s_cbranch_execz .LBB37_14
.LBB37_18:                              ;   in Loop: Header=BB37_4 Depth=1
	s_waitcnt vmcnt(0)
	v_ceil_f32_e32 v16, v19
	v_mov_b32_e32 v19, s27
	v_add_co_u32_e32 v18, vcc, s26, v4
	v_addc_co_u32_e32 v19, vcc, v5, v19, vcc
	global_store_dword v[18:19], v16, off
	s_or_b64 exec, exec, s[0:1]
	s_and_saveexec_b64 s[0:1], s[6:7]
	s_cbranch_execz .LBB37_3
.LBB37_19:                              ;   in Loop: Header=BB37_4 Depth=1
	s_waitcnt vmcnt(0)
	v_ceil_f32_e32 v18, v17
	v_mov_b32_e32 v17, s25
	v_add_co_u32_e32 v16, vcc, s24, v4
	v_addc_co_u32_e32 v17, vcc, v5, v17, vcc
	global_store_dword v[16:17], v18, off
	s_branch .LBB37_3
.LBB37_20:
	s_cbranch_execz .LBB37_22
	s_branch .LBB37_25
.LBB37_21:
.LBB37_22:
	v_mov_b32_e32 v3, 0
	v_lshlrev_b32_e32 v2, 2, v0
	s_mov_b32 s0, 0
	v_cmp_gt_i64_e32 vcc, s[10:11], v[2:3]
	s_and_saveexec_b64 s[2:3], vcc
	s_cbranch_execz .LBB37_25
; %bb.23:
	s_load_dword s1, s[4:5], 0xd3c
	v_lshlrev_b32_e32 v1, 4, v0
	s_mov_b64 s[4:5], 0xffff
	s_waitcnt lgkmcnt(0)
	s_and_b32 s1, s1, 0xffff
	s_add_u32 s2, s12, s14
	s_addc_u32 s3, s13, s15
	v_mov_b32_e32 v2, s3
	v_add_co_u32_e32 v1, vcc, s2, v1
	v_addc_co_u32_e32 v2, vcc, 0, v2, vcc
	v_add_co_u32_e32 v4, vcc, 8, v1
	v_addc_co_u32_e32 v5, vcc, 0, v2, vcc
	s_lshl_b32 s6, s1, 4
	v_add_lshl_u32 v2, v0, s1, 2
	s_lshl_b32 s7, s1, 2
	s_mov_b64 s[2:3], 0
	v_mov_b32_e32 v0, s0
	v_mov_b32_e32 v1, s0
.LBB37_24:                              ; =>This Inner Loop Header: Depth=1
	global_load_dwordx4 v[6:9], v[4:5], off offset:-8
	v_cmp_le_i64_e32 vcc, s[10:11], v[2:3]
	v_cmp_lt_u64_e64 s[0:1], s[4:5], v[2:3]
	s_or_b64 s[0:1], vcc, s[0:1]
	s_and_b64 s[0:1], exec, s[0:1]
	s_or_b64 s[2:3], s[0:1], s[2:3]
	s_waitcnt vmcnt(0)
	v_ceil_f32_e32 v7, v7
	v_ceil_f32_e32 v6, v6
	;; [unrolled: 1-line block ×4, first 2 shown]
	global_store_dwordx4 v[4:5], v[6:9], off offset:-8
	v_add_co_u32_e32 v4, vcc, s6, v4
	v_addc_co_u32_e32 v5, vcc, v5, v0, vcc
	v_add_co_u32_e32 v2, vcc, s7, v2
	v_addc_co_u32_e32 v3, vcc, v3, v1, vcc
	s_andn2_b64 exec, exec, s[2:3]
	s_cbranch_execnz .LBB37_24
.LBB37_25:
	s_endpgm
	.section	.rodata,"a",@progbits
	.p2align	6, 0x0
	.amdhsa_kernel _ZN2at6native12_GLOBAL__N_125multi_tensor_apply_kernelINS1_18TensorListMetadataILi1EEENS1_14UnaryOpFunctorIfLi1ELi1ELi0EEEJNS0_4CeilIfEEEEEvT_T0_DpT1_
		.amdhsa_group_segment_fixed_size 0
		.amdhsa_private_segment_fixed_size 0
		.amdhsa_kernarg_size 3632
		.amdhsa_user_sgpr_count 6
		.amdhsa_user_sgpr_private_segment_buffer 1
		.amdhsa_user_sgpr_dispatch_ptr 0
		.amdhsa_user_sgpr_queue_ptr 0
		.amdhsa_user_sgpr_kernarg_segment_ptr 1
		.amdhsa_user_sgpr_dispatch_id 0
		.amdhsa_user_sgpr_flat_scratch_init 0
		.amdhsa_user_sgpr_kernarg_preload_length 0
		.amdhsa_user_sgpr_kernarg_preload_offset 0
		.amdhsa_user_sgpr_private_segment_size 0
		.amdhsa_uses_dynamic_stack 0
		.amdhsa_system_sgpr_private_segment_wavefront_offset 0
		.amdhsa_system_sgpr_workgroup_id_x 1
		.amdhsa_system_sgpr_workgroup_id_y 0
		.amdhsa_system_sgpr_workgroup_id_z 0
		.amdhsa_system_sgpr_workgroup_info 0
		.amdhsa_system_vgpr_workitem_id 0
		.amdhsa_next_free_vgpr 22
		.amdhsa_next_free_sgpr 28
		.amdhsa_accum_offset 24
		.amdhsa_reserve_vcc 1
		.amdhsa_reserve_flat_scratch 0
		.amdhsa_float_round_mode_32 0
		.amdhsa_float_round_mode_16_64 0
		.amdhsa_float_denorm_mode_32 3
		.amdhsa_float_denorm_mode_16_64 3
		.amdhsa_dx10_clamp 1
		.amdhsa_ieee_mode 1
		.amdhsa_fp16_overflow 0
		.amdhsa_tg_split 0
		.amdhsa_exception_fp_ieee_invalid_op 0
		.amdhsa_exception_fp_denorm_src 0
		.amdhsa_exception_fp_ieee_div_zero 0
		.amdhsa_exception_fp_ieee_overflow 0
		.amdhsa_exception_fp_ieee_underflow 0
		.amdhsa_exception_fp_ieee_inexact 0
		.amdhsa_exception_int_div_zero 0
	.end_amdhsa_kernel
	.section	.text._ZN2at6native12_GLOBAL__N_125multi_tensor_apply_kernelINS1_18TensorListMetadataILi1EEENS1_14UnaryOpFunctorIfLi1ELi1ELi0EEEJNS0_4CeilIfEEEEEvT_T0_DpT1_,"axG",@progbits,_ZN2at6native12_GLOBAL__N_125multi_tensor_apply_kernelINS1_18TensorListMetadataILi1EEENS1_14UnaryOpFunctorIfLi1ELi1ELi0EEEJNS0_4CeilIfEEEEEvT_T0_DpT1_,comdat
.Lfunc_end37:
	.size	_ZN2at6native12_GLOBAL__N_125multi_tensor_apply_kernelINS1_18TensorListMetadataILi1EEENS1_14UnaryOpFunctorIfLi1ELi1ELi0EEEJNS0_4CeilIfEEEEEvT_T0_DpT1_, .Lfunc_end37-_ZN2at6native12_GLOBAL__N_125multi_tensor_apply_kernelINS1_18TensorListMetadataILi1EEENS1_14UnaryOpFunctorIfLi1ELi1ELi0EEEJNS0_4CeilIfEEEEEvT_T0_DpT1_
                                        ; -- End function
	.section	.AMDGPU.csdata,"",@progbits
; Kernel info:
; codeLenInByte = 1012
; NumSgprs: 32
; NumVgprs: 22
; NumAgprs: 0
; TotalNumVgprs: 22
; ScratchSize: 0
; MemoryBound: 0
; FloatMode: 240
; IeeeMode: 1
; LDSByteSize: 0 bytes/workgroup (compile time only)
; SGPRBlocks: 3
; VGPRBlocks: 2
; NumSGPRsForWavesPerEU: 32
; NumVGPRsForWavesPerEU: 22
; AccumOffset: 24
; Occupancy: 8
; WaveLimiterHint : 0
; COMPUTE_PGM_RSRC2:SCRATCH_EN: 0
; COMPUTE_PGM_RSRC2:USER_SGPR: 6
; COMPUTE_PGM_RSRC2:TRAP_HANDLER: 0
; COMPUTE_PGM_RSRC2:TGID_X_EN: 1
; COMPUTE_PGM_RSRC2:TGID_Y_EN: 0
; COMPUTE_PGM_RSRC2:TGID_Z_EN: 0
; COMPUTE_PGM_RSRC2:TIDIG_COMP_CNT: 0
; COMPUTE_PGM_RSRC3_GFX90A:ACCUM_OFFSET: 5
; COMPUTE_PGM_RSRC3_GFX90A:TG_SPLIT: 0
	.section	.text._ZN2at6native12_GLOBAL__N_125multi_tensor_apply_kernelINS1_18TensorListMetadataILi1EEENS1_14UnaryOpFunctorIN3c104HalfELi1ELi1ELi0EEEJNS0_4CeilIfEEEEEvT_T0_DpT1_,"axG",@progbits,_ZN2at6native12_GLOBAL__N_125multi_tensor_apply_kernelINS1_18TensorListMetadataILi1EEENS1_14UnaryOpFunctorIN3c104HalfELi1ELi1ELi0EEEJNS0_4CeilIfEEEEEvT_T0_DpT1_,comdat
	.globl	_ZN2at6native12_GLOBAL__N_125multi_tensor_apply_kernelINS1_18TensorListMetadataILi1EEENS1_14UnaryOpFunctorIN3c104HalfELi1ELi1ELi0EEEJNS0_4CeilIfEEEEEvT_T0_DpT1_ ; -- Begin function _ZN2at6native12_GLOBAL__N_125multi_tensor_apply_kernelINS1_18TensorListMetadataILi1EEENS1_14UnaryOpFunctorIN3c104HalfELi1ELi1ELi0EEEJNS0_4CeilIfEEEEEvT_T0_DpT1_
	.p2align	8
	.type	_ZN2at6native12_GLOBAL__N_125multi_tensor_apply_kernelINS1_18TensorListMetadataILi1EEENS1_14UnaryOpFunctorIN3c104HalfELi1ELi1ELi0EEEJNS0_4CeilIfEEEEEvT_T0_DpT1_,@function
_ZN2at6native12_GLOBAL__N_125multi_tensor_apply_kernelINS1_18TensorListMetadataILi1EEENS1_14UnaryOpFunctorIN3c104HalfELi1ELi1ELi0EEEJNS0_4CeilIfEEEEEvT_T0_DpT1_: ; @_ZN2at6native12_GLOBAL__N_125multi_tensor_apply_kernelINS1_18TensorListMetadataILi1EEENS1_14UnaryOpFunctorIN3c104HalfELi1ELi1ELi0EEEJNS0_4CeilIfEEEEEvT_T0_DpT1_
; %bb.0:
	v_mov_b32_e32 v1, s6
	global_load_ubyte v1, v1, s[4:5] offset:1760
	s_add_u32 s0, s4, s6
	s_mul_hi_u32 s1, s6, 3
	s_mul_i32 s6, s6, 3
	s_addc_u32 s2, s5, 0
	s_add_u32 s0, s0, s6
	s_addc_u32 s1, s2, s1
	s_load_dword s0, s[0:1], 0x820
	s_mov_b32 s7, 0
	s_waitcnt vmcnt(0)
	v_readfirstlane_b32 s2, v1
	s_lshl_b32 s1, s2, 3
	s_load_dwordx2 s[2:3], s[4:5], s1 offset:0x370
	s_load_dwordx2 s[12:13], s[4:5], s1 offset:0x0
	s_waitcnt lgkmcnt(0)
	s_ashr_i32 s1, s0, 31
	s_lshl_b64 s[14:15], s[0:1], 17
	s_lshl_b64 s[0:1], s[0:1], 16
	s_and_b32 s6, s12, 7
	s_sub_u32 s10, s2, s0
	s_subb_u32 s11, s3, s1
	s_and_b32 s0, s2, 3
	s_mov_b32 s1, s7
	s_or_b64 s[0:1], s[6:7], s[0:1]
	s_cmp_eq_u64 s[0:1], 0
	s_cbranch_scc1 .LBB38_21
; %bb.1:
	v_cmp_lt_i64_e64 s[0:1], s[10:11], 1
	s_and_b64 vcc, exec, s[0:1]
	s_cbranch_vccnz .LBB38_20
; %bb.2:
	s_load_dword s0, s[4:5], 0xd3c
	v_mov_b32_e32 v2, 0x10000
	v_mov_b32_e32 v3, 0
	v_cmp_lt_u64_e32 vcc, s[10:11], v[2:3]
	v_lshlrev_b32_e32 v1, 1, v0
	s_waitcnt lgkmcnt(0)
	s_and_b32 s2, s0, 0xffff
	s_and_b64 s[0:1], vcc, exec
	s_cselect_b32 s17, s11, 0
	s_cselect_b32 s16, s10, 0x10000
	s_lshl_b32 s3, s2, 1
	s_lshl_b32 s23, s2, 2
	s_add_u32 s6, s12, s14
	s_addc_u32 s7, s13, s15
	v_mov_b32_e32 v5, s7
	v_add_co_u32_e32 v4, vcc, s6, v1
	s_mul_i32 s0, s2, 3
	v_addc_co_u32_e32 v5, vcc, 0, v5, vcc
	v_add_co_u32_e32 v1, vcc, s0, v0
	v_addc_co_u32_e64 v10, s[0:1], 0, 0, vcc
	v_add_co_u32_e32 v11, vcc, s3, v0
	v_addc_co_u32_e64 v12, s[0:1], 0, 0, vcc
	v_add_co_u32_e32 v13, vcc, s2, v0
	v_lshlrev_b32_e32 v6, 1, v13
	s_mov_b32 s22, 0
	v_addc_co_u32_e64 v14, s[0:1], 0, 0, vcc
	v_mov_b32_e32 v7, s7
	v_add_co_u32_e32 v6, vcc, s6, v6
	s_lshl_b32 s24, s2, 3
	s_mul_i32 s25, s2, 6
	s_mov_b32 s26, s22
	v_addc_co_u32_e32 v7, vcc, 0, v7, vcc
	s_mov_b64 s[18:19], 0
	v_pk_mov_b32 v[8:9], s[10:11], s[10:11] op_sel:[0,1]
	v_mov_b32_e32 v15, s22
	s_branch .LBB38_4
.LBB38_3:                               ;   in Loop: Header=BB38_4 Depth=1
	s_or_b64 exec, exec, s[0:1]
	s_add_u32 s18, s18, s23
	s_addc_u32 s19, s19, 0
	v_cmp_lt_i64_e32 vcc, s[18:19], v[8:9]
	v_cmp_lt_u64_e64 s[0:1], s[18:19], v[2:3]
	s_and_b64 s[0:1], vcc, s[0:1]
	v_add_co_u32_e32 v4, vcc, s24, v4
	v_addc_co_u32_e32 v5, vcc, v5, v15, vcc
	v_add_co_u32_e32 v6, vcc, s24, v6
	v_addc_co_u32_e32 v7, vcc, v7, v15, vcc
	s_and_b64 vcc, exec, s[0:1]
	s_cbranch_vccz .LBB38_20
.LBB38_4:                               ; =>This Inner Loop Header: Depth=1
	s_waitcnt vmcnt(0)
	v_mov_b32_e32 v17, s19
	v_add_co_u32_e32 v16, vcc, s18, v0
	v_addc_co_u32_e32 v17, vcc, 0, v17, vcc
	v_cmp_gt_u64_e32 vcc, s[16:17], v[16:17]
	v_mov_b32_e32 v16, 0
	s_and_saveexec_b64 s[0:1], vcc
	s_cbranch_execz .LBB38_6
; %bb.5:                                ;   in Loop: Header=BB38_4 Depth=1
	global_load_ushort v16, v[4:5], off
.LBB38_6:                               ;   in Loop: Header=BB38_4 Depth=1
	s_or_b64 exec, exec, s[0:1]
	v_mov_b32_e32 v17, s19
	v_add_co_u32_e64 v18, s[0:1], s18, v13
	v_addc_co_u32_e64 v19, s[0:1], v14, v17, s[0:1]
	v_cmp_gt_u64_e64 s[0:1], s[16:17], v[18:19]
	v_mov_b32_e32 v18, 0
	s_and_saveexec_b64 s[2:3], s[0:1]
	s_cbranch_execz .LBB38_8
; %bb.7:                                ;   in Loop: Header=BB38_4 Depth=1
	global_load_ushort v18, v[6:7], off
.LBB38_8:                               ;   in Loop: Header=BB38_4 Depth=1
	s_or_b64 exec, exec, s[2:3]
	v_mov_b32_e32 v17, s19
	v_add_co_u32_e64 v20, s[2:3], s18, v11
	v_addc_co_u32_e64 v21, s[2:3], v12, v17, s[2:3]
	v_cmp_gt_u64_e64 s[2:3], s[16:17], v[20:21]
	v_mov_b32_e32 v17, 0
	v_mov_b32_e32 v19, 0
	s_and_saveexec_b64 s[8:9], s[2:3]
	s_cbranch_execz .LBB38_10
; %bb.9:                                ;   in Loop: Header=BB38_4 Depth=1
	v_mov_b32_e32 v19, s22
	v_add_co_u32_e64 v20, s[6:7], s23, v4
	v_addc_co_u32_e64 v21, s[6:7], v5, v19, s[6:7]
	global_load_ushort v19, v[20:21], off
.LBB38_10:                              ;   in Loop: Header=BB38_4 Depth=1
	s_or_b64 exec, exec, s[8:9]
	v_mov_b32_e32 v21, s19
	v_add_co_u32_e64 v20, s[6:7], s18, v1
	v_addc_co_u32_e64 v21, s[6:7], v10, v21, s[6:7]
	v_cmp_gt_u64_e64 s[6:7], s[16:17], v[20:21]
	s_and_saveexec_b64 s[20:21], s[6:7]
	s_cbranch_execnz .LBB38_15
; %bb.11:                               ;   in Loop: Header=BB38_4 Depth=1
	s_or_b64 exec, exec, s[20:21]
	s_and_saveexec_b64 s[8:9], vcc
	s_cbranch_execnz .LBB38_16
.LBB38_12:                              ;   in Loop: Header=BB38_4 Depth=1
	s_or_b64 exec, exec, s[8:9]
	s_and_saveexec_b64 s[8:9], s[0:1]
	s_cbranch_execnz .LBB38_17
.LBB38_13:                              ;   in Loop: Header=BB38_4 Depth=1
	s_or_b64 exec, exec, s[8:9]
	s_and_saveexec_b64 s[0:1], s[2:3]
	s_cbranch_execnz .LBB38_18
.LBB38_14:                              ;   in Loop: Header=BB38_4 Depth=1
	s_or_b64 exec, exec, s[0:1]
	s_and_saveexec_b64 s[0:1], s[6:7]
	s_cbranch_execz .LBB38_3
	s_branch .LBB38_19
.LBB38_15:                              ;   in Loop: Header=BB38_4 Depth=1
	v_mov_b32_e32 v17, s26
	v_add_co_u32_e64 v20, s[8:9], s25, v4
	v_addc_co_u32_e64 v21, s[8:9], v5, v17, s[8:9]
	global_load_ushort v17, v[20:21], off
	s_or_b64 exec, exec, s[20:21]
	s_and_saveexec_b64 s[8:9], vcc
	s_cbranch_execz .LBB38_12
.LBB38_16:                              ;   in Loop: Header=BB38_4 Depth=1
	s_waitcnt vmcnt(0)
	v_ceil_f16_e32 v16, v16
	global_store_short v[4:5], v16, off
	s_or_b64 exec, exec, s[8:9]
	s_and_saveexec_b64 s[8:9], s[0:1]
	s_cbranch_execz .LBB38_13
.LBB38_17:                              ;   in Loop: Header=BB38_4 Depth=1
	s_waitcnt vmcnt(0)
	v_ceil_f16_e32 v16, v18
	global_store_short v[6:7], v16, off
	s_or_b64 exec, exec, s[8:9]
	s_and_saveexec_b64 s[0:1], s[2:3]
	s_cbranch_execz .LBB38_14
.LBB38_18:                              ;   in Loop: Header=BB38_4 Depth=1
	s_waitcnt vmcnt(0)
	v_ceil_f16_e32 v16, v19
	v_mov_b32_e32 v19, s22
	v_add_co_u32_e32 v18, vcc, s23, v4
	v_addc_co_u32_e32 v19, vcc, v5, v19, vcc
	global_store_short v[18:19], v16, off
	s_or_b64 exec, exec, s[0:1]
	s_and_saveexec_b64 s[0:1], s[6:7]
	s_cbranch_execz .LBB38_3
.LBB38_19:                              ;   in Loop: Header=BB38_4 Depth=1
	s_waitcnt vmcnt(0)
	v_ceil_f16_e32 v18, v17
	v_mov_b32_e32 v17, s26
	v_add_co_u32_e32 v16, vcc, s25, v4
	v_addc_co_u32_e32 v17, vcc, v5, v17, vcc
	global_store_short v[16:17], v18, off
	s_branch .LBB38_3
.LBB38_20:
	s_cbranch_execz .LBB38_22
	s_branch .LBB38_25
.LBB38_21:
.LBB38_22:
	v_mov_b32_e32 v3, 0
	v_lshlrev_b32_e32 v2, 2, v0
	s_mov_b32 s0, 0
	v_cmp_gt_i64_e32 vcc, s[10:11], v[2:3]
	s_and_saveexec_b64 s[2:3], vcc
	s_cbranch_execz .LBB38_25
; %bb.23:
	s_load_dword s1, s[4:5], 0xd3c
	v_lshlrev_b32_e32 v1, 3, v0
	s_mov_b64 s[4:5], 0
	s_mov_b64 s[6:7], 0xffff
	v_mov_b32_e32 v5, s0
	s_waitcnt lgkmcnt(0)
	s_and_b32 s1, s1, 0xffff
	s_lshl_b32 s8, s1, 2
	s_add_u32 s2, s12, s14
	s_addc_u32 s3, s13, s15
	v_add_lshl_u32 v2, v0, s1, 2
	v_mov_b32_e32 v0, s3
	v_add_co_u32_e32 v1, vcc, s2, v1
	v_addc_co_u32_e32 v4, vcc, 0, v0, vcc
	v_add_co_u32_e32 v0, vcc, 4, v1
	v_addc_co_u32_e32 v1, vcc, 0, v4, vcc
	s_lshl_b32 s9, s1, 3
	v_mov_b32_e32 v4, s0
.LBB38_24:                              ; =>This Inner Loop Header: Depth=1
	global_load_dwordx2 v[6:7], v[0:1], off offset:-4
	v_cmp_le_i64_e32 vcc, s[10:11], v[2:3]
	v_cmp_lt_u64_e64 s[0:1], s[6:7], v[2:3]
	s_or_b64 s[0:1], vcc, s[0:1]
	v_add_co_u32_e64 v2, s[2:3], s8, v2
	s_and_b64 s[0:1], exec, s[0:1]
	v_addc_co_u32_e64 v3, s[2:3], v3, v4, s[2:3]
	s_or_b64 s[4:5], s[0:1], s[4:5]
	s_waitcnt vmcnt(0)
	v_ceil_f16_e32 v8, v6
	v_ceil_f16_sdwa v6, v6 dst_sel:DWORD dst_unused:UNUSED_PAD src0_sel:WORD_1
	v_ceil_f16_e32 v9, v7
	v_ceil_f16_sdwa v7, v7 dst_sel:DWORD dst_unused:UNUSED_PAD src0_sel:WORD_1
	v_pack_b32_f16 v7, v9, v7
	v_pack_b32_f16 v6, v8, v6
	global_store_dwordx2 v[0:1], v[6:7], off offset:-4
	v_add_co_u32_e32 v0, vcc, s9, v0
	v_addc_co_u32_e32 v1, vcc, v1, v5, vcc
	s_andn2_b64 exec, exec, s[4:5]
	s_cbranch_execnz .LBB38_24
.LBB38_25:
	s_endpgm
	.section	.rodata,"a",@progbits
	.p2align	6, 0x0
	.amdhsa_kernel _ZN2at6native12_GLOBAL__N_125multi_tensor_apply_kernelINS1_18TensorListMetadataILi1EEENS1_14UnaryOpFunctorIN3c104HalfELi1ELi1ELi0EEEJNS0_4CeilIfEEEEEvT_T0_DpT1_
		.amdhsa_group_segment_fixed_size 0
		.amdhsa_private_segment_fixed_size 0
		.amdhsa_kernarg_size 3632
		.amdhsa_user_sgpr_count 6
		.amdhsa_user_sgpr_private_segment_buffer 1
		.amdhsa_user_sgpr_dispatch_ptr 0
		.amdhsa_user_sgpr_queue_ptr 0
		.amdhsa_user_sgpr_kernarg_segment_ptr 1
		.amdhsa_user_sgpr_dispatch_id 0
		.amdhsa_user_sgpr_flat_scratch_init 0
		.amdhsa_user_sgpr_kernarg_preload_length 0
		.amdhsa_user_sgpr_kernarg_preload_offset 0
		.amdhsa_user_sgpr_private_segment_size 0
		.amdhsa_uses_dynamic_stack 0
		.amdhsa_system_sgpr_private_segment_wavefront_offset 0
		.amdhsa_system_sgpr_workgroup_id_x 1
		.amdhsa_system_sgpr_workgroup_id_y 0
		.amdhsa_system_sgpr_workgroup_id_z 0
		.amdhsa_system_sgpr_workgroup_info 0
		.amdhsa_system_vgpr_workitem_id 0
		.amdhsa_next_free_vgpr 22
		.amdhsa_next_free_sgpr 27
		.amdhsa_accum_offset 24
		.amdhsa_reserve_vcc 1
		.amdhsa_reserve_flat_scratch 0
		.amdhsa_float_round_mode_32 0
		.amdhsa_float_round_mode_16_64 0
		.amdhsa_float_denorm_mode_32 3
		.amdhsa_float_denorm_mode_16_64 3
		.amdhsa_dx10_clamp 1
		.amdhsa_ieee_mode 1
		.amdhsa_fp16_overflow 0
		.amdhsa_tg_split 0
		.amdhsa_exception_fp_ieee_invalid_op 0
		.amdhsa_exception_fp_denorm_src 0
		.amdhsa_exception_fp_ieee_div_zero 0
		.amdhsa_exception_fp_ieee_overflow 0
		.amdhsa_exception_fp_ieee_underflow 0
		.amdhsa_exception_fp_ieee_inexact 0
		.amdhsa_exception_int_div_zero 0
	.end_amdhsa_kernel
	.section	.text._ZN2at6native12_GLOBAL__N_125multi_tensor_apply_kernelINS1_18TensorListMetadataILi1EEENS1_14UnaryOpFunctorIN3c104HalfELi1ELi1ELi0EEEJNS0_4CeilIfEEEEEvT_T0_DpT1_,"axG",@progbits,_ZN2at6native12_GLOBAL__N_125multi_tensor_apply_kernelINS1_18TensorListMetadataILi1EEENS1_14UnaryOpFunctorIN3c104HalfELi1ELi1ELi0EEEJNS0_4CeilIfEEEEEvT_T0_DpT1_,comdat
.Lfunc_end38:
	.size	_ZN2at6native12_GLOBAL__N_125multi_tensor_apply_kernelINS1_18TensorListMetadataILi1EEENS1_14UnaryOpFunctorIN3c104HalfELi1ELi1ELi0EEEJNS0_4CeilIfEEEEEvT_T0_DpT1_, .Lfunc_end38-_ZN2at6native12_GLOBAL__N_125multi_tensor_apply_kernelINS1_18TensorListMetadataILi1EEENS1_14UnaryOpFunctorIN3c104HalfELi1ELi1ELi0EEEJNS0_4CeilIfEEEEEvT_T0_DpT1_
                                        ; -- End function
	.section	.AMDGPU.csdata,"",@progbits
; Kernel info:
; codeLenInByte = 1036
; NumSgprs: 31
; NumVgprs: 22
; NumAgprs: 0
; TotalNumVgprs: 22
; ScratchSize: 0
; MemoryBound: 0
; FloatMode: 240
; IeeeMode: 1
; LDSByteSize: 0 bytes/workgroup (compile time only)
; SGPRBlocks: 3
; VGPRBlocks: 2
; NumSGPRsForWavesPerEU: 31
; NumVGPRsForWavesPerEU: 22
; AccumOffset: 24
; Occupancy: 8
; WaveLimiterHint : 0
; COMPUTE_PGM_RSRC2:SCRATCH_EN: 0
; COMPUTE_PGM_RSRC2:USER_SGPR: 6
; COMPUTE_PGM_RSRC2:TRAP_HANDLER: 0
; COMPUTE_PGM_RSRC2:TGID_X_EN: 1
; COMPUTE_PGM_RSRC2:TGID_Y_EN: 0
; COMPUTE_PGM_RSRC2:TGID_Z_EN: 0
; COMPUTE_PGM_RSRC2:TIDIG_COMP_CNT: 0
; COMPUTE_PGM_RSRC3_GFX90A:ACCUM_OFFSET: 5
; COMPUTE_PGM_RSRC3_GFX90A:TG_SPLIT: 0
	.section	.text._ZN2at6native12_GLOBAL__N_125multi_tensor_apply_kernelINS1_18TensorListMetadataILi1EEENS1_14UnaryOpFunctorIN3c108BFloat16ELi1ELi1ELi0EEEJNS0_4CeilIfEEEEEvT_T0_DpT1_,"axG",@progbits,_ZN2at6native12_GLOBAL__N_125multi_tensor_apply_kernelINS1_18TensorListMetadataILi1EEENS1_14UnaryOpFunctorIN3c108BFloat16ELi1ELi1ELi0EEEJNS0_4CeilIfEEEEEvT_T0_DpT1_,comdat
	.globl	_ZN2at6native12_GLOBAL__N_125multi_tensor_apply_kernelINS1_18TensorListMetadataILi1EEENS1_14UnaryOpFunctorIN3c108BFloat16ELi1ELi1ELi0EEEJNS0_4CeilIfEEEEEvT_T0_DpT1_ ; -- Begin function _ZN2at6native12_GLOBAL__N_125multi_tensor_apply_kernelINS1_18TensorListMetadataILi1EEENS1_14UnaryOpFunctorIN3c108BFloat16ELi1ELi1ELi0EEEJNS0_4CeilIfEEEEEvT_T0_DpT1_
	.p2align	8
	.type	_ZN2at6native12_GLOBAL__N_125multi_tensor_apply_kernelINS1_18TensorListMetadataILi1EEENS1_14UnaryOpFunctorIN3c108BFloat16ELi1ELi1ELi0EEEJNS0_4CeilIfEEEEEvT_T0_DpT1_,@function
_ZN2at6native12_GLOBAL__N_125multi_tensor_apply_kernelINS1_18TensorListMetadataILi1EEENS1_14UnaryOpFunctorIN3c108BFloat16ELi1ELi1ELi0EEEJNS0_4CeilIfEEEEEvT_T0_DpT1_: ; @_ZN2at6native12_GLOBAL__N_125multi_tensor_apply_kernelINS1_18TensorListMetadataILi1EEENS1_14UnaryOpFunctorIN3c108BFloat16ELi1ELi1ELi0EEEJNS0_4CeilIfEEEEEvT_T0_DpT1_
; %bb.0:
	v_mov_b32_e32 v1, s6
	global_load_ubyte v1, v1, s[4:5] offset:1760
	s_add_u32 s0, s4, s6
	s_mul_hi_u32 s1, s6, 3
	s_mul_i32 s6, s6, 3
	s_addc_u32 s2, s5, 0
	s_add_u32 s0, s0, s6
	s_addc_u32 s1, s2, s1
	s_load_dword s0, s[0:1], 0x820
	s_mov_b32 s7, 0
	s_waitcnt vmcnt(0)
	v_readfirstlane_b32 s2, v1
	s_lshl_b32 s1, s2, 3
	s_load_dwordx2 s[2:3], s[4:5], s1 offset:0x370
	s_load_dwordx2 s[12:13], s[4:5], s1 offset:0x0
	s_waitcnt lgkmcnt(0)
	s_ashr_i32 s1, s0, 31
	s_lshl_b64 s[14:15], s[0:1], 17
	s_lshl_b64 s[0:1], s[0:1], 16
	s_and_b32 s6, s12, 7
	s_sub_u32 s10, s2, s0
	s_subb_u32 s11, s3, s1
	s_and_b32 s0, s2, 3
	s_mov_b32 s1, s7
	s_or_b64 s[0:1], s[6:7], s[0:1]
	s_cmp_eq_u64 s[0:1], 0
	s_cbranch_scc1 .LBB39_21
; %bb.1:
	v_cmp_lt_i64_e64 s[0:1], s[10:11], 1
	s_and_b64 vcc, exec, s[0:1]
	s_cbranch_vccnz .LBB39_20
; %bb.2:
	s_load_dword s0, s[4:5], 0xd3c
	v_mov_b32_e32 v2, 0x10000
	v_mov_b32_e32 v3, 0
	v_cmp_lt_u64_e32 vcc, s[10:11], v[2:3]
	v_lshlrev_b32_e32 v1, 1, v0
	s_waitcnt lgkmcnt(0)
	s_and_b32 s2, s0, 0xffff
	s_and_b64 s[0:1], vcc, exec
	s_cselect_b32 s17, s11, 0
	s_cselect_b32 s16, s10, 0x10000
	s_lshl_b32 s3, s2, 1
	s_lshl_b32 s23, s2, 2
	s_add_u32 s6, s12, s14
	s_addc_u32 s7, s13, s15
	v_mov_b32_e32 v5, s7
	v_add_co_u32_e32 v4, vcc, s6, v1
	s_mul_i32 s0, s2, 3
	v_addc_co_u32_e32 v5, vcc, 0, v5, vcc
	v_add_co_u32_e32 v1, vcc, s0, v0
	v_addc_co_u32_e64 v10, s[0:1], 0, 0, vcc
	v_add_co_u32_e32 v11, vcc, s3, v0
	v_addc_co_u32_e64 v12, s[0:1], 0, 0, vcc
	v_add_co_u32_e32 v13, vcc, s2, v0
	v_lshlrev_b32_e32 v6, 1, v13
	s_mov_b32 s22, 0
	v_addc_co_u32_e64 v14, s[0:1], 0, 0, vcc
	v_mov_b32_e32 v7, s7
	v_add_co_u32_e32 v6, vcc, s6, v6
	s_lshl_b32 s24, s2, 3
	s_mul_i32 s25, s2, 6
	s_mov_b32 s26, s22
	v_addc_co_u32_e32 v7, vcc, 0, v7, vcc
	s_mov_b64 s[18:19], 0
	s_movk_i32 s27, 0x7fff
	v_pk_mov_b32 v[8:9], s[10:11], s[10:11] op_sel:[0,1]
	v_mov_b32_e32 v15, s22
	v_mov_b32_e32 v16, 0x7fc0
	s_branch .LBB39_4
.LBB39_3:                               ;   in Loop: Header=BB39_4 Depth=1
	s_or_b64 exec, exec, s[0:1]
	s_add_u32 s18, s18, s23
	s_addc_u32 s19, s19, 0
	v_cmp_lt_i64_e32 vcc, s[18:19], v[8:9]
	v_cmp_lt_u64_e64 s[0:1], s[18:19], v[2:3]
	s_and_b64 s[0:1], vcc, s[0:1]
	v_add_co_u32_e32 v4, vcc, s24, v4
	v_addc_co_u32_e32 v5, vcc, v5, v15, vcc
	v_add_co_u32_e32 v6, vcc, s24, v6
	v_addc_co_u32_e32 v7, vcc, v7, v15, vcc
	s_and_b64 vcc, exec, s[0:1]
	s_cbranch_vccz .LBB39_20
.LBB39_4:                               ; =>This Inner Loop Header: Depth=1
	s_waitcnt vmcnt(0)
	v_mov_b32_e32 v17, s19
	v_add_co_u32_e32 v18, vcc, s18, v0
	v_addc_co_u32_e32 v19, vcc, 0, v17, vcc
	v_cmp_gt_u64_e32 vcc, s[16:17], v[18:19]
	v_mov_b32_e32 v18, 0
	s_and_saveexec_b64 s[0:1], vcc
	s_cbranch_execz .LBB39_6
; %bb.5:                                ;   in Loop: Header=BB39_4 Depth=1
	global_load_ushort v18, v[4:5], off
.LBB39_6:                               ;   in Loop: Header=BB39_4 Depth=1
	s_or_b64 exec, exec, s[0:1]
	v_mov_b32_e32 v17, s19
	v_add_co_u32_e64 v20, s[0:1], s18, v13
	v_addc_co_u32_e64 v21, s[0:1], v14, v17, s[0:1]
	v_cmp_gt_u64_e64 s[0:1], s[16:17], v[20:21]
	v_mov_b32_e32 v19, 0
	s_and_saveexec_b64 s[2:3], s[0:1]
	s_cbranch_execz .LBB39_8
; %bb.7:                                ;   in Loop: Header=BB39_4 Depth=1
	global_load_ushort v19, v[6:7], off
.LBB39_8:                               ;   in Loop: Header=BB39_4 Depth=1
	s_or_b64 exec, exec, s[2:3]
	v_mov_b32_e32 v17, s19
	v_add_co_u32_e64 v20, s[2:3], s18, v11
	v_addc_co_u32_e64 v21, s[2:3], v12, v17, s[2:3]
	v_cmp_gt_u64_e64 s[2:3], s[16:17], v[20:21]
	v_mov_b32_e32 v17, 0
	v_mov_b32_e32 v20, 0
	s_and_saveexec_b64 s[8:9], s[2:3]
	s_cbranch_execz .LBB39_10
; %bb.9:                                ;   in Loop: Header=BB39_4 Depth=1
	v_mov_b32_e32 v21, s22
	v_add_co_u32_e64 v20, s[6:7], s23, v4
	v_addc_co_u32_e64 v21, s[6:7], v5, v21, s[6:7]
	global_load_ushort v20, v[20:21], off
.LBB39_10:                              ;   in Loop: Header=BB39_4 Depth=1
	s_or_b64 exec, exec, s[8:9]
	v_mov_b32_e32 v21, s19
	v_add_co_u32_e64 v22, s[6:7], s18, v1
	v_addc_co_u32_e64 v23, s[6:7], v10, v21, s[6:7]
	v_cmp_gt_u64_e64 s[6:7], s[16:17], v[22:23]
	s_and_saveexec_b64 s[20:21], s[6:7]
	s_cbranch_execnz .LBB39_15
; %bb.11:                               ;   in Loop: Header=BB39_4 Depth=1
	s_or_b64 exec, exec, s[20:21]
	s_and_saveexec_b64 s[8:9], vcc
	s_cbranch_execnz .LBB39_16
.LBB39_12:                              ;   in Loop: Header=BB39_4 Depth=1
	s_or_b64 exec, exec, s[8:9]
	s_and_saveexec_b64 s[8:9], s[0:1]
	s_cbranch_execnz .LBB39_17
.LBB39_13:                              ;   in Loop: Header=BB39_4 Depth=1
	s_or_b64 exec, exec, s[8:9]
	s_and_saveexec_b64 s[0:1], s[2:3]
	s_cbranch_execnz .LBB39_18
.LBB39_14:                              ;   in Loop: Header=BB39_4 Depth=1
	s_or_b64 exec, exec, s[0:1]
	s_and_saveexec_b64 s[0:1], s[6:7]
	s_cbranch_execz .LBB39_3
	s_branch .LBB39_19
.LBB39_15:                              ;   in Loop: Header=BB39_4 Depth=1
	v_mov_b32_e32 v17, s26
	v_add_co_u32_e64 v22, s[8:9], s25, v4
	v_addc_co_u32_e64 v23, s[8:9], v5, v17, s[8:9]
	global_load_ushort v17, v[22:23], off
	s_or_b64 exec, exec, s[20:21]
	s_and_saveexec_b64 s[8:9], vcc
	s_cbranch_execz .LBB39_12
.LBB39_16:                              ;   in Loop: Header=BB39_4 Depth=1
	s_waitcnt vmcnt(0)
	v_lshlrev_b32_e32 v18, 16, v18
	v_ceil_f32_e32 v18, v18
	v_bfe_u32 v21, v18, 16, 1
	v_add3_u32 v21, v18, v21, s27
	v_lshrrev_b32_e32 v21, 16, v21
	v_cmp_o_f32_e32 vcc, v18, v18
	v_cndmask_b32_e32 v18, v16, v21, vcc
	global_store_short v[4:5], v18, off
	s_or_b64 exec, exec, s[8:9]
	s_and_saveexec_b64 s[8:9], s[0:1]
	s_cbranch_execz .LBB39_13
.LBB39_17:                              ;   in Loop: Header=BB39_4 Depth=1
	s_waitcnt vmcnt(0)
	v_lshlrev_b32_e32 v18, 16, v19
	v_ceil_f32_e32 v18, v18
	v_bfe_u32 v19, v18, 16, 1
	v_add3_u32 v19, v18, v19, s27
	v_lshrrev_b32_e32 v19, 16, v19
	v_cmp_o_f32_e32 vcc, v18, v18
	v_cndmask_b32_e32 v18, v16, v19, vcc
	global_store_short v[6:7], v18, off
	s_or_b64 exec, exec, s[8:9]
	s_and_saveexec_b64 s[0:1], s[2:3]
	s_cbranch_execz .LBB39_14
.LBB39_18:                              ;   in Loop: Header=BB39_4 Depth=1
	s_waitcnt vmcnt(0)
	v_lshlrev_b32_e32 v18, 16, v20
	v_ceil_f32_e32 v18, v18
	v_bfe_u32 v19, v18, 16, 1
	v_add3_u32 v19, v18, v19, s27
	v_lshrrev_b32_e32 v19, 16, v19
	v_cmp_o_f32_e32 vcc, v18, v18
	v_cndmask_b32_e32 v20, v16, v19, vcc
	v_mov_b32_e32 v19, s22
	v_add_co_u32_e32 v18, vcc, s23, v4
	v_addc_co_u32_e32 v19, vcc, v5, v19, vcc
	global_store_short v[18:19], v20, off
	s_or_b64 exec, exec, s[0:1]
	s_and_saveexec_b64 s[0:1], s[6:7]
	s_cbranch_execz .LBB39_3
.LBB39_19:                              ;   in Loop: Header=BB39_4 Depth=1
	s_waitcnt vmcnt(0)
	v_lshlrev_b32_e32 v17, 16, v17
	v_ceil_f32_e32 v17, v17
	v_bfe_u32 v18, v17, 16, 1
	v_add3_u32 v18, v17, v18, s27
	v_lshrrev_b32_e32 v18, 16, v18
	v_cmp_o_f32_e32 vcc, v17, v17
	v_cndmask_b32_e32 v17, v16, v18, vcc
	v_mov_b32_e32 v19, s26
	v_add_co_u32_e32 v18, vcc, s25, v4
	v_addc_co_u32_e32 v19, vcc, v5, v19, vcc
	global_store_short v[18:19], v17, off
	s_branch .LBB39_3
.LBB39_20:
	s_cbranch_execz .LBB39_22
	s_branch .LBB39_25
.LBB39_21:
.LBB39_22:
	v_mov_b32_e32 v3, 0
	v_lshlrev_b32_e32 v2, 2, v0
	s_mov_b32 s0, 0
	v_cmp_gt_i64_e32 vcc, s[10:11], v[2:3]
	s_and_saveexec_b64 s[2:3], vcc
	s_cbranch_execz .LBB39_25
; %bb.23:
	s_load_dword s1, s[4:5], 0xd3c
	v_lshlrev_b32_e32 v1, 3, v0
	s_movk_i32 s8, 0x7fff
	s_mov_b64 s[4:5], 0xffff
	v_mov_b32_e32 v6, s0
	s_waitcnt lgkmcnt(0)
	s_and_b32 s1, s1, 0xffff
	s_add_u32 s2, s12, s14
	s_addc_u32 s3, s13, s15
	v_mov_b32_e32 v2, s3
	v_add_co_u32_e32 v4, vcc, s2, v1
	v_addc_co_u32_e32 v5, vcc, 0, v2, vcc
	s_lshl_b32 s6, s1, 3
	v_add_lshl_u32 v2, v0, s1, 2
	s_lshl_b32 s7, s1, 2
	s_mov_b64 s[2:3], 0
	v_mov_b32_e32 v0, 0x7fc00000
	v_mov_b32_e32 v1, 0x7fc0
	;; [unrolled: 1-line block ×3, first 2 shown]
.LBB39_24:                              ; =>This Inner Loop Header: Depth=1
	global_load_dwordx2 v[8:9], v[4:5], off
	v_cmp_le_i64_e32 vcc, s[10:11], v[2:3]
	v_cmp_lt_u64_e64 s[0:1], s[4:5], v[2:3]
	s_or_b64 s[0:1], vcc, s[0:1]
	s_and_b64 s[0:1], exec, s[0:1]
	s_or_b64 s[2:3], s[0:1], s[2:3]
	s_waitcnt vmcnt(0)
	v_and_b32_e32 v10, 0xffff0000, v8
	v_lshlrev_b32_e32 v11, 16, v8
	v_alignbit_b32 v8, v9, v8, 16
	v_and_b32_e32 v9, 0xffff0000, v9
	v_ceil_f32_e32 v9, v9
	v_ceil_f32_e32 v10, v10
	v_bfe_u32 v14, v9, 16, 1
	v_ceil_f32_e32 v11, v11
	v_and_b32_e32 v8, 0xffff0000, v8
	v_bfe_u32 v13, v10, 16, 1
	v_add3_u32 v14, v9, v14, s8
	v_bfe_u32 v12, v11, 16, 1
	v_ceil_f32_e32 v8, v8
	v_add3_u32 v13, v10, v13, s8
	v_and_b32_e32 v14, 0xffff0000, v14
	v_cmp_o_f32_e32 vcc, v9, v9
	v_add3_u32 v12, v11, v12, s8
	v_bfe_u32 v15, v8, 16, 1
	v_and_b32_e32 v13, 0xffff0000, v13
	v_cndmask_b32_e32 v9, v0, v14, vcc
	v_cmp_o_f32_e32 vcc, v10, v10
	v_lshrrev_b32_e32 v12, 16, v12
	v_add3_u32 v15, v8, v15, s8
	v_cndmask_b32_e32 v10, v0, v13, vcc
	v_cmp_o_f32_e32 vcc, v11, v11
	v_lshrrev_b32_e32 v15, 16, v15
	v_cndmask_b32_e32 v11, v1, v12, vcc
	v_cmp_o_f32_e32 vcc, v8, v8
	v_cndmask_b32_e32 v8, v1, v15, vcc
	v_or_b32_e32 v10, v11, v10
	v_or3_b32 v9, 0, v8, v9
	v_or3_b32 v8, v10, 0, 0
	global_store_dwordx2 v[4:5], v[8:9], off
	v_add_co_u32_e32 v4, vcc, s6, v4
	v_addc_co_u32_e32 v5, vcc, v5, v6, vcc
	v_add_co_u32_e32 v2, vcc, s7, v2
	v_addc_co_u32_e32 v3, vcc, v3, v7, vcc
	s_andn2_b64 exec, exec, s[2:3]
	s_cbranch_execnz .LBB39_24
.LBB39_25:
	s_endpgm
	.section	.rodata,"a",@progbits
	.p2align	6, 0x0
	.amdhsa_kernel _ZN2at6native12_GLOBAL__N_125multi_tensor_apply_kernelINS1_18TensorListMetadataILi1EEENS1_14UnaryOpFunctorIN3c108BFloat16ELi1ELi1ELi0EEEJNS0_4CeilIfEEEEEvT_T0_DpT1_
		.amdhsa_group_segment_fixed_size 0
		.amdhsa_private_segment_fixed_size 0
		.amdhsa_kernarg_size 3632
		.amdhsa_user_sgpr_count 6
		.amdhsa_user_sgpr_private_segment_buffer 1
		.amdhsa_user_sgpr_dispatch_ptr 0
		.amdhsa_user_sgpr_queue_ptr 0
		.amdhsa_user_sgpr_kernarg_segment_ptr 1
		.amdhsa_user_sgpr_dispatch_id 0
		.amdhsa_user_sgpr_flat_scratch_init 0
		.amdhsa_user_sgpr_kernarg_preload_length 0
		.amdhsa_user_sgpr_kernarg_preload_offset 0
		.amdhsa_user_sgpr_private_segment_size 0
		.amdhsa_uses_dynamic_stack 0
		.amdhsa_system_sgpr_private_segment_wavefront_offset 0
		.amdhsa_system_sgpr_workgroup_id_x 1
		.amdhsa_system_sgpr_workgroup_id_y 0
		.amdhsa_system_sgpr_workgroup_id_z 0
		.amdhsa_system_sgpr_workgroup_info 0
		.amdhsa_system_vgpr_workitem_id 0
		.amdhsa_next_free_vgpr 24
		.amdhsa_next_free_sgpr 28
		.amdhsa_accum_offset 24
		.amdhsa_reserve_vcc 1
		.amdhsa_reserve_flat_scratch 0
		.amdhsa_float_round_mode_32 0
		.amdhsa_float_round_mode_16_64 0
		.amdhsa_float_denorm_mode_32 3
		.amdhsa_float_denorm_mode_16_64 3
		.amdhsa_dx10_clamp 1
		.amdhsa_ieee_mode 1
		.amdhsa_fp16_overflow 0
		.amdhsa_tg_split 0
		.amdhsa_exception_fp_ieee_invalid_op 0
		.amdhsa_exception_fp_denorm_src 0
		.amdhsa_exception_fp_ieee_div_zero 0
		.amdhsa_exception_fp_ieee_overflow 0
		.amdhsa_exception_fp_ieee_underflow 0
		.amdhsa_exception_fp_ieee_inexact 0
		.amdhsa_exception_int_div_zero 0
	.end_amdhsa_kernel
	.section	.text._ZN2at6native12_GLOBAL__N_125multi_tensor_apply_kernelINS1_18TensorListMetadataILi1EEENS1_14UnaryOpFunctorIN3c108BFloat16ELi1ELi1ELi0EEEJNS0_4CeilIfEEEEEvT_T0_DpT1_,"axG",@progbits,_ZN2at6native12_GLOBAL__N_125multi_tensor_apply_kernelINS1_18TensorListMetadataILi1EEENS1_14UnaryOpFunctorIN3c108BFloat16ELi1ELi1ELi0EEEJNS0_4CeilIfEEEEEvT_T0_DpT1_,comdat
.Lfunc_end39:
	.size	_ZN2at6native12_GLOBAL__N_125multi_tensor_apply_kernelINS1_18TensorListMetadataILi1EEENS1_14UnaryOpFunctorIN3c108BFloat16ELi1ELi1ELi0EEEJNS0_4CeilIfEEEEEvT_T0_DpT1_, .Lfunc_end39-_ZN2at6native12_GLOBAL__N_125multi_tensor_apply_kernelINS1_18TensorListMetadataILi1EEENS1_14UnaryOpFunctorIN3c108BFloat16ELi1ELi1ELi0EEEJNS0_4CeilIfEEEEEvT_T0_DpT1_
                                        ; -- End function
	.section	.AMDGPU.csdata,"",@progbits
; Kernel info:
; codeLenInByte = 1332
; NumSgprs: 32
; NumVgprs: 24
; NumAgprs: 0
; TotalNumVgprs: 24
; ScratchSize: 0
; MemoryBound: 0
; FloatMode: 240
; IeeeMode: 1
; LDSByteSize: 0 bytes/workgroup (compile time only)
; SGPRBlocks: 3
; VGPRBlocks: 2
; NumSGPRsForWavesPerEU: 32
; NumVGPRsForWavesPerEU: 24
; AccumOffset: 24
; Occupancy: 8
; WaveLimiterHint : 0
; COMPUTE_PGM_RSRC2:SCRATCH_EN: 0
; COMPUTE_PGM_RSRC2:USER_SGPR: 6
; COMPUTE_PGM_RSRC2:TRAP_HANDLER: 0
; COMPUTE_PGM_RSRC2:TGID_X_EN: 1
; COMPUTE_PGM_RSRC2:TGID_Y_EN: 0
; COMPUTE_PGM_RSRC2:TGID_Z_EN: 0
; COMPUTE_PGM_RSRC2:TIDIG_COMP_CNT: 0
; COMPUTE_PGM_RSRC3_GFX90A:ACCUM_OFFSET: 5
; COMPUTE_PGM_RSRC3_GFX90A:TG_SPLIT: 0
	.section	.text._ZN2at6native12_GLOBAL__N_125multi_tensor_apply_kernelINS1_18TensorListMetadataILi2EEENS1_14UnaryOpFunctorIdLi2ELi1ELi1EEEJNS0_4AcosIdEEEEEvT_T0_DpT1_,"axG",@progbits,_ZN2at6native12_GLOBAL__N_125multi_tensor_apply_kernelINS1_18TensorListMetadataILi2EEENS1_14UnaryOpFunctorIdLi2ELi1ELi1EEEJNS0_4AcosIdEEEEEvT_T0_DpT1_,comdat
	.globl	_ZN2at6native12_GLOBAL__N_125multi_tensor_apply_kernelINS1_18TensorListMetadataILi2EEENS1_14UnaryOpFunctorIdLi2ELi1ELi1EEEJNS0_4AcosIdEEEEEvT_T0_DpT1_ ; -- Begin function _ZN2at6native12_GLOBAL__N_125multi_tensor_apply_kernelINS1_18TensorListMetadataILi2EEENS1_14UnaryOpFunctorIdLi2ELi1ELi1EEEJNS0_4AcosIdEEEEEvT_T0_DpT1_
	.p2align	8
	.type	_ZN2at6native12_GLOBAL__N_125multi_tensor_apply_kernelINS1_18TensorListMetadataILi2EEENS1_14UnaryOpFunctorIdLi2ELi1ELi1EEEJNS0_4AcosIdEEEEEvT_T0_DpT1_,@function
_ZN2at6native12_GLOBAL__N_125multi_tensor_apply_kernelINS1_18TensorListMetadataILi2EEENS1_14UnaryOpFunctorIdLi2ELi1ELi1EEEJNS0_4AcosIdEEEEEvT_T0_DpT1_: ; @_ZN2at6native12_GLOBAL__N_125multi_tensor_apply_kernelINS1_18TensorListMetadataILi2EEENS1_14UnaryOpFunctorIdLi2ELi1ELi1EEEJNS0_4AcosIdEEEEEvT_T0_DpT1_
; %bb.0:
	v_mov_b32_e32 v1, s6
	global_load_ubyte v1, v1, s[4:5] offset:1536
	s_add_u32 s0, s4, s6
	s_mul_hi_u32 s3, s6, 3
	s_mul_i32 s6, s6, 3
	s_addc_u32 s7, s5, 0
	s_add_u32 s2, s0, s6
	s_addc_u32 s3, s7, s3
	s_load_dword s14, s[2:3], 0x740
	s_mov_b32 s13, 0
	s_mov_b32 s11, s13
	;; [unrolled: 1-line block ×3, first 2 shown]
	s_waitcnt lgkmcnt(0)
	s_ashr_i32 s15, s14, 31
	s_lshl_b64 s[8:9], s[14:15], 19
	s_waitcnt vmcnt(0)
	v_readfirstlane_b32 s0, v1
	s_lshl_b32 s0, s0, 3
	s_load_dwordx2 s[6:7], s[4:5], s0 offset:0x0
	s_load_dwordx2 s[16:17], s[4:5], s0 offset:0x400
	;; [unrolled: 1-line block ×3, first 2 shown]
	s_waitcnt lgkmcnt(0)
	s_add_u32 s26, s6, s8
	s_addc_u32 s27, s7, s9
	s_and_b32 s12, s26, 31
	s_add_u32 s28, s2, s8
	s_addc_u32 s29, s3, s9
	s_and_b32 s10, s16, 3
	s_and_b32 s0, s28, 31
	s_or_b64 s[10:11], s[12:13], s[10:11]
	s_or_b64 s[0:1], s[0:1], s[10:11]
	s_lshl_b64 s[10:11], s[14:15], 16
	s_sub_u32 s10, s16, s10
	s_subb_u32 s11, s17, s11
	s_cmp_eq_u64 s[0:1], 0
	s_mov_b64 s[0:1], -1
	s_cbranch_scc0 .LBB40_13
; %bb.1:
	v_mov_b32_e32 v15, 0
	v_lshlrev_b32_e32 v14, 2, v0
	v_cmp_gt_i64_e32 vcc, s[10:11], v[14:15]
	s_and_saveexec_b64 s[14:15], vcc
	s_cbranch_execz .LBB40_12
; %bb.2:
	s_load_dword s0, s[4:5], 0xc5c
	s_mov_b32 s18, 0x9fea6a70
	s_mov_b32 s20, 0x336a0500
	;; [unrolled: 1-line block ×3, first 2 shown]
	v_lshlrev_b32_e32 v16, 5, v0
	s_waitcnt lgkmcnt(0)
	s_and_b32 s0, s0, 0xffff
	s_mov_b64 s[16:17], 0
	v_add_lshl_u32 v14, v0, s0, 2
	s_lshl_b32 s12, s0, 2
	s_lshl_b32 s30, s0, 5
	v_mov_b32_e32 v18, 0x78a05eaf
	v_mov_b32_e32 v19, 0xbf90a5a3
	s_mov_b32 s19, 0x3fa05985
	v_mov_b32_e32 v20, 0x37024d6a
	v_mov_b32_e32 v21, 0x3f940521
	;; [unrolled: 1-line block ×22, first 2 shown]
	s_mov_b32 s21, 0x3fedd9ad
	s_mov_b32 s23, 0x3ffdd9ad
	s_mov_b64 s[24:25], 0xffff
	v_mov_b32_e32 v1, 0x54442d18
	v_mov_b32_e32 v17, 0x400921fb
	s_branch .LBB40_4
.LBB40_3:                               ;   in Loop: Header=BB40_4 Depth=1
	s_or_b64 exec, exec, s[0:1]
	v_mov_b32_e32 v3, s29
	v_add_co_u32_e32 v2, vcc, s28, v16
	v_addc_co_u32_e32 v3, vcc, 0, v3, vcc
	v_cmp_le_i64_e32 vcc, s[10:11], v[14:15]
	v_cmp_lt_u64_e64 s[0:1], s[24:25], v[14:15]
	s_or_b64 s[0:1], vcc, s[0:1]
	s_add_u32 s26, s26, s30
	s_addc_u32 s27, s27, 0
	s_add_u32 s28, s28, s30
	s_addc_u32 s29, s29, 0
	global_store_dwordx4 v[2:3], v[6:9], off
	global_store_dwordx4 v[2:3], v[10:13], off offset:16
	v_mov_b32_e32 v2, s13
	s_and_b64 s[0:1], exec, s[0:1]
	v_add_co_u32_e32 v14, vcc, s12, v14
	s_or_b64 s[16:17], s[0:1], s[16:17]
	v_addc_co_u32_e32 v15, vcc, v15, v2, vcc
	s_andn2_b64 exec, exec, s[16:17]
	s_cbranch_execz .LBB40_12
.LBB40_4:                               ; =>This Inner Loop Header: Depth=1
	v_mov_b32_e32 v2, s27
	v_add_co_u32_e32 v6, vcc, s26, v16
	v_addc_co_u32_e32 v7, vcc, 0, v2, vcc
	global_load_dwordx4 v[8:11], v[6:7], off
	global_load_dwordx4 v[2:5], v[6:7], off offset:16
	s_waitcnt vmcnt(1)
	v_fma_f64 v[42:43], |v[8:9]|, -0.5, 0.5
	v_mul_f64 v[6:7], v[8:9], v[8:9]
	v_cmp_ge_f64_e64 vcc, |v[8:9]|, 0.5
	v_cndmask_b32_e32 v7, v7, v43, vcc
	v_cndmask_b32_e32 v6, v6, v42, vcc
	v_fma_f64 v[12:13], s[18:19], v[6:7], v[18:19]
	v_fma_f64 v[12:13], v[6:7], v[12:13], v[20:21]
	;; [unrolled: 1-line block ×11, first 2 shown]
	v_mul_f64 v[12:13], v[6:7], v[12:13]
	v_fma_f64 v[6:7], v[8:9], v[12:13], v[8:9]
	v_fma_f64 v[6:7], s[20:21], v[40:41], -v[6:7]
	s_and_saveexec_b64 s[0:1], vcc
	s_cbranch_execz .LBB40_6
; %bb.5:                                ;   in Loop: Header=BB40_4 Depth=1
	v_rsq_f64_e32 v[6:7], v[42:43]
	v_cmp_eq_f64_e32 vcc, 0, v[42:43]
	v_mul_f64 v[44:45], v[42:43], v[6:7]
	v_mul_f64 v[6:7], v[6:7], 0.5
	v_fma_f64 v[46:47], -v[6:7], v[44:45], 0.5
	v_fmac_f64_e32 v[44:45], v[44:45], v[46:47]
	v_fmac_f64_e32 v[6:7], v[6:7], v[46:47]
	v_fma_f64 v[46:47], -v[44:45], v[44:45], v[42:43]
	v_fmac_f64_e32 v[44:45], v[46:47], v[6:7]
	v_cndmask_b32_e32 v7, v45, v43, vcc
	v_cndmask_b32_e32 v6, v44, v42, vcc
	v_add_f64 v[50:51], v[6:7], v[6:7]
	v_rcp_f64_e32 v[52:53], v[50:51]
	v_mul_f64 v[44:45], v[6:7], v[6:7]
	v_add_f64 v[48:49], v[42:43], -v[44:45]
	v_add_f64 v[42:43], v[42:43], -v[48:49]
	v_fma_f64 v[46:47], v[6:7], v[6:7], -v[44:45]
	v_add_f64 v[42:43], v[42:43], -v[44:45]
	v_fma_f64 v[44:45], -v[50:51], v[52:53], 1.0
	v_fmac_f64_e32 v[52:53], v[44:45], v[52:53]
	v_add_f64 v[42:43], v[42:43], -v[46:47]
	v_fma_f64 v[44:45], -v[50:51], v[52:53], 1.0
	v_add_f64 v[42:43], v[48:49], v[42:43]
	v_fmac_f64_e32 v[52:53], v[44:45], v[52:53]
	v_mul_f64 v[44:45], v[42:43], v[52:53]
	v_fma_f64 v[42:43], -v[50:51], v[44:45], v[42:43]
	v_fmac_f64_e32 v[44:45], v[42:43], v[52:53]
	v_cndmask_b32_e64 v43, v45, 0, vcc
	v_cndmask_b32_e64 v42, v44, 0, vcc
	v_add_f64 v[44:45], v[6:7], v[42:43]
	v_add_f64 v[6:7], v[44:45], -v[6:7]
	v_add_f64 v[6:7], v[42:43], -v[6:7]
	v_fma_f64 v[42:43], v[44:45], v[12:13], v[44:45]
	v_fmac_f64_e32 v[6:7], v[44:45], v[12:13]
	v_mul_f64 v[42:43], v[42:43], -2.0
	v_add_f64 v[6:7], v[44:45], v[6:7]
	v_fmac_f64_e32 v[42:43], s[22:23], v[40:41]
	v_add_f64 v[6:7], v[6:7], v[6:7]
	v_cmp_gt_f64_e32 vcc, 0, v[8:9]
	v_cndmask_b32_e32 v7, v7, v43, vcc
	v_cndmask_b32_e32 v6, v6, v42, vcc
	v_cmp_neq_f64_e32 vcc, -1.0, v[8:9]
	v_cndmask_b32_e32 v6, v1, v6, vcc
	v_cndmask_b32_e32 v7, v17, v7, vcc
	v_cmp_neq_f64_e32 vcc, 1.0, v[8:9]
	v_cndmask_b32_e32 v7, 0, v7, vcc
	v_cndmask_b32_e32 v6, 0, v6, vcc
.LBB40_6:                               ;   in Loop: Header=BB40_4 Depth=1
	s_or_b64 exec, exec, s[0:1]
	v_fma_f64 v[12:13], |v[10:11]|, -0.5, 0.5
	v_mul_f64 v[8:9], v[10:11], v[10:11]
	v_cmp_ge_f64_e64 vcc, |v[10:11]|, 0.5
	v_cndmask_b32_e32 v9, v9, v13, vcc
	v_cndmask_b32_e32 v8, v8, v12, vcc
	v_fma_f64 v[42:43], s[18:19], v[8:9], v[18:19]
	v_fma_f64 v[42:43], v[8:9], v[42:43], v[20:21]
	;; [unrolled: 1-line block ×11, first 2 shown]
	v_mul_f64 v[42:43], v[8:9], v[42:43]
	v_fma_f64 v[8:9], v[10:11], v[42:43], v[10:11]
	v_fma_f64 v[8:9], s[20:21], v[40:41], -v[8:9]
	s_and_saveexec_b64 s[0:1], vcc
	s_cbranch_execz .LBB40_8
; %bb.7:                                ;   in Loop: Header=BB40_4 Depth=1
	v_rsq_f64_e32 v[8:9], v[12:13]
	v_cmp_eq_f64_e32 vcc, 0, v[12:13]
	v_mul_f64 v[44:45], v[12:13], v[8:9]
	v_mul_f64 v[8:9], v[8:9], 0.5
	v_fma_f64 v[46:47], -v[8:9], v[44:45], 0.5
	v_fmac_f64_e32 v[44:45], v[44:45], v[46:47]
	v_fmac_f64_e32 v[8:9], v[8:9], v[46:47]
	v_fma_f64 v[46:47], -v[44:45], v[44:45], v[12:13]
	v_fmac_f64_e32 v[44:45], v[46:47], v[8:9]
	v_cndmask_b32_e32 v9, v45, v13, vcc
	v_cndmask_b32_e32 v8, v44, v12, vcc
	v_add_f64 v[50:51], v[8:9], v[8:9]
	v_rcp_f64_e32 v[52:53], v[50:51]
	v_mul_f64 v[44:45], v[8:9], v[8:9]
	v_add_f64 v[48:49], v[12:13], -v[44:45]
	v_add_f64 v[12:13], v[12:13], -v[48:49]
	v_fma_f64 v[46:47], v[8:9], v[8:9], -v[44:45]
	v_add_f64 v[12:13], v[12:13], -v[44:45]
	v_fma_f64 v[44:45], -v[50:51], v[52:53], 1.0
	v_fmac_f64_e32 v[52:53], v[44:45], v[52:53]
	v_add_f64 v[12:13], v[12:13], -v[46:47]
	v_fma_f64 v[44:45], -v[50:51], v[52:53], 1.0
	v_add_f64 v[12:13], v[48:49], v[12:13]
	v_fmac_f64_e32 v[52:53], v[44:45], v[52:53]
	v_mul_f64 v[44:45], v[12:13], v[52:53]
	v_fma_f64 v[12:13], -v[50:51], v[44:45], v[12:13]
	v_fmac_f64_e32 v[44:45], v[12:13], v[52:53]
	v_cndmask_b32_e64 v13, v45, 0, vcc
	v_cndmask_b32_e64 v12, v44, 0, vcc
	v_add_f64 v[44:45], v[8:9], v[12:13]
	v_add_f64 v[8:9], v[44:45], -v[8:9]
	v_add_f64 v[8:9], v[12:13], -v[8:9]
	v_fma_f64 v[12:13], v[44:45], v[42:43], v[44:45]
	v_fmac_f64_e32 v[8:9], v[44:45], v[42:43]
	v_mul_f64 v[12:13], v[12:13], -2.0
	v_add_f64 v[8:9], v[44:45], v[8:9]
	v_fmac_f64_e32 v[12:13], s[22:23], v[40:41]
	v_add_f64 v[8:9], v[8:9], v[8:9]
	v_cmp_gt_f64_e32 vcc, 0, v[10:11]
	v_cndmask_b32_e32 v9, v9, v13, vcc
	v_cndmask_b32_e32 v8, v8, v12, vcc
	v_cmp_neq_f64_e32 vcc, -1.0, v[10:11]
	v_cndmask_b32_e32 v8, v1, v8, vcc
	v_cndmask_b32_e32 v9, v17, v9, vcc
	v_cmp_neq_f64_e32 vcc, 1.0, v[10:11]
	v_cndmask_b32_e32 v9, 0, v9, vcc
	v_cndmask_b32_e32 v8, 0, v8, vcc
.LBB40_8:                               ;   in Loop: Header=BB40_4 Depth=1
	s_or_b64 exec, exec, s[0:1]
	s_waitcnt vmcnt(0)
	v_fma_f64 v[42:43], |v[2:3]|, -0.5, 0.5
	v_mul_f64 v[10:11], v[2:3], v[2:3]
	v_cmp_ge_f64_e64 vcc, |v[2:3]|, 0.5
	v_cndmask_b32_e32 v11, v11, v43, vcc
	v_cndmask_b32_e32 v10, v10, v42, vcc
	v_pk_mov_b32 v[12:13], v[18:19], v[18:19] op_sel:[0,1]
	v_fmac_f64_e32 v[12:13], s[18:19], v[10:11]
	v_pk_mov_b32 v[44:45], v[20:21], v[20:21] op_sel:[0,1]
	v_fmac_f64_e32 v[44:45], v[10:11], v[12:13]
	;; [unrolled: 2-line block ×11, first 2 shown]
	v_mul_f64 v[12:13], v[10:11], v[12:13]
	v_fma_f64 v[10:11], v[2:3], v[12:13], v[2:3]
	v_fma_f64 v[10:11], s[20:21], v[40:41], -v[10:11]
	s_and_saveexec_b64 s[0:1], vcc
	s_cbranch_execz .LBB40_10
; %bb.9:                                ;   in Loop: Header=BB40_4 Depth=1
	v_rsq_f64_e32 v[10:11], v[42:43]
	v_cmp_eq_f64_e32 vcc, 0, v[42:43]
	v_mul_f64 v[44:45], v[42:43], v[10:11]
	v_mul_f64 v[10:11], v[10:11], 0.5
	v_fma_f64 v[46:47], -v[10:11], v[44:45], 0.5
	v_fmac_f64_e32 v[44:45], v[44:45], v[46:47]
	v_fmac_f64_e32 v[10:11], v[10:11], v[46:47]
	v_fma_f64 v[46:47], -v[44:45], v[44:45], v[42:43]
	v_fmac_f64_e32 v[44:45], v[46:47], v[10:11]
	v_cndmask_b32_e32 v11, v45, v43, vcc
	v_cndmask_b32_e32 v10, v44, v42, vcc
	v_add_f64 v[50:51], v[10:11], v[10:11]
	v_rcp_f64_e32 v[52:53], v[50:51]
	v_mul_f64 v[44:45], v[10:11], v[10:11]
	v_add_f64 v[48:49], v[42:43], -v[44:45]
	v_add_f64 v[42:43], v[42:43], -v[48:49]
	v_fma_f64 v[46:47], v[10:11], v[10:11], -v[44:45]
	v_add_f64 v[42:43], v[42:43], -v[44:45]
	v_fma_f64 v[44:45], -v[50:51], v[52:53], 1.0
	v_fmac_f64_e32 v[52:53], v[44:45], v[52:53]
	v_add_f64 v[42:43], v[42:43], -v[46:47]
	v_fma_f64 v[44:45], -v[50:51], v[52:53], 1.0
	v_add_f64 v[42:43], v[48:49], v[42:43]
	v_fmac_f64_e32 v[52:53], v[44:45], v[52:53]
	v_mul_f64 v[44:45], v[42:43], v[52:53]
	v_fma_f64 v[42:43], -v[50:51], v[44:45], v[42:43]
	v_fmac_f64_e32 v[44:45], v[42:43], v[52:53]
	v_cndmask_b32_e64 v43, v45, 0, vcc
	v_cndmask_b32_e64 v42, v44, 0, vcc
	v_add_f64 v[44:45], v[10:11], v[42:43]
	v_add_f64 v[10:11], v[44:45], -v[10:11]
	v_add_f64 v[10:11], v[42:43], -v[10:11]
	v_fma_f64 v[42:43], v[44:45], v[12:13], v[44:45]
	v_fmac_f64_e32 v[10:11], v[44:45], v[12:13]
	v_mul_f64 v[42:43], v[42:43], -2.0
	v_add_f64 v[10:11], v[44:45], v[10:11]
	v_fmac_f64_e32 v[42:43], s[22:23], v[40:41]
	v_add_f64 v[10:11], v[10:11], v[10:11]
	v_cmp_gt_f64_e32 vcc, 0, v[2:3]
	v_cndmask_b32_e32 v11, v11, v43, vcc
	v_cndmask_b32_e32 v10, v10, v42, vcc
	v_cmp_neq_f64_e32 vcc, -1.0, v[2:3]
	v_cndmask_b32_e32 v10, v1, v10, vcc
	v_cndmask_b32_e32 v11, v17, v11, vcc
	v_cmp_neq_f64_e32 vcc, 1.0, v[2:3]
	v_cndmask_b32_e32 v11, 0, v11, vcc
	v_cndmask_b32_e32 v10, 0, v10, vcc
.LBB40_10:                              ;   in Loop: Header=BB40_4 Depth=1
	s_or_b64 exec, exec, s[0:1]
	v_fma_f64 v[2:3], |v[4:5]|, -0.5, 0.5
	v_mul_f64 v[12:13], v[4:5], v[4:5]
	v_cmp_ge_f64_e64 vcc, |v[4:5]|, 0.5
	v_cndmask_b32_e32 v13, v13, v3, vcc
	v_cndmask_b32_e32 v12, v12, v2, vcc
	v_pk_mov_b32 v[42:43], v[18:19], v[18:19] op_sel:[0,1]
	v_fmac_f64_e32 v[42:43], s[18:19], v[12:13]
	v_pk_mov_b32 v[44:45], v[20:21], v[20:21] op_sel:[0,1]
	v_fmac_f64_e32 v[44:45], v[12:13], v[42:43]
	;; [unrolled: 2-line block ×11, first 2 shown]
	v_mul_f64 v[42:43], v[12:13], v[42:43]
	v_fma_f64 v[12:13], v[4:5], v[42:43], v[4:5]
	v_fma_f64 v[12:13], s[20:21], v[40:41], -v[12:13]
	s_and_saveexec_b64 s[0:1], vcc
	s_cbranch_execz .LBB40_3
; %bb.11:                               ;   in Loop: Header=BB40_4 Depth=1
	v_rsq_f64_e32 v[12:13], v[2:3]
	v_cmp_eq_f64_e32 vcc, 0, v[2:3]
	v_mul_f64 v[44:45], v[2:3], v[12:13]
	v_mul_f64 v[12:13], v[12:13], 0.5
	v_fma_f64 v[46:47], -v[12:13], v[44:45], 0.5
	v_fmac_f64_e32 v[44:45], v[44:45], v[46:47]
	v_fmac_f64_e32 v[12:13], v[12:13], v[46:47]
	v_fma_f64 v[46:47], -v[44:45], v[44:45], v[2:3]
	v_fmac_f64_e32 v[44:45], v[46:47], v[12:13]
	v_cndmask_b32_e32 v13, v45, v3, vcc
	v_cndmask_b32_e32 v12, v44, v2, vcc
	v_add_f64 v[50:51], v[12:13], v[12:13]
	v_rcp_f64_e32 v[52:53], v[50:51]
	v_mul_f64 v[44:45], v[12:13], v[12:13]
	v_add_f64 v[48:49], v[2:3], -v[44:45]
	v_add_f64 v[2:3], v[2:3], -v[48:49]
	v_fma_f64 v[46:47], v[12:13], v[12:13], -v[44:45]
	v_add_f64 v[2:3], v[2:3], -v[44:45]
	v_fma_f64 v[44:45], -v[50:51], v[52:53], 1.0
	v_fmac_f64_e32 v[52:53], v[44:45], v[52:53]
	v_add_f64 v[2:3], v[2:3], -v[46:47]
	v_fma_f64 v[44:45], -v[50:51], v[52:53], 1.0
	v_add_f64 v[2:3], v[48:49], v[2:3]
	v_fmac_f64_e32 v[52:53], v[44:45], v[52:53]
	v_mul_f64 v[44:45], v[2:3], v[52:53]
	v_fma_f64 v[2:3], -v[50:51], v[44:45], v[2:3]
	v_fmac_f64_e32 v[44:45], v[2:3], v[52:53]
	v_cndmask_b32_e64 v3, v45, 0, vcc
	v_cndmask_b32_e64 v2, v44, 0, vcc
	v_add_f64 v[44:45], v[12:13], v[2:3]
	v_add_f64 v[12:13], v[44:45], -v[12:13]
	v_add_f64 v[2:3], v[2:3], -v[12:13]
	v_fma_f64 v[12:13], v[44:45], v[42:43], v[44:45]
	v_fmac_f64_e32 v[2:3], v[44:45], v[42:43]
	v_mul_f64 v[12:13], v[12:13], -2.0
	v_add_f64 v[2:3], v[44:45], v[2:3]
	v_fmac_f64_e32 v[12:13], s[22:23], v[40:41]
	v_add_f64 v[2:3], v[2:3], v[2:3]
	v_cmp_gt_f64_e32 vcc, 0, v[4:5]
	v_cndmask_b32_e32 v3, v3, v13, vcc
	v_cndmask_b32_e32 v2, v2, v12, vcc
	v_cmp_neq_f64_e32 vcc, -1.0, v[4:5]
	v_cndmask_b32_e32 v2, v1, v2, vcc
	v_cndmask_b32_e32 v3, v17, v3, vcc
	v_cmp_neq_f64_e32 vcc, 1.0, v[4:5]
	v_cndmask_b32_e32 v13, 0, v3, vcc
	v_cndmask_b32_e32 v12, 0, v2, vcc
	s_branch .LBB40_3
.LBB40_12:
	s_or_b64 exec, exec, s[14:15]
	s_mov_b64 s[0:1], 0
.LBB40_13:
	s_andn2_b64 vcc, exec, s[0:1]
	s_cbranch_vccnz .LBB40_41
; %bb.14:
	v_cmp_lt_i64_e64 s[0:1], s[10:11], 1
	s_and_b64 vcc, exec, s[0:1]
	s_cbranch_vccnz .LBB40_41
; %bb.15:
	s_load_dword s0, s[4:5], 0xc5c
	v_mov_b32_e32 v2, 0x10000
	v_mov_b32_e32 v3, 0
	v_cmp_lt_u64_e32 vcc, s[10:11], v[2:3]
	v_lshlrev_b32_e32 v38, 3, v0
	s_waitcnt lgkmcnt(0)
	s_and_b32 s4, s0, 0xffff
	v_mov_b32_e32 v39, 0
	s_and_b64 s[0:1], vcc, exec
	v_mov_b32_e32 v11, s7
	v_add_co_u32_e32 v2, vcc, s6, v38
	v_addc_co_u32_e32 v1, vcc, 0, v11, vcc
	v_mad_u64_u32 v[6:7], s[0:1], s4, 24, v[38:39]
	v_add_co_u32_e32 v4, vcc, s6, v6
	v_addc_co_u32_e32 v3, vcc, v11, v7, vcc
	v_mov_b32_e32 v42, s3
	v_add_co_u32_e32 v6, vcc, s2, v6
	s_mul_i32 s14, s4, 3
	v_addc_co_u32_e32 v5, vcc, v42, v7, vcc
	v_add_co_u32_e32 v41, vcc, s14, v0
	v_addc_co_u32_e64 v56, s[0:1], 0, 0, vcc
	s_cselect_b32 s13, s11, 0
	s_cselect_b32 s12, s10, 0x10000
	s_lshl_b32 s0, s4, 4
	v_add_co_u32_e32 v9, vcc, s0, v38
	v_addc_co_u32_e64 v12, s[0:1], 0, 0, vcc
	v_add_co_u32_e32 v8, vcc, s6, v9
	v_addc_co_u32_e32 v7, vcc, v11, v12, vcc
	v_add_co_u32_e32 v10, vcc, s2, v9
	s_lshl_b32 s5, s4, 1
	v_addc_co_u32_e32 v9, vcc, v42, v12, vcc
	v_add_co_u32_e32 v57, vcc, s5, v0
	v_addc_co_u32_e64 v58, s[0:1], 0, 0, vcc
	v_add_co_u32_e32 v59, vcc, s4, v0
	v_lshlrev_b32_e32 v39, 3, v59
	v_addc_co_u32_e64 v60, s[0:1], 0, 0, vcc
	v_add_co_u32_e32 v12, vcc, s6, v39
	v_addc_co_u32_e32 v11, vcc, 0, v11, vcc
	v_add_co_u32_e32 v38, vcc, s2, v38
	v_addc_co_u32_e32 v13, vcc, 0, v42, vcc
	s_mov_b32 s16, 0x9fea6a70
	s_mov_b32 s18, 0x336a0500
	v_add_co_u32_e32 v40, vcc, s2, v39
	s_mov_b32 s24, 0
	s_lshl_b32 s25, s4, 2
	s_lshl_b32 s26, s4, 5
	s_mov_b64 s[14:15], 0
	s_mov_b32 s17, 0x3fa05985
	s_mov_b32 s19, 0x3fedd9ad
	;; [unrolled: 1-line block ×3, first 2 shown]
	v_mov_b32_e32 v14, 0x78a05eaf
	v_mov_b32_e32 v15, 0xbf90a5a3
	;; [unrolled: 1-line block ×24, first 2 shown]
	v_addc_co_u32_e32 v39, vcc, 0, v42, vcc
	v_mov_b32_e32 v61, 0x54442d18
	v_mov_b32_e32 v62, 0x400921fb
	s_branch .LBB40_17
.LBB40_16:                              ;   in Loop: Header=BB40_17 Depth=1
	s_or_b64 exec, exec, s[0:1]
	s_add_u32 s14, s14, s25
	s_addc_u32 s15, s15, 0
	v_pk_mov_b32 v[42:43], s[10:11], s[10:11] op_sel:[0,1]
	v_cmp_ge_i64_e32 vcc, s[14:15], v[42:43]
	v_mov_b32_e32 v42, 0xffff
	v_mov_b32_e32 v43, 0
	v_cmp_gt_u64_e64 s[0:1], s[14:15], v[42:43]
	s_or_b64 s[0:1], vcc, s[0:1]
	v_mov_b32_e32 v42, s24
	v_add_co_u32_e32 v2, vcc, s26, v2
	v_addc_co_u32_e32 v1, vcc, v1, v42, vcc
	v_add_co_u32_e32 v38, vcc, s26, v38
	v_addc_co_u32_e32 v13, vcc, v13, v42, vcc
	;; [unrolled: 2-line block ×8, first 2 shown]
	s_and_b64 vcc, exec, s[0:1]
	s_cbranch_vccnz .LBB40_41
.LBB40_17:                              ; =>This Inner Loop Header: Depth=1
	v_mov_b32_e32 v43, s15
	v_add_co_u32_e32 v42, vcc, s14, v0
	v_addc_co_u32_e32 v43, vcc, 0, v43, vcc
	v_pk_mov_b32 v[48:49], 0, 0
	v_cmp_gt_u64_e32 vcc, s[12:13], v[42:43]
	v_pk_mov_b32 v[50:51], v[48:49], v[48:49] op_sel:[0,1]
	s_and_saveexec_b64 s[2:3], vcc
	s_cbranch_execz .LBB40_19
; %bb.18:                               ;   in Loop: Header=BB40_17 Depth=1
	v_mov_b32_e32 v43, s9
	v_add_co_u32_e64 v42, s[0:1], s8, v2
	v_addc_co_u32_e64 v43, s[0:1], v1, v43, s[0:1]
	global_load_dwordx2 v[50:51], v[42:43], off
.LBB40_19:                              ;   in Loop: Header=BB40_17 Depth=1
	s_or_b64 exec, exec, s[2:3]
	v_mov_b32_e32 v43, s15
	v_add_co_u32_e64 v42, s[0:1], s14, v59
	v_addc_co_u32_e64 v43, s[0:1], v60, v43, s[0:1]
	v_cmp_gt_u64_e64 s[0:1], s[12:13], v[42:43]
	s_and_saveexec_b64 s[4:5], s[0:1]
	s_cbranch_execz .LBB40_21
; %bb.20:                               ;   in Loop: Header=BB40_17 Depth=1
	v_mov_b32_e32 v43, s9
	v_add_co_u32_e64 v42, s[2:3], s8, v12
	v_addc_co_u32_e64 v43, s[2:3], v11, v43, s[2:3]
	global_load_dwordx2 v[48:49], v[42:43], off
.LBB40_21:                              ;   in Loop: Header=BB40_17 Depth=1
	s_or_b64 exec, exec, s[4:5]
	v_mov_b32_e32 v43, s15
	v_add_co_u32_e64 v42, s[2:3], s14, v57
	v_addc_co_u32_e64 v43, s[2:3], v58, v43, s[2:3]
	v_cmp_gt_u64_e64 s[2:3], s[12:13], v[42:43]
	v_pk_mov_b32 v[42:43], 0, 0
	v_pk_mov_b32 v[44:45], v[42:43], v[42:43] op_sel:[0,1]
	s_and_saveexec_b64 s[6:7], s[2:3]
	s_cbranch_execz .LBB40_23
; %bb.22:                               ;   in Loop: Header=BB40_17 Depth=1
	v_mov_b32_e32 v45, s9
	v_add_co_u32_e64 v44, s[4:5], s8, v8
	v_addc_co_u32_e64 v45, s[4:5], v7, v45, s[4:5]
	global_load_dwordx2 v[44:45], v[44:45], off
.LBB40_23:                              ;   in Loop: Header=BB40_17 Depth=1
	s_or_b64 exec, exec, s[6:7]
	v_mov_b32_e32 v47, s15
	v_add_co_u32_e64 v46, s[4:5], s14, v41
	v_addc_co_u32_e64 v47, s[4:5], v56, v47, s[4:5]
	v_cmp_gt_u64_e64 s[4:5], s[12:13], v[46:47]
	s_and_saveexec_b64 s[22:23], s[4:5]
	s_cbranch_execz .LBB40_25
; %bb.24:                               ;   in Loop: Header=BB40_17 Depth=1
	v_mov_b32_e32 v43, s9
	v_add_co_u32_e64 v42, s[6:7], s8, v4
	v_addc_co_u32_e64 v43, s[6:7], v3, v43, s[6:7]
	global_load_dwordx2 v[42:43], v[42:43], off
.LBB40_25:                              ;   in Loop: Header=BB40_17 Depth=1
	s_or_b64 exec, exec, s[22:23]
	s_waitcnt vmcnt(0)
	v_fma_f64 v[52:53], |v[50:51]|, -0.5, 0.5
	v_mul_f64 v[46:47], v[50:51], v[50:51]
	v_cmp_ge_f64_e64 s[6:7], |v[50:51]|, 0.5
	v_cndmask_b32_e64 v47, v47, v53, s[6:7]
	v_cndmask_b32_e64 v46, v46, v52, s[6:7]
	v_fma_f64 v[54:55], s[16:17], v[46:47], v[14:15]
	v_fma_f64 v[54:55], v[46:47], v[54:55], v[16:17]
	;; [unrolled: 1-line block ×11, first 2 shown]
	v_mul_f64 v[54:55], v[46:47], v[54:55]
	v_fma_f64 v[46:47], v[50:51], v[54:55], v[50:51]
	v_fma_f64 v[46:47], s[18:19], v[36:37], -v[46:47]
	s_and_saveexec_b64 s[22:23], s[6:7]
	s_cbranch_execz .LBB40_27
; %bb.26:                               ;   in Loop: Header=BB40_17 Depth=1
	v_rsq_f64_e32 v[46:47], v[52:53]
	v_cmp_eq_f64_e64 s[6:7], 0, v[52:53]
	s_mov_b32 s20, s18
	v_mul_f64 v[64:65], v[52:53], v[46:47]
	v_mul_f64 v[46:47], v[46:47], 0.5
	v_fma_f64 v[66:67], -v[46:47], v[64:65], 0.5
	v_fmac_f64_e32 v[64:65], v[64:65], v[66:67]
	v_fmac_f64_e32 v[46:47], v[46:47], v[66:67]
	v_fma_f64 v[66:67], -v[64:65], v[64:65], v[52:53]
	v_fmac_f64_e32 v[64:65], v[66:67], v[46:47]
	v_cndmask_b32_e64 v47, v65, v53, s[6:7]
	v_cndmask_b32_e64 v46, v64, v52, s[6:7]
	v_mul_f64 v[64:65], v[46:47], v[46:47]
	v_add_f64 v[68:69], v[52:53], -v[64:65]
	v_add_f64 v[52:53], v[52:53], -v[68:69]
	v_fma_f64 v[66:67], v[46:47], v[46:47], -v[64:65]
	v_add_f64 v[52:53], v[52:53], -v[64:65]
	v_add_f64 v[64:65], v[46:47], v[46:47]
	v_add_f64 v[52:53], v[52:53], -v[66:67]
	v_rcp_f64_e32 v[66:67], v[64:65]
	v_add_f64 v[52:53], v[68:69], v[52:53]
	v_fma_f64 v[68:69], -v[64:65], v[66:67], 1.0
	v_fmac_f64_e32 v[66:67], v[68:69], v[66:67]
	v_fma_f64 v[68:69], -v[64:65], v[66:67], 1.0
	v_fmac_f64_e32 v[66:67], v[68:69], v[66:67]
	v_mul_f64 v[68:69], v[52:53], v[66:67]
	v_fma_f64 v[52:53], -v[64:65], v[68:69], v[52:53]
	v_fmac_f64_e32 v[68:69], v[52:53], v[66:67]
	v_cndmask_b32_e64 v53, v69, 0, s[6:7]
	v_cndmask_b32_e64 v52, v68, 0, s[6:7]
	v_add_f64 v[64:65], v[46:47], v[52:53]
	v_add_f64 v[46:47], v[64:65], -v[46:47]
	v_add_f64 v[46:47], v[52:53], -v[46:47]
	v_fma_f64 v[52:53], v[64:65], v[54:55], v[64:65]
	v_fmac_f64_e32 v[46:47], v[64:65], v[54:55]
	v_mul_f64 v[52:53], v[52:53], -2.0
	v_add_f64 v[46:47], v[64:65], v[46:47]
	v_fmac_f64_e32 v[52:53], s[20:21], v[36:37]
	v_add_f64 v[46:47], v[46:47], v[46:47]
	v_cmp_gt_f64_e64 s[6:7], 0, v[50:51]
	v_cndmask_b32_e64 v47, v47, v53, s[6:7]
	v_cndmask_b32_e64 v46, v46, v52, s[6:7]
	v_cmp_neq_f64_e64 s[6:7], -1.0, v[50:51]
	v_cndmask_b32_e64 v46, v61, v46, s[6:7]
	v_cndmask_b32_e64 v47, v62, v47, s[6:7]
	v_cmp_neq_f64_e64 s[6:7], 1.0, v[50:51]
	v_cndmask_b32_e64 v47, 0, v47, s[6:7]
	v_cndmask_b32_e64 v46, 0, v46, s[6:7]
.LBB40_27:                              ;   in Loop: Header=BB40_17 Depth=1
	s_or_b64 exec, exec, s[22:23]
	v_fma_f64 v[54:55], |v[48:49]|, -0.5, 0.5
	v_mul_f64 v[50:51], v[48:49], v[48:49]
	v_cmp_ge_f64_e64 s[6:7], |v[48:49]|, 0.5
	v_cndmask_b32_e64 v51, v51, v55, s[6:7]
	v_cndmask_b32_e64 v50, v50, v54, s[6:7]
	v_pk_mov_b32 v[52:53], v[14:15], v[14:15] op_sel:[0,1]
	v_fmac_f64_e32 v[52:53], s[16:17], v[50:51]
	v_pk_mov_b32 v[64:65], v[16:17], v[16:17] op_sel:[0,1]
	v_fmac_f64_e32 v[64:65], v[50:51], v[52:53]
	v_pk_mov_b32 v[52:53], v[18:19], v[18:19] op_sel:[0,1]
	v_fmac_f64_e32 v[52:53], v[50:51], v[64:65]
	v_pk_mov_b32 v[64:65], v[20:21], v[20:21] op_sel:[0,1]
	v_fmac_f64_e32 v[64:65], v[50:51], v[52:53]
	v_pk_mov_b32 v[52:53], v[22:23], v[22:23] op_sel:[0,1]
	v_fmac_f64_e32 v[52:53], v[50:51], v[64:65]
	v_pk_mov_b32 v[64:65], v[24:25], v[24:25] op_sel:[0,1]
	v_fmac_f64_e32 v[64:65], v[50:51], v[52:53]
	v_pk_mov_b32 v[52:53], v[26:27], v[26:27] op_sel:[0,1]
	v_fmac_f64_e32 v[52:53], v[50:51], v[64:65]
	v_pk_mov_b32 v[64:65], v[28:29], v[28:29] op_sel:[0,1]
	v_fmac_f64_e32 v[64:65], v[50:51], v[52:53]
	v_pk_mov_b32 v[52:53], v[30:31], v[30:31] op_sel:[0,1]
	v_fmac_f64_e32 v[52:53], v[50:51], v[64:65]
	v_pk_mov_b32 v[64:65], v[32:33], v[32:33] op_sel:[0,1]
	v_fmac_f64_e32 v[64:65], v[50:51], v[52:53]
	v_pk_mov_b32 v[52:53], v[34:35], v[34:35] op_sel:[0,1]
	v_fmac_f64_e32 v[52:53], v[50:51], v[64:65]
	v_mul_f64 v[52:53], v[50:51], v[52:53]
	v_fma_f64 v[50:51], v[48:49], v[52:53], v[48:49]
	v_fma_f64 v[50:51], s[18:19], v[36:37], -v[50:51]
	s_and_saveexec_b64 s[22:23], s[6:7]
	s_cbranch_execz .LBB40_29
; %bb.28:                               ;   in Loop: Header=BB40_17 Depth=1
	v_rsq_f64_e32 v[50:51], v[54:55]
	v_cmp_eq_f64_e64 s[6:7], 0, v[54:55]
	s_mov_b32 s20, s18
	v_mul_f64 v[64:65], v[54:55], v[50:51]
	v_mul_f64 v[50:51], v[50:51], 0.5
	v_fma_f64 v[66:67], -v[50:51], v[64:65], 0.5
	v_fmac_f64_e32 v[64:65], v[64:65], v[66:67]
	v_fmac_f64_e32 v[50:51], v[50:51], v[66:67]
	v_fma_f64 v[66:67], -v[64:65], v[64:65], v[54:55]
	v_fmac_f64_e32 v[64:65], v[66:67], v[50:51]
	v_cndmask_b32_e64 v51, v65, v55, s[6:7]
	v_cndmask_b32_e64 v50, v64, v54, s[6:7]
	v_mul_f64 v[64:65], v[50:51], v[50:51]
	v_add_f64 v[68:69], v[54:55], -v[64:65]
	v_add_f64 v[54:55], v[54:55], -v[68:69]
	v_fma_f64 v[66:67], v[50:51], v[50:51], -v[64:65]
	v_add_f64 v[54:55], v[54:55], -v[64:65]
	v_add_f64 v[64:65], v[50:51], v[50:51]
	v_add_f64 v[54:55], v[54:55], -v[66:67]
	v_rcp_f64_e32 v[66:67], v[64:65]
	v_add_f64 v[54:55], v[68:69], v[54:55]
	v_fma_f64 v[68:69], -v[64:65], v[66:67], 1.0
	v_fmac_f64_e32 v[66:67], v[68:69], v[66:67]
	v_fma_f64 v[68:69], -v[64:65], v[66:67], 1.0
	v_fmac_f64_e32 v[66:67], v[68:69], v[66:67]
	v_mul_f64 v[68:69], v[54:55], v[66:67]
	v_fma_f64 v[54:55], -v[64:65], v[68:69], v[54:55]
	v_fmac_f64_e32 v[68:69], v[54:55], v[66:67]
	v_cndmask_b32_e64 v55, v69, 0, s[6:7]
	v_cndmask_b32_e64 v54, v68, 0, s[6:7]
	v_add_f64 v[64:65], v[50:51], v[54:55]
	v_add_f64 v[50:51], v[64:65], -v[50:51]
	v_add_f64 v[50:51], v[54:55], -v[50:51]
	v_fma_f64 v[54:55], v[64:65], v[52:53], v[64:65]
	v_fmac_f64_e32 v[50:51], v[64:65], v[52:53]
	v_mul_f64 v[54:55], v[54:55], -2.0
	v_add_f64 v[50:51], v[64:65], v[50:51]
	v_fmac_f64_e32 v[54:55], s[20:21], v[36:37]
	v_add_f64 v[50:51], v[50:51], v[50:51]
	v_cmp_gt_f64_e64 s[6:7], 0, v[48:49]
	v_cndmask_b32_e64 v51, v51, v55, s[6:7]
	v_cndmask_b32_e64 v50, v50, v54, s[6:7]
	v_cmp_neq_f64_e64 s[6:7], -1.0, v[48:49]
	v_cndmask_b32_e64 v50, v61, v50, s[6:7]
	v_cndmask_b32_e64 v51, v62, v51, s[6:7]
	v_cmp_neq_f64_e64 s[6:7], 1.0, v[48:49]
	v_cndmask_b32_e64 v51, 0, v51, s[6:7]
	v_cndmask_b32_e64 v50, 0, v50, s[6:7]
.LBB40_29:                              ;   in Loop: Header=BB40_17 Depth=1
	s_or_b64 exec, exec, s[22:23]
	v_fma_f64 v[52:53], |v[44:45]|, -0.5, 0.5
	v_mul_f64 v[48:49], v[44:45], v[44:45]
	v_cmp_ge_f64_e64 s[6:7], |v[44:45]|, 0.5
	v_cndmask_b32_e64 v49, v49, v53, s[6:7]
	v_cndmask_b32_e64 v48, v48, v52, s[6:7]
	v_fma_f64 v[54:55], s[16:17], v[48:49], v[14:15]
	v_fma_f64 v[54:55], v[48:49], v[54:55], v[16:17]
	;; [unrolled: 1-line block ×11, first 2 shown]
	v_mul_f64 v[54:55], v[48:49], v[54:55]
	v_fma_f64 v[48:49], v[44:45], v[54:55], v[44:45]
	v_fma_f64 v[48:49], s[18:19], v[36:37], -v[48:49]
	s_and_saveexec_b64 s[22:23], s[6:7]
	s_cbranch_execz .LBB40_31
; %bb.30:                               ;   in Loop: Header=BB40_17 Depth=1
	v_rsq_f64_e32 v[48:49], v[52:53]
	v_cmp_eq_f64_e64 s[6:7], 0, v[52:53]
	s_mov_b32 s20, s18
	v_mul_f64 v[64:65], v[52:53], v[48:49]
	v_mul_f64 v[48:49], v[48:49], 0.5
	v_fma_f64 v[66:67], -v[48:49], v[64:65], 0.5
	v_fmac_f64_e32 v[64:65], v[64:65], v[66:67]
	v_fmac_f64_e32 v[48:49], v[48:49], v[66:67]
	v_fma_f64 v[66:67], -v[64:65], v[64:65], v[52:53]
	v_fmac_f64_e32 v[64:65], v[66:67], v[48:49]
	v_cndmask_b32_e64 v49, v65, v53, s[6:7]
	v_cndmask_b32_e64 v48, v64, v52, s[6:7]
	v_mul_f64 v[64:65], v[48:49], v[48:49]
	v_add_f64 v[68:69], v[52:53], -v[64:65]
	v_add_f64 v[52:53], v[52:53], -v[68:69]
	v_fma_f64 v[66:67], v[48:49], v[48:49], -v[64:65]
	v_add_f64 v[52:53], v[52:53], -v[64:65]
	v_add_f64 v[64:65], v[48:49], v[48:49]
	v_add_f64 v[52:53], v[52:53], -v[66:67]
	v_rcp_f64_e32 v[66:67], v[64:65]
	v_add_f64 v[52:53], v[68:69], v[52:53]
	v_fma_f64 v[68:69], -v[64:65], v[66:67], 1.0
	v_fmac_f64_e32 v[66:67], v[68:69], v[66:67]
	v_fma_f64 v[68:69], -v[64:65], v[66:67], 1.0
	v_fmac_f64_e32 v[66:67], v[68:69], v[66:67]
	v_mul_f64 v[68:69], v[52:53], v[66:67]
	v_fma_f64 v[52:53], -v[64:65], v[68:69], v[52:53]
	v_fmac_f64_e32 v[68:69], v[52:53], v[66:67]
	v_cndmask_b32_e64 v53, v69, 0, s[6:7]
	v_cndmask_b32_e64 v52, v68, 0, s[6:7]
	v_add_f64 v[64:65], v[48:49], v[52:53]
	v_add_f64 v[48:49], v[64:65], -v[48:49]
	v_add_f64 v[48:49], v[52:53], -v[48:49]
	v_fma_f64 v[52:53], v[64:65], v[54:55], v[64:65]
	v_fmac_f64_e32 v[48:49], v[64:65], v[54:55]
	v_mul_f64 v[52:53], v[52:53], -2.0
	v_add_f64 v[48:49], v[64:65], v[48:49]
	v_fmac_f64_e32 v[52:53], s[20:21], v[36:37]
	v_add_f64 v[48:49], v[48:49], v[48:49]
	v_cmp_gt_f64_e64 s[6:7], 0, v[44:45]
	v_cndmask_b32_e64 v49, v49, v53, s[6:7]
	v_cndmask_b32_e64 v48, v48, v52, s[6:7]
	v_cmp_neq_f64_e64 s[6:7], -1.0, v[44:45]
	v_cndmask_b32_e64 v48, v61, v48, s[6:7]
	v_cndmask_b32_e64 v49, v62, v49, s[6:7]
	v_cmp_neq_f64_e64 s[6:7], 1.0, v[44:45]
	v_cndmask_b32_e64 v49, 0, v49, s[6:7]
	v_cndmask_b32_e64 v48, 0, v48, s[6:7]
.LBB40_31:                              ;   in Loop: Header=BB40_17 Depth=1
	s_or_b64 exec, exec, s[22:23]
	v_fma_f64 v[54:55], |v[42:43]|, -0.5, 0.5
	v_mul_f64 v[44:45], v[42:43], v[42:43]
	v_cmp_ge_f64_e64 s[6:7], |v[42:43]|, 0.5
	v_cndmask_b32_e64 v45, v45, v55, s[6:7]
	v_cndmask_b32_e64 v44, v44, v54, s[6:7]
	v_pk_mov_b32 v[52:53], v[14:15], v[14:15] op_sel:[0,1]
	v_fmac_f64_e32 v[52:53], s[16:17], v[44:45]
	v_pk_mov_b32 v[64:65], v[16:17], v[16:17] op_sel:[0,1]
	v_fmac_f64_e32 v[64:65], v[44:45], v[52:53]
	v_pk_mov_b32 v[52:53], v[18:19], v[18:19] op_sel:[0,1]
	v_fmac_f64_e32 v[52:53], v[44:45], v[64:65]
	v_pk_mov_b32 v[64:65], v[20:21], v[20:21] op_sel:[0,1]
	v_fmac_f64_e32 v[64:65], v[44:45], v[52:53]
	v_pk_mov_b32 v[52:53], v[22:23], v[22:23] op_sel:[0,1]
	v_fmac_f64_e32 v[52:53], v[44:45], v[64:65]
	v_pk_mov_b32 v[64:65], v[24:25], v[24:25] op_sel:[0,1]
	v_fmac_f64_e32 v[64:65], v[44:45], v[52:53]
	v_pk_mov_b32 v[52:53], v[26:27], v[26:27] op_sel:[0,1]
	v_fmac_f64_e32 v[52:53], v[44:45], v[64:65]
	v_pk_mov_b32 v[64:65], v[28:29], v[28:29] op_sel:[0,1]
	v_fmac_f64_e32 v[64:65], v[44:45], v[52:53]
	v_pk_mov_b32 v[52:53], v[30:31], v[30:31] op_sel:[0,1]
	v_fmac_f64_e32 v[52:53], v[44:45], v[64:65]
	v_pk_mov_b32 v[64:65], v[32:33], v[32:33] op_sel:[0,1]
	v_fmac_f64_e32 v[64:65], v[44:45], v[52:53]
	v_pk_mov_b32 v[52:53], v[34:35], v[34:35] op_sel:[0,1]
	v_fmac_f64_e32 v[52:53], v[44:45], v[64:65]
	v_mul_f64 v[52:53], v[44:45], v[52:53]
	v_fma_f64 v[44:45], v[42:43], v[52:53], v[42:43]
	v_fma_f64 v[44:45], s[18:19], v[36:37], -v[44:45]
	s_and_saveexec_b64 s[22:23], s[6:7]
	s_cbranch_execnz .LBB40_36
; %bb.32:                               ;   in Loop: Header=BB40_17 Depth=1
	s_or_b64 exec, exec, s[22:23]
	s_and_saveexec_b64 s[6:7], vcc
	s_xor_b64 s[6:7], exec, s[6:7]
	s_cbranch_execnz .LBB40_37
.LBB40_33:                              ;   in Loop: Header=BB40_17 Depth=1
	s_or_b64 exec, exec, s[6:7]
	s_and_saveexec_b64 s[6:7], s[0:1]
	s_cbranch_execnz .LBB40_38
.LBB40_34:                              ;   in Loop: Header=BB40_17 Depth=1
	s_or_b64 exec, exec, s[6:7]
	s_and_saveexec_b64 s[0:1], s[2:3]
	s_cbranch_execnz .LBB40_39
.LBB40_35:                              ;   in Loop: Header=BB40_17 Depth=1
	s_or_b64 exec, exec, s[0:1]
	s_and_saveexec_b64 s[0:1], s[4:5]
	s_cbranch_execz .LBB40_16
	s_branch .LBB40_40
.LBB40_36:                              ;   in Loop: Header=BB40_17 Depth=1
	v_rsq_f64_e32 v[44:45], v[54:55]
	v_cmp_eq_f64_e64 s[6:7], 0, v[54:55]
	s_mov_b32 s20, s18
	v_mul_f64 v[64:65], v[54:55], v[44:45]
	v_mul_f64 v[44:45], v[44:45], 0.5
	v_fma_f64 v[66:67], -v[44:45], v[64:65], 0.5
	v_fmac_f64_e32 v[64:65], v[64:65], v[66:67]
	v_fmac_f64_e32 v[44:45], v[44:45], v[66:67]
	v_fma_f64 v[66:67], -v[64:65], v[64:65], v[54:55]
	v_fmac_f64_e32 v[64:65], v[66:67], v[44:45]
	v_cndmask_b32_e64 v45, v65, v55, s[6:7]
	v_cndmask_b32_e64 v44, v64, v54, s[6:7]
	v_mul_f64 v[64:65], v[44:45], v[44:45]
	v_add_f64 v[68:69], v[54:55], -v[64:65]
	v_add_f64 v[54:55], v[54:55], -v[68:69]
	v_fma_f64 v[66:67], v[44:45], v[44:45], -v[64:65]
	v_add_f64 v[54:55], v[54:55], -v[64:65]
	v_add_f64 v[64:65], v[44:45], v[44:45]
	v_add_f64 v[54:55], v[54:55], -v[66:67]
	v_rcp_f64_e32 v[66:67], v[64:65]
	v_add_f64 v[54:55], v[68:69], v[54:55]
	v_fma_f64 v[68:69], -v[64:65], v[66:67], 1.0
	v_fmac_f64_e32 v[66:67], v[68:69], v[66:67]
	v_fma_f64 v[68:69], -v[64:65], v[66:67], 1.0
	v_fmac_f64_e32 v[66:67], v[68:69], v[66:67]
	v_mul_f64 v[68:69], v[54:55], v[66:67]
	v_fma_f64 v[54:55], -v[64:65], v[68:69], v[54:55]
	v_fmac_f64_e32 v[68:69], v[54:55], v[66:67]
	v_cndmask_b32_e64 v55, v69, 0, s[6:7]
	v_cndmask_b32_e64 v54, v68, 0, s[6:7]
	v_add_f64 v[64:65], v[44:45], v[54:55]
	v_add_f64 v[44:45], v[64:65], -v[44:45]
	v_add_f64 v[44:45], v[54:55], -v[44:45]
	v_fma_f64 v[54:55], v[64:65], v[52:53], v[64:65]
	v_fmac_f64_e32 v[44:45], v[64:65], v[52:53]
	v_mul_f64 v[54:55], v[54:55], -2.0
	v_add_f64 v[44:45], v[64:65], v[44:45]
	v_fmac_f64_e32 v[54:55], s[20:21], v[36:37]
	v_add_f64 v[44:45], v[44:45], v[44:45]
	v_cmp_gt_f64_e64 s[6:7], 0, v[42:43]
	v_cndmask_b32_e64 v45, v45, v55, s[6:7]
	v_cndmask_b32_e64 v44, v44, v54, s[6:7]
	v_cmp_neq_f64_e64 s[6:7], -1.0, v[42:43]
	v_cndmask_b32_e64 v44, v61, v44, s[6:7]
	v_cndmask_b32_e64 v45, v62, v45, s[6:7]
	v_cmp_neq_f64_e64 s[6:7], 1.0, v[42:43]
	v_cndmask_b32_e64 v45, 0, v45, s[6:7]
	v_cndmask_b32_e64 v44, 0, v44, s[6:7]
	s_or_b64 exec, exec, s[22:23]
	s_and_saveexec_b64 s[6:7], vcc
	s_xor_b64 s[6:7], exec, s[6:7]
	s_cbranch_execz .LBB40_33
.LBB40_37:                              ;   in Loop: Header=BB40_17 Depth=1
	v_mov_b32_e32 v43, s9
	v_add_co_u32_e32 v42, vcc, s8, v38
	v_addc_co_u32_e32 v43, vcc, v13, v43, vcc
	global_store_dwordx2 v[42:43], v[46:47], off
	s_or_b64 exec, exec, s[6:7]
	s_and_saveexec_b64 s[6:7], s[0:1]
	s_cbranch_execz .LBB40_34
.LBB40_38:                              ;   in Loop: Header=BB40_17 Depth=1
	v_mov_b32_e32 v43, s9
	v_add_co_u32_e32 v42, vcc, s8, v40
	v_addc_co_u32_e32 v43, vcc, v39, v43, vcc
	global_store_dwordx2 v[42:43], v[50:51], off
	s_or_b64 exec, exec, s[6:7]
	s_and_saveexec_b64 s[0:1], s[2:3]
	s_cbranch_execz .LBB40_35
.LBB40_39:                              ;   in Loop: Header=BB40_17 Depth=1
	v_mov_b32_e32 v43, s9
	v_add_co_u32_e32 v42, vcc, s8, v10
	v_addc_co_u32_e32 v43, vcc, v9, v43, vcc
	global_store_dwordx2 v[42:43], v[48:49], off
	s_or_b64 exec, exec, s[0:1]
	s_and_saveexec_b64 s[0:1], s[4:5]
	s_cbranch_execz .LBB40_16
.LBB40_40:                              ;   in Loop: Header=BB40_17 Depth=1
	v_mov_b32_e32 v43, s9
	v_add_co_u32_e32 v42, vcc, s8, v6
	v_addc_co_u32_e32 v43, vcc, v5, v43, vcc
	global_store_dwordx2 v[42:43], v[44:45], off
	s_branch .LBB40_16
.LBB40_41:
	s_endpgm
	.section	.rodata,"a",@progbits
	.p2align	6, 0x0
	.amdhsa_kernel _ZN2at6native12_GLOBAL__N_125multi_tensor_apply_kernelINS1_18TensorListMetadataILi2EEENS1_14UnaryOpFunctorIdLi2ELi1ELi1EEEJNS0_4AcosIdEEEEEvT_T0_DpT1_
		.amdhsa_group_segment_fixed_size 0
		.amdhsa_private_segment_fixed_size 0
		.amdhsa_kernarg_size 3408
		.amdhsa_user_sgpr_count 6
		.amdhsa_user_sgpr_private_segment_buffer 1
		.amdhsa_user_sgpr_dispatch_ptr 0
		.amdhsa_user_sgpr_queue_ptr 0
		.amdhsa_user_sgpr_kernarg_segment_ptr 1
		.amdhsa_user_sgpr_dispatch_id 0
		.amdhsa_user_sgpr_flat_scratch_init 0
		.amdhsa_user_sgpr_kernarg_preload_length 0
		.amdhsa_user_sgpr_kernarg_preload_offset 0
		.amdhsa_user_sgpr_private_segment_size 0
		.amdhsa_uses_dynamic_stack 0
		.amdhsa_system_sgpr_private_segment_wavefront_offset 0
		.amdhsa_system_sgpr_workgroup_id_x 1
		.amdhsa_system_sgpr_workgroup_id_y 0
		.amdhsa_system_sgpr_workgroup_id_z 0
		.amdhsa_system_sgpr_workgroup_info 0
		.amdhsa_system_vgpr_workitem_id 0
		.amdhsa_next_free_vgpr 70
		.amdhsa_next_free_sgpr 31
		.amdhsa_accum_offset 72
		.amdhsa_reserve_vcc 1
		.amdhsa_reserve_flat_scratch 0
		.amdhsa_float_round_mode_32 0
		.amdhsa_float_round_mode_16_64 0
		.amdhsa_float_denorm_mode_32 3
		.amdhsa_float_denorm_mode_16_64 3
		.amdhsa_dx10_clamp 1
		.amdhsa_ieee_mode 1
		.amdhsa_fp16_overflow 0
		.amdhsa_tg_split 0
		.amdhsa_exception_fp_ieee_invalid_op 0
		.amdhsa_exception_fp_denorm_src 0
		.amdhsa_exception_fp_ieee_div_zero 0
		.amdhsa_exception_fp_ieee_overflow 0
		.amdhsa_exception_fp_ieee_underflow 0
		.amdhsa_exception_fp_ieee_inexact 0
		.amdhsa_exception_int_div_zero 0
	.end_amdhsa_kernel
	.section	.text._ZN2at6native12_GLOBAL__N_125multi_tensor_apply_kernelINS1_18TensorListMetadataILi2EEENS1_14UnaryOpFunctorIdLi2ELi1ELi1EEEJNS0_4AcosIdEEEEEvT_T0_DpT1_,"axG",@progbits,_ZN2at6native12_GLOBAL__N_125multi_tensor_apply_kernelINS1_18TensorListMetadataILi2EEENS1_14UnaryOpFunctorIdLi2ELi1ELi1EEEJNS0_4AcosIdEEEEEvT_T0_DpT1_,comdat
.Lfunc_end40:
	.size	_ZN2at6native12_GLOBAL__N_125multi_tensor_apply_kernelINS1_18TensorListMetadataILi2EEENS1_14UnaryOpFunctorIdLi2ELi1ELi1EEEJNS0_4AcosIdEEEEEvT_T0_DpT1_, .Lfunc_end40-_ZN2at6native12_GLOBAL__N_125multi_tensor_apply_kernelINS1_18TensorListMetadataILi2EEENS1_14UnaryOpFunctorIdLi2ELi1ELi1EEEJNS0_4AcosIdEEEEEvT_T0_DpT1_
                                        ; -- End function
	.section	.AMDGPU.csdata,"",@progbits
; Kernel info:
; codeLenInByte = 5712
; NumSgprs: 35
; NumVgprs: 70
; NumAgprs: 0
; TotalNumVgprs: 70
; ScratchSize: 0
; MemoryBound: 0
; FloatMode: 240
; IeeeMode: 1
; LDSByteSize: 0 bytes/workgroup (compile time only)
; SGPRBlocks: 4
; VGPRBlocks: 8
; NumSGPRsForWavesPerEU: 35
; NumVGPRsForWavesPerEU: 70
; AccumOffset: 72
; Occupancy: 7
; WaveLimiterHint : 0
; COMPUTE_PGM_RSRC2:SCRATCH_EN: 0
; COMPUTE_PGM_RSRC2:USER_SGPR: 6
; COMPUTE_PGM_RSRC2:TRAP_HANDLER: 0
; COMPUTE_PGM_RSRC2:TGID_X_EN: 1
; COMPUTE_PGM_RSRC2:TGID_Y_EN: 0
; COMPUTE_PGM_RSRC2:TGID_Z_EN: 0
; COMPUTE_PGM_RSRC2:TIDIG_COMP_CNT: 0
; COMPUTE_PGM_RSRC3_GFX90A:ACCUM_OFFSET: 17
; COMPUTE_PGM_RSRC3_GFX90A:TG_SPLIT: 0
	.section	.text._ZN2at6native12_GLOBAL__N_125multi_tensor_apply_kernelINS1_18TensorListMetadataILi2EEENS1_14UnaryOpFunctorIfLi2ELi1ELi1EEEJNS0_4AcosIfEEEEEvT_T0_DpT1_,"axG",@progbits,_ZN2at6native12_GLOBAL__N_125multi_tensor_apply_kernelINS1_18TensorListMetadataILi2EEENS1_14UnaryOpFunctorIfLi2ELi1ELi1EEEJNS0_4AcosIfEEEEEvT_T0_DpT1_,comdat
	.globl	_ZN2at6native12_GLOBAL__N_125multi_tensor_apply_kernelINS1_18TensorListMetadataILi2EEENS1_14UnaryOpFunctorIfLi2ELi1ELi1EEEJNS0_4AcosIfEEEEEvT_T0_DpT1_ ; -- Begin function _ZN2at6native12_GLOBAL__N_125multi_tensor_apply_kernelINS1_18TensorListMetadataILi2EEENS1_14UnaryOpFunctorIfLi2ELi1ELi1EEEJNS0_4AcosIfEEEEEvT_T0_DpT1_
	.p2align	8
	.type	_ZN2at6native12_GLOBAL__N_125multi_tensor_apply_kernelINS1_18TensorListMetadataILi2EEENS1_14UnaryOpFunctorIfLi2ELi1ELi1EEEJNS0_4AcosIfEEEEEvT_T0_DpT1_,@function
_ZN2at6native12_GLOBAL__N_125multi_tensor_apply_kernelINS1_18TensorListMetadataILi2EEENS1_14UnaryOpFunctorIfLi2ELi1ELi1EEEJNS0_4AcosIfEEEEEvT_T0_DpT1_: ; @_ZN2at6native12_GLOBAL__N_125multi_tensor_apply_kernelINS1_18TensorListMetadataILi2EEENS1_14UnaryOpFunctorIfLi2ELi1ELi1EEEJNS0_4AcosIfEEEEEvT_T0_DpT1_
; %bb.0:
	v_mov_b32_e32 v1, s6
	global_load_ubyte v1, v1, s[4:5] offset:1536
	s_add_u32 s0, s4, s6
	s_mul_hi_u32 s2, s6, 3
	s_mul_i32 s6, s6, 3
	s_addc_u32 s7, s5, 0
	s_add_u32 s6, s0, s6
	s_addc_u32 s7, s7, s2
	s_mov_b32 s1, 0
	s_mov_b32 s3, s1
	s_waitcnt vmcnt(0)
	v_readfirstlane_b32 s0, v1
	s_lshl_b32 s0, s0, 3
	s_load_dword s8, s[6:7], 0x740
	s_load_dwordx2 s[22:23], s[4:5], s0 offset:0x0
	s_load_dwordx2 s[10:11], s[4:5], s0 offset:0x400
	;; [unrolled: 1-line block ×3, first 2 shown]
	s_mov_b32 s7, s1
	s_waitcnt lgkmcnt(0)
	s_ashr_i32 s9, s8, 31
	s_and_b32 s0, s22, 15
	s_and_b32 s6, s10, 3
	s_and_b32 s2, s20, 15
	s_or_b64 s[6:7], s[0:1], s[6:7]
	s_lshl_b64 s[16:17], s[8:9], 18
	s_or_b64 s[2:3], s[2:3], s[6:7]
	s_lshl_b64 s[6:7], s[8:9], 16
	s_sub_u32 s18, s10, s6
	s_subb_u32 s19, s11, s7
	s_cmp_eq_u64 s[2:3], 0
	s_mov_b64 s[2:3], -1
	s_cbranch_scc0 .LBB41_5
; %bb.1:
	v_mov_b32_e32 v3, 0
	v_lshlrev_b32_e32 v2, 2, v0
	v_cmp_gt_i64_e32 vcc, s[18:19], v[2:3]
	s_and_saveexec_b64 s[24:25], vcc
	s_cbranch_execz .LBB41_4
; %bb.2:
	s_load_dword s0, s[4:5], 0xc5c
	v_lshlrev_b32_e32 v1, 4, v0
	v_mov_b32_e32 v4, s17
	v_add_co_u32_e32 v1, vcc, s16, v1
	s_waitcnt lgkmcnt(0)
	s_and_b32 s0, s0, 0xffff
	v_addc_co_u32_e32 v5, vcc, 0, v4, vcc
	v_add_lshl_u32 v2, v0, s0, 2
	s_lshl_b32 s29, s0, 2
	v_add_co_u32_e32 v4, vcc, 8, v1
	s_lshl_b32 s31, s0, 4
	s_mov_b32 s0, 0x3c5fc5da
	v_addc_co_u32_e32 v1, vcc, 0, v5, vcc
	s_mov_b64 s[26:27], 0
	v_mov_b32_e32 v5, s23
	v_mov_b32_e32 v8, s21
	s_mov_b32 s28, 0x3d1c21a7
	v_pk_mov_b32 v[6:7], s[0:1], s[0:1] op_sel:[0,1]
	s_mov_b32 s30, 0x3d034c3c
	s_mov_b32 s34, 0x3d3641b1
	s_mov_b32 s36, 0x3d999bc8
	s_mov_b32 s38, 0x3e2aaaac
	s_mov_b32 s40, 0x40490fdb
	s_mov_b32 s42, 0x3fc90fdb
	s_mov_b64 s[44:45], 0xffff
	v_mov_b32_e32 v9, s1
	v_mov_b32_e32 v10, s1
.LBB41_3:                               ; =>This Inner Loop Header: Depth=1
	v_add_co_u32_e32 v12, vcc, s22, v4
	v_addc_co_u32_e32 v13, vcc, v5, v1, vcc
	global_load_dwordx4 v[12:15], v[12:13], off offset:-8
	v_add_co_u32_e32 v16, vcc, s20, v4
	v_addc_co_u32_e32 v17, vcc, v8, v1, vcc
	v_cmp_le_i64_e32 vcc, s[18:19], v[2:3]
	v_cmp_lt_u64_e64 s[0:1], s[44:45], v[2:3]
	v_add_co_u32_e64 v2, s[2:3], s29, v2
	v_addc_co_u32_e64 v3, s[2:3], v3, v9, s[2:3]
	v_add_co_u32_e64 v4, s[2:3], s31, v4
	s_or_b64 s[0:1], vcc, s[0:1]
	v_addc_co_u32_e64 v1, s[2:3], v1, v10, s[2:3]
	s_and_b64 s[0:1], exec, s[0:1]
	s_or_b64 s[26:27], s[0:1], s[26:27]
	s_waitcnt vmcnt(0)
	v_and_b32_e32 v19, 0x7fffffff, v13
	v_and_b32_e32 v18, 0x7fffffff, v12
	;; [unrolled: 1-line block ×4, first 2 shown]
	v_pk_mul_f32 v[20:21], v[12:13], v[12:13]
	v_pk_mul_f32 v[24:25], v[14:15], v[14:15]
	v_pk_fma_f32 v[18:19], -0.5, v[18:19], 0.5 op_sel_hi:[0,1,0]
	v_cmp_gt_f32_e64 vcc, |v12|, 0.5
	v_pk_fma_f32 v[22:23], -0.5, v[22:23], 0.5 op_sel_hi:[0,1,0]
	v_cmp_gt_f32_e64 s[0:1], |v14|, 0.5
	v_cmp_gt_f32_e64 s[2:3], |v15|, 0.5
	;; [unrolled: 1-line block ×3, first 2 shown]
	v_cndmask_b32_e64 v19, v21, v19, s[6:7]
	v_cndmask_b32_e32 v18, v20, v18, vcc
	v_cndmask_b32_e64 v21, v25, v23, s[2:3]
	v_cndmask_b32_e64 v20, v24, v22, s[0:1]
	v_pk_fma_f32 v[24:25], v[18:19], s[28:29], v[6:7] op_sel_hi:[1,0,0]
	v_pk_fma_f32 v[28:29], v[20:21], s[28:29], v[6:7] op_sel_hi:[1,0,0]
	;; [unrolled: 1-line block ×4, first 2 shown]
	v_sqrt_f32_e32 v22, v18
	v_sqrt_f32_e32 v23, v19
	;; [unrolled: 1-line block ×4, first 2 shown]
	v_pk_fma_f32 v[24:25], v[18:19], v[24:25], s[34:35] op_sel_hi:[1,1,0]
	v_pk_fma_f32 v[28:29], v[20:21], v[28:29], s[34:35] op_sel_hi:[1,1,0]
	;; [unrolled: 1-line block ×6, first 2 shown]
	v_pk_mul_f32 v[18:19], v[18:19], v[24:25]
	v_pk_mul_f32 v[20:21], v[20:21], v[28:29]
	v_pk_fma_f32 v[22:23], v[22:23], v[18:19], v[22:23]
	v_pk_fma_f32 v[24:25], v[26:27], v[20:21], v[26:27]
	v_pk_add_f32 v[22:23], v[22:23], v[22:23]
	v_pk_add_f32 v[24:25], v[24:25], v[24:25]
	v_pk_fma_f32 v[18:19], v[12:13], v[18:19], v[12:13]
	v_pk_fma_f32 v[20:21], v[14:15], v[20:21], v[14:15]
	v_pk_add_f32 v[26:27], v[22:23], s[40:41] op_sel_hi:[1,0] neg_lo:[1,0] neg_hi:[1,0]
	v_cmp_gt_f32_e64 s[8:9], 0, v13
	v_pk_add_f32 v[28:29], v[24:25], s[40:41] op_sel_hi:[1,0] neg_lo:[1,0] neg_hi:[1,0]
	v_cmp_gt_f32_e64 s[10:11], 0, v15
	v_cmp_gt_f32_e64 s[12:13], 0, v14
	;; [unrolled: 1-line block ×3, first 2 shown]
	v_pk_add_f32 v[18:19], v[18:19], s[42:43] op_sel_hi:[1,0] neg_lo:[1,0] neg_hi:[1,0]
	v_pk_add_f32 v[20:21], v[20:21], s[42:43] op_sel_hi:[1,0] neg_lo:[1,0] neg_hi:[1,0]
	v_cndmask_b32_e64 v11, v22, v26, s[14:15]
	v_cndmask_b32_e64 v12, v23, v27, s[8:9]
	;; [unrolled: 1-line block ×5, first 2 shown]
	v_cndmask_b32_e32 v12, v18, v11, vcc
	v_cndmask_b32_e64 v15, v21, v15, s[2:3]
	v_cndmask_b32_e64 v14, v20, v14, s[0:1]
	global_store_dwordx4 v[16:17], v[12:15], off offset:-8
	s_andn2_b64 exec, exec, s[26:27]
	s_cbranch_execnz .LBB41_3
.LBB41_4:
	s_or_b64 exec, exec, s[24:25]
	s_mov_b64 s[2:3], 0
.LBB41_5:
	s_andn2_b64 vcc, exec, s[2:3]
	s_cbranch_vccnz .LBB41_25
; %bb.6:
	v_cmp_lt_i64_e64 s[0:1], s[18:19], 1
	s_and_b64 vcc, exec, s[0:1]
	s_cbranch_vccnz .LBB41_25
; %bb.7:
	s_load_dword s0, s[4:5], 0xc5c
	v_mov_b32_e32 v2, 0x10000
	v_mov_b32_e32 v3, 0
	v_cmp_lt_u64_e32 vcc, s[18:19], v[2:3]
	v_lshlrev_b32_e32 v10, 2, v0
	s_waitcnt lgkmcnt(0)
	s_and_b32 s2, s0, 0xffff
	s_and_b64 s[0:1], vcc, exec
	v_mov_b32_e32 v13, s23
	v_add_co_u32_e32 v2, vcc, s22, v10
	v_addc_co_u32_e32 v1, vcc, 0, v13, vcc
	v_mov_b32_e32 v11, 0
	v_mov_b32_e32 v15, s21
	v_add_co_u32_e32 v4, vcc, s20, v10
	v_addc_co_u32_e32 v3, vcc, 0, v15, vcc
	v_mad_u64_u32 v[8:9], s[0:1], s2, 12, v[10:11]
	v_add_co_u32_e32 v6, vcc, s22, v8
	v_addc_co_u32_e32 v5, vcc, v13, v9, vcc
	v_add_co_u32_e32 v8, vcc, s20, v8
	s_mul_i32 s4, s2, 3
	v_addc_co_u32_e32 v7, vcc, v15, v9, vcc
	v_add_co_u32_e32 v17, vcc, s4, v0
	v_addc_co_u32_e64 v18, s[0:1], 0, 0, vcc
	s_cselect_b32 s9, s19, 0
	s_cselect_b32 s8, s18, 0x10000
	s_lshl_b32 s0, s2, 3
	v_add_co_u32_e32 v11, vcc, s0, v10
	v_addc_co_u32_e64 v14, s[0:1], 0, 0, vcc
	v_add_co_u32_e32 v10, vcc, s22, v11
	v_addc_co_u32_e32 v9, vcc, v13, v14, vcc
	v_add_co_u32_e32 v12, vcc, s20, v11
	s_lshl_b32 s3, s2, 1
	v_addc_co_u32_e32 v11, vcc, v15, v14, vcc
	v_add_co_u32_e32 v19, vcc, s3, v0
	v_addc_co_u32_e64 v20, s[0:1], 0, 0, vcc
	v_add_co_u32_e32 v21, vcc, s2, v0
	v_lshlrev_b32_e32 v16, 2, v21
	v_addc_co_u32_e64 v22, s[0:1], 0, 0, vcc
	v_add_co_u32_e32 v14, vcc, s22, v16
	v_addc_co_u32_e32 v13, vcc, 0, v13, vcc
	v_add_co_u32_e32 v16, vcc, s20, v16
	s_mov_b32 s14, 0
	s_lshl_b32 s15, s2, 2
	s_lshl_b32 s23, s2, 4
	v_addc_co_u32_e32 v15, vcc, 0, v15, vcc
	s_mov_b64 s[10:11], 0
	v_mov_b32_e32 v23, 0x3d034c3c
	v_mov_b32_e32 v24, 0x3d3641b1
	;; [unrolled: 1-line block ×4, first 2 shown]
	s_branch .LBB41_9
.LBB41_8:                               ;   in Loop: Header=BB41_9 Depth=1
	s_or_b64 exec, exec, s[2:3]
	s_add_u32 s10, s10, s15
	s_addc_u32 s11, s11, 0
	s_waitcnt vmcnt(0)
	v_pk_mov_b32 v[28:29], s[18:19], s[18:19] op_sel:[0,1]
	v_cmp_ge_i64_e32 vcc, s[10:11], v[28:29]
	v_mov_b32_e32 v28, 0xffff
	v_mov_b32_e32 v29, 0
	v_cmp_gt_u64_e64 s[0:1], s[10:11], v[28:29]
	s_or_b64 s[0:1], vcc, s[0:1]
	v_mov_b32_e32 v27, s14
	v_add_co_u32_e32 v2, vcc, s23, v2
	v_addc_co_u32_e32 v1, vcc, v1, v27, vcc
	v_add_co_u32_e32 v4, vcc, s23, v4
	v_addc_co_u32_e32 v3, vcc, v3, v27, vcc
	;; [unrolled: 2-line block ×8, first 2 shown]
	s_and_b64 vcc, exec, s[0:1]
	s_cbranch_vccnz .LBB41_25
.LBB41_9:                               ; =>This Inner Loop Header: Depth=1
	v_mov_b32_e32 v27, s11
	v_add_co_u32_e32 v28, vcc, s10, v0
	v_addc_co_u32_e32 v29, vcc, 0, v27, vcc
	v_cmp_gt_u64_e64 s[4:5], s[8:9], v[28:29]
	v_mov_b32_e32 v30, 0
	s_and_saveexec_b64 s[0:1], s[4:5]
	s_cbranch_execz .LBB41_11
; %bb.10:                               ;   in Loop: Header=BB41_9 Depth=1
	v_mov_b32_e32 v27, s17
	v_add_co_u32_e32 v28, vcc, s16, v2
	v_addc_co_u32_e32 v29, vcc, v1, v27, vcc
	global_load_dword v30, v[28:29], off
.LBB41_11:                              ;   in Loop: Header=BB41_9 Depth=1
	s_or_b64 exec, exec, s[0:1]
	v_mov_b32_e32 v27, s11
	v_add_co_u32_e32 v28, vcc, s10, v21
	v_addc_co_u32_e32 v29, vcc, v22, v27, vcc
	v_cmp_gt_u64_e64 s[2:3], s[8:9], v[28:29]
	v_mov_b32_e32 v29, 0
	s_and_saveexec_b64 s[0:1], s[2:3]
	s_cbranch_execz .LBB41_13
; %bb.12:                               ;   in Loop: Header=BB41_9 Depth=1
	v_mov_b32_e32 v27, s17
	v_add_co_u32_e32 v28, vcc, s16, v14
	v_addc_co_u32_e32 v29, vcc, v13, v27, vcc
	global_load_dword v29, v[28:29], off
.LBB41_13:                              ;   in Loop: Header=BB41_9 Depth=1
	s_or_b64 exec, exec, s[0:1]
	v_mov_b32_e32 v27, s11
	v_add_co_u32_e32 v32, vcc, s10, v19
	v_addc_co_u32_e32 v33, vcc, v20, v27, vcc
	v_cmp_gt_u64_e64 s[0:1], s[8:9], v[32:33]
	v_mov_b32_e32 v27, 0
	v_mov_b32_e32 v28, 0
	s_and_saveexec_b64 s[6:7], s[0:1]
	s_cbranch_execz .LBB41_15
; %bb.14:                               ;   in Loop: Header=BB41_9 Depth=1
	v_mov_b32_e32 v28, s17
	v_add_co_u32_e32 v32, vcc, s16, v10
	v_addc_co_u32_e32 v33, vcc, v9, v28, vcc
	global_load_dword v28, v[32:33], off
.LBB41_15:                              ;   in Loop: Header=BB41_9 Depth=1
	s_or_b64 exec, exec, s[6:7]
	v_mov_b32_e32 v31, s11
	v_add_co_u32_e32 v32, vcc, s10, v17
	v_addc_co_u32_e32 v33, vcc, v18, v31, vcc
	v_cmp_gt_u64_e32 vcc, s[8:9], v[32:33]
	s_and_saveexec_b64 s[12:13], vcc
	s_cbranch_execnz .LBB41_20
; %bb.16:                               ;   in Loop: Header=BB41_9 Depth=1
	s_or_b64 exec, exec, s[12:13]
	s_and_saveexec_b64 s[12:13], s[4:5]
	s_cbranch_execnz .LBB41_21
.LBB41_17:                              ;   in Loop: Header=BB41_9 Depth=1
	s_or_b64 exec, exec, s[12:13]
	s_and_saveexec_b64 s[6:7], s[2:3]
	s_cbranch_execnz .LBB41_22
.LBB41_18:                              ;   in Loop: Header=BB41_9 Depth=1
	s_or_b64 exec, exec, s[6:7]
	s_and_saveexec_b64 s[4:5], s[0:1]
	s_cbranch_execnz .LBB41_23
.LBB41_19:                              ;   in Loop: Header=BB41_9 Depth=1
	s_or_b64 exec, exec, s[4:5]
	s_and_saveexec_b64 s[2:3], vcc
	s_cbranch_execz .LBB41_8
	s_branch .LBB41_24
.LBB41_20:                              ;   in Loop: Header=BB41_9 Depth=1
	v_mov_b32_e32 v27, s17
	v_add_co_u32_e64 v32, s[6:7], s16, v6
	v_addc_co_u32_e64 v33, s[6:7], v5, v27, s[6:7]
	global_load_dword v27, v[32:33], off
	s_or_b64 exec, exec, s[12:13]
	s_and_saveexec_b64 s[12:13], s[4:5]
	s_cbranch_execz .LBB41_17
.LBB41_21:                              ;   in Loop: Header=BB41_9 Depth=1
	s_waitcnt vmcnt(0)
	v_fma_f32 v31, |v30|, -0.5, 0.5
	v_mul_f32_e32 v32, v30, v30
	v_cmp_gt_f32_e64 s[4:5], |v30|, 0.5
	v_cndmask_b32_e64 v31, v32, v31, s[4:5]
	v_mov_b32_e32 v33, 0x3c5fc5da
	v_fmac_f32_e32 v33, 0x3d1c21a7, v31
	v_fma_f32 v33, v31, v33, v23
	v_sqrt_f32_e32 v32, v31
	v_fma_f32 v33, v31, v33, v24
	v_fma_f32 v33, v31, v33, v25
	;; [unrolled: 1-line block ×3, first 2 shown]
	v_mul_f32_e32 v31, v31, v33
	v_fmac_f32_e32 v32, v32, v31
	v_add_f32_e32 v32, v32, v32
	v_sub_f32_e32 v33, 0x40490fdb, v32
	v_cmp_gt_f32_e64 s[6:7], 0, v30
	v_fmac_f32_e32 v30, v30, v31
	v_cndmask_b32_e64 v32, v32, v33, s[6:7]
	v_sub_f32_e32 v30, 0x3fc90fdb, v30
	v_cndmask_b32_e64 v32, v30, v32, s[4:5]
	v_mov_b32_e32 v31, s17
	v_add_co_u32_e64 v30, s[4:5], s16, v4
	v_addc_co_u32_e64 v31, s[4:5], v3, v31, s[4:5]
	global_store_dword v[30:31], v32, off
	s_or_b64 exec, exec, s[12:13]
	s_and_saveexec_b64 s[6:7], s[2:3]
	s_cbranch_execz .LBB41_18
.LBB41_22:                              ;   in Loop: Header=BB41_9 Depth=1
	s_waitcnt vmcnt(0)
	v_fma_f32 v30, |v29|, -0.5, 0.5
	v_mul_f32_e32 v31, v29, v29
	v_cmp_gt_f32_e64 s[2:3], |v29|, 0.5
	v_cndmask_b32_e64 v30, v31, v30, s[2:3]
	v_mov_b32_e32 v31, 0x3c5fc5da
	v_fmac_f32_e32 v31, 0x3d1c21a7, v30
	v_fma_f32 v31, v30, v31, v23
	v_fma_f32 v31, v30, v31, v24
	v_sqrt_f32_e32 v32, v30
	v_fma_f32 v31, v30, v31, v25
	v_fma_f32 v31, v30, v31, v26
	v_mul_f32_e32 v30, v30, v31
	v_fmac_f32_e32 v32, v32, v30
	v_add_f32_e32 v31, v32, v32
	v_sub_f32_e32 v32, 0x40490fdb, v31
	v_cmp_gt_f32_e64 s[4:5], 0, v29
	v_fmac_f32_e32 v29, v29, v30
	v_cndmask_b32_e64 v31, v31, v32, s[4:5]
	v_sub_f32_e32 v29, 0x3fc90fdb, v29
	v_cndmask_b32_e64 v29, v29, v31, s[2:3]
	v_mov_b32_e32 v31, s17
	v_add_co_u32_e64 v30, s[2:3], s16, v16
	v_addc_co_u32_e64 v31, s[2:3], v15, v31, s[2:3]
	global_store_dword v[30:31], v29, off
	s_or_b64 exec, exec, s[6:7]
	s_and_saveexec_b64 s[4:5], s[0:1]
	s_cbranch_execz .LBB41_19
.LBB41_23:                              ;   in Loop: Header=BB41_9 Depth=1
	s_waitcnt vmcnt(0)
	v_fma_f32 v29, |v28|, -0.5, 0.5
	v_mul_f32_e32 v30, v28, v28
	v_cmp_gt_f32_e64 s[0:1], |v28|, 0.5
	v_cndmask_b32_e64 v29, v30, v29, s[0:1]
	v_mov_b32_e32 v30, 0x3c5fc5da
	v_fmac_f32_e32 v30, 0x3d1c21a7, v29
	v_fma_f32 v30, v29, v30, v23
	v_fma_f32 v30, v29, v30, v24
	v_sqrt_f32_e32 v31, v29
	v_fma_f32 v30, v29, v30, v25
	v_fma_f32 v30, v29, v30, v26
	v_mul_f32_e32 v29, v29, v30
	v_fmac_f32_e32 v31, v31, v29
	v_add_f32_e32 v30, v31, v31
	v_sub_f32_e32 v31, 0x40490fdb, v30
	v_cmp_gt_f32_e64 s[2:3], 0, v28
	v_fmac_f32_e32 v28, v28, v29
	v_cndmask_b32_e64 v30, v30, v31, s[2:3]
	v_sub_f32_e32 v28, 0x3fc90fdb, v28
	v_cndmask_b32_e64 v30, v28, v30, s[0:1]
	v_mov_b32_e32 v29, s17
	v_add_co_u32_e64 v28, s[0:1], s16, v12
	v_addc_co_u32_e64 v29, s[0:1], v11, v29, s[0:1]
	global_store_dword v[28:29], v30, off
	s_or_b64 exec, exec, s[4:5]
	s_and_saveexec_b64 s[2:3], vcc
	s_cbranch_execz .LBB41_8
.LBB41_24:                              ;   in Loop: Header=BB41_9 Depth=1
	s_waitcnt vmcnt(0)
	v_fma_f32 v28, |v27|, -0.5, 0.5
	v_mul_f32_e32 v29, v27, v27
	v_cmp_gt_f32_e64 vcc, |v27|, 0.5
	v_cndmask_b32_e32 v28, v29, v28, vcc
	v_mov_b32_e32 v29, 0x3c5fc5da
	v_fmac_f32_e32 v29, 0x3d1c21a7, v28
	v_fma_f32 v29, v28, v29, v23
	v_fma_f32 v29, v28, v29, v24
	v_sqrt_f32_e32 v30, v28
	v_fma_f32 v29, v28, v29, v25
	v_fma_f32 v29, v28, v29, v26
	v_mul_f32_e32 v28, v28, v29
	v_fmac_f32_e32 v30, v30, v28
	v_add_f32_e32 v29, v30, v30
	v_sub_f32_e32 v30, 0x40490fdb, v29
	v_cmp_gt_f32_e64 s[0:1], 0, v27
	v_fmac_f32_e32 v27, v27, v28
	v_cndmask_b32_e64 v29, v29, v30, s[0:1]
	v_sub_f32_e32 v27, 0x3fc90fdb, v27
	v_cndmask_b32_e32 v27, v27, v29, vcc
	v_mov_b32_e32 v29, s17
	v_add_co_u32_e32 v28, vcc, s16, v8
	v_addc_co_u32_e32 v29, vcc, v7, v29, vcc
	global_store_dword v[28:29], v27, off
	s_branch .LBB41_8
.LBB41_25:
	s_endpgm
	.section	.rodata,"a",@progbits
	.p2align	6, 0x0
	.amdhsa_kernel _ZN2at6native12_GLOBAL__N_125multi_tensor_apply_kernelINS1_18TensorListMetadataILi2EEENS1_14UnaryOpFunctorIfLi2ELi1ELi1EEEJNS0_4AcosIfEEEEEvT_T0_DpT1_
		.amdhsa_group_segment_fixed_size 0
		.amdhsa_private_segment_fixed_size 0
		.amdhsa_kernarg_size 3408
		.amdhsa_user_sgpr_count 6
		.amdhsa_user_sgpr_private_segment_buffer 1
		.amdhsa_user_sgpr_dispatch_ptr 0
		.amdhsa_user_sgpr_queue_ptr 0
		.amdhsa_user_sgpr_kernarg_segment_ptr 1
		.amdhsa_user_sgpr_dispatch_id 0
		.amdhsa_user_sgpr_flat_scratch_init 0
		.amdhsa_user_sgpr_kernarg_preload_length 0
		.amdhsa_user_sgpr_kernarg_preload_offset 0
		.amdhsa_user_sgpr_private_segment_size 0
		.amdhsa_uses_dynamic_stack 0
		.amdhsa_system_sgpr_private_segment_wavefront_offset 0
		.amdhsa_system_sgpr_workgroup_id_x 1
		.amdhsa_system_sgpr_workgroup_id_y 0
		.amdhsa_system_sgpr_workgroup_id_z 0
		.amdhsa_system_sgpr_workgroup_info 0
		.amdhsa_system_vgpr_workitem_id 0
		.amdhsa_next_free_vgpr 34
		.amdhsa_next_free_sgpr 46
		.amdhsa_accum_offset 36
		.amdhsa_reserve_vcc 1
		.amdhsa_reserve_flat_scratch 0
		.amdhsa_float_round_mode_32 0
		.amdhsa_float_round_mode_16_64 0
		.amdhsa_float_denorm_mode_32 3
		.amdhsa_float_denorm_mode_16_64 3
		.amdhsa_dx10_clamp 1
		.amdhsa_ieee_mode 1
		.amdhsa_fp16_overflow 0
		.amdhsa_tg_split 0
		.amdhsa_exception_fp_ieee_invalid_op 0
		.amdhsa_exception_fp_denorm_src 0
		.amdhsa_exception_fp_ieee_div_zero 0
		.amdhsa_exception_fp_ieee_overflow 0
		.amdhsa_exception_fp_ieee_underflow 0
		.amdhsa_exception_fp_ieee_inexact 0
		.amdhsa_exception_int_div_zero 0
	.end_amdhsa_kernel
	.section	.text._ZN2at6native12_GLOBAL__N_125multi_tensor_apply_kernelINS1_18TensorListMetadataILi2EEENS1_14UnaryOpFunctorIfLi2ELi1ELi1EEEJNS0_4AcosIfEEEEEvT_T0_DpT1_,"axG",@progbits,_ZN2at6native12_GLOBAL__N_125multi_tensor_apply_kernelINS1_18TensorListMetadataILi2EEENS1_14UnaryOpFunctorIfLi2ELi1ELi1EEEJNS0_4AcosIfEEEEEvT_T0_DpT1_,comdat
.Lfunc_end41:
	.size	_ZN2at6native12_GLOBAL__N_125multi_tensor_apply_kernelINS1_18TensorListMetadataILi2EEENS1_14UnaryOpFunctorIfLi2ELi1ELi1EEEJNS0_4AcosIfEEEEEvT_T0_DpT1_, .Lfunc_end41-_ZN2at6native12_GLOBAL__N_125multi_tensor_apply_kernelINS1_18TensorListMetadataILi2EEENS1_14UnaryOpFunctorIfLi2ELi1ELi1EEEJNS0_4AcosIfEEEEEvT_T0_DpT1_
                                        ; -- End function
	.section	.AMDGPU.csdata,"",@progbits
; Kernel info:
; codeLenInByte = 2240
; NumSgprs: 50
; NumVgprs: 34
; NumAgprs: 0
; TotalNumVgprs: 34
; ScratchSize: 0
; MemoryBound: 0
; FloatMode: 240
; IeeeMode: 1
; LDSByteSize: 0 bytes/workgroup (compile time only)
; SGPRBlocks: 6
; VGPRBlocks: 4
; NumSGPRsForWavesPerEU: 50
; NumVGPRsForWavesPerEU: 34
; AccumOffset: 36
; Occupancy: 8
; WaveLimiterHint : 0
; COMPUTE_PGM_RSRC2:SCRATCH_EN: 0
; COMPUTE_PGM_RSRC2:USER_SGPR: 6
; COMPUTE_PGM_RSRC2:TRAP_HANDLER: 0
; COMPUTE_PGM_RSRC2:TGID_X_EN: 1
; COMPUTE_PGM_RSRC2:TGID_Y_EN: 0
; COMPUTE_PGM_RSRC2:TGID_Z_EN: 0
; COMPUTE_PGM_RSRC2:TIDIG_COMP_CNT: 0
; COMPUTE_PGM_RSRC3_GFX90A:ACCUM_OFFSET: 8
; COMPUTE_PGM_RSRC3_GFX90A:TG_SPLIT: 0
	.text
	.p2align	2                               ; -- Begin function _ZNK2at6native4AcosIN3c107complexIdEEEclES4_
	.type	_ZNK2at6native4AcosIN3c107complexIdEEEclES4_,@function
_ZNK2at6native4AcosIN3c107complexIdEEEclES4_: ; @_ZNK2at6native4AcosIN3c107complexIdEEEclES4_
; %bb.0:
	s_waitcnt vmcnt(0) expcnt(0) lgkmcnt(0)
	s_xor_saveexec_b64 s[4:5], -1
	buffer_store_dword v39, off, s[0:3], s32 offset:16 ; 4-byte Folded Spill
	s_mov_b64 exec, s[4:5]
	v_writelane_b32 v39, s30, 0
	v_writelane_b32 v39, s31, 1
	s_mov_b64 s[12:13], src_private_base
	s_lshr_b32 s12, s32, 6
	s_add_i32 s12, s12, 8
	v_cmp_o_f64_e32 vcc, v[0:1], v[0:1]
	v_cmp_o_f64_e64 s[4:5], v[2:3], v[2:3]
	v_mov_b32_e32 v4, 0x33145c07
	v_mov_b32_e32 v5, 0x3c91a626
	v_pk_mov_b32 v[6:7], s[12:13], s[12:13] op_sel:[0,1]
	s_and_b64 s[4:5], vcc, s[4:5]
	flat_store_dwordx2 v[6:7], v[4:5]
	s_waitcnt vmcnt(0)
                                        ; implicit-def: $vgpr4_vgpr5
	s_and_saveexec_b64 s[6:7], s[4:5]
	s_xor_b64 s[14:15], exec, s[6:7]
	s_cbranch_execz .LBB42_88
; %bb.1:
	v_max_f64 v[6:7], |v[2:3]|, |v[2:3]|
	v_max_f64 v[10:11], |v[0:1]|, |v[0:1]|
	s_mov_b32 s6, 0
	v_max_f64 v[8:9], v[10:11], v[6:7]
	s_mov_b32 s7, 0x43300000
	v_cmp_gt_i64_e64 s[4:5], 0, v[2:3]
	v_cmp_nlt_f64_e32 vcc, s[6:7], v[8:9]
                                        ; implicit-def: $vgpr4_vgpr5
	s_and_saveexec_b64 s[6:7], vcc
	s_xor_b64 s[10:11], exec, s[6:7]
	s_cbranch_execz .LBB42_77
; %bb.2:
	v_cmp_neq_f64_e32 vcc, 1.0, v[0:1]
	v_cmp_neq_f64_e64 s[6:7], 0, v[2:3]
	s_or_b64 s[6:7], vcc, s[6:7]
                                        ; implicit-def: $vgpr4_vgpr5
	s_and_saveexec_b64 s[8:9], s[6:7]
	s_xor_b64 s[16:17], exec, s[8:9]
	s_cbranch_execz .LBB42_74
; %bb.3:
	s_mov_b64 s[6:7], src_private_base
	s_lshr_b32 s6, s32, 6
	v_mov_b32_e32 v8, 0xd800000
	v_pk_mov_b32 v[4:5], s[6:7], s[6:7] op_sel:[0,1]
	flat_store_dword v[4:5], v8
	s_waitcnt vmcnt(0)
	flat_load_dword v4, v[4:5] glc
	s_waitcnt vmcnt(0)
	s_lshr_b32 s6, s32, 6
	s_add_i32 s6, s6, 4
	s_waitcnt lgkmcnt(0)
	v_add_f32_e32 v8, 1.0, v4
	v_pk_mov_b32 v[4:5], s[6:7], s[6:7] op_sel:[0,1]
	flat_store_dword v[4:5], v8
	s_waitcnt vmcnt(0)
	flat_load_dword v4, v[4:5] glc
	s_waitcnt vmcnt(0)
	s_mov_b32 s6, 0x1409212f
	s_mov_b32 s7, 0x3e43988e
	v_cmp_nlt_f64_e64 s[8:9], |v[0:1]|, s[6:7]
	v_cmp_nlt_f64_e64 s[6:7], |v[2:3]|, s[6:7]
	s_or_b64 s[6:7], s[8:9], s[6:7]
                                        ; implicit-def: $vgpr4_vgpr5
	s_and_saveexec_b64 s[8:9], s[6:7]
	s_xor_b64 s[18:19], exec, s[8:9]
	s_cbranch_execz .LBB42_71
; %bb.4:
	v_add_f64 v[10:11], |v[0:1]|, 1.0
	s_waitcnt lgkmcnt(0)
	v_max_f64 v[4:5], v[6:7], |v[10:11]|
	v_frexp_exp_i32_f64_e32 v12, v[4:5]
	v_sub_u32_e32 v8, 0, v12
	v_ldexp_f64 v[4:5], |v[2:3]|, v8
	v_ldexp_f64 v[8:9], |v[10:11]|, v8
	v_mul_f64 v[8:9], v[8:9], v[8:9]
	v_fmac_f64_e32 v[8:9], v[4:5], v[4:5]
	v_rsq_f64_e32 v[4:5], v[8:9]
	v_cmp_eq_f64_e32 vcc, 0, v[8:9]
	v_mov_b32_e32 v20, 0x7ff80000
	s_movk_i32 s8, 0x204
	v_mul_f64 v[14:15], v[8:9], v[4:5]
	v_mul_f64 v[4:5], v[4:5], 0.5
	v_fma_f64 v[16:17], -v[4:5], v[14:15], 0.5
	v_fmac_f64_e32 v[14:15], v[14:15], v[16:17]
	v_fmac_f64_e32 v[4:5], v[4:5], v[16:17]
	v_fma_f64 v[16:17], -v[14:15], v[14:15], v[8:9]
	v_fmac_f64_e32 v[14:15], v[16:17], v[4:5]
	v_cndmask_b32_e32 v5, v15, v9, vcc
	v_cndmask_b32_e32 v4, v14, v8, vcc
	v_ldexp_f64 v[4:5], v[4:5], v12
	v_cmp_o_f64_e64 vcc, v[10:11], |v[2:3]|
	v_cndmask_b32_e32 v12, 0, v4, vcc
	v_cndmask_b32_e32 v14, v20, v5, vcc
	v_add_f64 v[4:5], |v[0:1]|, -1.0
	v_max_f64 v[6:7], v[6:7], |v[4:5]|
	v_frexp_exp_i32_f64_e32 v22, v[6:7]
	v_sub_u32_e32 v8, 0, v22
	v_ldexp_f64 v[6:7], |v[2:3]|, v8
	v_ldexp_f64 v[8:9], |v[4:5]|, v8
	v_mul_f64 v[8:9], v[8:9], v[8:9]
	v_fmac_f64_e32 v[8:9], v[6:7], v[6:7]
	v_rsq_f64_e32 v[6:7], v[8:9]
	v_cmp_class_f64_e64 s[6:7], v[2:3], s8
	v_cmp_class_f64_e64 s[20:21], v[10:11], s8
	v_mov_b32_e32 v21, 0x7ff00000
	s_or_b64 vcc, s[6:7], s[20:21]
	v_cndmask_b32_e32 v17, v14, v21, vcc
	v_mul_f64 v[14:15], v[8:9], v[6:7]
	v_mul_f64 v[6:7], v[6:7], 0.5
	v_fma_f64 v[18:19], -v[6:7], v[14:15], 0.5
	v_fmac_f64_e32 v[14:15], v[14:15], v[18:19]
	v_fmac_f64_e32 v[6:7], v[6:7], v[18:19]
	v_fma_f64 v[18:19], -v[14:15], v[14:15], v[8:9]
	v_cndmask_b32_e64 v16, v12, 0, vcc
	v_fmac_f64_e32 v[14:15], v[18:19], v[6:7]
	v_cmp_eq_f64_e32 vcc, 0, v[8:9]
	v_cndmask_b32_e32 v7, v15, v9, vcc
	v_cndmask_b32_e32 v6, v14, v8, vcc
	v_ldexp_f64 v[6:7], v[6:7], v22
	v_cmp_o_f64_e64 vcc, v[4:5], |v[2:3]|
	v_cmp_class_f64_e64 s[20:21], v[4:5], s8
	v_cndmask_b32_e32 v6, 0, v6, vcc
	v_cndmask_b32_e32 v7, v20, v7, vcc
	s_or_b64 vcc, s[6:7], s[20:21]
	v_cndmask_b32_e32 v15, v7, v21, vcc
	v_cndmask_b32_e64 v14, v6, 0, vcc
	v_add_f64 v[6:7], v[16:17], v[14:15]
	v_mul_f64 v[6:7], v[6:7], 0.5
	v_mov_b32_e32 v12, 0x3ff00000
	v_cmp_ngt_f64_e32 vcc, 1.0, v[6:7]
	s_mov_b32 s6, 0
	v_cndmask_b32_e32 v9, v12, v7, vcc
	v_cndmask_b32_e32 v8, 0, v6, vcc
	s_mov_b32 s7, 0x40240000
	v_and_b32_e32 v13, 0x7fffffff, v3
	v_cmp_ngt_f64_e32 vcc, s[6:7], v[8:9]
                                        ; implicit-def: $vgpr6_vgpr7
	s_and_saveexec_b64 s[6:7], vcc
	s_xor_b64 s[6:7], exec, s[6:7]
	s_cbranch_execz .LBB42_6
; %bb.5:
	s_mov_b32 s20, 0
	v_fma_f64 v[6:7], v[8:9], v[8:9], -1.0
	s_brev_b32 s21, 8
	v_cmp_gt_f64_e32 vcc, s[20:21], v[6:7]
	v_cndmask_b32_e64 v18, 0, 1, vcc
	v_lshlrev_b32_e32 v18, 8, v18
	v_ldexp_f64 v[6:7], v[6:7], v18
	v_rsq_f64_e32 v[18:19], v[6:7]
	s_mov_b32 s20, 0x55555555
	s_mov_b32 s21, 0x3fe55555
	v_mul_f64 v[20:21], v[6:7], v[18:19]
	v_mul_f64 v[18:19], v[18:19], 0.5
	v_fma_f64 v[22:23], -v[18:19], v[20:21], 0.5
	v_fmac_f64_e32 v[20:21], v[20:21], v[22:23]
	v_fma_f64 v[24:25], -v[20:21], v[20:21], v[6:7]
	v_fmac_f64_e32 v[18:19], v[18:19], v[22:23]
	v_fmac_f64_e32 v[20:21], v[24:25], v[18:19]
	v_fma_f64 v[22:23], -v[20:21], v[20:21], v[6:7]
	v_fmac_f64_e32 v[20:21], v[22:23], v[18:19]
	v_mov_b32_e32 v19, 0xffffff80
	v_cndmask_b32_e32 v19, 0, v19, vcc
	v_ldexp_f64 v[20:21], v[20:21], v19
	v_mov_b32_e32 v19, 0x260
	v_cmp_class_f64_e32 vcc, v[6:7], v19
	v_cndmask_b32_e32 v7, v21, v7, vcc
	v_cndmask_b32_e32 v6, v20, v6, vcc
	v_add_f64 v[6:7], v[8:9], v[6:7]
	v_frexp_mant_f64_e32 v[20:21], v[6:7]
	v_cmp_gt_f64_e32 vcc, s[20:21], v[20:21]
	v_mov_b32_e32 v18, 0
	v_cndmask_b32_e64 v19, v12, 2.0, vcc
	v_mul_f64 v[18:19], v[20:21], v[18:19]
	v_frexp_exp_i32_f64_e32 v22, v[6:7]
	v_add_f64 v[20:21], v[18:19], 1.0
	v_subbrev_co_u32_e32 v12, vcc, 0, v22, vcc
	v_rcp_f64_e32 v[22:23], v[20:21]
	v_add_f64 v[26:27], v[20:21], -1.0
	v_add_f64 v[24:25], v[18:19], -1.0
	v_add_f64 v[18:19], v[18:19], -v[26:27]
	v_fma_f64 v[26:27], -v[20:21], v[22:23], 1.0
	v_fmac_f64_e32 v[22:23], v[26:27], v[22:23]
	v_fma_f64 v[26:27], -v[20:21], v[22:23], 1.0
	v_fmac_f64_e32 v[22:23], v[26:27], v[22:23]
	v_mul_f64 v[26:27], v[24:25], v[22:23]
	v_mul_f64 v[28:29], v[20:21], v[26:27]
	v_fma_f64 v[20:21], v[26:27], v[20:21], -v[28:29]
	v_fmac_f64_e32 v[20:21], v[26:27], v[18:19]
	v_add_f64 v[18:19], v[28:29], v[20:21]
	v_add_f64 v[30:31], v[24:25], -v[18:19]
	v_add_f64 v[28:29], v[18:19], -v[28:29]
	;; [unrolled: 1-line block ×5, first 2 shown]
	v_add_f64 v[18:19], v[20:21], v[18:19]
	v_add_f64 v[18:19], v[30:31], v[18:19]
	v_mul_f64 v[18:19], v[22:23], v[18:19]
	v_add_f64 v[20:21], v[26:27], v[18:19]
	v_add_f64 v[22:23], v[20:21], -v[26:27]
	s_mov_b32 s20, 0xbf559e2b
	v_add_f64 v[18:19], v[18:19], -v[22:23]
	v_mul_f64 v[22:23], v[20:21], v[20:21]
	v_mov_b32_e32 v24, 0x6b47b09a
	v_mov_b32_e32 v25, 0x3fc38538
	s_mov_b32 s21, 0x3fc3ab76
	v_fmac_f64_e32 v[24:25], s[20:21], v[22:23]
	v_mov_b32_e32 v26, 0xd7f4df2e
	v_mov_b32_e32 v27, 0x3fc7474d
	v_fmac_f64_e32 v[26:27], v[22:23], v[24:25]
	v_mov_b32_e32 v24, 0x16291751
	v_mov_b32_e32 v25, 0x3fcc71c0
	;; [unrolled: 3-line block ×5, first 2 shown]
	v_fmac_f64_e32 v[26:27], v[22:23], v[24:25]
	v_ldexp_f64 v[24:25], v[20:21], 1
	v_mul_f64 v[20:21], v[20:21], v[22:23]
	v_mul_f64 v[20:21], v[20:21], v[26:27]
	v_add_f64 v[22:23], v[24:25], v[20:21]
	v_add_f64 v[24:25], v[22:23], -v[24:25]
	v_ldexp_f64 v[18:19], v[18:19], 1
	v_add_f64 v[20:21], v[20:21], -v[24:25]
	v_add_f64 v[18:19], v[18:19], v[20:21]
	v_add_f64 v[20:21], v[22:23], v[18:19]
	v_add_f64 v[22:23], v[20:21], -v[22:23]
	s_mov_b32 s20, 0xfefa39ef
	v_add_f64 v[18:19], v[18:19], -v[22:23]
	v_cvt_f64_i32_e32 v[22:23], v12
	s_mov_b32 s21, 0x3fe62e42
	v_mul_f64 v[24:25], v[22:23], s[20:21]
	v_fma_f64 v[26:27], v[22:23], s[20:21], -v[24:25]
	s_mov_b32 s20, 0x3b39803f
	s_mov_b32 s21, 0x3c7abc9e
	v_fmac_f64_e32 v[26:27], s[20:21], v[22:23]
	v_add_f64 v[22:23], v[24:25], v[26:27]
	v_add_f64 v[24:25], v[22:23], -v[24:25]
	v_add_f64 v[24:25], v[26:27], -v[24:25]
	v_add_f64 v[26:27], v[22:23], v[20:21]
	v_add_f64 v[28:29], v[26:27], -v[22:23]
	v_add_f64 v[30:31], v[26:27], -v[28:29]
	;; [unrolled: 1-line block ×4, first 2 shown]
	v_add_f64 v[20:21], v[20:21], v[22:23]
	v_add_f64 v[22:23], v[24:25], v[18:19]
	v_add_f64 v[28:29], v[22:23], -v[24:25]
	v_add_f64 v[30:31], v[22:23], -v[28:29]
	v_add_f64 v[20:21], v[22:23], v[20:21]
	v_add_f64 v[24:25], v[24:25], -v[30:31]
	v_add_f64 v[18:19], v[18:19], -v[28:29]
	v_add_f64 v[22:23], v[26:27], v[20:21]
	v_add_f64 v[18:19], v[18:19], v[24:25]
	v_add_f64 v[24:25], v[22:23], -v[26:27]
	v_add_f64 v[20:21], v[20:21], -v[24:25]
	v_add_f64 v[18:19], v[18:19], v[20:21]
	v_add_f64 v[18:19], v[22:23], v[18:19]
	v_cmp_class_f64_e64 vcc, v[6:7], s8
	v_cndmask_b32_e32 v12, v18, v6, vcc
	v_cndmask_b32_e32 v18, v19, v7, vcc
	v_mov_b32_e32 v19, 0xfff00000
	v_cmp_neq_f64_e32 vcc, 0, v[6:7]
	v_cndmask_b32_e32 v7, v19, v18, vcc
	v_cndmask_b32_e32 v6, 0, v12, vcc
.LBB42_6:
	s_or_saveexec_b64 s[6:7], s[6:7]
	v_mov_b32_e32 v12, v2
	s_xor_b64 exec, exec, s[6:7]
	s_cbranch_execz .LBB42_28
; %bb.7:
	s_mov_b32 s20, 0
	s_mov_b32 s21, 0x39000000
	v_cmp_neq_f64_e64 s[8:9], |v[0:1]|, 1.0
	v_cmp_nlt_f64_e64 s[20:21], |v[2:3]|, s[20:21]
	s_or_b64 s[8:9], s[8:9], s[20:21]
                                        ; implicit-def: $vgpr6_vgpr7
	s_and_saveexec_b64 s[20:21], s[8:9]
	s_xor_b64 s[8:9], exec, s[20:21]
	s_cbranch_execz .LBB42_25
; %bb.8:
	s_movk_i32 s20, 0xffcc
	v_ldexp_f64 v[6:7], |v[4:5]|, s20
	v_cmp_le_f64_e64 s[20:21], v[6:7], |v[2:3]|
                                        ; implicit-def: $vgpr6_vgpr7
	s_and_saveexec_b64 s[22:23], s[20:21]
	s_xor_b64 s[20:21], exec, s[22:23]
	s_cbranch_execz .LBB42_18
; %bb.9:
	v_cmp_neq_f64_e32 vcc, 0, v[10:11]
	v_pk_mov_b32 v[6:7], v[12:13], v[12:13] op_sel:[0,1]
	s_and_saveexec_b64 s[22:23], vcc
	s_cbranch_execz .LBB42_11
; %bb.10:
	v_mul_f64 v[6:7], v[2:3], v[2:3]
	v_add_f64 v[18:19], v[10:11], v[16:17]
	v_div_scale_f64 v[20:21], s[24:25], v[18:19], v[18:19], v[6:7]
	v_rcp_f64_e32 v[22:23], v[20:21]
	v_fma_f64 v[24:25], -v[20:21], v[22:23], 1.0
	v_fmac_f64_e32 v[22:23], v[22:23], v[24:25]
	v_fma_f64 v[24:25], -v[20:21], v[22:23], 1.0
	v_fmac_f64_e32 v[22:23], v[22:23], v[24:25]
	v_div_scale_f64 v[24:25], vcc, v[6:7], v[18:19], v[6:7]
	v_mul_f64 v[26:27], v[24:25], v[22:23]
	v_fma_f64 v[20:21], -v[20:21], v[26:27], v[24:25]
	s_nop 1
	v_div_fmas_f64 v[20:21], v[20:21], v[22:23], v[26:27]
	v_div_fixup_f64 v[6:7], v[20:21], v[18:19], v[6:7]
.LBB42_11:
	s_or_b64 exec, exec, s[22:23]
	v_add_f64 v[20:21], -|v[0:1]|, 1.0
	v_cmp_ngt_f64_e32 vcc, 0, v[20:21]
                                        ; implicit-def: $vgpr18_vgpr19
	s_and_saveexec_b64 s[22:23], vcc
	s_xor_b64 s[22:23], exec, s[22:23]
	s_cbranch_execz .LBB42_15
; %bb.12:
	v_cmp_neq_f64_e32 vcc, 0, v[20:21]
	v_pk_mov_b32 v[18:19], v[12:13], v[12:13] op_sel:[0,1]
	s_and_saveexec_b64 s[24:25], vcc
	s_cbranch_execz .LBB42_14
; %bb.13:
	v_mul_f64 v[18:19], v[2:3], v[2:3]
	v_add_f64 v[20:21], v[20:21], v[14:15]
	v_div_scale_f64 v[22:23], s[26:27], v[20:21], v[20:21], v[18:19]
	v_rcp_f64_e32 v[24:25], v[22:23]
	v_fma_f64 v[26:27], -v[22:23], v[24:25], 1.0
	v_fmac_f64_e32 v[24:25], v[24:25], v[26:27]
	v_fma_f64 v[26:27], -v[22:23], v[24:25], 1.0
	v_fmac_f64_e32 v[24:25], v[24:25], v[26:27]
	v_div_scale_f64 v[26:27], vcc, v[18:19], v[20:21], v[18:19]
	v_mul_f64 v[28:29], v[26:27], v[24:25]
	v_fma_f64 v[22:23], -v[22:23], v[28:29], v[26:27]
	s_nop 1
	v_div_fmas_f64 v[22:23], v[22:23], v[24:25], v[28:29]
	v_div_fixup_f64 v[18:19], v[22:23], v[20:21], v[18:19]
.LBB42_14:
	s_or_b64 exec, exec, s[24:25]
                                        ; implicit-def: $vgpr20_vgpr21
.LBB42_15:
	s_andn2_saveexec_b64 s[22:23], s[22:23]
; %bb.16:
	v_add_f64 v[18:19], v[14:15], -v[20:21]
; %bb.17:
	s_or_b64 exec, exec, s[22:23]
	v_mul_f64 v[18:19], v[18:19], 0.5
	v_fmac_f64_e32 v[18:19], 0.5, v[6:7]
	v_add_f64 v[6:7], v[8:9], 1.0
	s_mov_b32 s22, 0
	v_mul_f64 v[6:7], v[6:7], v[18:19]
	s_brev_b32 s23, 8
	v_cmp_gt_f64_e32 vcc, s[22:23], v[6:7]
	v_cndmask_b32_e64 v20, 0, 1, vcc
	v_lshlrev_b32_e32 v20, 8, v20
	v_ldexp_f64 v[6:7], v[6:7], v20
	v_rsq_f64_e32 v[20:21], v[6:7]
	s_mov_b32 s22, 0x55555555
	s_mov_b32 s23, 0x3fe55555
	v_mul_f64 v[22:23], v[6:7], v[20:21]
	v_mul_f64 v[20:21], v[20:21], 0.5
	v_fma_f64 v[24:25], -v[20:21], v[22:23], 0.5
	v_fmac_f64_e32 v[22:23], v[22:23], v[24:25]
	v_fma_f64 v[26:27], -v[22:23], v[22:23], v[6:7]
	v_fmac_f64_e32 v[20:21], v[20:21], v[24:25]
	v_fmac_f64_e32 v[22:23], v[26:27], v[20:21]
	v_fma_f64 v[24:25], -v[22:23], v[22:23], v[6:7]
	v_fmac_f64_e32 v[22:23], v[24:25], v[20:21]
	v_mov_b32_e32 v20, 0xffffff80
	v_cndmask_b32_e32 v20, 0, v20, vcc
	v_ldexp_f64 v[20:21], v[22:23], v20
	v_mov_b32_e32 v22, 0x260
	v_cmp_class_f64_e32 vcc, v[6:7], v22
	v_cndmask_b32_e32 v7, v21, v7, vcc
	v_cndmask_b32_e32 v6, v20, v6, vcc
	v_add_f64 v[18:19], v[18:19], v[6:7]
	v_add_f64 v[6:7], v[18:19], 1.0
	v_add_f64 v[20:21], v[6:7], -1.0
	v_add_f64 v[22:23], v[20:21], -v[6:7]
	v_add_f64 v[22:23], v[22:23], 1.0
	v_add_f64 v[20:21], v[18:19], -v[20:21]
	v_add_f64 v[20:21], v[20:21], v[22:23]
	v_frexp_mant_f64_e32 v[22:23], v[6:7]
	v_frexp_exp_i32_f64_e32 v24, v[6:7]
	v_cmp_gt_f64_e32 vcc, s[22:23], v[22:23]
	v_subbrev_co_u32_e32 v38, vcc, 0, v24, vcc
	v_sub_u32_e32 v22, 0, v38
	v_ldexp_f64 v[6:7], v[6:7], v22
	v_ldexp_f64 v[20:21], v[20:21], v22
	v_add_f64 v[22:23], v[6:7], -1.0
	v_add_f64 v[28:29], v[6:7], 1.0
	v_add_f64 v[24:25], v[22:23], 1.0
	v_add_f64 v[30:31], v[28:29], -1.0
	v_add_f64 v[24:25], v[6:7], -v[24:25]
	v_add_f64 v[6:7], v[6:7], -v[30:31]
	v_add_f64 v[6:7], v[20:21], v[6:7]
	v_add_f64 v[24:25], v[20:21], v[24:25]
	;; [unrolled: 1-line block ×3, first 2 shown]
	v_rcp_f64_e32 v[30:31], v[20:21]
	v_add_f64 v[26:27], v[22:23], v[24:25]
	v_add_f64 v[22:23], v[26:27], -v[22:23]
	v_add_f64 v[22:23], v[24:25], -v[22:23]
	;; [unrolled: 1-line block ×4, first 2 shown]
	v_fma_f64 v[24:25], -v[20:21], v[30:31], 1.0
	v_fmac_f64_e32 v[30:31], v[24:25], v[30:31]
	v_fma_f64 v[24:25], -v[20:21], v[30:31], 1.0
	v_fmac_f64_e32 v[30:31], v[24:25], v[30:31]
	v_mul_f64 v[24:25], v[26:27], v[30:31]
	v_mul_f64 v[28:29], v[20:21], v[24:25]
	v_fma_f64 v[32:33], v[24:25], v[20:21], -v[28:29]
	v_fmac_f64_e32 v[32:33], v[24:25], v[6:7]
	v_add_f64 v[34:35], v[28:29], v[32:33]
	v_add_f64 v[36:37], v[26:27], -v[34:35]
	v_add_f64 v[26:27], v[26:27], -v[36:37]
	;; [unrolled: 1-line block ×4, first 2 shown]
	v_add_f64 v[22:23], v[22:23], v[26:27]
	v_add_f64 v[26:27], v[28:29], -v[32:33]
	v_add_f64 v[22:23], v[26:27], v[22:23]
	v_add_f64 v[26:27], v[36:37], v[22:23]
	v_add_f64 v[28:29], v[36:37], -v[26:27]
	v_add_f64 v[22:23], v[22:23], v[28:29]
	v_mul_f64 v[28:29], v[30:31], v[26:27]
	v_mul_f64 v[32:33], v[20:21], v[28:29]
	v_fma_f64 v[20:21], v[28:29], v[20:21], -v[32:33]
	v_fmac_f64_e32 v[20:21], v[28:29], v[6:7]
	v_add_f64 v[6:7], v[32:33], v[20:21]
	v_add_f64 v[34:35], v[26:27], -v[6:7]
	v_add_f64 v[26:27], v[26:27], -v[34:35]
	;; [unrolled: 1-line block ×4, first 2 shown]
	v_add_f64 v[6:7], v[22:23], v[6:7]
	v_add_f64 v[20:21], v[32:33], -v[20:21]
	v_add_f64 v[6:7], v[20:21], v[6:7]
	v_add_f64 v[20:21], v[24:25], v[28:29]
	;; [unrolled: 1-line block ×3, first 2 shown]
	v_add_f64 v[22:23], v[20:21], -v[24:25]
	v_mul_f64 v[6:7], v[30:31], v[6:7]
	v_add_f64 v[22:23], v[28:29], -v[22:23]
	v_add_f64 v[6:7], v[22:23], v[6:7]
	v_add_f64 v[22:23], v[20:21], v[6:7]
	v_add_f64 v[20:21], v[22:23], -v[20:21]
	s_mov_b32 s22, 0xbf559e2b
	v_add_f64 v[6:7], v[6:7], -v[20:21]
	v_mul_f64 v[20:21], v[22:23], v[22:23]
	v_mov_b32_e32 v24, 0x6b47b09a
	v_mov_b32_e32 v25, 0x3fc38538
	s_mov_b32 s23, 0x3fc3ab76
	v_fmac_f64_e32 v[24:25], s[22:23], v[20:21]
	v_mov_b32_e32 v26, 0xd7f4df2e
	v_mov_b32_e32 v27, 0x3fc7474d
	v_fmac_f64_e32 v[26:27], v[20:21], v[24:25]
	v_mov_b32_e32 v24, 0x16291751
	v_mov_b32_e32 v25, 0x3fcc71c0
	v_fmac_f64_e32 v[24:25], v[20:21], v[26:27]
	v_mov_b32_e32 v26, 0x9b27acf1
	v_mov_b32_e32 v27, 0x3fd24924
	v_fmac_f64_e32 v[26:27], v[20:21], v[24:25]
	v_mov_b32_e32 v24, 0x998ef7b6
	v_mov_b32_e32 v25, 0x3fd99999
	v_fmac_f64_e32 v[24:25], v[20:21], v[26:27]
	v_mov_b32_e32 v26, 0x55555780
	v_mov_b32_e32 v27, 0x3fe55555
	s_mov_b32 s22, 0xfefa39ef
	v_fmac_f64_e32 v[26:27], v[20:21], v[24:25]
	v_cvt_f64_i32_e32 v[24:25], v38
	s_mov_b32 s23, 0x3fe62e42
	v_mul_f64 v[28:29], v[24:25], s[22:23]
	v_fma_f64 v[30:31], v[24:25], s[22:23], -v[28:29]
	s_mov_b32 s22, 0x3b39803f
	s_mov_b32 s23, 0x3c7abc9e
	v_fmac_f64_e32 v[30:31], s[22:23], v[24:25]
	v_add_f64 v[24:25], v[28:29], v[30:31]
	v_add_f64 v[28:29], v[24:25], -v[28:29]
	v_mul_f64 v[20:21], v[22:23], v[20:21]
	v_add_f64 v[28:29], v[30:31], -v[28:29]
	v_ldexp_f64 v[30:31], v[22:23], 1
	v_mul_f64 v[20:21], v[20:21], v[26:27]
	v_add_f64 v[22:23], v[30:31], v[20:21]
	v_add_f64 v[26:27], v[22:23], -v[30:31]
	v_ldexp_f64 v[6:7], v[6:7], 1
	v_add_f64 v[20:21], v[20:21], -v[26:27]
	v_add_f64 v[6:7], v[6:7], v[20:21]
	v_add_f64 v[20:21], v[22:23], v[6:7]
	v_add_f64 v[22:23], v[20:21], -v[22:23]
	v_add_f64 v[6:7], v[6:7], -v[22:23]
	v_add_f64 v[22:23], v[24:25], v[20:21]
	v_add_f64 v[26:27], v[22:23], -v[24:25]
	v_add_f64 v[30:31], v[22:23], -v[26:27]
	;; [unrolled: 1-line block ×4, first 2 shown]
	v_add_f64 v[20:21], v[20:21], v[24:25]
	v_add_f64 v[24:25], v[28:29], v[6:7]
	v_add_f64 v[26:27], v[24:25], -v[28:29]
	v_add_f64 v[20:21], v[24:25], v[20:21]
	v_add_f64 v[30:31], v[24:25], -v[26:27]
	;; [unrolled: 2-line block ×3, first 2 shown]
	v_add_f64 v[6:7], v[6:7], -v[26:27]
	v_add_f64 v[22:23], v[24:25], -v[22:23]
	v_add_f64 v[6:7], v[6:7], v[28:29]
	v_add_f64 v[20:21], v[20:21], -v[22:23]
	s_mov_b32 s22, 0
	v_add_f64 v[6:7], v[6:7], v[20:21]
	s_mov_b32 s23, 0x7ff00000
	v_add_f64 v[6:7], v[24:25], v[6:7]
	v_cmp_eq_f64_e32 vcc, s[22:23], v[18:19]
	v_cndmask_b32_e32 v6, v6, v18, vcc
	v_cndmask_b32_e32 v7, v7, v19, vcc
	v_mov_b32_e32 v20, 0x7ff80000
	v_cmp_ngt_f64_e32 vcc, -1.0, v[18:19]
	v_cndmask_b32_e32 v7, v20, v7, vcc
	v_cmp_nge_f64_e32 vcc, -1.0, v[18:19]
	v_cndmask_b32_e32 v6, 0, v6, vcc
	v_mov_b32_e32 v20, 0xfff00000
	v_cmp_neq_f64_e32 vcc, -1.0, v[18:19]
	v_cndmask_b32_e32 v7, v20, v7, vcc
.LBB42_18:
	s_andn2_saveexec_b64 s[20:21], s[20:21]
	s_cbranch_execz .LBB42_24
; %bb.19:
	v_cmp_nlt_f64_e64 s[22:23], |v[0:1]|, 1.0
                                        ; implicit-def: $vgpr6_vgpr7
	s_and_saveexec_b64 s[24:25], s[22:23]
	s_xor_b64 s[22:23], exec, s[24:25]
	s_cbranch_execz .LBB42_21
; %bb.20:
	s_mov_b32 s24, 0
	v_mul_f64 v[6:7], v[4:5], v[10:11]
	s_brev_b32 s25, 8
	v_cmp_gt_f64_e32 vcc, s[24:25], v[6:7]
	v_cndmask_b32_e64 v18, 0, 1, vcc
	v_lshlrev_b32_e32 v18, 8, v18
	v_ldexp_f64 v[6:7], v[6:7], v18
	v_rsq_f64_e32 v[18:19], v[6:7]
	s_mov_b32 s24, 0x55555555
	s_mov_b32 s25, 0x3fe55555
	v_mul_f64 v[20:21], v[6:7], v[18:19]
	v_mul_f64 v[18:19], v[18:19], 0.5
	v_fma_f64 v[22:23], -v[18:19], v[20:21], 0.5
	v_fmac_f64_e32 v[20:21], v[20:21], v[22:23]
	v_fma_f64 v[24:25], -v[20:21], v[20:21], v[6:7]
	v_fmac_f64_e32 v[18:19], v[18:19], v[22:23]
	v_fmac_f64_e32 v[20:21], v[24:25], v[18:19]
	v_fma_f64 v[22:23], -v[20:21], v[20:21], v[6:7]
	v_fmac_f64_e32 v[20:21], v[22:23], v[18:19]
	v_mov_b32_e32 v18, 0xffffff80
	v_cndmask_b32_e32 v18, 0, v18, vcc
	v_ldexp_f64 v[18:19], v[20:21], v18
	v_mov_b32_e32 v20, 0x260
	v_cmp_class_f64_e32 vcc, v[6:7], v20
	v_cndmask_b32_e32 v7, v19, v7, vcc
	v_cndmask_b32_e32 v6, v18, v6, vcc
	v_add_f64 v[18:19], v[4:5], v[6:7]
	v_add_f64 v[6:7], v[18:19], 1.0
	v_add_f64 v[20:21], v[6:7], -1.0
	v_add_f64 v[22:23], v[20:21], -v[6:7]
	v_add_f64 v[22:23], v[22:23], 1.0
	v_add_f64 v[20:21], v[18:19], -v[20:21]
	v_add_f64 v[20:21], v[20:21], v[22:23]
	v_frexp_mant_f64_e32 v[22:23], v[6:7]
	v_frexp_exp_i32_f64_e32 v24, v[6:7]
	v_cmp_gt_f64_e32 vcc, s[24:25], v[22:23]
	v_subbrev_co_u32_e32 v38, vcc, 0, v24, vcc
	v_sub_u32_e32 v22, 0, v38
	v_ldexp_f64 v[6:7], v[6:7], v22
	v_ldexp_f64 v[20:21], v[20:21], v22
	v_add_f64 v[22:23], v[6:7], -1.0
	v_add_f64 v[28:29], v[6:7], 1.0
	v_add_f64 v[24:25], v[22:23], 1.0
	v_add_f64 v[30:31], v[28:29], -1.0
	v_add_f64 v[24:25], v[6:7], -v[24:25]
	v_add_f64 v[6:7], v[6:7], -v[30:31]
	v_add_f64 v[6:7], v[20:21], v[6:7]
	v_add_f64 v[24:25], v[20:21], v[24:25]
	;; [unrolled: 1-line block ×3, first 2 shown]
	v_rcp_f64_e32 v[30:31], v[20:21]
	v_add_f64 v[26:27], v[22:23], v[24:25]
	v_add_f64 v[22:23], v[26:27], -v[22:23]
	v_add_f64 v[22:23], v[24:25], -v[22:23]
	;; [unrolled: 1-line block ×4, first 2 shown]
	v_fma_f64 v[24:25], -v[20:21], v[30:31], 1.0
	v_fmac_f64_e32 v[30:31], v[24:25], v[30:31]
	v_fma_f64 v[24:25], -v[20:21], v[30:31], 1.0
	v_fmac_f64_e32 v[30:31], v[24:25], v[30:31]
	v_mul_f64 v[24:25], v[26:27], v[30:31]
	v_mul_f64 v[28:29], v[20:21], v[24:25]
	v_fma_f64 v[32:33], v[24:25], v[20:21], -v[28:29]
	v_fmac_f64_e32 v[32:33], v[24:25], v[6:7]
	v_add_f64 v[34:35], v[28:29], v[32:33]
	v_add_f64 v[36:37], v[26:27], -v[34:35]
	v_add_f64 v[26:27], v[26:27], -v[36:37]
	;; [unrolled: 1-line block ×4, first 2 shown]
	v_add_f64 v[22:23], v[22:23], v[26:27]
	v_add_f64 v[26:27], v[28:29], -v[32:33]
	v_add_f64 v[22:23], v[26:27], v[22:23]
	v_add_f64 v[26:27], v[36:37], v[22:23]
	v_add_f64 v[28:29], v[36:37], -v[26:27]
	v_add_f64 v[22:23], v[22:23], v[28:29]
	v_mul_f64 v[28:29], v[30:31], v[26:27]
	v_mul_f64 v[32:33], v[20:21], v[28:29]
	v_fma_f64 v[20:21], v[28:29], v[20:21], -v[32:33]
	v_fmac_f64_e32 v[20:21], v[28:29], v[6:7]
	v_add_f64 v[6:7], v[32:33], v[20:21]
	v_add_f64 v[34:35], v[26:27], -v[6:7]
	v_add_f64 v[26:27], v[26:27], -v[34:35]
	;; [unrolled: 1-line block ×4, first 2 shown]
	v_add_f64 v[6:7], v[22:23], v[6:7]
	v_add_f64 v[20:21], v[32:33], -v[20:21]
	v_add_f64 v[6:7], v[20:21], v[6:7]
	v_add_f64 v[20:21], v[24:25], v[28:29]
	;; [unrolled: 1-line block ×3, first 2 shown]
	v_add_f64 v[22:23], v[20:21], -v[24:25]
	v_mul_f64 v[6:7], v[30:31], v[6:7]
	v_add_f64 v[22:23], v[28:29], -v[22:23]
	v_add_f64 v[6:7], v[22:23], v[6:7]
	v_add_f64 v[22:23], v[20:21], v[6:7]
	v_add_f64 v[20:21], v[22:23], -v[20:21]
	s_mov_b32 s24, 0xbf559e2b
	v_add_f64 v[6:7], v[6:7], -v[20:21]
	v_mul_f64 v[20:21], v[22:23], v[22:23]
	v_mov_b32_e32 v24, 0x6b47b09a
	v_mov_b32_e32 v25, 0x3fc38538
	s_mov_b32 s25, 0x3fc3ab76
	v_fmac_f64_e32 v[24:25], s[24:25], v[20:21]
	v_mov_b32_e32 v26, 0xd7f4df2e
	v_mov_b32_e32 v27, 0x3fc7474d
	v_fmac_f64_e32 v[26:27], v[20:21], v[24:25]
	v_mov_b32_e32 v24, 0x16291751
	v_mov_b32_e32 v25, 0x3fcc71c0
	;; [unrolled: 3-line block ×5, first 2 shown]
	s_mov_b32 s24, 0xfefa39ef
	v_fmac_f64_e32 v[26:27], v[20:21], v[24:25]
	v_cvt_f64_i32_e32 v[24:25], v38
	s_mov_b32 s25, 0x3fe62e42
	v_mul_f64 v[28:29], v[24:25], s[24:25]
	v_fma_f64 v[30:31], v[24:25], s[24:25], -v[28:29]
	s_mov_b32 s24, 0x3b39803f
	s_mov_b32 s25, 0x3c7abc9e
	v_fmac_f64_e32 v[30:31], s[24:25], v[24:25]
	v_add_f64 v[24:25], v[28:29], v[30:31]
	v_add_f64 v[28:29], v[24:25], -v[28:29]
	v_mul_f64 v[20:21], v[22:23], v[20:21]
	v_add_f64 v[28:29], v[30:31], -v[28:29]
	v_ldexp_f64 v[30:31], v[22:23], 1
	v_mul_f64 v[20:21], v[20:21], v[26:27]
	v_add_f64 v[22:23], v[30:31], v[20:21]
	v_add_f64 v[26:27], v[22:23], -v[30:31]
	v_ldexp_f64 v[6:7], v[6:7], 1
	v_add_f64 v[20:21], v[20:21], -v[26:27]
	v_add_f64 v[6:7], v[6:7], v[20:21]
	v_add_f64 v[20:21], v[22:23], v[6:7]
	v_add_f64 v[22:23], v[20:21], -v[22:23]
	v_add_f64 v[6:7], v[6:7], -v[22:23]
	v_add_f64 v[22:23], v[24:25], v[20:21]
	v_add_f64 v[26:27], v[22:23], -v[24:25]
	v_add_f64 v[30:31], v[22:23], -v[26:27]
	;; [unrolled: 1-line block ×4, first 2 shown]
	v_add_f64 v[20:21], v[20:21], v[24:25]
	v_add_f64 v[24:25], v[28:29], v[6:7]
	v_add_f64 v[26:27], v[24:25], -v[28:29]
	v_add_f64 v[20:21], v[24:25], v[20:21]
	v_add_f64 v[30:31], v[24:25], -v[26:27]
	;; [unrolled: 2-line block ×3, first 2 shown]
	v_add_f64 v[6:7], v[6:7], -v[26:27]
	v_add_f64 v[22:23], v[24:25], -v[22:23]
	v_add_f64 v[6:7], v[6:7], v[28:29]
	v_add_f64 v[20:21], v[20:21], -v[22:23]
	s_mov_b32 s24, 0
	v_add_f64 v[6:7], v[6:7], v[20:21]
	s_mov_b32 s25, 0x7ff00000
	v_add_f64 v[6:7], v[24:25], v[6:7]
	v_cmp_eq_f64_e32 vcc, s[24:25], v[18:19]
	v_cndmask_b32_e32 v6, v6, v18, vcc
	v_cndmask_b32_e32 v7, v7, v19, vcc
	v_mov_b32_e32 v20, 0x7ff80000
	v_cmp_ngt_f64_e32 vcc, -1.0, v[18:19]
	v_cndmask_b32_e32 v7, v20, v7, vcc
	v_cmp_nge_f64_e32 vcc, -1.0, v[18:19]
	v_cndmask_b32_e32 v6, 0, v6, vcc
	v_mov_b32_e32 v20, 0xfff00000
	v_cmp_neq_f64_e32 vcc, -1.0, v[18:19]
	v_cndmask_b32_e32 v7, v20, v7, vcc
.LBB42_21:
	s_andn2_saveexec_b64 s[22:23], s[22:23]
	s_cbranch_execz .LBB42_23
; %bb.22:
	v_add_f64 v[6:7], -|v[0:1]|, 1.0
	s_mov_b32 s24, 0
	v_mul_f64 v[6:7], v[6:7], v[10:11]
	s_brev_b32 s25, 8
	v_cmp_gt_f64_e32 vcc, s[24:25], v[6:7]
	v_cndmask_b32_e64 v18, 0, 1, vcc
	v_lshlrev_b32_e32 v18, 8, v18
	v_ldexp_f64 v[6:7], v[6:7], v18
	v_rsq_f64_e32 v[18:19], v[6:7]
	v_mul_f64 v[20:21], v[6:7], v[18:19]
	v_mul_f64 v[18:19], v[18:19], 0.5
	v_fma_f64 v[22:23], -v[18:19], v[20:21], 0.5
	v_fmac_f64_e32 v[20:21], v[20:21], v[22:23]
	v_fma_f64 v[24:25], -v[20:21], v[20:21], v[6:7]
	v_fmac_f64_e32 v[18:19], v[18:19], v[22:23]
	v_fmac_f64_e32 v[20:21], v[24:25], v[18:19]
	v_fma_f64 v[22:23], -v[20:21], v[20:21], v[6:7]
	v_fmac_f64_e32 v[20:21], v[22:23], v[18:19]
	v_mov_b32_e32 v18, 0xffffff80
	v_cndmask_b32_e32 v18, 0, v18, vcc
	v_ldexp_f64 v[18:19], v[20:21], v18
	v_mov_b32_e32 v20, 0x260
	v_cmp_class_f64_e32 vcc, v[6:7], v20
	v_cndmask_b32_e32 v7, v19, v7, vcc
	v_cndmask_b32_e32 v6, v18, v6, vcc
	v_and_b32_e32 v19, 0x7fffffff, v3
	v_mov_b32_e32 v18, v2
	v_div_scale_f64 v[20:21], s[24:25], v[6:7], v[6:7], v[18:19]
	v_rcp_f64_e32 v[22:23], v[20:21]
	v_div_scale_f64 v[18:19], vcc, v[18:19], v[6:7], v[18:19]
	v_fma_f64 v[24:25], -v[20:21], v[22:23], 1.0
	v_fmac_f64_e32 v[22:23], v[22:23], v[24:25]
	v_fma_f64 v[24:25], -v[20:21], v[22:23], 1.0
	v_fmac_f64_e32 v[22:23], v[22:23], v[24:25]
	v_mul_f64 v[24:25], v[18:19], v[22:23]
	v_fma_f64 v[18:19], -v[20:21], v[24:25], v[18:19]
	v_div_fmas_f64 v[18:19], v[18:19], v[22:23], v[24:25]
	v_div_fixup_f64 v[6:7], v[18:19], v[6:7], |v[2:3]|
.LBB42_23:
	s_or_b64 exec, exec, s[22:23]
.LBB42_24:
	s_or_b64 exec, exec, s[20:21]
.LBB42_25:
	s_andn2_saveexec_b64 s[8:9], s[8:9]
	s_cbranch_execz .LBB42_27
; %bb.26:
	s_mov_b32 s20, 0
	s_brev_b32 s21, 8
	v_cmp_lt_f64_e64 vcc, |v[2:3]|, s[20:21]
	v_cndmask_b32_e64 v6, 0, 1, vcc
	v_lshlrev_b32_e32 v6, 8, v6
	v_ldexp_f64 v[6:7], |v[2:3]|, v6
	v_rsq_f64_e32 v[18:19], v[6:7]
	v_mul_f64 v[20:21], v[6:7], v[18:19]
	v_mul_f64 v[18:19], v[18:19], 0.5
	v_fma_f64 v[22:23], -v[18:19], v[20:21], 0.5
	v_fmac_f64_e32 v[20:21], v[20:21], v[22:23]
	v_fma_f64 v[24:25], -v[20:21], v[20:21], v[6:7]
	v_fmac_f64_e32 v[18:19], v[18:19], v[22:23]
	v_fmac_f64_e32 v[20:21], v[24:25], v[18:19]
	v_fma_f64 v[22:23], -v[20:21], v[20:21], v[6:7]
	v_fmac_f64_e32 v[20:21], v[22:23], v[18:19]
	v_mov_b32_e32 v18, 0xffffff80
	v_cndmask_b32_e32 v18, 0, v18, vcc
	v_ldexp_f64 v[18:19], v[20:21], v18
	v_mov_b32_e32 v20, 0x260
	v_cmp_class_f64_e32 vcc, v[6:7], v20
	v_cndmask_b32_e32 v7, v19, v7, vcc
	v_cndmask_b32_e32 v6, v18, v6, vcc
.LBB42_27:
	s_or_b64 exec, exec, s[8:9]
.LBB42_28:
	s_or_b64 exec, exec, s[6:7]
	s_mov_b32 s6, 0
	s_mov_b32 s7, 0x20200000
	v_cmp_nlt_f64_e64 s[8:9], |v[0:1]|, s[6:7]
                                        ; implicit-def: $sgpr6_sgpr7
                                        ; implicit-def: $vgpr18_vgpr19
                                        ; implicit-def: $vgpr22_vgpr23
                                        ; implicit-def: $vgpr20_vgpr21
	s_and_saveexec_b64 s[20:21], s[8:9]
	s_xor_b64 s[8:9], exec, s[20:21]
	s_cbranch_execz .LBB42_52
; %bb.29:
	v_and_b32_e32 v21, 0x7fffffff, v1
	v_mov_b32_e32 v20, v0
	v_div_scale_f64 v[18:19], s[6:7], v[8:9], v[8:9], v[20:21]
	v_rcp_f64_e32 v[22:23], v[18:19]
	s_mov_b32 s6, 0x703afb7f
	s_mov_b32 s7, 0x3fe488ce
	v_fma_f64 v[24:25], -v[18:19], v[22:23], 1.0
	v_fmac_f64_e32 v[22:23], v[22:23], v[24:25]
	v_fma_f64 v[24:25], -v[18:19], v[22:23], 1.0
	v_fmac_f64_e32 v[22:23], v[22:23], v[24:25]
	v_div_scale_f64 v[24:25], vcc, v[20:21], v[8:9], v[20:21]
	v_mul_f64 v[26:27], v[24:25], v[22:23]
	v_fma_f64 v[18:19], -v[18:19], v[26:27], v[24:25]
	s_nop 1
	v_div_fmas_f64 v[18:19], v[18:19], v[22:23], v[26:27]
	v_div_fixup_f64 v[18:19], v[18:19], v[8:9], |v[0:1]|
	v_cmp_lt_f64_e32 vcc, s[6:7], v[18:19]
	s_mov_b64 s[6:7], 0
                                        ; implicit-def: $vgpr22_vgpr23
	s_and_saveexec_b64 s[20:21], vcc
	s_cbranch_execz .LBB42_51
; %bb.30:
	s_mov_b32 s22, 0
	s_mov_b32 s23, 0x3c400000
	v_cmp_neq_f64_e64 s[6:7], |v[0:1]|, 1.0
	v_cmp_nlt_f64_e64 s[22:23], |v[2:3]|, s[22:23]
	s_or_b64 s[6:7], s[6:7], s[22:23]
                                        ; implicit-def: $sgpr22_sgpr23
                                        ; implicit-def: $vgpr22_vgpr23
	s_and_saveexec_b64 s[24:25], s[6:7]
	s_xor_b64 s[6:7], exec, s[24:25]
	s_cbranch_execz .LBB42_48
; %bb.31:
	s_movk_i32 s22, 0xffcc
	v_ldexp_f64 v[22:23], |v[4:5]|, s22
	v_cmp_le_f64_e64 s[24:25], v[22:23], |v[2:3]|
                                        ; implicit-def: $vgpr22_vgpr23
                                        ; implicit-def: $sgpr22_sgpr23
	s_and_saveexec_b64 s[26:27], s[24:25]
	s_xor_b64 s[24:25], exec, s[26:27]
	s_cbranch_execz .LBB42_41
; %bb.32:
	v_cmp_neq_f64_e32 vcc, 0, v[10:11]
	v_pk_mov_b32 v[22:23], v[12:13], v[12:13] op_sel:[0,1]
	s_and_saveexec_b64 s[22:23], vcc
	s_cbranch_execz .LBB42_34
; %bb.33:
	v_mul_f64 v[22:23], v[2:3], v[2:3]
	v_add_f64 v[10:11], v[10:11], v[16:17]
	v_div_scale_f64 v[16:17], s[26:27], v[10:11], v[10:11], v[22:23]
	v_rcp_f64_e32 v[24:25], v[16:17]
	v_fma_f64 v[26:27], -v[16:17], v[24:25], 1.0
	v_fmac_f64_e32 v[24:25], v[24:25], v[26:27]
	v_fma_f64 v[26:27], -v[16:17], v[24:25], 1.0
	v_fmac_f64_e32 v[24:25], v[24:25], v[26:27]
	v_div_scale_f64 v[26:27], vcc, v[22:23], v[10:11], v[22:23]
	v_mul_f64 v[28:29], v[26:27], v[24:25]
	v_fma_f64 v[16:17], -v[16:17], v[28:29], v[26:27]
	s_nop 1
	v_div_fmas_f64 v[16:17], v[16:17], v[24:25], v[28:29]
	v_div_fixup_f64 v[22:23], v[16:17], v[10:11], v[22:23]
.LBB42_34:
	s_or_b64 exec, exec, s[22:23]
	v_cmp_ngt_f64_e32 vcc, 0, v[4:5]
	s_and_saveexec_b64 s[22:23], vcc
	s_xor_b64 s[22:23], exec, s[22:23]
	s_cbranch_execz .LBB42_38
; %bb.35:
	v_cmp_neq_f64_e32 vcc, 0, v[4:5]
	s_and_saveexec_b64 s[26:27], vcc
	s_cbranch_execz .LBB42_37
; %bb.36:
	v_mul_f64 v[2:3], v[2:3], v[2:3]
	v_add_f64 v[4:5], v[4:5], v[14:15]
	v_div_scale_f64 v[10:11], s[28:29], v[4:5], v[4:5], v[2:3]
	v_rcp_f64_e32 v[12:13], v[10:11]
	v_fma_f64 v[14:15], -v[10:11], v[12:13], 1.0
	v_fmac_f64_e32 v[12:13], v[12:13], v[14:15]
	v_fma_f64 v[14:15], -v[10:11], v[12:13], 1.0
	v_fmac_f64_e32 v[12:13], v[12:13], v[14:15]
	v_div_scale_f64 v[14:15], vcc, v[2:3], v[4:5], v[2:3]
	v_mul_f64 v[16:17], v[14:15], v[12:13]
	v_fma_f64 v[10:11], -v[10:11], v[16:17], v[14:15]
	s_nop 1
	v_div_fmas_f64 v[10:11], v[10:11], v[12:13], v[16:17]
	v_div_fixup_f64 v[12:13], v[10:11], v[4:5], v[2:3]
.LBB42_37:
	s_or_b64 exec, exec, s[26:27]
                                        ; implicit-def: $vgpr14_vgpr15
                                        ; implicit-def: $vgpr4_vgpr5
.LBB42_38:
	s_andn2_saveexec_b64 s[22:23], s[22:23]
; %bb.39:
	v_add_f64 v[12:13], v[14:15], -v[4:5]
; %bb.40:
	s_or_b64 exec, exec, s[22:23]
	v_mul_f64 v[2:3], v[12:13], 0.5
	v_fmac_f64_e32 v[2:3], 0.5, v[22:23]
	v_add_f64 v[4:5], |v[0:1]|, v[8:9]
	s_mov_b32 s22, 0
	v_mul_f64 v[2:3], v[4:5], v[2:3]
	s_brev_b32 s23, 8
	v_cmp_gt_f64_e32 vcc, s[22:23], v[2:3]
	v_cndmask_b32_e64 v4, 0, 1, vcc
	v_lshlrev_b32_e32 v4, 8, v4
	v_ldexp_f64 v[2:3], v[2:3], v4
	v_rsq_f64_e32 v[4:5], v[2:3]
	s_mov_b64 s[22:23], -1
	v_mul_f64 v[8:9], v[2:3], v[4:5]
	v_mul_f64 v[4:5], v[4:5], 0.5
	v_fma_f64 v[10:11], -v[4:5], v[8:9], 0.5
	v_fmac_f64_e32 v[8:9], v[8:9], v[10:11]
	v_fma_f64 v[12:13], -v[8:9], v[8:9], v[2:3]
	v_fmac_f64_e32 v[4:5], v[4:5], v[10:11]
	v_fmac_f64_e32 v[8:9], v[12:13], v[4:5]
	v_fma_f64 v[10:11], -v[8:9], v[8:9], v[2:3]
	v_fmac_f64_e32 v[8:9], v[10:11], v[4:5]
	v_mov_b32_e32 v4, 0xffffff80
	v_cndmask_b32_e32 v4, 0, v4, vcc
	v_ldexp_f64 v[4:5], v[8:9], v4
	v_mov_b32_e32 v8, 0x260
	v_cmp_class_f64_e32 vcc, v[2:3], v8
	v_cndmask_b32_e32 v23, v5, v3, vcc
	v_cndmask_b32_e32 v22, v4, v2, vcc
                                        ; implicit-def: $vgpr2_vgpr3
                                        ; implicit-def: $vgpr10_vgpr11
                                        ; implicit-def: $vgpr4_vgpr5
.LBB42_41:
	s_andn2_saveexec_b64 s[24:25], s[24:25]
	s_cbranch_execz .LBB42_47
; %bb.42:
	v_cmp_ngt_f64_e64 s[28:29], |v[0:1]|, 1.0
                                        ; implicit-def: $vgpr22_vgpr23
                                        ; implicit-def: $sgpr26_sgpr27
	s_and_saveexec_b64 vcc, s[28:29]
	s_xor_b64 s[28:29], exec, vcc
	s_cbranch_execz .LBB42_44
; %bb.43:
	v_add_f64 v[2:3], -|v[0:1]|, 1.0
	s_mov_b32 s26, 0
	v_mul_f64 v[2:3], v[2:3], v[10:11]
	s_brev_b32 s27, 8
	v_cmp_gt_f64_e32 vcc, s[26:27], v[2:3]
	v_cndmask_b32_e64 v4, 0, 1, vcc
	v_lshlrev_b32_e32 v4, 8, v4
	v_ldexp_f64 v[2:3], v[2:3], v4
	v_rsq_f64_e32 v[4:5], v[2:3]
	s_mov_b64 s[26:27], -1
	v_mul_f64 v[8:9], v[2:3], v[4:5]
	v_mul_f64 v[4:5], v[4:5], 0.5
	v_fma_f64 v[10:11], -v[4:5], v[8:9], 0.5
	v_fmac_f64_e32 v[8:9], v[8:9], v[10:11]
	v_fma_f64 v[12:13], -v[8:9], v[8:9], v[2:3]
	v_fmac_f64_e32 v[4:5], v[4:5], v[10:11]
	v_fmac_f64_e32 v[8:9], v[12:13], v[4:5]
	v_fma_f64 v[10:11], -v[8:9], v[8:9], v[2:3]
	v_fmac_f64_e32 v[8:9], v[10:11], v[4:5]
	v_mov_b32_e32 v4, 0xffffff80
	v_cndmask_b32_e32 v4, 0, v4, vcc
	v_ldexp_f64 v[4:5], v[8:9], v4
	v_mov_b32_e32 v8, 0x260
	v_cmp_class_f64_e32 vcc, v[2:3], v8
	v_cndmask_b32_e32 v23, v5, v3, vcc
	v_cndmask_b32_e32 v22, v4, v2, vcc
                                        ; implicit-def: $vgpr2_vgpr3
                                        ; implicit-def: $vgpr10_vgpr11
                                        ; implicit-def: $vgpr4_vgpr5
.LBB42_44:
	s_andn2_saveexec_b64 s[28:29], s[28:29]
	s_cbranch_execz .LBB42_46
; %bb.45:
	s_mov_b32 vcc_lo, 0
	v_mul_f64 v[4:5], v[10:11], v[4:5]
	s_brev_b32 vcc_hi, 8
	v_cmp_gt_f64_e32 vcc, vcc, v[4:5]
	v_cndmask_b32_e64 v8, 0, 1, vcc
	v_lshlrev_b32_e32 v8, 8, v8
	v_ldexp_f64 v[4:5], v[4:5], v8
	v_rsq_f64_e32 v[8:9], v[4:5]
	s_movk_i32 s30, 0x6a
	v_ldexp_f64 v[2:3], |v[2:3]|, s30
	v_mul_f64 v[2:3], |v[0:1]|, v[2:3]
	v_mul_f64 v[10:11], v[4:5], v[8:9]
	v_mul_f64 v[8:9], v[8:9], 0.5
	v_fma_f64 v[12:13], -v[8:9], v[10:11], 0.5
	v_fmac_f64_e32 v[10:11], v[10:11], v[12:13]
	v_fma_f64 v[14:15], -v[10:11], v[10:11], v[4:5]
	v_fmac_f64_e32 v[8:9], v[8:9], v[12:13]
	v_fmac_f64_e32 v[10:11], v[14:15], v[8:9]
	v_fma_f64 v[12:13], -v[10:11], v[10:11], v[4:5]
	v_fmac_f64_e32 v[10:11], v[12:13], v[8:9]
	v_mov_b32_e32 v8, 0xffffff80
	v_cndmask_b32_e32 v8, 0, v8, vcc
	v_ldexp_f64 v[8:9], v[10:11], v8
	v_mov_b32_e32 v10, 0x260
	v_cmp_class_f64_e32 vcc, v[4:5], v10
	v_cndmask_b32_e32 v5, v9, v5, vcc
	v_cndmask_b32_e32 v4, v8, v4, vcc
	v_div_scale_f64 v[8:9], vcc, v[4:5], v[4:5], v[2:3]
	v_rcp_f64_e32 v[10:11], v[8:9]
	v_ldexp_f64 v[20:21], |v[0:1]|, s30
	s_or_b64 s[26:27], s[26:27], exec
	v_fma_f64 v[12:13], -v[8:9], v[10:11], 1.0
	v_fmac_f64_e32 v[10:11], v[10:11], v[12:13]
	v_fma_f64 v[12:13], -v[8:9], v[10:11], 1.0
	v_fmac_f64_e32 v[10:11], v[10:11], v[12:13]
	v_div_scale_f64 v[12:13], vcc, v[2:3], v[4:5], v[2:3]
	v_mul_f64 v[14:15], v[12:13], v[10:11]
	v_fma_f64 v[8:9], -v[8:9], v[14:15], v[12:13]
	s_nop 1
	v_div_fmas_f64 v[8:9], v[8:9], v[10:11], v[14:15]
	v_div_fixup_f64 v[22:23], v[8:9], v[4:5], v[2:3]
.LBB42_46:
	s_or_b64 exec, exec, s[28:29]
	s_andn2_b64 s[22:23], s[22:23], exec
	s_and_b64 s[26:27], s[26:27], exec
	s_or_b64 s[22:23], s[22:23], s[26:27]
.LBB42_47:
	s_or_b64 exec, exec, s[24:25]
	s_and_b64 s[22:23], s[22:23], exec
                                        ; implicit-def: $vgpr2_vgpr3
                                        ; implicit-def: $vgpr8_vgpr9
.LBB42_48:
	s_andn2_saveexec_b64 s[24:25], s[6:7]
	s_cbranch_execz .LBB42_50
; %bb.49:
	s_mov_b32 s6, 0
	s_brev_b32 s7, 8
	v_cmp_lt_f64_e64 vcc, |v[2:3]|, s[6:7]
	v_cndmask_b32_e64 v4, 0, 1, vcc
	v_lshlrev_b32_e32 v4, 8, v4
	v_ldexp_f64 v[2:3], |v[2:3]|, v4
	v_rsq_f64_e32 v[4:5], v[2:3]
	v_add_f64 v[8:9], v[8:9], 1.0
	v_mov_b32_e32 v16, 0xffffff80
	v_mul_f64 v[8:9], v[8:9], 0.5
	v_mul_f64 v[10:11], v[2:3], v[4:5]
	v_mul_f64 v[4:5], v[4:5], 0.5
	v_fma_f64 v[12:13], -v[4:5], v[10:11], 0.5
	v_fmac_f64_e32 v[10:11], v[10:11], v[12:13]
	v_fma_f64 v[14:15], -v[10:11], v[10:11], v[2:3]
	v_fmac_f64_e32 v[4:5], v[4:5], v[12:13]
	v_fmac_f64_e32 v[10:11], v[14:15], v[4:5]
	v_fma_f64 v[12:13], -v[10:11], v[10:11], v[2:3]
	v_fmac_f64_e32 v[10:11], v[12:13], v[4:5]
	v_cndmask_b32_e32 v4, 0, v16, vcc
	v_cmp_gt_f64_e32 vcc, s[6:7], v[8:9]
	v_ldexp_f64 v[4:5], v[10:11], v4
	v_cndmask_b32_e64 v10, 0, 1, vcc
	v_lshlrev_b32_e32 v10, 8, v10
	v_ldexp_f64 v[8:9], v[8:9], v10
	v_rsq_f64_e32 v[10:11], v[8:9]
	v_mov_b32_e32 v17, 0x260
	v_cmp_class_f64_e64 s[6:7], v[2:3], v17
	v_cndmask_b32_e64 v3, v5, v3, s[6:7]
	v_cndmask_b32_e64 v2, v4, v2, s[6:7]
	v_mul_f64 v[4:5], v[8:9], v[10:11]
	v_mul_f64 v[10:11], v[10:11], 0.5
	v_fma_f64 v[12:13], -v[10:11], v[4:5], 0.5
	v_fmac_f64_e32 v[4:5], v[4:5], v[12:13]
	v_fma_f64 v[14:15], -v[4:5], v[4:5], v[8:9]
	v_fmac_f64_e32 v[10:11], v[10:11], v[12:13]
	v_fmac_f64_e32 v[4:5], v[14:15], v[10:11]
	v_fma_f64 v[12:13], -v[4:5], v[4:5], v[8:9]
	v_fmac_f64_e32 v[4:5], v[12:13], v[10:11]
	v_cndmask_b32_e32 v10, 0, v16, vcc
	v_ldexp_f64 v[4:5], v[4:5], v10
	v_cmp_class_f64_e32 vcc, v[8:9], v17
	v_cndmask_b32_e32 v5, v5, v9, vcc
	v_cndmask_b32_e32 v4, v4, v8, vcc
	v_mov_b32_e32 v20, 0
	v_mul_f64 v[22:23], v[2:3], v[4:5]
	v_mov_b32_e32 v21, 0x3ff00000
	s_or_b64 s[22:23], s[22:23], exec
.LBB42_50:
	s_or_b64 exec, exec, s[24:25]
	s_and_b64 s[6:7], s[22:23], exec
.LBB42_51:
	s_or_b64 exec, exec, s[20:21]
	s_and_b64 s[6:7], s[6:7], exec
                                        ; implicit-def: $vgpr8_vgpr9
.LBB42_52:
	s_andn2_saveexec_b64 s[8:9], s[8:9]
; %bb.53:
	v_ldexp_f64 v[22:23], v[8:9], 53
	v_ldexp_f64 v[20:21], |v[0:1]|, 53
	s_or_b64 s[6:7], s[6:7], exec
                                        ; implicit-def: $vgpr18_vgpr19
; %bb.54:
	s_or_b64 exec, exec, s[8:9]
	s_xor_b64 s[6:7], s[6:7], -1
	v_cmp_lt_i64_e32 vcc, -1, v[0:1]
                                        ; implicit-def: $vgpr4_vgpr5
	s_and_saveexec_b64 s[8:9], s[6:7]
	s_xor_b64 s[8:9], exec, s[8:9]
	s_cbranch_execz .LBB42_64
; %bb.55:
	v_mul_f64 v[2:3], v[18:19], v[18:19]
	v_fma_f64 v[0:1], |v[18:19]|, -0.5, 0.5
                                        ; implicit-def: $vgpr4_vgpr5
	s_and_saveexec_b64 s[6:7], vcc
	s_xor_b64 s[20:21], exec, s[6:7]
	s_cbranch_execz .LBB42_59
; %bb.56:
	v_cmp_ge_f64_e64 s[6:7], |v[18:19]|, 0.5
	s_mov_b32 s22, 0x9fea6a70
	v_cndmask_b32_e64 v3, v3, v1, s[6:7]
	v_cndmask_b32_e64 v2, v2, v0, s[6:7]
	v_mov_b32_e32 v4, 0x78a05eaf
	v_mov_b32_e32 v5, 0xbf90a5a3
	s_mov_b32 s23, 0x3fa05985
	v_fmac_f64_e32 v[4:5], s[22:23], v[2:3]
	v_mov_b32_e32 v8, 0x37024d6a
	v_mov_b32_e32 v9, 0x3f940521
	v_fmac_f64_e32 v[8:9], v[2:3], v[4:5]
	v_mov_b32_e32 v4, 0x98a70509
	v_mov_b32_e32 v5, 0x3f7ab3a0
	;; [unrolled: 3-line block ×10, first 2 shown]
	v_fmac_f64_e32 v[4:5], v[2:3], v[8:9]
	v_mul_f64 v[2:3], v[2:3], v[4:5]
	s_mov_b32 s22, 0x336a0500
	v_fma_f64 v[4:5], v[18:19], v[2:3], v[18:19]
	v_mov_b32_e32 v8, 0xeeb562d6
	v_mov_b32_e32 v9, 0x3ffaf154
	s_mov_b32 s23, 0x3fedd9ad
	v_fma_f64 v[4:5], s[22:23], v[8:9], -v[4:5]
	s_and_saveexec_b64 s[22:23], s[6:7]
	s_cbranch_execz .LBB42_58
; %bb.57:
	v_rsq_f64_e32 v[4:5], v[0:1]
	v_cmp_eq_f64_e64 s[6:7], 0, v[0:1]
	v_mul_f64 v[8:9], v[0:1], v[4:5]
	v_mul_f64 v[4:5], v[4:5], 0.5
	v_fma_f64 v[10:11], -v[4:5], v[8:9], 0.5
	v_fmac_f64_e32 v[8:9], v[8:9], v[10:11]
	v_fmac_f64_e32 v[4:5], v[4:5], v[10:11]
	v_fma_f64 v[10:11], -v[8:9], v[8:9], v[0:1]
	v_fmac_f64_e32 v[8:9], v[10:11], v[4:5]
	v_cndmask_b32_e64 v5, v9, v1, s[6:7]
	v_cndmask_b32_e64 v4, v8, v0, s[6:7]
	v_add_f64 v[14:15], v[4:5], v[4:5]
	v_rcp_f64_e32 v[16:17], v[14:15]
	v_mul_f64 v[8:9], v[4:5], v[4:5]
	v_add_f64 v[12:13], v[0:1], -v[8:9]
	v_add_f64 v[0:1], v[0:1], -v[12:13]
	v_fma_f64 v[10:11], v[4:5], v[4:5], -v[8:9]
	v_add_f64 v[0:1], v[0:1], -v[8:9]
	v_fma_f64 v[8:9], -v[14:15], v[16:17], 1.0
	v_fmac_f64_e32 v[16:17], v[8:9], v[16:17]
	v_add_f64 v[0:1], v[0:1], -v[10:11]
	v_fma_f64 v[8:9], -v[14:15], v[16:17], 1.0
	v_add_f64 v[0:1], v[12:13], v[0:1]
	v_fmac_f64_e32 v[16:17], v[8:9], v[16:17]
	v_mul_f64 v[8:9], v[0:1], v[16:17]
	v_fma_f64 v[0:1], -v[14:15], v[8:9], v[0:1]
	v_fmac_f64_e32 v[8:9], v[0:1], v[16:17]
	v_cndmask_b32_e64 v1, v9, 0, s[6:7]
	v_cndmask_b32_e64 v0, v8, 0, s[6:7]
	v_add_f64 v[8:9], v[4:5], v[0:1]
	v_add_f64 v[4:5], v[8:9], -v[4:5]
	v_add_f64 v[0:1], v[0:1], -v[4:5]
	v_fmac_f64_e32 v[0:1], v[8:9], v[2:3]
	v_add_f64 v[0:1], v[8:9], v[0:1]
	v_add_f64 v[0:1], v[0:1], v[0:1]
	v_cmp_neq_f64_e64 s[6:7], 1.0, v[18:19]
	v_cndmask_b32_e64 v5, 0, v1, s[6:7]
	v_cndmask_b32_e64 v4, 0, v0, s[6:7]
.LBB42_58:
	s_or_b64 exec, exec, s[22:23]
                                        ; implicit-def: $vgpr18_vgpr19
                                        ; implicit-def: $vgpr2_vgpr3
                                        ; implicit-def: $vgpr0_vgpr1
.LBB42_59:
	s_andn2_saveexec_b64 s[20:21], s[20:21]
	s_cbranch_execz .LBB42_63
; %bb.60:
	v_cmp_ge_f64_e64 s[6:7], |v[18:19]|, 0.5
	s_mov_b32 s22, 0x9fea6a70
	v_cndmask_b32_e64 v3, v3, v1, s[6:7]
	v_cndmask_b32_e64 v2, v2, v0, s[6:7]
	v_mov_b32_e32 v4, 0x78a05eaf
	v_mov_b32_e32 v5, 0xbf90a5a3
	s_mov_b32 s23, 0x3fa05985
	v_fmac_f64_e32 v[4:5], s[22:23], v[2:3]
	v_mov_b32_e32 v8, 0x37024d6a
	v_mov_b32_e32 v9, 0x3f940521
	v_fmac_f64_e32 v[8:9], v[2:3], v[4:5]
	v_mov_b32_e32 v4, 0x98a70509
	v_mov_b32_e32 v5, 0x3f7ab3a0
	;; [unrolled: 3-line block ×10, first 2 shown]
	v_fmac_f64_e32 v[4:5], v[2:3], v[8:9]
	v_mul_f64 v[2:3], v[2:3], v[4:5]
	v_fma_f64 v[4:5], -v[18:19], v[2:3], -v[18:19]
	v_mov_b32_e32 v8, 0xeeb562d6
	v_mov_b32_e32 v9, 0x3ffaf154
	s_mov_b32 s25, 0x3fedd9ad
	s_mov_b32 s24, 0x336a0500
	v_fma_f64 v[4:5], s[24:25], v[8:9], -v[4:5]
	s_and_saveexec_b64 s[22:23], s[6:7]
	s_cbranch_execz .LBB42_62
; %bb.61:
	v_rsq_f64_e32 v[4:5], v[0:1]
	v_cmp_eq_f64_e64 s[6:7], 0, v[0:1]
	s_mov_b32 s25, 0x3ffdd9ad
	v_mul_f64 v[10:11], v[0:1], v[4:5]
	v_mul_f64 v[4:5], v[4:5], 0.5
	v_fma_f64 v[12:13], -v[4:5], v[10:11], 0.5
	v_fmac_f64_e32 v[10:11], v[10:11], v[12:13]
	v_fmac_f64_e32 v[4:5], v[4:5], v[12:13]
	v_fma_f64 v[12:13], -v[10:11], v[10:11], v[0:1]
	v_fmac_f64_e32 v[10:11], v[12:13], v[4:5]
	v_cndmask_b32_e64 v5, v11, v1, s[6:7]
	v_cndmask_b32_e64 v4, v10, v0, s[6:7]
	v_add_f64 v[16:17], v[4:5], v[4:5]
	v_rcp_f64_e32 v[20:21], v[16:17]
	v_mul_f64 v[10:11], v[4:5], v[4:5]
	v_add_f64 v[14:15], v[0:1], -v[10:11]
	v_add_f64 v[0:1], v[0:1], -v[14:15]
	v_fma_f64 v[12:13], v[4:5], v[4:5], -v[10:11]
	v_add_f64 v[0:1], v[0:1], -v[10:11]
	v_fma_f64 v[10:11], -v[16:17], v[20:21], 1.0
	v_fmac_f64_e32 v[20:21], v[10:11], v[20:21]
	v_add_f64 v[0:1], v[0:1], -v[12:13]
	v_fma_f64 v[10:11], -v[16:17], v[20:21], 1.0
	v_add_f64 v[0:1], v[14:15], v[0:1]
	v_fmac_f64_e32 v[20:21], v[10:11], v[20:21]
	v_mul_f64 v[10:11], v[0:1], v[20:21]
	v_fma_f64 v[0:1], -v[16:17], v[10:11], v[0:1]
	v_fmac_f64_e32 v[10:11], v[0:1], v[20:21]
	v_cndmask_b32_e64 v1, v11, 0, s[6:7]
	v_cndmask_b32_e64 v0, v10, 0, s[6:7]
	v_add_f64 v[10:11], v[4:5], v[0:1]
	v_add_f64 v[4:5], v[10:11], -v[4:5]
	v_add_f64 v[0:1], v[0:1], -v[4:5]
	v_fma_f64 v[4:5], v[10:11], v[2:3], v[10:11]
	v_fmac_f64_e32 v[0:1], v[10:11], v[2:3]
	v_mul_f64 v[4:5], v[4:5], -2.0
	v_add_f64 v[0:1], v[10:11], v[0:1]
	v_fmac_f64_e32 v[4:5], s[24:25], v[8:9]
	v_add_f64 v[0:1], v[0:1], v[0:1]
	v_cmp_lt_f64_e64 s[6:7], 0, v[18:19]
	v_cndmask_b32_e64 v0, v0, v4, s[6:7]
	v_cndmask_b32_e64 v1, v1, v5, s[6:7]
	v_mov_b32_e32 v2, 0x400921fb
	v_cmp_neq_f64_e64 s[6:7], 1.0, v[18:19]
	v_cndmask_b32_e64 v5, v2, v1, s[6:7]
	v_mov_b32_e32 v1, 0x54442d18
	v_cndmask_b32_e64 v4, v1, v0, s[6:7]
.LBB42_62:
	s_or_b64 exec, exec, s[22:23]
.LBB42_63:
	s_or_b64 exec, exec, s[20:21]
                                        ; implicit-def: $vgpr20_vgpr21
                                        ; implicit-def: $vgpr22_vgpr23
.LBB42_64:
	s_andn2_saveexec_b64 s[20:21], s[8:9]
	s_cbranch_execz .LBB42_70
; %bb.65:
	v_max_f64 v[2:3], |v[22:23]|, |v[22:23]|
	v_max_f64 v[4:5], v[20:21], v[20:21]
	v_max_f64 v[0:1], v[4:5], v[2:3]
	v_min_f64 v[2:3], v[4:5], v[2:3]
                                        ; implicit-def: $vgpr4_vgpr5
	s_and_saveexec_b64 s[6:7], vcc
	s_xor_b64 s[22:23], exec, s[6:7]
	s_cbranch_execz .LBB42_67
; %bb.66:
	v_div_scale_f64 v[4:5], s[6:7], v[0:1], v[0:1], v[2:3]
	v_rcp_f64_e32 v[8:9], v[4:5]
	v_div_scale_f64 v[10:11], vcc, v[2:3], v[0:1], v[2:3]
	s_mov_b32 s6, 0xb5e68a13
	v_fma_f64 v[12:13], -v[4:5], v[8:9], 1.0
	v_fmac_f64_e32 v[8:9], v[8:9], v[12:13]
	v_fma_f64 v[12:13], -v[4:5], v[8:9], 1.0
	v_fmac_f64_e32 v[8:9], v[8:9], v[12:13]
	v_mul_f64 v[12:13], v[10:11], v[8:9]
	v_fma_f64 v[4:5], -v[4:5], v[12:13], v[10:11]
	v_div_fmas_f64 v[4:5], v[4:5], v[8:9], v[12:13]
	v_div_fixup_f64 v[0:1], v[4:5], v[0:1], v[2:3]
	v_mul_f64 v[2:3], v[0:1], v[0:1]
	v_mov_b32_e32 v4, 0xbd3237f4
	v_mov_b32_e32 v5, 0xbf23e260
	s_mov_b32 s7, 0x3eeba404
	v_fmac_f64_e32 v[4:5], s[6:7], v[2:3]
	v_mov_b32_e32 v8, 0x69efb384
	v_mov_b32_e32 v9, 0x3f4b2bb0
	v_fmac_f64_e32 v[8:9], v[2:3], v[4:5]
	v_mov_b32_e32 v4, 0xaf56de9b
	v_mov_b32_e32 v5, 0xbf67952d
	;; [unrolled: 3-line block ×18, first 2 shown]
	s_movk_i32 s6, 0x204
	v_fmac_f64_e32 v[4:5], v[2:3], v[8:9]
	v_cmp_class_f64_e64 s[24:25], v[22:23], s6
	s_mov_b32 s6, 0
	v_mul_f64 v[2:3], v[2:3], v[4:5]
	s_mov_b32 s7, 0x7ff00000
	v_fmac_f64_e32 v[0:1], v[0:1], v[2:3]
	v_cmp_eq_f64_e32 vcc, s[6:7], v[20:21]
	v_mov_b32_e32 v2, 0x54442d18
	v_mov_b32_e32 v3, 0x7f3321d2
	v_cmp_gt_i32_e64 s[6:7], 0, v21
	v_cndmask_b32_e64 v4, v2, v3, s[6:7]
	v_mov_b32_e32 v2, 0x3fe921fb
	v_mov_b32_e32 v3, 0x4002d97c
	v_cndmask_b32_e64 v2, v2, v3, s[6:7]
	s_brev_b32 s28, -2
	s_mov_b32 s26, 0x54442d18
	v_bfi_b32 v5, s28, v2, v23
	v_ashrrev_i32_e32 v2, 31, v21
	s_mov_b32 s27, 0x3ff921fb
	s_mov_b32 s29, 0x400921fb
	v_and_b32_e32 v8, 0x400921fb, v2
	v_and_b32_e32 v9, 0x54442d18, v2
	v_add_f64 v[2:3], -v[0:1], s[26:27]
	v_cmp_lt_f64_e64 s[8:9], v[20:21], |v[22:23]|
	v_cndmask_b32_e64 v1, v1, v3, s[8:9]
	v_cndmask_b32_e64 v0, v0, v2, s[8:9]
	s_mov_b32 s27, s29
	v_add_f64 v[2:3], -v[0:1], s[26:27]
	v_cndmask_b32_e64 v1, v1, v3, s[6:7]
	v_cndmask_b32_e64 v0, v0, v2, s[6:7]
	v_cmp_eq_f64_e64 s[6:7], 0, v[22:23]
	v_cndmask_b32_e64 v0, v0, v9, s[6:7]
	v_cndmask_b32_e64 v1, v1, v8, s[6:7]
	s_and_b64 vcc, vcc, s[24:25]
	v_cndmask_b32_e32 v1, v1, v5, vcc
	v_cndmask_b32_e32 v0, v0, v4, vcc
	v_cmp_o_f64_e32 vcc, v[20:21], v[22:23]
	v_cndmask_b32_e32 v4, 0, v0, vcc
	v_mov_b32_e32 v0, 0x7ff80000
	v_cndmask_b32_e32 v0, v0, v1, vcc
	v_bfi_b32 v5, s28, v0, v23
                                        ; implicit-def: $vgpr20_vgpr21
                                        ; implicit-def: $vgpr0_vgpr1
                                        ; implicit-def: $vgpr2_vgpr3
                                        ; implicit-def: $vgpr22_vgpr23
.LBB42_67:
	s_andn2_saveexec_b64 s[22:23], s[22:23]
	s_cbranch_execz .LBB42_69
; %bb.68:
	v_div_scale_f64 v[4:5], s[6:7], v[0:1], v[0:1], v[2:3]
	v_rcp_f64_e32 v[8:9], v[4:5]
	s_mov_b32 s6, 0xb5e68a13
	s_mov_b32 s7, 0x3eeba404
	v_xor_b32_e32 v14, 0x80000000, v21
	v_fma_f64 v[10:11], -v[4:5], v[8:9], 1.0
	v_fmac_f64_e32 v[8:9], v[8:9], v[10:11]
	v_fma_f64 v[10:11], -v[4:5], v[8:9], 1.0
	v_fmac_f64_e32 v[8:9], v[8:9], v[10:11]
	v_div_scale_f64 v[10:11], vcc, v[2:3], v[0:1], v[2:3]
	v_mul_f64 v[12:13], v[10:11], v[8:9]
	v_fma_f64 v[4:5], -v[4:5], v[12:13], v[10:11]
	s_brev_b32 s28, -2
	s_nop 0
	v_div_fmas_f64 v[4:5], v[4:5], v[8:9], v[12:13]
	v_div_fixup_f64 v[0:1], v[4:5], v[0:1], v[2:3]
	v_mul_f64 v[2:3], v[0:1], v[0:1]
	v_mov_b32_e32 v4, 0xbd3237f4
	v_mov_b32_e32 v5, 0xbf23e260
	v_fmac_f64_e32 v[4:5], s[6:7], v[2:3]
	v_mov_b32_e32 v8, 0x69efb384
	v_mov_b32_e32 v9, 0x3f4b2bb0
	v_fmac_f64_e32 v[8:9], v[2:3], v[4:5]
	;; [unrolled: 3-line block ×18, first 2 shown]
	v_mov_b32_e32 v4, 0x55555523
	v_mov_b32_e32 v5, 0xbfd55555
	s_movk_i32 s6, 0x204
	v_fmac_f64_e32 v[4:5], v[2:3], v[8:9]
	v_cmp_class_f64_e64 s[24:25], v[22:23], s6
	s_mov_b32 s6, 0
	v_mul_f64 v[2:3], v[2:3], v[4:5]
	s_mov_b32 s7, 0x7ff00000
	v_fmac_f64_e32 v[0:1], v[0:1], v[2:3]
	v_cmp_eq_f64_e32 vcc, s[6:7], v[20:21]
	v_mov_b32_e32 v2, 0x54442d18
	v_mov_b32_e32 v3, 0x7f3321d2
	v_cmp_gt_i32_e64 s[6:7], 0, v14
	v_cndmask_b32_e64 v4, v2, v3, s[6:7]
	v_mov_b32_e32 v2, 0x3fe921fb
	v_mov_b32_e32 v3, 0x4002d97c
	v_cndmask_b32_e64 v2, v2, v3, s[6:7]
	s_mov_b32 s26, 0x54442d18
	v_bfi_b32 v5, s28, v2, v23
	v_ashrrev_i32_e32 v2, 31, v14
	s_mov_b32 s27, 0x3ff921fb
	s_mov_b32 s29, 0x400921fb
	v_and_b32_e32 v8, 0x400921fb, v2
	v_and_b32_e32 v9, 0x54442d18, v2
	v_add_f64 v[2:3], -v[0:1], s[26:27]
	v_cmp_lt_f64_e64 s[8:9], v[20:21], |v[22:23]|
	v_cndmask_b32_e64 v1, v1, v3, s[8:9]
	v_cndmask_b32_e64 v0, v0, v2, s[8:9]
	s_mov_b32 s27, s29
	v_add_f64 v[2:3], -v[0:1], s[26:27]
	v_cndmask_b32_e64 v1, v1, v3, s[6:7]
	v_cndmask_b32_e64 v0, v0, v2, s[6:7]
	v_cmp_eq_f64_e64 s[6:7], 0, v[22:23]
	v_cndmask_b32_e64 v0, v0, v9, s[6:7]
	v_cndmask_b32_e64 v1, v1, v8, s[6:7]
	s_and_b64 vcc, vcc, s[24:25]
	v_cndmask_b32_e32 v1, v1, v5, vcc
	v_cndmask_b32_e32 v0, v0, v4, vcc
	v_cmp_o_f64_e64 vcc, v[22:23], -v[20:21]
	v_cndmask_b32_e32 v4, 0, v0, vcc
	v_mov_b32_e32 v0, 0x7ff80000
	v_cndmask_b32_e32 v0, v0, v1, vcc
	v_bfi_b32 v5, s28, v0, v23
.LBB42_69:
	s_or_b64 exec, exec, s[22:23]
.LBB42_70:
	s_or_b64 exec, exec, s[20:21]
	v_xor_b32_e32 v0, 0x80000000, v7
	v_cndmask_b32_e64 v3, v0, v7, s[4:5]
	v_cndmask_b32_e64 v2, v6, v6, s[4:5]
                                        ; implicit-def: $vgpr0_vgpr1
.LBB42_71:
	s_andn2_saveexec_b64 s[6:7], s[18:19]
	s_cbranch_execz .LBB42_73
; %bb.72:
	s_waitcnt lgkmcnt(0)
	v_pk_mov_b32 v[4:5], s[12:13], s[12:13] op_sel:[0,1]
	flat_load_dwordx2 v[4:5], v[4:5] glc
	s_waitcnt vmcnt(0)
	s_mov_b32 s8, 0x54442d18
	s_mov_b32 s9, 0x3ff921fb
	v_xor_b32_e32 v3, 0x80000000, v3
	s_waitcnt lgkmcnt(0)
	v_add_f64 v[0:1], v[4:5], -v[0:1]
	v_add_f64 v[4:5], v[0:1], s[8:9]
.LBB42_73:
	s_or_b64 exec, exec, s[6:7]
.LBB42_74:
	s_andn2_saveexec_b64 s[6:7], s[16:17]
	s_cbranch_execz .LBB42_76
; %bb.75:
	v_xor_b32_e32 v3, 0x80000000, v3
	s_waitcnt lgkmcnt(0)
	v_pk_mov_b32 v[4:5], 0, 0
.LBB42_76:
	s_or_b64 exec, exec, s[6:7]
                                        ; implicit-def: $vgpr0_vgpr1
                                        ; implicit-def: $vgpr10_vgpr11
                                        ; implicit-def: $vgpr6_vgpr7
                                        ; implicit-def: $vgpr8_vgpr9
.LBB42_77:
	s_andn2_saveexec_b64 s[16:17], s[10:11]
	s_cbranch_execz .LBB42_87
; %bb.78:
	v_and_b32_e32 v16, 0x7fffffff, v1
	v_and_b32_e32 v17, 0x7fffffff, v3
	v_cmp_lt_f64_e64 s[6:7], |v[0:1]|, |v[2:3]|
	s_mov_b32 s8, -1
	v_cndmask_b32_e64 v15, v16, v17, s[6:7]
	v_cndmask_b32_e64 v14, v0, v2, s[6:7]
	s_mov_b32 s9, 0x7fdfffff
	v_cmp_nlt_f64_e32 vcc, s[8:9], v[14:15]
                                        ; implicit-def: $vgpr12_vgpr13
                                        ; implicit-def: $vgpr4_vgpr5
	s_and_saveexec_b64 s[8:9], vcc
	s_xor_b64 s[18:19], exec, s[8:9]
	s_cbranch_execz .LBB42_84
; %bb.79:
	s_mov_b32 s8, 0
	s_mov_b32 s9, 0x20200000
	v_cmp_nlt_f64_e32 vcc, s[8:9], v[14:15]
	s_mov_b32 s8, 0
	v_cndmask_b32_e64 v17, v17, v16, s[6:7]
	v_cndmask_b32_e64 v16, v2, v0, s[6:7]
	s_brev_b32 s9, 4
	v_cmp_ngt_f64_e64 s[8:9], s[8:9], v[16:17]
	s_and_b64 s[8:9], vcc, s[8:9]
                                        ; implicit-def: $vgpr12_vgpr13
                                        ; implicit-def: $vgpr4_vgpr5
	s_and_saveexec_b64 s[10:11], s[8:9]
	s_xor_b64 s[8:9], exec, s[10:11]
	s_cbranch_execz .LBB42_81
; %bb.80:
	s_waitcnt lgkmcnt(0)
	v_mul_f64 v[4:5], v[16:17], v[16:17]
	v_fmac_f64_e32 v[4:5], v[14:15], v[14:15]
	s_mov_b32 s10, 0x55555555
	v_frexp_mant_f64_e32 v[12:13], v[4:5]
	s_mov_b32 s11, 0x3fe55555
	v_mov_b32_e32 v14, 0x3ff00000
	v_cmp_gt_f64_e32 vcc, s[10:11], v[12:13]
	v_cndmask_b32_e64 v15, v14, 2.0, vcc
	v_mov_b32_e32 v14, 0
	v_mul_f64 v[12:13], v[12:13], v[14:15]
	v_frexp_exp_i32_f64_e32 v16, v[4:5]
	v_add_f64 v[14:15], v[12:13], 1.0
	v_subbrev_co_u32_e32 v26, vcc, 0, v16, vcc
	v_rcp_f64_e32 v[16:17], v[14:15]
	v_add_f64 v[20:21], v[14:15], -1.0
	v_add_f64 v[18:19], v[12:13], -1.0
	v_add_f64 v[12:13], v[12:13], -v[20:21]
	v_fma_f64 v[20:21], -v[14:15], v[16:17], 1.0
	v_fmac_f64_e32 v[16:17], v[20:21], v[16:17]
	v_fma_f64 v[20:21], -v[14:15], v[16:17], 1.0
	v_fmac_f64_e32 v[16:17], v[20:21], v[16:17]
	v_mul_f64 v[20:21], v[18:19], v[16:17]
	v_mul_f64 v[22:23], v[14:15], v[20:21]
	v_fma_f64 v[14:15], v[20:21], v[14:15], -v[22:23]
	v_fmac_f64_e32 v[14:15], v[20:21], v[12:13]
	v_add_f64 v[12:13], v[22:23], v[14:15]
	v_add_f64 v[24:25], v[18:19], -v[12:13]
	v_add_f64 v[22:23], v[12:13], -v[22:23]
	;; [unrolled: 1-line block ×5, first 2 shown]
	v_add_f64 v[12:13], v[14:15], v[12:13]
	v_add_f64 v[12:13], v[24:25], v[12:13]
	v_mul_f64 v[12:13], v[16:17], v[12:13]
	v_add_f64 v[14:15], v[20:21], v[12:13]
	v_add_f64 v[16:17], v[14:15], -v[20:21]
	s_mov_b32 s10, 0xbf559e2b
	v_add_f64 v[12:13], v[12:13], -v[16:17]
	v_mul_f64 v[16:17], v[14:15], v[14:15]
	v_mov_b32_e32 v18, 0x6b47b09a
	v_mov_b32_e32 v19, 0x3fc38538
	s_mov_b32 s11, 0x3fc3ab76
	v_fmac_f64_e32 v[18:19], s[10:11], v[16:17]
	v_mov_b32_e32 v20, 0xd7f4df2e
	v_mov_b32_e32 v21, 0x3fc7474d
	v_fmac_f64_e32 v[20:21], v[16:17], v[18:19]
	v_mov_b32_e32 v18, 0x16291751
	v_mov_b32_e32 v19, 0x3fcc71c0
	;; [unrolled: 3-line block ×5, first 2 shown]
	v_fmac_f64_e32 v[20:21], v[16:17], v[18:19]
	v_ldexp_f64 v[18:19], v[14:15], 1
	v_mul_f64 v[14:15], v[14:15], v[16:17]
	v_mul_f64 v[14:15], v[14:15], v[20:21]
	v_add_f64 v[16:17], v[18:19], v[14:15]
	v_add_f64 v[18:19], v[16:17], -v[18:19]
	v_ldexp_f64 v[12:13], v[12:13], 1
	v_add_f64 v[14:15], v[14:15], -v[18:19]
	v_add_f64 v[12:13], v[12:13], v[14:15]
	v_add_f64 v[14:15], v[16:17], v[12:13]
	v_add_f64 v[16:17], v[14:15], -v[16:17]
	s_mov_b32 s10, 0xfefa39ef
	v_add_f64 v[12:13], v[12:13], -v[16:17]
	v_cvt_f64_i32_e32 v[16:17], v26
	s_mov_b32 s11, 0x3fe62e42
	v_mul_f64 v[18:19], v[16:17], s[10:11]
	v_fma_f64 v[20:21], v[16:17], s[10:11], -v[18:19]
	s_mov_b32 s10, 0x3b39803f
	s_mov_b32 s11, 0x3c7abc9e
	v_fmac_f64_e32 v[20:21], s[10:11], v[16:17]
	v_add_f64 v[16:17], v[18:19], v[20:21]
	v_add_f64 v[18:19], v[16:17], -v[18:19]
	v_add_f64 v[18:19], v[20:21], -v[18:19]
	v_add_f64 v[20:21], v[16:17], v[14:15]
	v_add_f64 v[22:23], v[20:21], -v[16:17]
	v_add_f64 v[24:25], v[20:21], -v[22:23]
	;; [unrolled: 1-line block ×4, first 2 shown]
	v_add_f64 v[14:15], v[14:15], v[16:17]
	v_add_f64 v[16:17], v[18:19], v[12:13]
	v_add_f64 v[22:23], v[16:17], -v[18:19]
	v_add_f64 v[24:25], v[16:17], -v[22:23]
	v_add_f64 v[14:15], v[16:17], v[14:15]
	v_add_f64 v[18:19], v[18:19], -v[24:25]
	v_add_f64 v[12:13], v[12:13], -v[22:23]
	v_add_f64 v[16:17], v[20:21], v[14:15]
	v_add_f64 v[12:13], v[12:13], v[18:19]
	v_add_f64 v[18:19], v[16:17], -v[20:21]
	v_min_f64 v[6:7], v[10:11], v[6:7]
	v_add_f64 v[14:15], v[14:15], -v[18:19]
	v_div_scale_f64 v[10:11], s[10:11], v[8:9], v[8:9], v[6:7]
	v_add_f64 v[12:13], v[12:13], v[14:15]
	v_rcp_f64_e32 v[14:15], v[10:11]
	s_movk_i32 s20, 0x204
	v_add_f64 v[12:13], v[16:17], v[12:13]
	v_cmp_class_f64_e64 vcc, v[4:5], s20
	v_cndmask_b32_e32 v13, v13, v5, vcc
	v_cndmask_b32_e32 v12, v12, v4, vcc
	v_cmp_neq_f64_e32 vcc, 0, v[4:5]
	v_fma_f64 v[4:5], -v[10:11], v[14:15], 1.0
	v_fmac_f64_e32 v[14:15], v[14:15], v[4:5]
	v_mul_f64 v[12:13], v[12:13], 0.5
	v_mov_b32_e32 v16, 0xfff00000
	v_fma_f64 v[4:5], -v[10:11], v[14:15], 1.0
	v_cndmask_b32_e32 v13, v16, v13, vcc
	v_cndmask_b32_e32 v12, 0, v12, vcc
	v_fmac_f64_e32 v[14:15], v[14:15], v[4:5]
	v_div_scale_f64 v[4:5], vcc, v[6:7], v[8:9], v[6:7]
	v_mul_f64 v[16:17], v[4:5], v[14:15]
	v_fma_f64 v[4:5], -v[10:11], v[16:17], v[4:5]
	s_mov_b32 s10, 0xb5e68a13
	s_nop 0
	v_div_fmas_f64 v[4:5], v[4:5], v[14:15], v[16:17]
	v_div_fixup_f64 v[4:5], v[4:5], v[8:9], v[6:7]
	v_mul_f64 v[6:7], v[4:5], v[4:5]
	v_mov_b32_e32 v8, 0xbd3237f4
	v_mov_b32_e32 v9, 0xbf23e260
	s_mov_b32 s11, 0x3eeba404
	v_fmac_f64_e32 v[8:9], s[10:11], v[6:7]
	v_mov_b32_e32 v10, 0x69efb384
	v_mov_b32_e32 v11, 0x3f4b2bb0
	v_fmac_f64_e32 v[10:11], v[6:7], v[8:9]
	v_mov_b32_e32 v8, 0xaf56de9b
	v_mov_b32_e32 v9, 0xbf67952d
	;; [unrolled: 3-line block ×18, first 2 shown]
	v_fmac_f64_e32 v[8:9], v[6:7], v[10:11]
	v_mul_f64 v[6:7], v[6:7], v[8:9]
	v_fmac_f64_e32 v[4:5], v[4:5], v[6:7]
	v_mov_b32_e32 v6, 0x54442d18
	v_mov_b32_e32 v7, 0x7f3321d2
	v_cmp_gt_i32_e32 vcc, 0, v1
	v_cndmask_b32_e32 v8, v6, v7, vcc
	v_mov_b32_e32 v6, 0x3fe921fb
	v_mov_b32_e32 v7, 0x4002d97c
	v_cndmask_b32_e32 v6, v6, v7, vcc
	s_brev_b32 s23, -2
	s_mov_b32 s22, 0x54442d18
	v_bfi_b32 v9, s23, v6, v3
	v_ashrrev_i32_e32 v6, 31, v1
	s_mov_b32 s23, 0x3ff921fb
	v_and_b32_e32 v10, 0x54442d18, v6
	s_mov_b32 s24, 0x400921fb
	v_and_b32_e32 v11, 0x400921fb, v6
	v_add_f64 v[6:7], -v[4:5], s[22:23]
	v_cndmask_b32_e64 v5, v5, v7, s[6:7]
	v_cndmask_b32_e64 v4, v4, v6, s[6:7]
	s_mov_b32 s23, s24
	v_add_f64 v[6:7], -v[4:5], s[22:23]
	v_cmp_class_f64_e64 s[10:11], v[2:3], s20
	v_cmp_class_f64_e64 s[20:21], v[0:1], s20
	v_cndmask_b32_e32 v4, v4, v6, vcc
	v_cndmask_b32_e32 v5, v5, v7, vcc
	v_cmp_eq_f64_e32 vcc, 0, v[2:3]
	v_cndmask_b32_e32 v5, v5, v11, vcc
	v_cndmask_b32_e32 v4, v4, v10, vcc
	s_and_b64 vcc, s[20:21], s[10:11]
	v_cndmask_b32_e32 v4, v4, v8, vcc
	v_cndmask_b32_e32 v5, v5, v9, vcc
	v_mov_b32_e32 v6, 0x7ff80000
	v_cmp_o_f64_e32 vcc, v[0:1], v[2:3]
	v_cndmask_b32_e32 v5, v6, v5, vcc
	v_cndmask_b32_e32 v4, 0, v4, vcc
                                        ; implicit-def: $vgpr8_vgpr9
                                        ; implicit-def: $vgpr0_vgpr1
                                        ; implicit-def: $vgpr2_vgpr3
                                        ; implicit-def: $vgpr10_vgpr11
                                        ; implicit-def: $vgpr6_vgpr7
.LBB42_81:
	s_andn2_saveexec_b64 s[20:21], s[8:9]
	s_cbranch_execz .LBB42_83
; %bb.82:
	v_frexp_exp_i32_f64_e32 v18, v[8:9]
	v_sub_u32_e32 v12, 0, v18
	s_waitcnt lgkmcnt(0)
	v_ldexp_f64 v[4:5], |v[0:1]|, v12
	v_ldexp_f64 v[12:13], |v[2:3]|, v12
	v_mul_f64 v[12:13], v[12:13], v[12:13]
	v_fmac_f64_e32 v[12:13], v[4:5], v[4:5]
	v_rsq_f64_e32 v[4:5], v[12:13]
	v_cmp_eq_f64_e32 vcc, 0, v[12:13]
	s_movk_i32 s10, 0x204
	v_cmp_o_f64_e64 s[8:9], v[0:1], v[2:3]
	v_mul_f64 v[14:15], v[12:13], v[4:5]
	v_mul_f64 v[4:5], v[4:5], 0.5
	v_fma_f64 v[16:17], -v[4:5], v[14:15], 0.5
	v_fmac_f64_e32 v[14:15], v[14:15], v[16:17]
	v_fmac_f64_e32 v[4:5], v[4:5], v[16:17]
	v_fma_f64 v[16:17], -v[14:15], v[14:15], v[12:13]
	v_fmac_f64_e32 v[14:15], v[16:17], v[4:5]
	v_cndmask_b32_e32 v5, v15, v13, vcc
	v_cndmask_b32_e32 v4, v14, v12, vcc
	v_ldexp_f64 v[12:13], v[4:5], v18
	v_mov_b32_e32 v14, 0x7ff80000
	v_cmp_class_f64_e64 s[22:23], v[0:1], s10
	v_cmp_class_f64_e64 s[24:25], v[2:3], s10
	v_cndmask_b32_e64 v15, 0, v12, s[8:9]
	v_cndmask_b32_e64 v30, v14, v13, s[8:9]
	v_mov_b32_e32 v0, 0x7ff00000
	s_or_b64 vcc, s[22:23], s[24:25]
	v_cndmask_b32_e32 v5, v30, v0, vcc
	v_cndmask_b32_e64 v4, v15, 0, vcc
	s_mov_b32 s10, 0x55555555
	v_frexp_mant_f64_e32 v[18:19], v[4:5]
	s_mov_b32 s11, 0x3fe55555
	v_mov_b32_e32 v17, 0x3ff00000
	v_cmp_gt_f64_e64 s[10:11], s[10:11], v[18:19]
	v_mov_b32_e32 v16, 0
	v_cndmask_b32_e64 v17, v17, 2.0, s[10:11]
	v_mul_f64 v[16:17], v[18:19], v[16:17]
	v_frexp_exp_i32_f64_e32 v20, v[4:5]
	v_add_f64 v[18:19], v[16:17], 1.0
	v_subbrev_co_u32_e64 v31, s[10:11], 0, v20, s[10:11]
	v_rcp_f64_e32 v[20:21], v[18:19]
	v_add_f64 v[24:25], v[18:19], -1.0
	v_add_f64 v[22:23], v[16:17], -1.0
	v_add_f64 v[16:17], v[16:17], -v[24:25]
	v_fma_f64 v[24:25], -v[18:19], v[20:21], 1.0
	v_fmac_f64_e32 v[20:21], v[24:25], v[20:21]
	v_fma_f64 v[24:25], -v[18:19], v[20:21], 1.0
	v_fmac_f64_e32 v[20:21], v[24:25], v[20:21]
	v_mul_f64 v[24:25], v[22:23], v[20:21]
	v_mul_f64 v[26:27], v[18:19], v[24:25]
	v_fma_f64 v[18:19], v[24:25], v[18:19], -v[26:27]
	v_fmac_f64_e32 v[18:19], v[24:25], v[16:17]
	v_add_f64 v[16:17], v[26:27], v[18:19]
	v_add_f64 v[28:29], v[22:23], -v[16:17]
	v_add_f64 v[26:27], v[16:17], -v[26:27]
	;; [unrolled: 1-line block ×5, first 2 shown]
	v_add_f64 v[16:17], v[18:19], v[16:17]
	v_add_f64 v[16:17], v[28:29], v[16:17]
	v_mul_f64 v[16:17], v[20:21], v[16:17]
	v_add_f64 v[18:19], v[24:25], v[16:17]
	v_add_f64 v[20:21], v[18:19], -v[24:25]
	s_mov_b32 s10, 0xbf559e2b
	v_add_f64 v[16:17], v[16:17], -v[20:21]
	v_mul_f64 v[20:21], v[18:19], v[18:19]
	v_mov_b32_e32 v22, 0x6b47b09a
	v_mov_b32_e32 v23, 0x3fc38538
	s_mov_b32 s11, 0x3fc3ab76
	v_fmac_f64_e32 v[22:23], s[10:11], v[20:21]
	v_mov_b32_e32 v24, 0xd7f4df2e
	v_mov_b32_e32 v25, 0x3fc7474d
	v_fmac_f64_e32 v[24:25], v[20:21], v[22:23]
	v_mov_b32_e32 v22, 0x16291751
	v_mov_b32_e32 v23, 0x3fcc71c0
	v_fmac_f64_e32 v[22:23], v[20:21], v[24:25]
	v_mov_b32_e32 v24, 0x9b27acf1
	v_mov_b32_e32 v25, 0x3fd24924
	v_fmac_f64_e32 v[24:25], v[20:21], v[22:23]
	v_mov_b32_e32 v22, 0x998ef7b6
	v_mov_b32_e32 v23, 0x3fd99999
	v_fmac_f64_e32 v[22:23], v[20:21], v[24:25]
	v_mov_b32_e32 v24, 0x55555780
	v_mov_b32_e32 v25, 0x3fe55555
	v_fmac_f64_e32 v[24:25], v[20:21], v[22:23]
	v_ldexp_f64 v[22:23], v[18:19], 1
	v_mul_f64 v[18:19], v[18:19], v[20:21]
	v_mul_f64 v[18:19], v[18:19], v[24:25]
	v_add_f64 v[20:21], v[22:23], v[18:19]
	v_add_f64 v[22:23], v[20:21], -v[22:23]
	v_ldexp_f64 v[16:17], v[16:17], 1
	v_add_f64 v[18:19], v[18:19], -v[22:23]
	v_add_f64 v[16:17], v[16:17], v[18:19]
	v_add_f64 v[18:19], v[20:21], v[16:17]
	v_add_f64 v[20:21], v[18:19], -v[20:21]
	s_mov_b32 s10, 0xfefa39ef
	v_add_f64 v[16:17], v[16:17], -v[20:21]
	v_cvt_f64_i32_e32 v[20:21], v31
	s_mov_b32 s11, 0x3fe62e42
	v_mul_f64 v[22:23], v[20:21], s[10:11]
	v_fma_f64 v[24:25], v[20:21], s[10:11], -v[22:23]
	s_mov_b32 s10, 0x3b39803f
	s_mov_b32 s11, 0x3c7abc9e
	v_fmac_f64_e32 v[24:25], s[10:11], v[20:21]
	v_add_f64 v[20:21], v[22:23], v[24:25]
	v_add_f64 v[22:23], v[20:21], -v[22:23]
	v_add_f64 v[22:23], v[24:25], -v[22:23]
	v_add_f64 v[24:25], v[20:21], v[18:19]
	v_add_f64 v[26:27], v[24:25], -v[20:21]
	v_add_f64 v[28:29], v[24:25], -v[26:27]
	;; [unrolled: 1-line block ×4, first 2 shown]
	v_add_f64 v[18:19], v[18:19], v[20:21]
	v_add_f64 v[20:21], v[22:23], v[16:17]
	v_add_f64 v[26:27], v[20:21], -v[22:23]
	v_add_f64 v[28:29], v[20:21], -v[26:27]
	v_add_f64 v[18:19], v[20:21], v[18:19]
	v_add_f64 v[22:23], v[22:23], -v[28:29]
	v_add_f64 v[16:17], v[16:17], -v[26:27]
	v_add_f64 v[20:21], v[24:25], v[18:19]
	v_add_f64 v[16:17], v[16:17], v[22:23]
	v_add_f64 v[22:23], v[20:21], -v[24:25]
	s_mov_b32 s10, 0
	v_add_f64 v[18:19], v[18:19], -v[22:23]
	v_and_b32_e32 v13, 0x7fffffff, v13
	s_mov_b32 s11, 0x7ff00000
	v_add_f64 v[16:17], v[16:17], v[18:19]
	v_cmp_eq_f64_e64 s[10:11], s[10:11], v[12:13]
	v_add_f64 v[16:17], v[20:21], v[16:17]
	s_and_b64 s[10:11], s[8:9], s[10:11]
	v_min_f64 v[6:7], v[10:11], v[6:7]
	v_cndmask_b32_e64 v12, v17, v30, s[10:11]
	v_cndmask_b32_e64 v13, v16, v15, s[10:11]
	v_div_scale_f64 v[10:11], s[10:11], v[8:9], v[8:9], v[6:7]
	v_rcp_f64_e32 v[16:17], v[10:11]
	v_cndmask_b32_e64 v13, v13, 0, vcc
	v_cndmask_b32_e32 v0, v12, v0, vcc
	v_cmp_ngt_f64_e32 vcc, 0, v[4:5]
	v_cndmask_b32_e32 v0, v14, v0, vcc
	v_cmp_nge_f64_e32 vcc, 0, v[4:5]
	v_cndmask_b32_e32 v12, 0, v13, vcc
	v_cmp_neq_f64_e32 vcc, 0, v[4:5]
	v_fma_f64 v[4:5], -v[10:11], v[16:17], 1.0
	v_fmac_f64_e32 v[16:17], v[16:17], v[4:5]
	v_mov_b32_e32 v13, 0xfff00000
	v_fma_f64 v[4:5], -v[10:11], v[16:17], 1.0
	v_cndmask_b32_e32 v13, v13, v0, vcc
	v_fmac_f64_e32 v[16:17], v[16:17], v[4:5]
	v_div_scale_f64 v[4:5], vcc, v[6:7], v[8:9], v[6:7]
	v_mul_f64 v[18:19], v[4:5], v[16:17]
	v_fma_f64 v[4:5], -v[10:11], v[18:19], v[4:5]
	s_mov_b32 s10, 0xb5e68a13
	s_nop 0
	v_div_fmas_f64 v[4:5], v[4:5], v[16:17], v[18:19]
	v_div_fixup_f64 v[4:5], v[4:5], v[8:9], v[6:7]
	v_mul_f64 v[6:7], v[4:5], v[4:5]
	v_mov_b32_e32 v8, 0xbd3237f4
	v_mov_b32_e32 v9, 0xbf23e260
	s_mov_b32 s11, 0x3eeba404
	v_fmac_f64_e32 v[8:9], s[10:11], v[6:7]
	v_mov_b32_e32 v10, 0x69efb384
	v_mov_b32_e32 v11, 0x3f4b2bb0
	v_fmac_f64_e32 v[10:11], v[6:7], v[8:9]
	v_mov_b32_e32 v8, 0xaf56de9b
	v_mov_b32_e32 v9, 0xbf67952d
	;; [unrolled: 3-line block ×18, first 2 shown]
	v_fmac_f64_e32 v[8:9], v[6:7], v[10:11]
	v_mul_f64 v[6:7], v[6:7], v[8:9]
	v_fmac_f64_e32 v[4:5], v[4:5], v[6:7]
	v_mov_b32_e32 v0, 0x54442d18
	v_mov_b32_e32 v6, 0x7f3321d2
	v_cmp_gt_i32_e32 vcc, 0, v1
	v_cndmask_b32_e32 v6, v0, v6, vcc
	v_mov_b32_e32 v0, 0x3fe921fb
	v_mov_b32_e32 v7, 0x4002d97c
	s_brev_b32 s26, -2
	v_cndmask_b32_e32 v0, v0, v7, vcc
	s_mov_b32 s10, 0x54442d18
	v_bfi_b32 v7, s26, v0, v3
	v_ashrrev_i32_e32 v0, 31, v1
	s_mov_b32 s11, 0x3ff921fb
	v_and_b32_e32 v8, 0x54442d18, v0
	s_mov_b32 s26, 0x400921fb
	v_and_b32_e32 v9, 0x400921fb, v0
	v_add_f64 v[0:1], -v[4:5], s[10:11]
	v_cndmask_b32_e64 v1, v5, v1, s[6:7]
	v_cndmask_b32_e64 v0, v4, v0, s[6:7]
	s_mov_b32 s11, s26
	v_add_f64 v[4:5], -v[0:1], s[10:11]
	v_cndmask_b32_e32 v0, v0, v4, vcc
	v_cndmask_b32_e32 v1, v1, v5, vcc
	v_cmp_eq_f64_e32 vcc, 0, v[2:3]
	v_cndmask_b32_e32 v1, v1, v9, vcc
	v_cndmask_b32_e32 v0, v0, v8, vcc
	s_and_b64 vcc, s[22:23], s[24:25]
	v_cndmask_b32_e32 v0, v0, v6, vcc
	v_cndmask_b32_e32 v1, v1, v7, vcc
	v_cndmask_b32_e64 v5, v14, v1, s[8:9]
	v_cndmask_b32_e64 v4, 0, v0, s[8:9]
.LBB42_83:
	s_or_b64 exec, exec, s[20:21]
                                        ; implicit-def: $vgpr0_vgpr1
                                        ; implicit-def: $vgpr2_vgpr3
                                        ; implicit-def: $vgpr10_vgpr11
                                        ; implicit-def: $vgpr6_vgpr7
                                        ; implicit-def: $vgpr8_vgpr9
.LBB42_84:
	s_andn2_saveexec_b64 s[18:19], s[18:19]
	s_cbranch_execz .LBB42_86
; %bb.85:
	s_mov_b32 s8, 0x8b145769
	s_mov_b32 s9, 0x4005bf0a
	s_waitcnt lgkmcnt(0)
	v_div_scale_f64 v[4:5], s[10:11], s[8:9], s[8:9], v[0:1]
	v_rcp_f64_e32 v[12:13], v[4:5]
	s_movk_i32 s20, 0x204
	v_mov_b32_e32 v31, 0x7ff00000
	v_min_f64 v[6:7], v[10:11], v[6:7]
	v_fma_f64 v[14:15], -v[4:5], v[12:13], 1.0
	v_fmac_f64_e32 v[12:13], v[12:13], v[14:15]
	v_fma_f64 v[14:15], -v[4:5], v[12:13], 1.0
	v_fmac_f64_e32 v[12:13], v[12:13], v[14:15]
	v_div_scale_f64 v[14:15], vcc, v[0:1], s[8:9], v[0:1]
	v_mul_f64 v[16:17], v[14:15], v[12:13]
	v_fma_f64 v[4:5], -v[4:5], v[16:17], v[14:15]
	v_div_scale_f64 v[14:15], s[10:11], s[8:9], s[8:9], v[2:3]
	v_rcp_f64_e32 v[18:19], v[14:15]
	v_div_fmas_f64 v[4:5], v[4:5], v[12:13], v[16:17]
	v_div_fixup_f64 v[4:5], v[4:5], s[8:9], v[0:1]
	s_brev_b32 s21, -2
	v_fma_f64 v[12:13], -v[14:15], v[18:19], 1.0
	v_fmac_f64_e32 v[18:19], v[18:19], v[12:13]
	v_fma_f64 v[12:13], -v[14:15], v[18:19], 1.0
	v_fmac_f64_e32 v[18:19], v[18:19], v[12:13]
	v_div_scale_f64 v[12:13], vcc, v[2:3], s[8:9], v[2:3]
	v_mul_f64 v[16:17], v[12:13], v[18:19]
	v_fma_f64 v[12:13], -v[14:15], v[16:17], v[12:13]
	s_mov_b32 s22, 0x400921fb
	s_nop 0
	v_div_fmas_f64 v[12:13], v[12:13], v[18:19], v[16:17]
	v_div_fixup_f64 v[16:17], v[12:13], s[8:9], v[2:3]
	v_max_f64 v[12:13], |v[4:5]|, |v[16:17]|
	v_frexp_exp_i32_f64_e32 v22, v[12:13]
	v_sub_u32_e32 v14, 0, v22
	v_ldexp_f64 v[12:13], |v[4:5]|, v14
	v_ldexp_f64 v[14:15], |v[16:17]|, v14
	v_mul_f64 v[14:15], v[14:15], v[14:15]
	v_fmac_f64_e32 v[14:15], v[12:13], v[12:13]
	v_rsq_f64_e32 v[12:13], v[14:15]
	v_cmp_eq_f64_e32 vcc, 0, v[14:15]
	v_cmp_class_f64_e64 s[8:9], v[4:5], s20
	v_cmp_class_f64_e64 s[10:11], v[16:17], s20
	v_mul_f64 v[18:19], v[14:15], v[12:13]
	v_mul_f64 v[12:13], v[12:13], 0.5
	v_fma_f64 v[20:21], -v[12:13], v[18:19], 0.5
	v_fmac_f64_e32 v[18:19], v[18:19], v[20:21]
	v_fmac_f64_e32 v[12:13], v[12:13], v[20:21]
	v_fma_f64 v[20:21], -v[18:19], v[18:19], v[14:15]
	v_fmac_f64_e32 v[18:19], v[20:21], v[12:13]
	v_cndmask_b32_e32 v13, v19, v15, vcc
	v_cndmask_b32_e32 v12, v18, v14, vcc
	v_ldexp_f64 v[12:13], v[12:13], v22
	v_cmp_o_f64_e32 vcc, v[4:5], v[16:17]
	v_mov_b32_e32 v14, 0x7ff80000
	v_cndmask_b32_e32 v15, 0, v12, vcc
	v_cndmask_b32_e32 v30, v14, v13, vcc
	s_or_b64 s[8:9], s[8:9], s[10:11]
	v_cndmask_b32_e64 v5, v30, v31, s[8:9]
	v_cndmask_b32_e64 v4, v15, 0, s[8:9]
	s_mov_b32 s10, 0x55555555
	v_frexp_mant_f64_e32 v[16:17], v[4:5]
	s_mov_b32 s11, 0x3fe55555
	v_mov_b32_e32 v19, 0x3ff00000
	v_cmp_gt_f64_e64 s[10:11], s[10:11], v[16:17]
	v_mov_b32_e32 v18, 0
	v_cndmask_b32_e64 v19, v19, 2.0, s[10:11]
	v_mul_f64 v[16:17], v[16:17], v[18:19]
	v_frexp_exp_i32_f64_e32 v20, v[4:5]
	v_add_f64 v[18:19], v[16:17], 1.0
	v_subbrev_co_u32_e64 v32, s[10:11], 0, v20, s[10:11]
	v_rcp_f64_e32 v[20:21], v[18:19]
	v_add_f64 v[24:25], v[18:19], -1.0
	v_add_f64 v[22:23], v[16:17], -1.0
	v_add_f64 v[16:17], v[16:17], -v[24:25]
	v_fma_f64 v[24:25], -v[18:19], v[20:21], 1.0
	v_fmac_f64_e32 v[20:21], v[24:25], v[20:21]
	v_fma_f64 v[24:25], -v[18:19], v[20:21], 1.0
	v_fmac_f64_e32 v[20:21], v[24:25], v[20:21]
	v_mul_f64 v[24:25], v[22:23], v[20:21]
	v_mul_f64 v[26:27], v[18:19], v[24:25]
	v_fma_f64 v[18:19], v[24:25], v[18:19], -v[26:27]
	v_fmac_f64_e32 v[18:19], v[24:25], v[16:17]
	v_add_f64 v[16:17], v[26:27], v[18:19]
	v_add_f64 v[28:29], v[22:23], -v[16:17]
	v_add_f64 v[26:27], v[16:17], -v[26:27]
	v_add_f64 v[22:23], v[22:23], -v[28:29]
	v_add_f64 v[16:17], v[22:23], -v[16:17]
	v_add_f64 v[18:19], v[26:27], -v[18:19]
	v_add_f64 v[16:17], v[18:19], v[16:17]
	v_add_f64 v[16:17], v[28:29], v[16:17]
	v_mul_f64 v[16:17], v[20:21], v[16:17]
	v_add_f64 v[18:19], v[24:25], v[16:17]
	v_add_f64 v[20:21], v[18:19], -v[24:25]
	s_mov_b32 s10, 0xbf559e2b
	v_add_f64 v[16:17], v[16:17], -v[20:21]
	v_mul_f64 v[20:21], v[18:19], v[18:19]
	v_mov_b32_e32 v22, 0x6b47b09a
	v_mov_b32_e32 v23, 0x3fc38538
	s_mov_b32 s11, 0x3fc3ab76
	v_fmac_f64_e32 v[22:23], s[10:11], v[20:21]
	v_mov_b32_e32 v24, 0xd7f4df2e
	v_mov_b32_e32 v25, 0x3fc7474d
	v_fmac_f64_e32 v[24:25], v[20:21], v[22:23]
	v_mov_b32_e32 v22, 0x16291751
	v_mov_b32_e32 v23, 0x3fcc71c0
	;; [unrolled: 3-line block ×5, first 2 shown]
	v_fmac_f64_e32 v[24:25], v[20:21], v[22:23]
	v_ldexp_f64 v[22:23], v[18:19], 1
	v_mul_f64 v[18:19], v[18:19], v[20:21]
	v_mul_f64 v[18:19], v[18:19], v[24:25]
	v_add_f64 v[20:21], v[22:23], v[18:19]
	v_add_f64 v[22:23], v[20:21], -v[22:23]
	v_ldexp_f64 v[16:17], v[16:17], 1
	v_add_f64 v[18:19], v[18:19], -v[22:23]
	v_add_f64 v[16:17], v[16:17], v[18:19]
	v_add_f64 v[18:19], v[20:21], v[16:17]
	v_add_f64 v[20:21], v[18:19], -v[20:21]
	s_mov_b32 s10, 0xfefa39ef
	v_add_f64 v[16:17], v[16:17], -v[20:21]
	v_cvt_f64_i32_e32 v[20:21], v32
	s_mov_b32 s11, 0x3fe62e42
	v_mul_f64 v[22:23], v[20:21], s[10:11]
	v_fma_f64 v[24:25], v[20:21], s[10:11], -v[22:23]
	s_mov_b32 s10, 0x3b39803f
	s_mov_b32 s11, 0x3c7abc9e
	v_fmac_f64_e32 v[24:25], s[10:11], v[20:21]
	v_add_f64 v[20:21], v[22:23], v[24:25]
	v_add_f64 v[22:23], v[20:21], -v[22:23]
	v_add_f64 v[22:23], v[24:25], -v[22:23]
	v_add_f64 v[24:25], v[20:21], v[18:19]
	v_add_f64 v[26:27], v[24:25], -v[20:21]
	v_add_f64 v[28:29], v[24:25], -v[26:27]
	;; [unrolled: 1-line block ×4, first 2 shown]
	v_add_f64 v[18:19], v[18:19], v[20:21]
	v_add_f64 v[20:21], v[22:23], v[16:17]
	v_add_f64 v[26:27], v[20:21], -v[22:23]
	v_add_f64 v[28:29], v[20:21], -v[26:27]
	v_add_f64 v[18:19], v[20:21], v[18:19]
	v_add_f64 v[22:23], v[22:23], -v[28:29]
	v_add_f64 v[16:17], v[16:17], -v[26:27]
	v_add_f64 v[20:21], v[24:25], v[18:19]
	v_add_f64 v[16:17], v[16:17], v[22:23]
	v_add_f64 v[22:23], v[20:21], -v[24:25]
	s_mov_b32 s10, 0
	v_add_f64 v[18:19], v[18:19], -v[22:23]
	v_and_b32_e32 v13, 0x7fffffff, v13
	s_mov_b32 s11, 0x7ff00000
	v_add_f64 v[16:17], v[16:17], v[18:19]
	v_cmp_eq_f64_e64 s[10:11], s[10:11], v[12:13]
	v_add_f64 v[16:17], v[20:21], v[16:17]
	s_and_b64 vcc, vcc, s[10:11]
	v_cndmask_b32_e32 v13, v17, v30, vcc
	v_cndmask_b32_e32 v12, v16, v15, vcc
	v_add_f64 v[12:13], v[12:13], 1.0
	v_cndmask_b32_e64 v12, v12, 0, s[8:9]
	v_cndmask_b32_e64 v13, v13, v31, s[8:9]
	v_div_scale_f64 v[10:11], s[8:9], v[8:9], v[8:9], v[6:7]
	v_rcp_f64_e32 v[16:17], v[10:11]
	v_cmp_ngt_f64_e32 vcc, 0, v[4:5]
	v_cndmask_b32_e32 v13, v14, v13, vcc
	v_cmp_nge_f64_e32 vcc, 0, v[4:5]
	v_cndmask_b32_e32 v12, 0, v12, vcc
	v_cmp_neq_f64_e32 vcc, 0, v[4:5]
	v_fma_f64 v[4:5], -v[10:11], v[16:17], 1.0
	v_fmac_f64_e32 v[16:17], v[16:17], v[4:5]
	v_mov_b32_e32 v15, 0xfff00000
	v_fma_f64 v[4:5], -v[10:11], v[16:17], 1.0
	v_cndmask_b32_e32 v13, v15, v13, vcc
	v_fmac_f64_e32 v[16:17], v[16:17], v[4:5]
	v_div_scale_f64 v[4:5], vcc, v[6:7], v[8:9], v[6:7]
	v_mul_f64 v[18:19], v[4:5], v[16:17]
	v_fma_f64 v[4:5], -v[10:11], v[18:19], v[4:5]
	s_mov_b32 s8, 0xb5e68a13
	s_nop 0
	v_div_fmas_f64 v[4:5], v[4:5], v[16:17], v[18:19]
	v_div_fixup_f64 v[4:5], v[4:5], v[8:9], v[6:7]
	v_mul_f64 v[6:7], v[4:5], v[4:5]
	v_mov_b32_e32 v8, 0xbd3237f4
	v_mov_b32_e32 v9, 0xbf23e260
	s_mov_b32 s9, 0x3eeba404
	v_fmac_f64_e32 v[8:9], s[8:9], v[6:7]
	v_mov_b32_e32 v10, 0x69efb384
	v_mov_b32_e32 v11, 0x3f4b2bb0
	v_fmac_f64_e32 v[10:11], v[6:7], v[8:9]
	v_mov_b32_e32 v8, 0xaf56de9b
	v_mov_b32_e32 v9, 0xbf67952d
	;; [unrolled: 3-line block ×18, first 2 shown]
	v_fmac_f64_e32 v[8:9], v[6:7], v[10:11]
	v_mul_f64 v[6:7], v[6:7], v[8:9]
	v_fmac_f64_e32 v[4:5], v[4:5], v[6:7]
	v_mov_b32_e32 v6, 0x54442d18
	v_mov_b32_e32 v7, 0x7f3321d2
	v_cmp_gt_i32_e32 vcc, 0, v1
	v_cndmask_b32_e32 v8, v6, v7, vcc
	v_mov_b32_e32 v6, 0x3fe921fb
	v_mov_b32_e32 v7, 0x4002d97c
	v_cndmask_b32_e32 v6, v6, v7, vcc
	v_cmp_class_f64_e64 s[8:9], v[2:3], s20
	v_cmp_class_f64_e64 s[10:11], v[0:1], s20
	s_mov_b32 s20, 0x54442d18
	v_bfi_b32 v9, s21, v6, v3
	v_ashrrev_i32_e32 v6, 31, v1
	s_mov_b32 s21, 0x3ff921fb
	v_and_b32_e32 v10, 0x54442d18, v6
	v_and_b32_e32 v11, 0x400921fb, v6
	v_add_f64 v[6:7], -v[4:5], s[20:21]
	v_cndmask_b32_e64 v5, v5, v7, s[6:7]
	v_cndmask_b32_e64 v4, v4, v6, s[6:7]
	s_mov_b32 s21, s22
	v_add_f64 v[6:7], -v[4:5], s[20:21]
	v_cndmask_b32_e32 v4, v4, v6, vcc
	v_cndmask_b32_e32 v5, v5, v7, vcc
	v_cmp_eq_f64_e32 vcc, 0, v[2:3]
	v_cndmask_b32_e32 v5, v5, v11, vcc
	v_cndmask_b32_e32 v4, v4, v10, vcc
	s_and_b64 vcc, s[10:11], s[8:9]
	v_cndmask_b32_e32 v4, v4, v8, vcc
	v_cndmask_b32_e32 v5, v5, v9, vcc
	v_cmp_o_f64_e32 vcc, v[0:1], v[2:3]
	v_cndmask_b32_e32 v5, v14, v5, vcc
	v_cndmask_b32_e32 v4, 0, v4, vcc
.LBB42_86:
	s_or_b64 exec, exec, s[18:19]
	s_mov_b32 s6, 0xfefa39ef
	s_mov_b32 s7, 0x3fe62e42
	v_add_f64 v[0:1], v[12:13], s[6:7]
	v_xor_b32_e32 v2, 0x80000000, v1
	v_and_b32_e32 v5, 0x7fffffff, v5
	v_cndmask_b32_e64 v3, v2, v1, s[4:5]
	v_cndmask_b32_e64 v2, v0, v0, s[4:5]
.LBB42_87:
	s_or_b64 exec, exec, s[16:17]
                                        ; implicit-def: $vgpr0_vgpr1
.LBB42_88:
	s_andn2_saveexec_b64 s[4:5], s[14:15]
	s_cbranch_execz .LBB42_102
; %bb.89:
	s_mov_b32 s8, 0
	s_mov_b32 s9, 0x7ff00000
	v_cmp_neq_f64_e64 s[6:7], |v[0:1]|, s[8:9]
                                        ; implicit-def: $vgpr4_vgpr5
	s_and_saveexec_b64 s[10:11], s[6:7]
	s_xor_b64 s[6:7], exec, s[10:11]
	s_cbranch_execz .LBB42_99
; %bb.90:
	v_cmp_neq_f64_e64 s[8:9], |v[2:3]|, s[8:9]
                                        ; implicit-def: $vgpr4_vgpr5
	s_and_saveexec_b64 s[10:11], s[8:9]
	s_xor_b64 s[8:9], exec, s[10:11]
	s_cbranch_execz .LBB42_96
; %bb.91:
	v_cmp_neq_f64_e32 vcc, 0, v[0:1]
	s_and_saveexec_b64 s[10:11], vcc
	s_xor_b64 s[10:11], exec, s[10:11]
; %bb.92:
	v_add_f64 v[2:3], v[2:3], 0
	v_add_f64 v[2:3], v[2:3], v[0:1]
; %bb.93:
	s_or_saveexec_b64 s[10:11], s[10:11]
	s_waitcnt lgkmcnt(0)
	v_pk_mov_b32 v[4:5], v[2:3], v[2:3] op_sel:[0,1]
	s_xor_b64 exec, exec, s[10:11]
	s_cbranch_execz .LBB42_95
; %bb.94:
	v_pk_mov_b32 v[0:1], s[12:13], s[12:13] op_sel:[0,1]
	flat_load_dwordx2 v[0:1], v[0:1] glc
	s_waitcnt vmcnt(0)
	s_mov_b32 s12, 0x54442d18
	s_mov_b32 s13, 0x3ff921fb
	v_add_f64 v[2:3], v[2:3], v[2:3]
	s_waitcnt lgkmcnt(0)
	v_add_f64 v[4:5], v[0:1], s[12:13]
.LBB42_95:
	s_or_b64 exec, exec, s[10:11]
                                        ; implicit-def: $vgpr0_vgpr1
.LBB42_96:
	s_andn2_saveexec_b64 s[8:9], s[8:9]
	s_cbranch_execz .LBB42_98
; %bb.97:
	s_waitcnt lgkmcnt(0)
	v_add_f64 v[4:5], v[0:1], v[0:1]
	v_xor_b32_e32 v3, 0x80000000, v3
.LBB42_98:
	s_or_b64 exec, exec, s[8:9]
.LBB42_99:
	s_andn2_saveexec_b64 s[6:7], s[6:7]
	s_cbranch_execz .LBB42_101
; %bb.100:
	s_waitcnt lgkmcnt(0)
	v_add_f64 v[4:5], v[2:3], v[2:3]
	v_mov_b32_e32 v2, 0
	v_mov_b32_e32 v3, 0xfff00000
.LBB42_101:
	s_or_b64 exec, exec, s[6:7]
.LBB42_102:
	s_or_b64 exec, exec, s[4:5]
	v_readlane_b32 s30, v39, 0
	s_waitcnt lgkmcnt(0)
	v_mov_b32_e32 v0, v4
	v_mov_b32_e32 v1, v5
	v_readlane_b32 s31, v39, 1
	s_xor_saveexec_b64 s[4:5], -1
	buffer_load_dword v39, off, s[0:3], s32 offset:16 ; 4-byte Folded Reload
	s_mov_b64 exec, s[4:5]
	s_waitcnt vmcnt(0)
	s_setpc_b64 s[30:31]
.Lfunc_end42:
	.size	_ZNK2at6native4AcosIN3c107complexIdEEEclES4_, .Lfunc_end42-_ZNK2at6native4AcosIN3c107complexIdEEEclES4_
                                        ; -- End function
	.section	.AMDGPU.csdata,"",@progbits
; Function info:
; codeLenInByte = 14892
; NumSgprs: 37
; NumVgprs: 40
; NumAgprs: 0
; TotalNumVgprs: 40
; ScratchSize: 24
; MemoryBound: 0
	.section	.text._ZN2at6native12_GLOBAL__N_125multi_tensor_apply_kernelINS1_18TensorListMetadataILi2EEENS1_14UnaryOpFunctorIN3c107complexIdEELi2ELi1ELi1EEEJNS0_4AcosIS8_EEEEEvT_T0_DpT1_,"axG",@progbits,_ZN2at6native12_GLOBAL__N_125multi_tensor_apply_kernelINS1_18TensorListMetadataILi2EEENS1_14UnaryOpFunctorIN3c107complexIdEELi2ELi1ELi1EEEJNS0_4AcosIS8_EEEEEvT_T0_DpT1_,comdat
	.globl	_ZN2at6native12_GLOBAL__N_125multi_tensor_apply_kernelINS1_18TensorListMetadataILi2EEENS1_14UnaryOpFunctorIN3c107complexIdEELi2ELi1ELi1EEEJNS0_4AcosIS8_EEEEEvT_T0_DpT1_ ; -- Begin function _ZN2at6native12_GLOBAL__N_125multi_tensor_apply_kernelINS1_18TensorListMetadataILi2EEENS1_14UnaryOpFunctorIN3c107complexIdEELi2ELi1ELi1EEEJNS0_4AcosIS8_EEEEEvT_T0_DpT1_
	.p2align	8
	.type	_ZN2at6native12_GLOBAL__N_125multi_tensor_apply_kernelINS1_18TensorListMetadataILi2EEENS1_14UnaryOpFunctorIN3c107complexIdEELi2ELi1ELi1EEEJNS0_4AcosIS8_EEEEEvT_T0_DpT1_,@function
_ZN2at6native12_GLOBAL__N_125multi_tensor_apply_kernelINS1_18TensorListMetadataILi2EEENS1_14UnaryOpFunctorIN3c107complexIdEELi2ELi1ELi1EEEJNS0_4AcosIS8_EEEEEvT_T0_DpT1_: ; @_ZN2at6native12_GLOBAL__N_125multi_tensor_apply_kernelINS1_18TensorListMetadataILi2EEENS1_14UnaryOpFunctorIN3c107complexIdEELi2ELi1ELi1EEEJNS0_4AcosIS8_EEEEEvT_T0_DpT1_
; %bb.0:
	v_mov_b32_e32 v60, v0
	v_mov_b32_e32 v0, s8
	global_load_ubyte v0, v0, s[4:5] offset:1536
	s_add_u32 flat_scratch_lo, s6, s9
	s_addc_u32 flat_scratch_hi, s7, 0
	s_add_u32 s0, s0, s9
	s_addc_u32 s1, s1, 0
	s_mov_b64 s[34:35], s[4:5]
	s_add_u32 s4, s34, s8
	s_mul_hi_u32 s7, s8, 3
	s_mul_i32 s8, s8, 3
	s_addc_u32 s10, s35, 0
	s_add_u32 s6, s4, s8
	s_addc_u32 s7, s10, s7
	s_load_dword s10, s[6:7], 0x740
	s_mov_b32 s5, 0
	s_mov_b32 s9, s5
	;; [unrolled: 1-line block ×4, first 2 shown]
	s_waitcnt lgkmcnt(0)
	s_ashr_i32 s11, s10, 31
	s_lshl_b64 s[42:43], s[10:11], 20
	s_waitcnt vmcnt(0)
	v_readfirstlane_b32 s4, v0
	s_lshl_b32 s4, s4, 3
	s_load_dwordx2 s[38:39], s[34:35], s4 offset:0x0
	s_load_dwordx2 s[12:13], s[34:35], s4 offset:0x400
	s_load_dwordx2 s[36:37], s[34:35], s4 offset:0x200
	s_waitcnt lgkmcnt(0)
	s_add_u32 s33, s38, s42
	s_addc_u32 s6, s39, s43
	s_add_u32 s52, s36, s42
	s_addc_u32 s7, s37, s43
	s_and_b32 s8, s33, 63
	s_and_b32 s14, s12, 3
	;; [unrolled: 1-line block ×3, first 2 shown]
	s_or_b64 s[8:9], s[8:9], s[14:15]
	s_lshl_b64 s[10:11], s[10:11], 16
	s_or_b64 s[4:5], s[4:5], s[8:9]
	s_sub_u32 s44, s12, s10
	s_subb_u32 s45, s13, s11
	s_cmp_eq_u64 s[4:5], 0
	s_mov_b64 s[4:5], -1
	s_cbranch_scc0 .LBB43_5
; %bb.1:
	v_mov_b32_e32 v1, 0
	v_lshlrev_b32_e32 v0, 2, v60
	v_cmp_gt_i64_e32 vcc, s[44:45], v[0:1]
	s_and_saveexec_b64 s[40:41], vcc
	s_cbranch_execz .LBB43_4
; %bb.2:
	v_mov_b32_e32 v61, v1
	s_add_u32 s46, s34, 0xc50
	s_addc_u32 s47, s35, 0
	s_mov_b64 s[48:49], 0
	v_mov_b32_e32 v58, s6
	v_mov_b32_e32 v59, s7
	s_mov_b64 s[50:51], 0xffff
	v_pk_mov_b32 v[56:57], v[60:61], v[60:61] op_sel:[0,1]
.LBB43_3:                               ; =>This Inner Loop Header: Depth=1
	v_lshlrev_b64 v[62:63], 6, v[56:57]
	v_add_co_u32_e32 v4, vcc, s33, v62
	v_addc_co_u32_e32 v5, vcc, v58, v63, vcc
	global_load_dwordx4 v[0:3], v[4:5], off
	global_load_dwordx4 v[40:43], v[4:5], off offset:16
	global_load_dwordx4 v[44:47], v[4:5], off offset:48
	;; [unrolled: 1-line block ×3, first 2 shown]
	s_getpc_b64 s[54:55]
	s_add_u32 s54, s54, _ZNK2at6native4AcosIN3c107complexIdEEEclES4_@rel32@lo+4
	s_addc_u32 s55, s55, _ZNK2at6native4AcosIN3c107complexIdEEEclES4_@rel32@hi+12
	s_swappc_b64 s[30:31], s[54:55]
	v_mov_b32_e32 v52, v0
	v_mov_b32_e32 v53, v1
	v_mov_b32_e32 v54, v2
	v_mov_b32_e32 v55, v3
	v_mov_b32_e32 v0, v40
	v_mov_b32_e32 v1, v41
	v_mov_b32_e32 v2, v42
	v_mov_b32_e32 v3, v43
	s_swappc_b64 s[30:31], s[54:55]
	v_mov_b32_e32 v40, v0
	v_mov_b32_e32 v41, v1
	v_mov_b32_e32 v42, v2
	v_mov_b32_e32 v43, v3
	v_mov_b32_e32 v0, v48
	v_mov_b32_e32 v1, v49
	v_mov_b32_e32 v2, v50
	v_mov_b32_e32 v3, v51
	;; [unrolled: 9-line block ×3, first 2 shown]
	s_swappc_b64 s[30:31], s[54:55]
	v_add_co_u32_e32 v4, vcc, s52, v62
	v_addc_co_u32_e32 v5, vcc, v59, v63, vcc
	global_store_dwordx4 v[4:5], v[52:55], off
	global_store_dwordx4 v[4:5], v[40:43], off offset:16
	global_store_dwordx4 v[4:5], v[48:51], off offset:32
	;; [unrolled: 1-line block ×3, first 2 shown]
	s_load_dword s4, s[46:47], 0xc
	s_waitcnt lgkmcnt(0)
	s_and_b32 s4, s4, 0xffff
	v_add_co_u32_e32 v56, vcc, s4, v56
	v_addc_co_u32_e32 v57, vcc, 0, v57, vcc
	v_lshlrev_b64 v[0:1], 2, v[56:57]
	v_cmp_le_i64_e32 vcc, s[44:45], v[0:1]
	v_cmp_lt_u64_e64 s[4:5], s[50:51], v[0:1]
	s_or_b64 s[4:5], vcc, s[4:5]
	s_and_b64 s[4:5], exec, s[4:5]
	s_or_b64 s[48:49], s[4:5], s[48:49]
	s_andn2_b64 exec, exec, s[48:49]
	s_cbranch_execnz .LBB43_3
.LBB43_4:
	s_or_b64 exec, exec, s[40:41]
	s_mov_b64 s[4:5], 0
.LBB43_5:
	s_andn2_b64 vcc, exec, s[4:5]
	s_cbranch_vccnz .LBB43_25
; %bb.6:
	v_cmp_lt_i64_e64 s[4:5], s[44:45], 1
	s_and_b64 vcc, exec, s[4:5]
	s_cbranch_vccnz .LBB43_25
; %bb.7:
	s_load_dword s4, s[34:35], 0xc5c
	v_mov_b32_e32 v0, 0x10000
	v_mov_b32_e32 v1, 0
	v_cmp_lt_u64_e32 vcc, s[44:45], v[0:1]
	v_lshl_or_b32 v0, v60, 4, 8
	s_waitcnt lgkmcnt(0)
	s_and_b32 s52, s4, 0xffff
	s_and_b64 s[4:5], vcc, exec
	v_mov_b32_e32 v4, s39
	v_add_co_u32_e32 v62, vcc, s38, v0
	v_addc_co_u32_e32 v63, vcc, 0, v4, vcc
	v_mov_b32_e32 v5, s37
	v_add_co_u32_e32 v64, vcc, s36, v0
	v_mov_b32_e32 v61, 0
	v_addc_co_u32_e32 v65, vcc, 0, v5, vcc
	v_add_lshl_u32 v6, v60, s52, 4
	v_mov_b32_e32 v1, v61
	v_add_co_u32_e32 v66, vcc, s36, v6
	v_addc_co_u32_e32 v67, vcc, 0, v5, vcc
	v_mad_u64_u32 v[2:3], s[4:5], s52, 48, v[0:1]
	v_add_co_u32_e32 v68, vcc, s38, v2
	v_addc_co_u32_e32 v69, vcc, v4, v3, vcc
	v_add_co_u32_e32 v70, vcc, s38, v6
	v_addc_co_u32_e32 v71, vcc, 0, v4, vcc
	v_add_co_u32_e32 v72, vcc, s36, v2
	s_cselect_b32 s47, s45, 0
	s_cselect_b32 s46, s44, 0x10000
	v_addc_co_u32_e32 v73, vcc, v5, v3, vcc
	s_lshl_b32 s4, s52, 5
	v_add_co_u32_e32 v0, vcc, s4, v0
	v_addc_co_u32_e64 v1, s[4:5], 0, 0, vcc
	v_add_co_u32_e32 v74, vcc, s38, v0
	s_mov_b32 s33, 0
	v_addc_co_u32_e32 v75, vcc, v4, v1, vcc
	s_lshl_b32 s48, s52, 2
	s_mov_b32 s49, s33
	v_add_co_u32_e32 v76, vcc, s36, v0
	s_lshl_b32 s53, s52, 1
	s_mov_b32 s54, s33
	s_mul_i32 s55, s52, 3
	s_mov_b32 s56, s33
	s_lshl_b32 s57, s52, 6
	s_mov_b32 s58, s33
	v_addc_co_u32_e32 v77, vcc, v5, v1, vcc
	s_mov_b64 s[50:51], s[48:49]
	s_getpc_b64 s[60:61]
	s_add_u32 s60, s60, _ZNK2at6native4AcosIN3c107complexIdEEEclES4_@rel32@lo+4
	s_addc_u32 s61, s61, _ZNK2at6native4AcosIN3c107complexIdEEEclES4_@rel32@hi+12
	s_branch .LBB43_9
.LBB43_8:                               ;   in Loop: Header=BB43_9 Depth=1
	s_or_b64 exec, exec, s[4:5]
	v_pk_mov_b32 v[0:1], s[44:45], s[44:45] op_sel:[0,1]
	v_cmp_ge_i64_e32 vcc, s[50:51], v[0:1]
	v_mov_b32_e32 v0, 0xffff
	v_mov_b32_e32 v1, 0
	v_cmp_gt_u64_e64 s[4:5], s[50:51], v[0:1]
	s_or_b64 s[4:5], vcc, s[4:5]
	v_mov_b32_e32 v0, s49
	v_add_co_u32_e32 v60, vcc, s48, v60
	v_addc_co_u32_e32 v61, vcc, v61, v0, vcc
	v_mov_b32_e32 v0, s58
	v_add_co_u32_e32 v62, vcc, s57, v62
	v_addc_co_u32_e32 v63, vcc, v63, v0, vcc
	v_add_co_u32_e32 v64, vcc, s57, v64
	v_addc_co_u32_e32 v65, vcc, v65, v0, vcc
	;; [unrolled: 2-line block ×7, first 2 shown]
	v_add_co_u32_e32 v76, vcc, s57, v76
	s_add_u32 s50, s50, s48
	v_addc_co_u32_e32 v77, vcc, v77, v0, vcc
	s_addc_u32 s51, s51, 0
	s_and_b64 vcc, exec, s[4:5]
	s_cbranch_vccnz .LBB43_25
.LBB43_9:                               ; =>This Inner Loop Header: Depth=1
	v_pk_mov_b32 v[42:43], 0, 0
	v_cmp_gt_u64_e64 s[34:35], s[46:47], v[60:61]
	v_pk_mov_b32 v[2:3], v[42:43], v[42:43] op_sel:[0,1]
	v_pk_mov_b32 v[0:1], v[42:43], v[42:43] op_sel:[0,1]
	s_and_saveexec_b64 s[4:5], s[34:35]
	s_cbranch_execz .LBB43_11
; %bb.10:                               ;   in Loop: Header=BB43_9 Depth=1
	v_mov_b32_e32 v1, s43
	v_add_co_u32_e32 v0, vcc, s42, v62
	v_addc_co_u32_e32 v1, vcc, v63, v1, vcc
	global_load_dwordx4 v[0:3], v[0:1], off offset:-8
.LBB43_11:                              ;   in Loop: Header=BB43_9 Depth=1
	s_or_b64 exec, exec, s[4:5]
	v_mov_b32_e32 v5, s33
	v_add_co_u32_e32 v4, vcc, s52, v60
	v_addc_co_u32_e32 v5, vcc, v5, v61, vcc
	v_cmp_gt_u64_e64 s[36:37], s[46:47], v[4:5]
	v_pk_mov_b32 v[40:41], v[42:43], v[42:43] op_sel:[0,1]
	s_and_saveexec_b64 s[4:5], s[36:37]
	s_cbranch_execz .LBB43_13
; %bb.12:                               ;   in Loop: Header=BB43_9 Depth=1
	v_mov_b32_e32 v5, s43
	v_add_co_u32_e32 v4, vcc, s42, v70
	v_addc_co_u32_e32 v5, vcc, v71, v5, vcc
	global_load_dwordx4 v[40:43], v[4:5], off
.LBB43_13:                              ;   in Loop: Header=BB43_9 Depth=1
	s_or_b64 exec, exec, s[4:5]
	v_mov_b32_e32 v5, s54
	v_add_co_u32_e32 v4, vcc, s53, v60
	v_addc_co_u32_e32 v5, vcc, v5, v61, vcc
	v_pk_mov_b32 v[46:47], 0, 0
	v_cmp_gt_u64_e64 s[38:39], s[46:47], v[4:5]
	v_pk_mov_b32 v[50:51], v[46:47], v[46:47] op_sel:[0,1]
	v_pk_mov_b32 v[48:49], v[46:47], v[46:47] op_sel:[0,1]
	s_and_saveexec_b64 s[4:5], s[38:39]
	s_cbranch_execz .LBB43_15
; %bb.14:                               ;   in Loop: Header=BB43_9 Depth=1
	v_mov_b32_e32 v5, s43
	v_add_co_u32_e32 v4, vcc, s42, v74
	v_addc_co_u32_e32 v5, vcc, v75, v5, vcc
	global_load_dwordx4 v[48:51], v[4:5], off offset:-8
.LBB43_15:                              ;   in Loop: Header=BB43_9 Depth=1
	s_or_b64 exec, exec, s[4:5]
	v_mov_b32_e32 v5, s56
	v_add_co_u32_e32 v4, vcc, s55, v60
	v_addc_co_u32_e32 v5, vcc, v5, v61, vcc
	v_cmp_gt_u64_e64 s[40:41], s[46:47], v[4:5]
	v_pk_mov_b32 v[44:45], v[46:47], v[46:47] op_sel:[0,1]
	s_and_saveexec_b64 s[4:5], s[40:41]
	s_cbranch_execz .LBB43_17
; %bb.16:                               ;   in Loop: Header=BB43_9 Depth=1
	v_mov_b32_e32 v5, s43
	v_add_co_u32_e32 v4, vcc, s42, v68
	v_addc_co_u32_e32 v5, vcc, v69, v5, vcc
	global_load_dwordx4 v[44:47], v[4:5], off offset:-8
.LBB43_17:                              ;   in Loop: Header=BB43_9 Depth=1
	s_or_b64 exec, exec, s[4:5]
	s_swappc_b64 s[30:31], s[60:61]
	v_mov_b32_e32 v56, v0
	v_mov_b32_e32 v57, v1
	v_mov_b32_e32 v58, v2
	v_mov_b32_e32 v59, v3
	v_mov_b32_e32 v0, v40
	v_mov_b32_e32 v1, v41
	v_mov_b32_e32 v2, v42
	v_mov_b32_e32 v3, v43
	s_swappc_b64 s[30:31], s[60:61]
	v_mov_b32_e32 v52, v0
	v_mov_b32_e32 v53, v1
	v_mov_b32_e32 v54, v2
	v_mov_b32_e32 v55, v3
	v_mov_b32_e32 v0, v48
	v_mov_b32_e32 v1, v49
	v_mov_b32_e32 v2, v50
	v_mov_b32_e32 v3, v51
	;; [unrolled: 9-line block ×3, first 2 shown]
	s_swappc_b64 s[30:31], s[60:61]
	s_and_saveexec_b64 s[4:5], s[34:35]
	s_cbranch_execnz .LBB43_21
; %bb.18:                               ;   in Loop: Header=BB43_9 Depth=1
	s_or_b64 exec, exec, s[4:5]
	s_and_saveexec_b64 s[4:5], s[36:37]
	s_cbranch_execnz .LBB43_22
.LBB43_19:                              ;   in Loop: Header=BB43_9 Depth=1
	s_or_b64 exec, exec, s[4:5]
	s_and_saveexec_b64 s[4:5], s[38:39]
	s_cbranch_execnz .LBB43_23
.LBB43_20:                              ;   in Loop: Header=BB43_9 Depth=1
	s_or_b64 exec, exec, s[4:5]
	s_and_saveexec_b64 s[4:5], s[40:41]
	s_cbranch_execz .LBB43_8
	s_branch .LBB43_24
.LBB43_21:                              ;   in Loop: Header=BB43_9 Depth=1
	v_mov_b32_e32 v5, s43
	v_add_co_u32_e32 v4, vcc, s42, v64
	v_addc_co_u32_e32 v5, vcc, v65, v5, vcc
	global_store_dwordx4 v[4:5], v[56:59], off offset:-8
	s_or_b64 exec, exec, s[4:5]
	s_and_saveexec_b64 s[4:5], s[36:37]
	s_cbranch_execz .LBB43_19
.LBB43_22:                              ;   in Loop: Header=BB43_9 Depth=1
	v_mov_b32_e32 v5, s43
	v_add_co_u32_e32 v4, vcc, s42, v66
	v_addc_co_u32_e32 v5, vcc, v67, v5, vcc
	global_store_dwordx4 v[4:5], v[52:55], off
	s_or_b64 exec, exec, s[4:5]
	s_and_saveexec_b64 s[4:5], s[38:39]
	s_cbranch_execz .LBB43_20
.LBB43_23:                              ;   in Loop: Header=BB43_9 Depth=1
	v_mov_b32_e32 v5, s43
	v_add_co_u32_e32 v4, vcc, s42, v76
	v_addc_co_u32_e32 v5, vcc, v77, v5, vcc
	global_store_dwordx4 v[4:5], v[40:43], off offset:-8
	s_or_b64 exec, exec, s[4:5]
	s_and_saveexec_b64 s[4:5], s[40:41]
	s_cbranch_execz .LBB43_8
.LBB43_24:                              ;   in Loop: Header=BB43_9 Depth=1
	v_mov_b32_e32 v5, s43
	v_add_co_u32_e32 v4, vcc, s42, v72
	v_addc_co_u32_e32 v5, vcc, v73, v5, vcc
	global_store_dwordx4 v[4:5], v[0:3], off offset:-8
	s_branch .LBB43_8
.LBB43_25:
	s_endpgm
	.section	.rodata,"a",@progbits
	.p2align	6, 0x0
	.amdhsa_kernel _ZN2at6native12_GLOBAL__N_125multi_tensor_apply_kernelINS1_18TensorListMetadataILi2EEENS1_14UnaryOpFunctorIN3c107complexIdEELi2ELi1ELi1EEEJNS0_4AcosIS8_EEEEEvT_T0_DpT1_
		.amdhsa_group_segment_fixed_size 0
		.amdhsa_private_segment_fixed_size 24
		.amdhsa_kernarg_size 3408
		.amdhsa_user_sgpr_count 8
		.amdhsa_user_sgpr_private_segment_buffer 1
		.amdhsa_user_sgpr_dispatch_ptr 0
		.amdhsa_user_sgpr_queue_ptr 0
		.amdhsa_user_sgpr_kernarg_segment_ptr 1
		.amdhsa_user_sgpr_dispatch_id 0
		.amdhsa_user_sgpr_flat_scratch_init 1
		.amdhsa_user_sgpr_kernarg_preload_length 0
		.amdhsa_user_sgpr_kernarg_preload_offset 0
		.amdhsa_user_sgpr_private_segment_size 0
		.amdhsa_uses_dynamic_stack 0
		.amdhsa_system_sgpr_private_segment_wavefront_offset 1
		.amdhsa_system_sgpr_workgroup_id_x 1
		.amdhsa_system_sgpr_workgroup_id_y 0
		.amdhsa_system_sgpr_workgroup_id_z 0
		.amdhsa_system_sgpr_workgroup_info 0
		.amdhsa_system_vgpr_workitem_id 0
		.amdhsa_next_free_vgpr 78
		.amdhsa_next_free_sgpr 62
		.amdhsa_accum_offset 80
		.amdhsa_reserve_vcc 1
		.amdhsa_reserve_flat_scratch 1
		.amdhsa_float_round_mode_32 0
		.amdhsa_float_round_mode_16_64 0
		.amdhsa_float_denorm_mode_32 3
		.amdhsa_float_denorm_mode_16_64 3
		.amdhsa_dx10_clamp 1
		.amdhsa_ieee_mode 1
		.amdhsa_fp16_overflow 0
		.amdhsa_tg_split 0
		.amdhsa_exception_fp_ieee_invalid_op 0
		.amdhsa_exception_fp_denorm_src 0
		.amdhsa_exception_fp_ieee_div_zero 0
		.amdhsa_exception_fp_ieee_overflow 0
		.amdhsa_exception_fp_ieee_underflow 0
		.amdhsa_exception_fp_ieee_inexact 0
		.amdhsa_exception_int_div_zero 0
	.end_amdhsa_kernel
	.section	.text._ZN2at6native12_GLOBAL__N_125multi_tensor_apply_kernelINS1_18TensorListMetadataILi2EEENS1_14UnaryOpFunctorIN3c107complexIdEELi2ELi1ELi1EEEJNS0_4AcosIS8_EEEEEvT_T0_DpT1_,"axG",@progbits,_ZN2at6native12_GLOBAL__N_125multi_tensor_apply_kernelINS1_18TensorListMetadataILi2EEENS1_14UnaryOpFunctorIN3c107complexIdEELi2ELi1ELi1EEEJNS0_4AcosIS8_EEEEEvT_T0_DpT1_,comdat
.Lfunc_end43:
	.size	_ZN2at6native12_GLOBAL__N_125multi_tensor_apply_kernelINS1_18TensorListMetadataILi2EEENS1_14UnaryOpFunctorIN3c107complexIdEELi2ELi1ELi1EEEJNS0_4AcosIS8_EEEEEvT_T0_DpT1_, .Lfunc_end43-_ZN2at6native12_GLOBAL__N_125multi_tensor_apply_kernelINS1_18TensorListMetadataILi2EEENS1_14UnaryOpFunctorIN3c107complexIdEELi2ELi1ELi1EEEJNS0_4AcosIS8_EEEEEvT_T0_DpT1_
                                        ; -- End function
	.section	.AMDGPU.csdata,"",@progbits
; Kernel info:
; codeLenInByte = 1496
; NumSgprs: 68
; NumVgprs: 78
; NumAgprs: 0
; TotalNumVgprs: 78
; ScratchSize: 24
; MemoryBound: 1
; FloatMode: 240
; IeeeMode: 1
; LDSByteSize: 0 bytes/workgroup (compile time only)
; SGPRBlocks: 8
; VGPRBlocks: 9
; NumSGPRsForWavesPerEU: 68
; NumVGPRsForWavesPerEU: 78
; AccumOffset: 80
; Occupancy: 6
; WaveLimiterHint : 0
; COMPUTE_PGM_RSRC2:SCRATCH_EN: 1
; COMPUTE_PGM_RSRC2:USER_SGPR: 8
; COMPUTE_PGM_RSRC2:TRAP_HANDLER: 0
; COMPUTE_PGM_RSRC2:TGID_X_EN: 1
; COMPUTE_PGM_RSRC2:TGID_Y_EN: 0
; COMPUTE_PGM_RSRC2:TGID_Z_EN: 0
; COMPUTE_PGM_RSRC2:TIDIG_COMP_CNT: 0
; COMPUTE_PGM_RSRC3_GFX90A:ACCUM_OFFSET: 19
; COMPUTE_PGM_RSRC3_GFX90A:TG_SPLIT: 0
	.section	.text._ZN2at6native12_GLOBAL__N_125multi_tensor_apply_kernelINS1_18TensorListMetadataILi2EEENS1_14UnaryOpFunctorIN3c107complexIfEELi2ELi1ELi1EEEJNS0_4AcosIS8_EEEEEvT_T0_DpT1_,"axG",@progbits,_ZN2at6native12_GLOBAL__N_125multi_tensor_apply_kernelINS1_18TensorListMetadataILi2EEENS1_14UnaryOpFunctorIN3c107complexIfEELi2ELi1ELi1EEEJNS0_4AcosIS8_EEEEEvT_T0_DpT1_,comdat
	.globl	_ZN2at6native12_GLOBAL__N_125multi_tensor_apply_kernelINS1_18TensorListMetadataILi2EEENS1_14UnaryOpFunctorIN3c107complexIfEELi2ELi1ELi1EEEJNS0_4AcosIS8_EEEEEvT_T0_DpT1_ ; -- Begin function _ZN2at6native12_GLOBAL__N_125multi_tensor_apply_kernelINS1_18TensorListMetadataILi2EEENS1_14UnaryOpFunctorIN3c107complexIfEELi2ELi1ELi1EEEJNS0_4AcosIS8_EEEEEvT_T0_DpT1_
	.p2align	8
	.type	_ZN2at6native12_GLOBAL__N_125multi_tensor_apply_kernelINS1_18TensorListMetadataILi2EEENS1_14UnaryOpFunctorIN3c107complexIfEELi2ELi1ELi1EEEJNS0_4AcosIS8_EEEEEvT_T0_DpT1_,@function
_ZN2at6native12_GLOBAL__N_125multi_tensor_apply_kernelINS1_18TensorListMetadataILi2EEENS1_14UnaryOpFunctorIN3c107complexIfEELi2ELi1ELi1EEEJNS0_4AcosIS8_EEEEEvT_T0_DpT1_: ; @_ZN2at6native12_GLOBAL__N_125multi_tensor_apply_kernelINS1_18TensorListMetadataILi2EEENS1_14UnaryOpFunctorIN3c107complexIfEELi2ELi1ELi1EEEJNS0_4AcosIS8_EEEEEvT_T0_DpT1_
; %bb.0:
	v_mov_b32_e32 v1, s8
	global_load_ubyte v1, v1, s[4:5] offset:1536
	s_add_u32 flat_scratch_lo, s6, s9
	s_addc_u32 flat_scratch_hi, s7, 0
	s_add_u32 s0, s0, s9
	s_addc_u32 s1, s1, 0
	s_add_u32 s6, s4, s8
	s_mul_hi_u32 s9, s8, 3
	s_mul_i32 s8, s8, 3
	s_addc_u32 s10, s5, 0
	s_add_u32 s8, s6, s8
	s_addc_u32 s9, s10, s9
	s_load_dword s12, s[8:9], 0x740
	s_mov_b32 s7, 0
	s_mov_b32 s11, s7
	;; [unrolled: 1-line block ×3, first 2 shown]
	s_waitcnt lgkmcnt(0)
	s_ashr_i32 s13, s12, 31
	s_lshl_b64 s[20:21], s[12:13], 19
	s_waitcnt vmcnt(0)
	v_readfirstlane_b32 s6, v1
	s_lshl_b32 s6, s6, 3
	s_load_dwordx2 s[14:15], s[4:5], s6 offset:0x0
	s_load_dwordx2 s[18:19], s[4:5], s6 offset:0x400
	;; [unrolled: 1-line block ×3, first 2 shown]
	s_waitcnt lgkmcnt(0)
	s_add_u32 s33, s14, s20
	s_addc_u32 s8, s15, s21
	s_add_u32 s39, s16, s20
	s_addc_u32 s64, s17, s21
	s_and_b32 s10, s33, 31
	s_and_b32 s22, s18, 3
	;; [unrolled: 1-line block ×3, first 2 shown]
	s_or_b64 s[10:11], s[10:11], s[22:23]
	s_lshl_b64 s[12:13], s[12:13], 16
	s_or_b64 s[6:7], s[6:7], s[10:11]
	s_sub_u32 s22, s18, s12
	s_subb_u32 s23, s19, s13
	s_cmp_eq_u64 s[6:7], 0
	s_mov_b64 s[6:7], -1
	s_cbranch_scc0 .LBB44_397
; %bb.1:
	v_mov_b32_e32 v3, 0
	v_lshlrev_b32_e32 v2, 2, v0
	v_cmp_gt_i64_e32 vcc, s[22:23], v[2:3]
	s_and_saveexec_b64 s[18:19], vcc
	s_cbranch_execz .LBB44_396
; %bb.2:
	s_mov_b64 s[26:27], src_private_base
	v_mov_b32_e32 v1, v3
	s_add_u32 s24, s4, 0xc50
	s_mov_b32 s26, 8
	s_mov_b32 s36, 1.0
	s_addc_u32 s25, s5, 0
	s_mov_b32 s28, 0
	s_mov_b32 s29, s27
	;; [unrolled: 1-line block ×4, first 2 shown]
	s_mov_b64 s[34:35], 0
	v_mov_b32_e32 v28, s8
	v_mov_b32_e32 v29, 0x248d3132
	v_pk_mov_b32 v[14:15], s[26:27], s[26:27] op_sel:[0,1]
	s_mov_b32 s65, 0x4b000000
	s_mov_b32 s37, -1.0
	v_mov_b32_e32 v30, 0xd800000
	s_mov_b32 s66, 0x395db3d7
	s_brev_b32 s67, -2
	s_mov_b32 s68, 0x7f800000
	s_mov_b32 s69, 0x41200000
	;; [unrolled: 1-line block ×4, first 2 shown]
	v_mov_b32_e32 v31, 0x260
	s_mov_b32 s72, 0x800000
	s_mov_b32 s73, 0x3f317217
	;; [unrolled: 1-line block ×4, first 2 shown]
	v_mov_b32_e32 v32, 0x3f2aaada
	s_mov_b32 s76, 0x3f317218
	s_mov_b32 s77, 0x33800000
	;; [unrolled: 1-line block ×7, first 2 shown]
	v_mov_b32_e32 v33, 0x3d034c3c
	v_mov_b32_e32 v34, 0x3d3641b1
	;; [unrolled: 1-line block ×10, first 2 shown]
	s_movk_i32 s82, 0x204
	s_mov_b32 s83, 0x7effffff
	s_mov_b32 s84, 0x5e000000
	s_brev_b32 s85, 4
	s_mov_b32 s86, 0x402df854
	s_mov_b64 s[40:41], 0xffff
	v_mov_b32_e32 v43, 0x7f800000
	v_mov_b32_e32 v44, 0x4f800000
	;; [unrolled: 1-line block ×3, first 2 shown]
	v_mov_b32_e32 v16, 1.0
	v_mov_b32_e32 v18, 0x3f317218
	v_mov_b32_e32 v46, 0x7fc00000
	;; [unrolled: 1-line block ×6, first 2 shown]
	v_pk_mov_b32 v[20:21], v[0:1], v[0:1] op_sel:[0,1]
	s_branch .LBB44_5
.LBB44_3:                               ;   in Loop: Header=BB44_5 Depth=1
	s_or_b64 exec, exec, s[8:9]
.LBB44_4:                               ;   in Loop: Header=BB44_5 Depth=1
	s_or_b64 exec, exec, s[6:7]
	v_mov_b32_e32 v1, s64
	s_waitcnt lgkmcnt(0)
	v_add_co_u32_e32 v2, vcc, s39, v22
	v_addc_co_u32_e32 v3, vcc, v1, v23, vcc
	global_store_dwordx4 v[2:3], v[6:9], off
	global_store_dwordx4 v[2:3], v[10:13], off offset:16
	s_load_dword s6, s[24:25], 0xc
	s_waitcnt lgkmcnt(0)
	s_and_b32 s6, s6, 0xffff
	v_add_co_u32_e32 v20, vcc, s6, v20
	v_addc_co_u32_e32 v21, vcc, 0, v21, vcc
	v_lshlrev_b64 v[2:3], 2, v[20:21]
	v_cmp_le_i64_e32 vcc, s[22:23], v[2:3]
	v_cmp_lt_u64_e64 s[6:7], s[40:41], v[2:3]
	s_or_b64 s[6:7], vcc, s[6:7]
	s_and_b64 s[6:7], exec, s[6:7]
	s_or_b64 s[34:35], s[6:7], s[34:35]
	s_andn2_b64 exec, exec, s[34:35]
	s_cbranch_execz .LBB44_396
.LBB44_5:                               ; =>This Inner Loop Header: Depth=1
	v_lshlrev_b64 v[22:23], 5, v[20:21]
	v_add_co_u32_e32 v2, vcc, s33, v22
	v_addc_co_u32_e32 v3, vcc, v28, v23, vcc
	global_load_dwordx4 v[10:13], v[2:3], off
	s_nop 0
	global_load_dwordx4 v[2:5], v[2:3], off offset:16
                                        ; implicit-def: $vgpr7
	s_waitcnt vmcnt(1)
	v_cmp_o_f32_e32 vcc, v10, v10
	v_cmp_o_f32_e64 s[6:7], v11, v11
	s_and_b64 s[6:7], vcc, s[6:7]
	flat_store_dword v[14:15], v29
	s_waitcnt vmcnt(0)
	s_and_saveexec_b64 s[8:9], s[6:7]
	s_xor_b64 s[42:43], exec, s[8:9]
	s_cbranch_execz .LBB44_89
; %bb.6:                                ;   in Loop: Header=BB44_5 Depth=1
	v_max_f32_e64 v1, |v11|, |v11|
	v_max_f32_e64 v9, |v10|, |v10|
	v_max_f32_e32 v8, v9, v1
	v_cmp_gt_i32_e64 s[8:9], 0, v10
	v_cmp_lt_i32_e64 s[10:11], -1, v10
	v_cmp_gt_i32_e64 s[6:7], 0, v11
	v_cmp_nlt_f32_e32 vcc, s65, v8
                                        ; implicit-def: $vgpr7
	s_and_saveexec_b64 s[12:13], vcc
	s_xor_b64 s[44:45], exec, s[12:13]
	s_cbranch_execz .LBB44_78
; %bb.7:                                ;   in Loop: Header=BB44_5 Depth=1
	v_cmp_neq_f32_e32 vcc, 1.0, v10
	v_cmp_neq_f32_e64 s[12:13], 0, v11
	s_or_b64 s[12:13], vcc, s[12:13]
                                        ; implicit-def: $vgpr7
	s_and_saveexec_b64 s[46:47], s[12:13]
	s_xor_b64 s[46:47], exec, s[46:47]
	s_cbranch_execz .LBB44_75
; %bb.8:                                ;   in Loop: Header=BB44_5 Depth=1
	v_pk_mov_b32 v[6:7], s[28:29], s[28:29] op_sel:[0,1]
	flat_store_dword v[6:7], v30
	s_waitcnt vmcnt(0)
	flat_load_dword v6, v[6:7] glc
	s_waitcnt vmcnt(0)
	v_cmp_nlt_f32_e64 s[12:13], |v10|, s66
	v_cmp_nlt_f32_e64 s[48:49], |v11|, s66
	s_or_b64 s[12:13], s[12:13], s[48:49]
	s_waitcnt lgkmcnt(0)
	v_add_f32_e32 v8, 1.0, v6
	v_pk_mov_b32 v[6:7], s[30:31], s[30:31] op_sel:[0,1]
	flat_store_dword v[6:7], v8
	s_waitcnt vmcnt(0)
	flat_load_dword v6, v[6:7] glc
	s_waitcnt vmcnt(0)
                                        ; implicit-def: $vgpr7
	s_and_saveexec_b64 s[48:49], s[12:13]
	s_xor_b64 s[48:49], exec, s[48:49]
	s_cbranch_execz .LBB44_72
; %bb.9:                                ;   in Loop: Header=BB44_5 Depth=1
	v_and_b32_e32 v8, 0x7fffffff, v10
	v_pk_add_f32 v[24:25], v[8:9], s[36:37] op_sel_hi:[0,1]
	v_max_f32_e64 v17, v1, |v24|
	s_waitcnt vmcnt(0) lgkmcnt(0)
	v_cvt_f64_f32_e32 v[6:7], v17
	v_max_f32_e64 v9, v1, |v25|
	v_frexp_exp_i32_f64_e32 v1, v[6:7]
	v_sub_u32_e32 v6, 0, v1
	v_ldexp_f32 v7, |v11|, v6
	v_ldexp_f32 v6, |v24|, v6
	v_mul_f32_e32 v6, v6, v6
	v_fmac_f32_e32 v6, v7, v7
	v_sqrt_f32_e32 v19, v6
	v_cvt_f64_f32_e32 v[6:7], v9
	v_frexp_exp_i32_f64_e32 v6, v[6:7]
	v_sub_u32_e32 v7, 0, v6
	v_ldexp_f32 v26, |v11|, v7
	v_ldexp_f32 v7, |v25|, v7
	v_mul_f32_e32 v7, v7, v7
	v_fmac_f32_e32 v7, v26, v26
	v_sqrt_f32_e32 v7, v7
	v_ldexp_f32 v19, v19, v1
	v_cmp_neq_f32_e32 vcc, s68, v9
	v_ldexp_f32 v1, v7, v6
	v_cndmask_b32_e32 v1, v43, v1, vcc
	v_cmp_neq_f32_e32 vcc, s68, v17
	v_cndmask_b32_e32 v9, v43, v19, vcc
	v_add_f32_e32 v6, v9, v1
	v_mul_f32_e32 v6, 0.5, v6
	v_cmp_ngt_f32_e32 vcc, 1.0, v6
	v_cndmask_b32_e32 v6, 1.0, v6, vcc
	v_cmp_ngt_f32_e32 vcc, s69, v6
                                        ; implicit-def: $vgpr17
	s_and_saveexec_b64 s[12:13], vcc
	s_xor_b64 s[50:51], exec, s[12:13]
	s_cbranch_execz .LBB44_11
; %bb.10:                               ;   in Loop: Header=BB44_5 Depth=1
	v_fma_f32 v7, v6, v6, -1.0
	v_mul_f32_e32 v17, 0x4f800000, v7
	v_cmp_gt_f32_e32 vcc, s70, v7
	v_cndmask_b32_e32 v7, v7, v17, vcc
	v_sqrt_f32_e32 v17, v7
	v_add_u32_e32 v19, -1, v17
	v_fma_f32 v27, -v19, v17, v7
	v_add_u32_e32 v26, 1, v17
	v_cmp_ge_f32_e64 s[12:13], 0, v27
	v_cndmask_b32_e64 v19, v17, v19, s[12:13]
	v_fma_f32 v17, -v26, v17, v7
	v_cmp_lt_f32_e64 s[12:13], 0, v17
	v_cndmask_b32_e64 v17, v19, v26, s[12:13]
	v_mul_f32_e32 v19, 0x37800000, v17
	v_cndmask_b32_e32 v17, v17, v19, vcc
	v_cmp_class_f32_e32 vcc, v7, v31
	v_cndmask_b32_e32 v7, v17, v7, vcc
	v_add_f32_e32 v7, v6, v7
	v_cmp_gt_f32_e32 vcc, s72, v7
	v_cndmask_b32_e32 v17, 1.0, v44, vcc
	v_mul_f32_e32 v7, v7, v17
	v_log_f32_e32 v7, v7
	v_mul_f32_e32 v17, 0x3f317217, v7
	v_fma_f32 v19, v7, s73, -v17
	v_fmac_f32_e32 v19, 0x3377d1cf, v7
	v_add_f32_e32 v17, v17, v19
	v_cmp_lt_f32_e64 s[12:13], |v7|, s68
	v_cndmask_b32_e64 v7, v7, v17, s[12:13]
	v_cndmask_b32_e32 v17, 0, v45, vcc
	v_sub_f32_e32 v17, v7, v17
.LBB44_11:                              ;   in Loop: Header=BB44_5 Depth=1
	s_or_saveexec_b64 s[50:51], s[50:51]
	v_and_b32_e32 v27, 0x7fffffff, v11
	v_and_b32_e32 v51, 0x7fffffff, v25
	s_xor_b64 exec, exec, s[50:51]
	s_cbranch_execz .LBB44_33
; %bb.12:                               ;   in Loop: Header=BB44_5 Depth=1
	v_cmp_neq_f32_e64 s[12:13], |v10|, 1.0
	v_cmp_nlt_f32_e64 s[52:53], |v11|, s74
	s_or_b64 s[12:13], s[12:13], s[52:53]
                                        ; implicit-def: $vgpr17
	s_and_saveexec_b64 s[52:53], s[12:13]
	s_xor_b64 s[52:53], exec, s[52:53]
	s_cbranch_execz .LBB44_30
; %bb.13:                               ;   in Loop: Header=BB44_5 Depth=1
	v_mul_f32_e32 v7, 0x34000000, v51
	v_cmp_le_f32_e64 s[12:13], v7, |v11|
                                        ; implicit-def: $vgpr17
	s_and_saveexec_b64 s[54:55], s[12:13]
	s_xor_b64 s[54:55], exec, s[54:55]
	s_cbranch_execz .LBB44_23
; %bb.14:                               ;   in Loop: Header=BB44_5 Depth=1
	v_cmp_neq_f32_e32 vcc, 0, v24
	v_mov_b32_e32 v7, v27
	s_and_saveexec_b64 s[12:13], vcc
	s_cbranch_execz .LBB44_16
; %bb.15:                               ;   in Loop: Header=BB44_5 Depth=1
	v_mul_f32_e32 v7, v11, v11
	v_add_f32_e32 v17, v24, v9
	v_div_scale_f32 v19, s[56:57], v17, v17, v7
	v_rcp_f32_e32 v26, v19
	v_fma_f32 v52, -v19, v26, 1.0
	v_fmac_f32_e32 v26, v52, v26
	v_div_scale_f32 v52, vcc, v7, v17, v7
	v_mul_f32_e32 v53, v52, v26
	v_fma_f32 v54, -v19, v53, v52
	v_fmac_f32_e32 v53, v54, v26
	v_fma_f32 v19, -v19, v53, v52
	v_div_fmas_f32 v19, v19, v26, v53
	v_div_fixup_f32 v7, v19, v17, v7
.LBB44_16:                              ;   in Loop: Header=BB44_5 Depth=1
	s_or_b64 exec, exec, s[12:13]
	v_sub_f32_e64 v19, 1.0, |v10|
	v_cmp_ngt_f32_e32 vcc, 0, v19
                                        ; implicit-def: $vgpr17
	s_and_saveexec_b64 s[12:13], vcc
	s_xor_b64 s[12:13], exec, s[12:13]
	s_cbranch_execz .LBB44_20
; %bb.17:                               ;   in Loop: Header=BB44_5 Depth=1
	v_cmp_neq_f32_e32 vcc, 0, v19
	v_mov_b32_e32 v17, v27
	s_and_saveexec_b64 s[56:57], vcc
	s_cbranch_execz .LBB44_19
; %bb.18:                               ;   in Loop: Header=BB44_5 Depth=1
	v_mul_f32_e32 v17, v11, v11
	v_add_f32_e32 v19, v19, v1
	v_div_scale_f32 v26, s[58:59], v19, v19, v17
	v_rcp_f32_e32 v52, v26
	v_fma_f32 v53, -v26, v52, 1.0
	v_fmac_f32_e32 v52, v53, v52
	v_div_scale_f32 v53, vcc, v17, v19, v17
	v_mul_f32_e32 v54, v53, v52
	v_fma_f32 v55, -v26, v54, v53
	v_fmac_f32_e32 v54, v55, v52
	v_fma_f32 v26, -v26, v54, v53
	v_div_fmas_f32 v26, v26, v52, v54
	v_div_fixup_f32 v17, v26, v19, v17
.LBB44_19:                              ;   in Loop: Header=BB44_5 Depth=1
	s_or_b64 exec, exec, s[56:57]
                                        ; implicit-def: $vgpr19
.LBB44_20:                              ;   in Loop: Header=BB44_5 Depth=1
	s_andn2_saveexec_b64 s[12:13], s[12:13]
; %bb.21:                               ;   in Loop: Header=BB44_5 Depth=1
	v_sub_f32_e32 v17, v1, v19
; %bb.22:                               ;   in Loop: Header=BB44_5 Depth=1
	s_or_b64 exec, exec, s[12:13]
	v_mul_f32_e32 v7, 0.5, v7
	v_mul_f32_e32 v17, 0.5, v17
	v_pk_add_f32 v[52:53], v[6:7], v[16:17]
	v_mul_f32_e32 v7, v52, v53
	v_mul_f32_e32 v17, 0x4f800000, v7
	v_cmp_gt_f32_e32 vcc, s70, v7
	v_cndmask_b32_e32 v7, v7, v17, vcc
	v_sqrt_f32_e32 v17, v7
	v_add_u32_e32 v19, -1, v17
	v_fma_f32 v26, -v19, v17, v7
	v_cmp_ge_f32_e64 s[12:13], 0, v26
	v_add_u32_e32 v26, 1, v17
	v_cndmask_b32_e64 v19, v17, v19, s[12:13]
	v_fma_f32 v17, -v26, v17, v7
	v_cmp_lt_f32_e64 s[12:13], 0, v17
	v_cndmask_b32_e64 v17, v19, v26, s[12:13]
	v_mul_f32_e32 v19, 0x37800000, v17
	v_cndmask_b32_e32 v17, v17, v19, vcc
	v_cmp_class_f32_e32 vcc, v7, v31
	v_cndmask_b32_e32 v7, v17, v7, vcc
	v_add_f32_e32 v52, v53, v7
	v_add_f32_e32 v55, 1.0, v52
	v_add_f32_e32 v53, -1.0, v55
	v_mov_b32_e32 v54, v53
	v_pk_add_f32 v[56:57], v[52:53], v[54:55] neg_lo:[0,1] neg_hi:[0,1]
	v_add_f32_e32 v7, 1.0, v57
	v_add_f32_e32 v7, v56, v7
	v_frexp_mant_f32_e32 v17, v55
	v_cvt_f64_f32_e32 v[56:57], v55
	v_frexp_exp_i32_f64_e32 v19, v[56:57]
	v_cmp_gt_f32_e32 vcc, s75, v17
	v_subbrev_co_u32_e32 v17, vcc, 0, v19, vcc
	v_sub_u32_e32 v19, 0, v17
	v_ldexp_f32 v26, v55, v19
	v_ldexp_f32 v7, v7, v19
	v_add_f32_e32 v19, -1.0, v26
	v_add_f32_e32 v54, 1.0, v26
	v_add_f32_e32 v53, 1.0, v19
	v_add_f32_e32 v55, -1.0, v54
	v_sub_f32_e32 v53, v26, v53
	v_sub_f32_e32 v26, v26, v55
	v_add_f32_e32 v53, v7, v53
	v_add_f32_e32 v7, v7, v26
	;; [unrolled: 1-line block ×3, first 2 shown]
	v_rcp_f32_e32 v62, v26
	v_add_f32_e32 v55, v19, v53
	v_sub_f32_e32 v19, v55, v19
	v_sub_f32_e32 v19, v53, v19
	v_mul_f32_e32 v53, v55, v62
	v_sub_f32_e32 v54, v26, v54
	v_mul_f32_e32 v56, v26, v53
	v_sub_f32_e32 v7, v7, v54
	v_fma_f32 v58, v53, v26, -v56
	v_fmac_f32_e32 v58, v53, v7
	v_add_f32_e32 v54, v56, v58
	v_sub_f32_e32 v57, v55, v54
	v_pk_add_f32 v[60:61], v[54:55], v[56:57] neg_lo:[0,1] neg_hi:[0,1]
	v_mov_b32_e32 v59, v54
	v_pk_add_f32 v[54:55], v[60:61], v[58:59] neg_lo:[0,1] neg_hi:[0,1]
	v_add_f32_e32 v19, v19, v55
	v_add_f32_e32 v19, v54, v19
	v_add_f32_e32 v55, v57, v19
	v_mul_f32_e32 v63, v62, v55
	v_mul_f32_e32 v56, v26, v63
	v_fma_f32 v58, v63, v26, -v56
	v_fmac_f32_e32 v58, v63, v7
	v_add_f32_e32 v54, v56, v58
	v_sub_f32_e32 v7, v57, v55
	v_sub_f32_e32 v57, v55, v54
	v_pk_add_f32 v[60:61], v[54:55], v[56:57] neg_lo:[0,1] neg_hi:[0,1]
	v_mov_b32_e32 v59, v54
	v_add_f32_e32 v7, v19, v7
	v_pk_add_f32 v[54:55], v[60:61], v[58:59] neg_lo:[0,1] neg_hi:[0,1]
	v_add_f32_e32 v7, v7, v55
	v_add_f32_e32 v7, v54, v7
	;; [unrolled: 1-line block ×4, first 2 shown]
	v_sub_f32_e32 v19, v26, v53
	v_mul_f32_e32 v7, v62, v7
	v_sub_f32_e32 v19, v63, v19
	v_add_f32_e32 v7, v19, v7
	v_add_f32_e32 v53, v26, v7
	v_cvt_f32_i32_e32 v54, v17
	v_mul_f32_e32 v55, v53, v53
	v_mov_b32_e32 v19, 0x3ecc95a3
	v_fmac_f32_e32 v19, 0x3e9b6dac, v55
	v_fma_f32 v19, v55, v19, v32
	v_mul_f32_e32 v55, v53, v55
	v_pk_mul_f32 v[58:59], v[54:55], v[18:19]
	v_fma_f32 v56, v54, s76, -v58
	v_ldexp_f32 v57, v53, 1
	v_fmac_f32_e32 v56, 0xb102e308, v54
	v_sub_f32_e32 v17, v53, v26
	v_pk_add_f32 v[54:55], v[58:59], v[56:57]
	v_sub_f32_e32 v7, v7, v17
	v_sub_f32_e32 v17, v55, v57
	v_ldexp_f32 v7, v7, 1
	v_sub_f32_e32 v17, v59, v17
	v_add_f32_e32 v61, v7, v17
	v_mov_b32_e32 v60, v58
	v_pk_add_f32 v[58:59], v[54:55], v[58:59] neg_lo:[0,1] neg_hi:[0,1]
	v_pk_add_f32 v[62:63], v[54:55], v[60:61]
	v_mov_b32_e32 v59, v63
	v_mov_b32_e32 v57, v54
	v_pk_add_f32 v[64:65], v[56:57], v[58:59] neg_lo:[0,1] neg_hi:[0,1]
	v_pk_add_f32 v[56:57], v[56:57], v[58:59]
	v_mov_b32_e32 v26, v57
	v_pk_add_f32 v[58:59], v[26:27], v[54:55] neg_lo:[0,1] neg_hi:[0,1]
	v_mov_b32_e32 v7, v58
	v_pk_add_f32 v[66:67], v[62:63], v[6:7] neg_lo:[0,1] neg_hi:[0,1]
	v_mov_b32_e32 v56, v63
	v_mov_b32_e32 v62, v55
	;; [unrolled: 1-line block ×4, first 2 shown]
	v_pk_add_f32 v[56:57], v[56:57], v[62:63] neg_lo:[0,1] neg_hi:[0,1]
	v_mov_b32_e32 v58, v61
	v_mov_b32_e32 v59, v54
	v_pk_add_f32 v[54:55], v[58:59], v[56:57] neg_lo:[0,1] neg_hi:[0,1]
	v_mov_b32_e32 v66, v64
	v_pk_add_f32 v[56:57], v[66:67], v[54:55]
	v_mov_b32_e32 v58, v57
	v_pk_add_f32 v[58:59], v[56:57], v[58:59]
	v_pk_add_f32 v[60:61], v[26:27], v[58:59]
	v_mov_b32_e32 v57, v60
	v_pk_add_f32 v[62:63], v[56:57], v[64:65] neg_lo:[0,1] neg_hi:[0,1]
	v_mov_b32_e32 v55, v58
	v_sub_f32_e32 v7, v56, v62
	v_pk_add_f32 v[54:55], v[54:55], v[62:63] neg_lo:[0,1] neg_hi:[0,1]
	v_sub_f32_e32 v7, v64, v7
	v_add_f32_e32 v7, v54, v7
	v_add_f32_e32 v7, v7, v55
	;; [unrolled: 1-line block ×3, first 2 shown]
	v_cmp_eq_f32_e32 vcc, s68, v52
	v_cndmask_b32_e32 v7, v7, v52, vcc
	v_cmp_ngt_f32_e32 vcc, -1.0, v52
	v_cndmask_b32_e32 v7, v46, v7, vcc
	v_cmp_neq_f32_e32 vcc, -1.0, v52
	v_cndmask_b32_e32 v7, v47, v7, vcc
	v_cmp_lt_f32_e64 vcc, |v52|, s77
	v_cndmask_b32_e32 v17, v7, v52, vcc
.LBB44_23:                              ;   in Loop: Header=BB44_5 Depth=1
	s_andn2_saveexec_b64 s[54:55], s[54:55]
	s_cbranch_execz .LBB44_29
; %bb.24:                               ;   in Loop: Header=BB44_5 Depth=1
	v_cmp_nlt_f32_e64 s[12:13], |v10|, 1.0
                                        ; implicit-def: $vgpr17
	s_and_saveexec_b64 s[56:57], s[12:13]
	s_xor_b64 s[56:57], exec, s[56:57]
	s_cbranch_execz .LBB44_26
; %bb.25:                               ;   in Loop: Header=BB44_5 Depth=1
	v_mul_f32_e32 v7, v25, v24
	v_mul_f32_e32 v17, 0x4f800000, v7
	v_cmp_gt_f32_e32 vcc, s70, v7
	v_cndmask_b32_e32 v7, v7, v17, vcc
	v_sqrt_f32_e32 v17, v7
	v_add_u32_e32 v19, -1, v17
	v_fma_f32 v52, -v19, v17, v7
	v_add_u32_e32 v26, 1, v17
	v_cmp_ge_f32_e64 s[12:13], 0, v52
	v_cndmask_b32_e64 v19, v17, v19, s[12:13]
	v_fma_f32 v17, -v26, v17, v7
	v_cmp_lt_f32_e64 s[12:13], 0, v17
	v_cndmask_b32_e64 v17, v19, v26, s[12:13]
	v_mul_f32_e32 v19, 0x37800000, v17
	v_cndmask_b32_e32 v17, v17, v19, vcc
	v_cmp_class_f32_e32 vcc, v7, v31
	v_cndmask_b32_e32 v7, v17, v7, vcc
	v_add_f32_e32 v52, v25, v7
	v_add_f32_e32 v55, 1.0, v52
	v_add_f32_e32 v53, -1.0, v55
	v_mov_b32_e32 v54, v53
	v_pk_add_f32 v[56:57], v[52:53], v[54:55] neg_lo:[0,1] neg_hi:[0,1]
	v_add_f32_e32 v7, 1.0, v57
	v_add_f32_e32 v7, v56, v7
	v_frexp_mant_f32_e32 v17, v55
	v_cvt_f64_f32_e32 v[56:57], v55
	v_frexp_exp_i32_f64_e32 v19, v[56:57]
	v_cmp_gt_f32_e32 vcc, s75, v17
	v_subbrev_co_u32_e32 v17, vcc, 0, v19, vcc
	v_sub_u32_e32 v19, 0, v17
	v_ldexp_f32 v26, v55, v19
	v_ldexp_f32 v7, v7, v19
	v_add_f32_e32 v19, -1.0, v26
	v_add_f32_e32 v54, 1.0, v26
	v_add_f32_e32 v53, 1.0, v19
	v_add_f32_e32 v55, -1.0, v54
	v_sub_f32_e32 v53, v26, v53
	v_sub_f32_e32 v26, v26, v55
	v_add_f32_e32 v53, v7, v53
	v_add_f32_e32 v7, v7, v26
	v_add_f32_e32 v26, v54, v7
	v_rcp_f32_e32 v62, v26
	v_add_f32_e32 v55, v19, v53
	v_sub_f32_e32 v19, v55, v19
	v_sub_f32_e32 v19, v53, v19
	v_mul_f32_e32 v53, v55, v62
	v_sub_f32_e32 v54, v26, v54
	v_mul_f32_e32 v56, v26, v53
	v_sub_f32_e32 v7, v7, v54
	v_fma_f32 v58, v53, v26, -v56
	v_fmac_f32_e32 v58, v53, v7
	v_add_f32_e32 v54, v56, v58
	v_sub_f32_e32 v57, v55, v54
	v_pk_add_f32 v[60:61], v[54:55], v[56:57] neg_lo:[0,1] neg_hi:[0,1]
	v_mov_b32_e32 v59, v54
	v_pk_add_f32 v[54:55], v[60:61], v[58:59] neg_lo:[0,1] neg_hi:[0,1]
	v_add_f32_e32 v19, v19, v55
	v_add_f32_e32 v19, v54, v19
	v_add_f32_e32 v55, v57, v19
	v_mul_f32_e32 v63, v62, v55
	v_mul_f32_e32 v56, v26, v63
	v_fma_f32 v58, v63, v26, -v56
	v_fmac_f32_e32 v58, v63, v7
	v_add_f32_e32 v54, v56, v58
	v_sub_f32_e32 v7, v57, v55
	v_sub_f32_e32 v57, v55, v54
	v_pk_add_f32 v[60:61], v[54:55], v[56:57] neg_lo:[0,1] neg_hi:[0,1]
	v_mov_b32_e32 v59, v54
	v_add_f32_e32 v7, v19, v7
	v_pk_add_f32 v[54:55], v[60:61], v[58:59] neg_lo:[0,1] neg_hi:[0,1]
	v_add_f32_e32 v7, v7, v55
	v_add_f32_e32 v7, v54, v7
	;; [unrolled: 1-line block ×4, first 2 shown]
	v_sub_f32_e32 v19, v26, v53
	v_mul_f32_e32 v7, v62, v7
	v_sub_f32_e32 v19, v63, v19
	v_add_f32_e32 v7, v19, v7
	v_add_f32_e32 v53, v26, v7
	v_cvt_f32_i32_e32 v54, v17
	v_mul_f32_e32 v55, v53, v53
	v_mov_b32_e32 v19, 0x3ecc95a3
	v_fmac_f32_e32 v19, 0x3e9b6dac, v55
	v_fma_f32 v19, v55, v19, v32
	v_mul_f32_e32 v55, v53, v55
	v_pk_mul_f32 v[58:59], v[54:55], v[18:19]
	v_fma_f32 v56, v54, s76, -v58
	v_ldexp_f32 v57, v53, 1
	v_fmac_f32_e32 v56, 0xb102e308, v54
	v_sub_f32_e32 v17, v53, v26
	v_pk_add_f32 v[54:55], v[58:59], v[56:57]
	v_sub_f32_e32 v7, v7, v17
	v_sub_f32_e32 v17, v55, v57
	v_ldexp_f32 v7, v7, 1
	v_sub_f32_e32 v17, v59, v17
	v_add_f32_e32 v61, v7, v17
	v_mov_b32_e32 v60, v58
	v_pk_add_f32 v[58:59], v[54:55], v[58:59] neg_lo:[0,1] neg_hi:[0,1]
	v_pk_add_f32 v[62:63], v[54:55], v[60:61]
	v_mov_b32_e32 v59, v63
	v_mov_b32_e32 v57, v54
	v_pk_add_f32 v[64:65], v[56:57], v[58:59] neg_lo:[0,1] neg_hi:[0,1]
	v_pk_add_f32 v[56:57], v[56:57], v[58:59]
	v_mov_b32_e32 v26, v57
	v_pk_add_f32 v[58:59], v[26:27], v[54:55] neg_lo:[0,1] neg_hi:[0,1]
	v_mov_b32_e32 v7, v58
	v_pk_add_f32 v[66:67], v[62:63], v[6:7] neg_lo:[0,1] neg_hi:[0,1]
	v_mov_b32_e32 v56, v63
	v_mov_b32_e32 v62, v55
	;; [unrolled: 1-line block ×4, first 2 shown]
	v_pk_add_f32 v[56:57], v[56:57], v[62:63] neg_lo:[0,1] neg_hi:[0,1]
	v_mov_b32_e32 v58, v61
	v_mov_b32_e32 v59, v54
	v_pk_add_f32 v[54:55], v[58:59], v[56:57] neg_lo:[0,1] neg_hi:[0,1]
	v_mov_b32_e32 v66, v64
	v_pk_add_f32 v[56:57], v[66:67], v[54:55]
	v_mov_b32_e32 v58, v57
	v_pk_add_f32 v[58:59], v[56:57], v[58:59]
	v_pk_add_f32 v[60:61], v[26:27], v[58:59]
	v_mov_b32_e32 v57, v60
	v_pk_add_f32 v[62:63], v[56:57], v[64:65] neg_lo:[0,1] neg_hi:[0,1]
	v_mov_b32_e32 v55, v58
	v_sub_f32_e32 v7, v56, v62
	v_pk_add_f32 v[54:55], v[54:55], v[62:63] neg_lo:[0,1] neg_hi:[0,1]
	v_sub_f32_e32 v7, v64, v7
	v_add_f32_e32 v7, v54, v7
	v_add_f32_e32 v7, v7, v55
	;; [unrolled: 1-line block ×3, first 2 shown]
	v_cmp_eq_f32_e32 vcc, s68, v52
	v_cndmask_b32_e32 v7, v7, v52, vcc
	v_cmp_ngt_f32_e32 vcc, -1.0, v52
	v_cndmask_b32_e32 v7, v46, v7, vcc
	v_cmp_neq_f32_e32 vcc, -1.0, v52
	v_cndmask_b32_e32 v7, v47, v7, vcc
	v_cmp_lt_f32_e64 vcc, |v52|, s77
	v_cndmask_b32_e32 v17, v7, v52, vcc
.LBB44_26:                              ;   in Loop: Header=BB44_5 Depth=1
	s_andn2_saveexec_b64 s[56:57], s[56:57]
	s_cbranch_execz .LBB44_28
; %bb.27:                               ;   in Loop: Header=BB44_5 Depth=1
	v_sub_f32_e64 v7, 1.0, |v10|
	v_mul_f32_e32 v7, v7, v24
	v_mul_f32_e32 v17, 0x4f800000, v7
	v_cmp_gt_f32_e32 vcc, s70, v7
	v_cndmask_b32_e32 v7, v7, v17, vcc
	v_sqrt_f32_e32 v17, v7
	v_add_u32_e32 v19, -1, v17
	v_fma_f32 v52, -v19, v17, v7
	v_add_u32_e32 v26, 1, v17
	v_cmp_ge_f32_e64 s[12:13], 0, v52
	v_cndmask_b32_e64 v19, v17, v19, s[12:13]
	v_fma_f32 v17, -v26, v17, v7
	v_cmp_lt_f32_e64 s[12:13], 0, v17
	v_cndmask_b32_e64 v17, v19, v26, s[12:13]
	v_mul_f32_e32 v19, 0x37800000, v17
	v_cndmask_b32_e32 v17, v17, v19, vcc
	v_cmp_class_f32_e32 vcc, v7, v31
	v_cndmask_b32_e32 v7, v17, v7, vcc
	v_and_b32_e32 v17, 0x7fffffff, v11
	v_div_scale_f32 v19, s[12:13], v7, v7, v17
	v_rcp_f32_e32 v26, v19
	v_div_scale_f32 v17, vcc, v17, v7, v17
	v_fma_f32 v52, -v19, v26, 1.0
	v_fmac_f32_e32 v26, v52, v26
	v_mul_f32_e32 v52, v17, v26
	v_fma_f32 v53, -v19, v52, v17
	v_fmac_f32_e32 v52, v53, v26
	v_fma_f32 v17, -v19, v52, v17
	v_div_fmas_f32 v17, v17, v26, v52
	v_div_fixup_f32 v17, v17, v7, |v11|
.LBB44_28:                              ;   in Loop: Header=BB44_5 Depth=1
	s_or_b64 exec, exec, s[56:57]
.LBB44_29:                              ;   in Loop: Header=BB44_5 Depth=1
	s_or_b64 exec, exec, s[54:55]
.LBB44_30:                              ;   in Loop: Header=BB44_5 Depth=1
	s_andn2_saveexec_b64 s[52:53], s[52:53]
	s_cbranch_execz .LBB44_32
; %bb.31:                               ;   in Loop: Header=BB44_5 Depth=1
	v_mul_f32_e64 v7, |v11|, s71
	v_cmp_lt_f32_e64 vcc, |v11|, s70
	v_cndmask_b32_e64 v7, |v11|, v7, vcc
	v_sqrt_f32_e32 v17, v7
	v_add_u32_e32 v19, -1, v17
	v_fma_f32 v52, -v19, v17, v7
	v_add_u32_e32 v26, 1, v17
	v_cmp_ge_f32_e64 s[12:13], 0, v52
	v_cndmask_b32_e64 v19, v17, v19, s[12:13]
	v_fma_f32 v17, -v26, v17, v7
	v_cmp_lt_f32_e64 s[12:13], 0, v17
	v_cndmask_b32_e64 v17, v19, v26, s[12:13]
	v_mul_f32_e32 v19, 0x37800000, v17
	v_cndmask_b32_e32 v17, v17, v19, vcc
	v_cmp_class_f32_e32 vcc, v7, v31
	v_cndmask_b32_e32 v17, v17, v7, vcc
.LBB44_32:                              ;   in Loop: Header=BB44_5 Depth=1
	s_or_b64 exec, exec, s[52:53]
.LBB44_33:                              ;   in Loop: Header=BB44_5 Depth=1
	s_or_b64 exec, exec, s[50:51]
	v_cmp_nlt_f32_e64 s[50:51], |v10|, s78
                                        ; implicit-def: $sgpr12_sgpr13
                                        ; implicit-def: $vgpr26
                                        ; implicit-def: $vgpr19
	s_and_saveexec_b64 s[52:53], s[50:51]
	s_xor_b64 s[50:51], exec, s[52:53]
	s_cbranch_execz .LBB44_57
; %bb.34:                               ;   in Loop: Header=BB44_5 Depth=1
	v_div_scale_f32 v7, s[12:13], v6, v6, v8
	v_rcp_f32_e32 v19, v7
	v_div_scale_f32 v26, vcc, v8, v6, v8
	s_mov_b64 s[12:13], 0
	v_fma_f32 v52, -v7, v19, 1.0
	v_fmac_f32_e32 v19, v52, v19
	v_mul_f32_e32 v52, v26, v19
	v_fma_f32 v53, -v7, v52, v26
	v_fmac_f32_e32 v52, v53, v19
	v_fma_f32 v7, -v7, v52, v26
	v_div_fmas_f32 v7, v7, v19, v52
	v_div_fixup_f32 v19, v7, v6, |v10|
	v_cmp_lt_f32_e32 vcc, s79, v19
                                        ; implicit-def: $vgpr26
	s_and_saveexec_b64 s[52:53], vcc
	s_cbranch_execz .LBB44_56
; %bb.35:                               ;   in Loop: Header=BB44_5 Depth=1
	v_cmp_neq_f32_e64 s[12:13], |v10|, 1.0
	v_cmp_nlt_f32_e64 s[54:55], |v11|, s80
	s_or_b64 s[12:13], s[12:13], s[54:55]
                                        ; implicit-def: $sgpr56_sgpr57
                                        ; implicit-def: $vgpr26
	s_and_saveexec_b64 s[54:55], s[12:13]
	s_xor_b64 s[54:55], exec, s[54:55]
	s_cbranch_execz .LBB44_53
; %bb.36:                               ;   in Loop: Header=BB44_5 Depth=1
	v_mul_f32_e32 v7, 0x34000000, v51
	v_cmp_le_f32_e64 s[12:13], v7, |v11|
                                        ; implicit-def: $vgpr26
                                        ; implicit-def: $sgpr56_sgpr57
	s_and_saveexec_b64 s[58:59], s[12:13]
	s_xor_b64 s[58:59], exec, s[58:59]
	s_cbranch_execz .LBB44_46
; %bb.37:                               ;   in Loop: Header=BB44_5 Depth=1
	v_cmp_neq_f32_e32 vcc, 0, v24
	v_mov_b32_e32 v7, v27
	s_and_saveexec_b64 s[12:13], vcc
	s_cbranch_execz .LBB44_39
; %bb.38:                               ;   in Loop: Header=BB44_5 Depth=1
	v_mul_f32_e32 v7, v11, v11
	v_add_f32_e32 v9, v24, v9
	v_div_scale_f32 v24, s[56:57], v9, v9, v7
	v_rcp_f32_e32 v26, v24
	v_fma_f32 v51, -v24, v26, 1.0
	v_fmac_f32_e32 v26, v51, v26
	v_div_scale_f32 v51, vcc, v7, v9, v7
	v_mul_f32_e32 v52, v51, v26
	v_fma_f32 v53, -v24, v52, v51
	v_fmac_f32_e32 v52, v53, v26
	v_fma_f32 v24, -v24, v52, v51
	v_div_fmas_f32 v24, v24, v26, v52
	v_div_fixup_f32 v7, v24, v9, v7
.LBB44_39:                              ;   in Loop: Header=BB44_5 Depth=1
	s_or_b64 exec, exec, s[12:13]
	v_cmp_ngt_f32_e32 vcc, 0, v25
	s_and_saveexec_b64 s[12:13], vcc
	s_xor_b64 s[12:13], exec, s[12:13]
	s_cbranch_execz .LBB44_43
; %bb.40:                               ;   in Loop: Header=BB44_5 Depth=1
	v_cmp_neq_f32_e32 vcc, 0, v25
	s_and_saveexec_b64 s[56:57], vcc
	s_cbranch_execz .LBB44_42
; %bb.41:                               ;   in Loop: Header=BB44_5 Depth=1
	v_mul_f32_e32 v9, v11, v11
	v_add_f32_e32 v1, v25, v1
	v_div_scale_f32 v24, s[60:61], v1, v1, v9
	v_rcp_f32_e32 v25, v24
	v_fma_f32 v26, -v24, v25, 1.0
	v_fmac_f32_e32 v25, v26, v25
	v_div_scale_f32 v26, vcc, v9, v1, v9
	v_mul_f32_e32 v27, v26, v25
	v_fma_f32 v51, -v24, v27, v26
	v_fmac_f32_e32 v27, v51, v25
	v_fma_f32 v24, -v24, v27, v26
	v_div_fmas_f32 v24, v24, v25, v27
	v_div_fixup_f32 v27, v24, v1, v9
.LBB44_42:                              ;   in Loop: Header=BB44_5 Depth=1
	s_or_b64 exec, exec, s[56:57]
                                        ; implicit-def: $vgpr1
                                        ; implicit-def: $vgpr24_vgpr25
.LBB44_43:                              ;   in Loop: Header=BB44_5 Depth=1
	s_andn2_saveexec_b64 s[12:13], s[12:13]
; %bb.44:                               ;   in Loop: Header=BB44_5 Depth=1
	v_sub_f32_e32 v27, v1, v25
; %bb.45:                               ;   in Loop: Header=BB44_5 Depth=1
	s_or_b64 exec, exec, s[12:13]
	v_mul_f32_e32 v9, 0.5, v7
	v_mul_f32_e32 v7, 0.5, v27
	v_pk_add_f32 v[6:7], v[8:9], v[6:7]
	v_mul_f32_e32 v1, v6, v7
	v_mul_f32_e32 v6, 0x4f800000, v1
	v_cmp_gt_f32_e32 vcc, s70, v1
	v_cndmask_b32_e32 v1, v1, v6, vcc
	v_sqrt_f32_e32 v6, v1
	s_mov_b64 s[56:57], -1
                                        ; implicit-def: $vgpr24_vgpr25
	v_add_u32_e32 v7, -1, v6
	v_fma_f32 v9, -v7, v6, v1
	v_cmp_ge_f32_e64 s[12:13], 0, v9
	v_add_u32_e32 v9, 1, v6
	v_cndmask_b32_e64 v7, v6, v7, s[12:13]
	v_fma_f32 v6, -v9, v6, v1
	v_cmp_lt_f32_e64 s[12:13], 0, v6
	v_cndmask_b32_e64 v6, v7, v9, s[12:13]
	v_mul_f32_e32 v7, 0x37800000, v6
	v_cndmask_b32_e32 v6, v6, v7, vcc
	v_cmp_class_f32_e32 vcc, v1, v31
	v_cndmask_b32_e32 v26, v6, v1, vcc
.LBB44_46:                              ;   in Loop: Header=BB44_5 Depth=1
	s_andn2_saveexec_b64 s[58:59], s[58:59]
	s_cbranch_execz .LBB44_52
; %bb.47:                               ;   in Loop: Header=BB44_5 Depth=1
	v_cmp_ngt_f32_e64 s[12:13], |v10|, 1.0
                                        ; implicit-def: $vgpr26
                                        ; implicit-def: $sgpr60_sgpr61
	s_and_saveexec_b64 s[62:63], s[12:13]
	s_xor_b64 s[62:63], exec, s[62:63]
	s_cbranch_execz .LBB44_49
; %bb.48:                               ;   in Loop: Header=BB44_5 Depth=1
	v_sub_f32_e64 v1, 1.0, |v10|
	v_mul_f32_e32 v1, v1, v24
	v_mul_f32_e32 v6, 0x4f800000, v1
	v_cmp_gt_f32_e32 vcc, s70, v1
	v_cndmask_b32_e32 v1, v1, v6, vcc
	v_sqrt_f32_e32 v6, v1
	s_mov_b64 s[60:61], -1
	v_add_u32_e32 v7, -1, v6
	v_fma_f32 v24, -v7, v6, v1
	v_add_u32_e32 v9, 1, v6
	v_cmp_ge_f32_e64 s[12:13], 0, v24
	v_cndmask_b32_e64 v7, v6, v7, s[12:13]
	v_fma_f32 v6, -v9, v6, v1
	v_cmp_lt_f32_e64 s[12:13], 0, v6
	v_cndmask_b32_e64 v6, v7, v9, s[12:13]
	v_mul_f32_e32 v7, 0x37800000, v6
	v_cndmask_b32_e32 v6, v6, v7, vcc
	v_cmp_class_f32_e32 vcc, v1, v31
	v_cndmask_b32_e32 v26, v6, v1, vcc
                                        ; implicit-def: $vgpr24_vgpr25
.LBB44_49:                              ;   in Loop: Header=BB44_5 Depth=1
	s_andn2_saveexec_b64 s[62:63], s[62:63]
	s_cbranch_execz .LBB44_51
; %bb.50:                               ;   in Loop: Header=BB44_5 Depth=1
	v_mul_f32_e32 v1, v24, v25
	v_mul_f32_e32 v6, 0x4f800000, v1
	v_cmp_gt_f32_e32 vcc, s70, v1
	v_cndmask_b32_e32 v1, v1, v6, vcc
	v_sqrt_f32_e32 v6, v1
	v_mul_f32_e64 v7, |v11|, s81
	v_mul_f32_e64 v7, |v10|, v7
	s_or_b64 s[60:61], s[60:61], exec
	v_add_u32_e32 v8, -1, v6
	v_fma_f32 v9, -v8, v6, v1
	v_cmp_ge_f32_e64 s[12:13], 0, v9
	v_add_u32_e32 v9, 1, v6
	v_cndmask_b32_e64 v8, v6, v8, s[12:13]
	v_fma_f32 v6, -v9, v6, v1
	v_cmp_lt_f32_e64 s[12:13], 0, v6
	v_cndmask_b32_e64 v6, v8, v9, s[12:13]
	v_mul_f32_e32 v8, 0x37800000, v6
	v_cndmask_b32_e32 v6, v6, v8, vcc
	v_cmp_class_f32_e32 vcc, v1, v31
	v_cndmask_b32_e32 v1, v6, v1, vcc
	v_div_scale_f32 v6, s[12:13], v1, v1, v7
	v_rcp_f32_e32 v8, v6
	v_fma_f32 v9, -v6, v8, 1.0
	v_fmac_f32_e32 v8, v9, v8
	v_div_scale_f32 v9, vcc, v7, v1, v7
	v_mul_f32_e32 v24, v9, v8
	v_fma_f32 v25, -v6, v24, v9
	v_fmac_f32_e32 v24, v25, v8
	v_fma_f32 v6, -v6, v24, v9
	v_div_fmas_f32 v6, v6, v8, v24
	v_div_fixup_f32 v26, v6, v1, v7
	v_mul_f32_e64 v8, |v10|, s81
.LBB44_51:                              ;   in Loop: Header=BB44_5 Depth=1
	s_or_b64 exec, exec, s[62:63]
	s_andn2_b64 s[12:13], s[56:57], exec
	s_and_b64 s[56:57], s[60:61], exec
	s_or_b64 s[56:57], s[12:13], s[56:57]
.LBB44_52:                              ;   in Loop: Header=BB44_5 Depth=1
	s_or_b64 exec, exec, s[58:59]
	s_and_b64 s[56:57], s[56:57], exec
                                        ; implicit-def: $vgpr6
.LBB44_53:                              ;   in Loop: Header=BB44_5 Depth=1
	s_andn2_saveexec_b64 s[54:55], s[54:55]
	s_cbranch_execz .LBB44_55
; %bb.54:                               ;   in Loop: Header=BB44_5 Depth=1
	v_mul_f32_e64 v1, |v11|, s71
	v_cmp_lt_f32_e64 vcc, |v11|, s70
	v_cndmask_b32_e64 v1, |v11|, v1, vcc
	v_sqrt_f32_e32 v7, v1
	v_add_f32_e32 v6, 1.0, v6
	v_mul_f32_e32 v6, 0.5, v6
	s_or_b64 s[56:57], s[56:57], exec
	v_add_u32_e32 v8, -1, v7
	v_fma_f32 v24, -v8, v7, v1
	v_add_u32_e32 v9, 1, v7
	v_cmp_ge_f32_e64 s[12:13], 0, v24
	v_cndmask_b32_e64 v8, v7, v8, s[12:13]
	v_fma_f32 v7, -v9, v7, v1
	v_cmp_lt_f32_e64 s[12:13], 0, v7
	v_cndmask_b32_e64 v7, v8, v9, s[12:13]
	v_mul_f32_e32 v9, 0x4f800000, v6
	v_cmp_gt_f32_e64 s[12:13], s70, v6
	v_cndmask_b32_e64 v6, v6, v9, s[12:13]
	v_sqrt_f32_e32 v9, v6
	v_mul_f32_e32 v8, 0x37800000, v7
	v_cndmask_b32_e32 v7, v7, v8, vcc
	v_cmp_class_f32_e32 vcc, v1, v31
	v_cndmask_b32_e32 v1, v7, v1, vcc
	v_add_u32_e32 v7, -1, v9
	v_fma_f32 v8, -v7, v9, v6
	v_cmp_ge_f32_e32 vcc, 0, v8
	v_add_u32_e32 v8, 1, v9
	v_cndmask_b32_e32 v7, v9, v7, vcc
	v_fma_f32 v9, -v8, v9, v6
	v_cmp_lt_f32_e32 vcc, 0, v9
	v_cndmask_b32_e32 v7, v7, v8, vcc
	v_mul_f32_e32 v8, 0x37800000, v7
	v_cndmask_b32_e64 v7, v7, v8, s[12:13]
	v_cmp_class_f32_e32 vcc, v6, v31
	v_cndmask_b32_e32 v6, v7, v6, vcc
	v_mul_f32_e32 v26, v1, v6
	v_mov_b32_e32 v8, 1.0
.LBB44_55:                              ;   in Loop: Header=BB44_5 Depth=1
	s_or_b64 exec, exec, s[54:55]
	s_and_b64 s[12:13], s[56:57], exec
.LBB44_56:                              ;   in Loop: Header=BB44_5 Depth=1
	s_or_b64 exec, exec, s[52:53]
	s_and_b64 s[12:13], s[12:13], exec
                                        ; implicit-def: $vgpr6
.LBB44_57:                              ;   in Loop: Header=BB44_5 Depth=1
	s_andn2_saveexec_b64 s[50:51], s[50:51]
; %bb.58:                               ;   in Loop: Header=BB44_5 Depth=1
	v_mov_b32_e32 v7, v8
	v_pk_mul_f32 v[26:27], v[6:7], s[38:39] op_sel_hi:[1,0]
	s_or_b64 s[12:13], s[12:13], exec
	v_mov_b32_e32 v8, v27
                                        ; implicit-def: $vgpr19
; %bb.59:                               ;   in Loop: Header=BB44_5 Depth=1
	s_or_b64 exec, exec, s[50:51]
	s_xor_b64 s[12:13], s[12:13], -1
                                        ; implicit-def: $vgpr6
	s_and_saveexec_b64 s[50:51], s[12:13]
	s_xor_b64 s[50:51], exec, s[50:51]
	s_cbranch_execz .LBB44_65
; %bb.60:                               ;   in Loop: Header=BB44_5 Depth=1
                                        ; implicit-def: $vgpr6
	s_and_saveexec_b64 s[12:13], s[10:11]
	s_xor_b64 s[12:13], exec, s[12:13]
	s_cbranch_execz .LBB44_62
; %bb.61:                               ;   in Loop: Header=BB44_5 Depth=1
	v_fma_f32 v1, |v19|, -0.5, 0.5
	v_mul_f32_e32 v6, v19, v19
	v_cmp_gt_f32_e64 vcc, |v19|, 0.5
	v_cndmask_b32_e32 v1, v6, v1, vcc
	v_mov_b32_e32 v6, 0x3c5fc5da
	v_fmac_f32_e32 v6, 0x3d1c21a7, v1
	v_fma_f32 v6, v1, v6, v33
	v_fma_f32 v6, v1, v6, v34
	v_sqrt_f32_e32 v7, v1
	v_fma_f32 v6, v1, v6, v35
	v_fma_f32 v6, v1, v6, v36
	v_mul_f32_e32 v1, v1, v6
	v_fmac_f32_e32 v7, v7, v1
	v_fmac_f32_e32 v19, v19, v1
	v_add_f32_e32 v6, v7, v7
	v_sub_f32_e32 v1, 0x3fc90fdb, v19
	v_cndmask_b32_e32 v6, v1, v6, vcc
                                        ; implicit-def: $vgpr19
.LBB44_62:                              ;   in Loop: Header=BB44_5 Depth=1
	s_andn2_saveexec_b64 s[52:53], s[12:13]
	s_cbranch_execz .LBB44_64
; %bb.63:                               ;   in Loop: Header=BB44_5 Depth=1
	v_fma_f32 v1, |v19|, -0.5, 0.5
	v_mul_f32_e32 v6, v19, v19
	v_cmp_gt_f32_e64 vcc, |v19|, 0.5
	v_cndmask_b32_e32 v1, v6, v1, vcc
	v_mov_b32_e32 v6, 0x3c5fc5da
	v_fmac_f32_e32 v6, 0x3d1c21a7, v1
	v_fma_f32 v6, v1, v6, v33
	v_fma_f32 v6, v1, v6, v34
	v_sqrt_f32_e32 v7, v1
	v_fma_f32 v6, v1, v6, v35
	v_fma_f32 v6, v1, v6, v36
	v_mul_f32_e32 v1, v1, v6
	v_fmac_f32_e32 v7, v7, v1
	v_add_f32_e32 v6, v7, v7
	v_sub_f32_e32 v7, 0x40490fdb, v6
	v_cmp_lt_f32_e64 s[12:13], 0, v19
	v_fma_f32 v1, -v19, v1, -v19
	v_cndmask_b32_e64 v6, v6, v7, s[12:13]
	v_sub_f32_e32 v1, 0x3fc90fdb, v1
	v_cndmask_b32_e32 v6, v1, v6, vcc
.LBB44_64:                              ;   in Loop: Header=BB44_5 Depth=1
	s_or_b64 exec, exec, s[52:53]
                                        ; implicit-def: $vgpr26
                                        ; implicit-def: $vgpr8
.LBB44_65:                              ;   in Loop: Header=BB44_5 Depth=1
	s_andn2_saveexec_b64 s[12:13], s[50:51]
	s_cbranch_execz .LBB44_71
; %bb.66:                               ;   in Loop: Header=BB44_5 Depth=1
                                        ; implicit-def: $vgpr6
	s_and_saveexec_b64 s[50:51], s[10:11]
	s_xor_b64 s[10:11], exec, s[50:51]
	s_cbranch_execz .LBB44_68
; %bb.67:                               ;   in Loop: Header=BB44_5 Depth=1
	v_max_f32_e64 v1, |v26|, |v26|
	v_max_f32_e32 v6, v8, v8
	v_min_f32_e32 v7, v6, v1
	v_max_f32_e32 v1, v6, v1
	v_frexp_mant_f32_e32 v6, v1
	v_rcp_f32_e32 v6, v6
	v_frexp_exp_i32_f32_e32 v1, v1
	v_frexp_exp_i32_f32_e32 v9, v7
	v_frexp_mant_f32_e32 v7, v7
	v_mul_f32_e32 v6, v7, v6
	v_sub_u32_e32 v1, v9, v1
	v_ldexp_f32 v1, v6, v1
	v_mul_f32_e32 v6, v1, v1
	v_mov_b32_e32 v7, 0xbc7a590c
	v_fmac_f32_e32 v7, 0x3b2d2a58, v6
	v_fma_f32 v7, v6, v7, v37
	v_fma_f32 v7, v6, v7, v38
	;; [unrolled: 1-line block ×6, first 2 shown]
	v_mul_f32_e32 v6, v6, v7
	v_fmac_f32_e32 v1, v1, v6
	v_sub_f32_e32 v6, 0x3fc90fdb, v1
	v_cmp_gt_f32_e64 vcc, |v26|, v8
	v_cndmask_b32_e32 v1, v1, v6, vcc
	v_cmp_neq_f32_e32 vcc, 0, v26
	v_cndmask_b32_e32 v1, 0, v1, vcc
	v_cmp_eq_f32_e32 vcc, s68, v8
	v_cmp_class_f32_e64 s[50:51], v26, s82
	s_and_b64 vcc, vcc, s[50:51]
	v_cndmask_b32_e32 v1, v1, v48, vcc
	v_cmp_o_f32_e32 vcc, v8, v26
	v_cndmask_b32_e32 v1, v46, v1, vcc
	v_bfi_b32 v6, s67, v1, v26
                                        ; implicit-def: $vgpr26
                                        ; implicit-def: $vgpr8
.LBB44_68:                              ;   in Loop: Header=BB44_5 Depth=1
	s_andn2_saveexec_b64 s[50:51], s[10:11]
	s_cbranch_execz .LBB44_70
; %bb.69:                               ;   in Loop: Header=BB44_5 Depth=1
	v_max_f32_e64 v1, |v26|, |v26|
	v_max_f32_e32 v6, v8, v8
	v_min_f32_e32 v7, v6, v1
	v_max_f32_e32 v1, v6, v1
	v_frexp_mant_f32_e32 v6, v1
	v_rcp_f32_e32 v6, v6
	v_frexp_exp_i32_f32_e32 v1, v1
	v_frexp_exp_i32_f32_e32 v9, v7
	v_frexp_mant_f32_e32 v7, v7
	v_mul_f32_e32 v6, v7, v6
	v_sub_u32_e32 v1, v9, v1
	v_ldexp_f32 v1, v6, v1
	v_mul_f32_e32 v6, v1, v1
	v_mov_b32_e32 v7, 0xbc7a590c
	v_fmac_f32_e32 v7, 0x3b2d2a58, v6
	v_fma_f32 v7, v6, v7, v37
	v_fma_f32 v7, v6, v7, v38
	;; [unrolled: 1-line block ×6, first 2 shown]
	v_mul_f32_e32 v6, v6, v7
	v_fmac_f32_e32 v1, v1, v6
	v_sub_f32_e32 v6, 0x3fc90fdb, v1
	v_cmp_gt_f32_e64 vcc, |v26|, v8
	v_cndmask_b32_e32 v1, v1, v6, vcc
	v_sub_f32_e32 v6, 0x40490fdb, v1
	v_cmp_lt_f32_e32 vcc, 0, v8
	v_cndmask_b32_e32 v1, v1, v6, vcc
	v_cmp_neq_f32_e64 s[10:11], 0, v26
	v_cndmask_b32_e64 v1, v49, v1, s[10:11]
	v_cndmask_b32_e32 v6, v48, v50, vcc
	v_cmp_eq_f32_e32 vcc, s68, v8
	v_cmp_class_f32_e64 s[10:11], v26, s82
	s_and_b64 vcc, vcc, s[10:11]
	v_cndmask_b32_e32 v1, v1, v6, vcc
	v_cmp_o_f32_e64 vcc, v26, -v8
	v_cndmask_b32_e32 v1, v46, v1, vcc
	v_bfi_b32 v6, s67, v1, v26
.LBB44_70:                              ;   in Loop: Header=BB44_5 Depth=1
	s_or_b64 exec, exec, s[50:51]
.LBB44_71:                              ;   in Loop: Header=BB44_5 Depth=1
	s_or_b64 exec, exec, s[12:13]
	v_cndmask_b32_e64 v7, -v17, v17, s[6:7]
.LBB44_72:                              ;   in Loop: Header=BB44_5 Depth=1
	s_andn2_saveexec_b64 s[10:11], s[48:49]
	s_cbranch_execz .LBB44_74
; %bb.73:                               ;   in Loop: Header=BB44_5 Depth=1
	s_waitcnt vmcnt(0) lgkmcnt(0)
	v_pk_mov_b32 v[6:7], s[26:27], s[26:27] op_sel:[0,1]
	flat_load_dword v1, v[6:7] glc
	s_waitcnt vmcnt(0)
	v_xor_b32_e32 v7, 0x80000000, v11
	s_waitcnt lgkmcnt(0)
	v_sub_f32_e32 v1, v1, v10
	v_add_f32_e32 v6, 0x3fc90fdb, v1
.LBB44_74:                              ;   in Loop: Header=BB44_5 Depth=1
	s_or_b64 exec, exec, s[10:11]
.LBB44_75:                              ;   in Loop: Header=BB44_5 Depth=1
	s_andn2_saveexec_b64 s[10:11], s[46:47]
	s_cbranch_execz .LBB44_77
; %bb.76:                               ;   in Loop: Header=BB44_5 Depth=1
	v_xor_b32_e32 v7, 0x80000000, v11
	s_waitcnt vmcnt(0) lgkmcnt(0)
	v_mov_b32_e32 v6, 0
.LBB44_77:                              ;   in Loop: Header=BB44_5 Depth=1
	s_or_b64 exec, exec, s[10:11]
                                        ; implicit-def: $vgpr9
                                        ; implicit-def: $vgpr1
                                        ; implicit-def: $vgpr8
.LBB44_78:                              ;   in Loop: Header=BB44_5 Depth=1
	s_andn2_saveexec_b64 s[44:45], s[44:45]
	s_cbranch_execz .LBB44_88
; %bb.79:                               ;   in Loop: Header=BB44_5 Depth=1
	v_cmp_lt_f32_e64 s[10:11], |v10|, |v11|
	v_cndmask_b32_e64 v17, |v10|, |v11|, s[10:11]
	v_cmp_nlt_f32_e32 vcc, s83, v17
                                        ; implicit-def: $vgpr7
                                        ; implicit-def: $vgpr6
	s_and_saveexec_b64 s[12:13], vcc
	s_xor_b64 s[46:47], exec, s[12:13]
	s_cbranch_execz .LBB44_85
; %bb.80:                               ;   in Loop: Header=BB44_5 Depth=1
	v_cndmask_b32_e64 v19, |v11|, |v10|, s[10:11]
	v_cmp_nlt_f32_e32 vcc, s84, v17
	v_cmp_ngt_f32_e64 s[12:13], s85, v19
	s_and_b64 s[12:13], vcc, s[12:13]
                                        ; implicit-def: $vgpr7
                                        ; implicit-def: $vgpr6
	s_and_saveexec_b64 s[48:49], s[12:13]
	s_xor_b64 s[12:13], exec, s[48:49]
	s_cbranch_execz .LBB44_82
; %bb.81:                               ;   in Loop: Header=BB44_5 Depth=1
	s_waitcnt vmcnt(0) lgkmcnt(0)
	v_mul_f32_e32 v6, v19, v19
	v_fmac_f32_e32 v6, v17, v17
	v_cmp_gt_f32_e32 vcc, s72, v6
	v_cndmask_b32_e32 v7, 1.0, v44, vcc
	v_mul_f32_e32 v6, v6, v7
	v_log_f32_e32 v6, v6
	v_cndmask_b32_e32 v7, 0, v45, vcc
	v_min_f32_e32 v1, v9, v1
	v_frexp_exp_i32_f32_e32 v9, v1
	v_mul_f32_e32 v17, 0x3f317217, v6
	v_fma_f32 v19, v6, s73, -v17
	v_fmac_f32_e32 v19, 0x3377d1cf, v6
	v_add_f32_e32 v17, v17, v19
	v_cmp_lt_f32_e64 vcc, |v6|, s68
	v_cndmask_b32_e32 v6, v6, v17, vcc
	v_sub_f32_e32 v6, v6, v7
	v_mul_f32_e32 v7, 0.5, v6
	v_frexp_mant_f32_e32 v6, v8
	v_rcp_f32_e32 v6, v6
	v_frexp_exp_i32_f32_e32 v8, v8
	v_frexp_mant_f32_e32 v1, v1
	v_mul_f32_e32 v1, v1, v6
	v_sub_u32_e32 v6, v9, v8
	v_ldexp_f32 v6, v1, v6
	v_mul_f32_e32 v1, v6, v6
	v_mov_b32_e32 v8, 0xbc7a590c
	v_fmac_f32_e32 v8, 0x3b2d2a58, v1
	v_fma_f32 v8, v1, v8, v37
	v_fma_f32 v8, v1, v8, v38
	;; [unrolled: 1-line block ×6, first 2 shown]
	v_mul_f32_e32 v1, v1, v8
	v_fmac_f32_e32 v6, v6, v1
                                        ; implicit-def: $vgpr8
                                        ; implicit-def: $vgpr9
                                        ; implicit-def: $vgpr1
.LBB44_82:                              ;   in Loop: Header=BB44_5 Depth=1
	s_andn2_saveexec_b64 s[12:13], s[12:13]
	s_cbranch_execz .LBB44_84
; %bb.83:                               ;   in Loop: Header=BB44_5 Depth=1
	s_waitcnt vmcnt(0) lgkmcnt(0)
	v_cvt_f64_f32_e32 v[6:7], v8
	v_frexp_exp_i32_f64_e32 v6, v[6:7]
	v_sub_u32_e32 v7, 0, v6
	v_ldexp_f32 v17, |v10|, v7
	v_ldexp_f32 v7, |v11|, v7
	v_mul_f32_e32 v7, v7, v7
	v_fmac_f32_e32 v7, v17, v17
	v_sqrt_f32_e32 v7, v7
	v_cmp_neq_f32_e32 vcc, s68, v8
	v_min_f32_e32 v1, v9, v1
	v_ldexp_f32 v6, v7, v6
	v_cndmask_b32_e32 v6, v43, v6, vcc
	v_cmp_gt_f32_e32 vcc, s72, v6
	v_cndmask_b32_e32 v7, 1.0, v44, vcc
	v_mul_f32_e32 v6, v6, v7
	v_log_f32_e32 v6, v6
	v_cndmask_b32_e32 v7, 0, v45, vcc
	v_mul_f32_e32 v9, 0x3f317217, v6
	v_fma_f32 v17, v6, s73, -v9
	v_fmac_f32_e32 v17, 0x3377d1cf, v6
	v_add_f32_e32 v9, v9, v17
	v_cmp_lt_f32_e64 vcc, |v6|, s68
	v_cndmask_b32_e32 v6, v6, v9, vcc
	v_sub_f32_e32 v7, v6, v7
	v_frexp_mant_f32_e32 v6, v8
	v_rcp_f32_e32 v6, v6
	v_frexp_exp_i32_f32_e32 v8, v8
	v_frexp_exp_i32_f32_e32 v9, v1
	v_frexp_mant_f32_e32 v1, v1
	v_mul_f32_e32 v1, v1, v6
	v_sub_u32_e32 v6, v9, v8
	v_ldexp_f32 v6, v1, v6
	v_mul_f32_e32 v1, v6, v6
	v_mov_b32_e32 v8, 0xbc7a590c
	v_fmac_f32_e32 v8, 0x3b2d2a58, v1
	v_fma_f32 v8, v1, v8, v37
	v_fma_f32 v8, v1, v8, v38
	;; [unrolled: 1-line block ×6, first 2 shown]
	v_mul_f32_e32 v1, v1, v8
	v_fmac_f32_e32 v6, v6, v1
.LBB44_84:                              ;   in Loop: Header=BB44_5 Depth=1
	s_or_b64 exec, exec, s[12:13]
                                        ; implicit-def: $vgpr9
                                        ; implicit-def: $vgpr1
                                        ; implicit-def: $vgpr8
.LBB44_85:                              ;   in Loop: Header=BB44_5 Depth=1
	s_andn2_saveexec_b64 s[46:47], s[46:47]
	s_cbranch_execz .LBB44_87
; %bb.86:                               ;   in Loop: Header=BB44_5 Depth=1
	s_waitcnt vmcnt(0) lgkmcnt(0)
	v_div_scale_f32 v6, s[12:13], s86, s86, v10
	v_rcp_f32_e32 v7, v6
	v_div_scale_f32 v17, vcc, v10, s86, v10
	v_min_f32_e32 v1, v9, v1
	v_fma_f32 v19, -v6, v7, 1.0
	v_fmac_f32_e32 v7, v19, v7
	v_mul_f32_e32 v19, v17, v7
	v_fma_f32 v24, -v6, v19, v17
	v_fmac_f32_e32 v19, v24, v7
	v_fma_f32 v6, -v6, v19, v17
	v_div_scale_f32 v17, s[12:13], s86, s86, v11
	v_rcp_f32_e32 v24, v17
	v_div_fmas_f32 v6, v6, v7, v19
	v_div_fixup_f32 v19, v6, s86, v10
	v_frexp_exp_i32_f32_e32 v9, v1
	v_fma_f32 v6, -v17, v24, 1.0
	v_fmac_f32_e32 v24, v6, v24
	v_div_scale_f32 v6, vcc, v11, s86, v11
	v_mul_f32_e32 v7, v6, v24
	v_fma_f32 v25, -v17, v7, v6
	v_fmac_f32_e32 v7, v25, v24
	v_fma_f32 v6, -v17, v7, v6
	v_div_fmas_f32 v6, v6, v24, v7
	v_div_fixup_f32 v17, v6, s86, v11
	v_max_f32_e64 v24, |v19|, |v17|
	v_cvt_f64_f32_e32 v[6:7], v24
	v_frexp_exp_i32_f64_e32 v6, v[6:7]
	v_sub_u32_e32 v7, 0, v6
	v_ldexp_f32 v19, |v19|, v7
	v_ldexp_f32 v7, |v17|, v7
	v_mul_f32_e32 v7, v7, v7
	v_fmac_f32_e32 v7, v19, v19
	v_sqrt_f32_e32 v7, v7
	v_cmp_neq_f32_e32 vcc, s68, v24
	v_frexp_mant_f32_e32 v1, v1
	v_ldexp_f32 v6, v7, v6
	v_cndmask_b32_e32 v6, v43, v6, vcc
	v_cmp_gt_f32_e32 vcc, s72, v6
	v_cndmask_b32_e32 v7, 1.0, v44, vcc
	v_mul_f32_e32 v6, v6, v7
	v_log_f32_e32 v6, v6
	v_mul_f32_e32 v7, 0x3f317217, v6
	v_fma_f32 v17, v6, s73, -v7
	v_fmac_f32_e32 v17, 0x3377d1cf, v6
	v_add_f32_e32 v7, v7, v17
	v_cmp_lt_f32_e64 s[12:13], |v6|, s68
	v_cndmask_b32_e64 v6, v6, v7, s[12:13]
	v_cndmask_b32_e32 v7, 0, v45, vcc
	v_sub_f32_e32 v6, v6, v7
	v_add_f32_e32 v7, 1.0, v6
	v_frexp_mant_f32_e32 v6, v8
	v_rcp_f32_e32 v6, v6
	v_frexp_exp_i32_f32_e32 v8, v8
	v_mul_f32_e32 v1, v1, v6
	v_sub_u32_e32 v6, v9, v8
	v_ldexp_f32 v6, v1, v6
	v_mul_f32_e32 v1, v6, v6
	v_mov_b32_e32 v8, 0xbc7a590c
	v_fmac_f32_e32 v8, 0x3b2d2a58, v1
	v_fma_f32 v8, v1, v8, v37
	v_fma_f32 v8, v1, v8, v38
	;; [unrolled: 1-line block ×6, first 2 shown]
	v_mul_f32_e32 v1, v1, v8
	v_fmac_f32_e32 v6, v6, v1
.LBB44_87:                              ;   in Loop: Header=BB44_5 Depth=1
	s_or_b64 exec, exec, s[46:47]
	s_waitcnt vmcnt(0) lgkmcnt(0)
	v_sub_f32_e32 v1, 0x3fc90fdb, v6
	v_cndmask_b32_e64 v1, v6, v1, s[10:11]
	v_sub_f32_e32 v6, 0x40490fdb, v1
	v_cmp_gt_f32_e32 vcc, 0, v10
	v_cndmask_b32_e32 v1, v1, v6, vcc
	v_cndmask_b32_e64 v6, 0, v49, s[8:9]
	v_cmp_eq_f32_e64 s[8:9], 0, v11
	v_cndmask_b32_e64 v1, v1, v6, s[8:9]
	v_cmp_class_f32_e64 s[8:9], v10, s82
	v_cmp_class_f32_e64 s[10:11], v11, s82
	v_cndmask_b32_e32 v6, v48, v50, vcc
	s_and_b64 vcc, s[8:9], s[10:11]
	v_cndmask_b32_e32 v1, v1, v6, vcc
	v_cmp_o_f32_e32 vcc, v10, v11
	v_cndmask_b32_e64 v6, v46, |v1|, vcc
	v_add_f32_e32 v1, 0x3f317218, v7
	v_cndmask_b32_e64 v7, -v1, v1, s[6:7]
.LBB44_88:                              ;   in Loop: Header=BB44_5 Depth=1
	s_or_b64 exec, exec, s[44:45]
.LBB44_89:                              ;   in Loop: Header=BB44_5 Depth=1
	s_andn2_saveexec_b64 s[6:7], s[42:43]
	s_cbranch_execz .LBB44_103
; %bb.90:                               ;   in Loop: Header=BB44_5 Depth=1
	v_cmp_neq_f32_e64 s[8:9], |v10|, s68
                                        ; implicit-def: $vgpr7
	s_and_saveexec_b64 s[10:11], s[8:9]
	s_xor_b64 s[8:9], exec, s[10:11]
	s_cbranch_execz .LBB44_100
; %bb.91:                               ;   in Loop: Header=BB44_5 Depth=1
	v_cmp_neq_f32_e64 s[10:11], |v11|, s68
                                        ; implicit-def: $vgpr7
	s_and_saveexec_b64 s[12:13], s[10:11]
	s_xor_b64 s[10:11], exec, s[12:13]
	s_cbranch_execz .LBB44_97
; %bb.92:                               ;   in Loop: Header=BB44_5 Depth=1
	v_cmp_neq_f32_e32 vcc, 0, v10
                                        ; implicit-def: $vgpr7
	s_and_saveexec_b64 s[12:13], vcc
	s_xor_b64 s[12:13], exec, s[12:13]
; %bb.93:                               ;   in Loop: Header=BB44_5 Depth=1
	v_add_f32_e32 v1, 0, v11
	v_add_f32_e32 v7, v10, v1
; %bb.94:                               ;   in Loop: Header=BB44_5 Depth=1
	s_or_saveexec_b64 s[12:13], s[12:13]
	s_waitcnt vmcnt(0) lgkmcnt(0)
	v_mov_b32_e32 v6, v7
	s_xor_b64 exec, exec, s[12:13]
	s_cbranch_execz .LBB44_96
; %bb.95:                               ;   in Loop: Header=BB44_5 Depth=1
	v_pk_mov_b32 v[6:7], s[26:27], s[26:27] op_sel:[0,1]
	flat_load_dword v1, v[6:7] glc
	s_waitcnt vmcnt(0)
	v_add_f32_e32 v7, v11, v11
	s_waitcnt lgkmcnt(0)
	v_add_f32_e32 v6, 0x3fc90fdb, v1
.LBB44_96:                              ;   in Loop: Header=BB44_5 Depth=1
	s_or_b64 exec, exec, s[12:13]
.LBB44_97:                              ;   in Loop: Header=BB44_5 Depth=1
	s_andn2_saveexec_b64 s[10:11], s[10:11]
	s_cbranch_execz .LBB44_99
; %bb.98:                               ;   in Loop: Header=BB44_5 Depth=1
	s_waitcnt vmcnt(0) lgkmcnt(0)
	v_add_f32_e32 v6, v10, v10
	v_xor_b32_e32 v7, 0x80000000, v11
.LBB44_99:                              ;   in Loop: Header=BB44_5 Depth=1
	s_or_b64 exec, exec, s[10:11]
.LBB44_100:                             ;   in Loop: Header=BB44_5 Depth=1
	s_andn2_saveexec_b64 s[8:9], s[8:9]
	s_cbranch_execz .LBB44_102
; %bb.101:                              ;   in Loop: Header=BB44_5 Depth=1
	s_waitcnt vmcnt(0) lgkmcnt(0)
	v_add_f32_e32 v6, v11, v11
	v_mov_b32_e32 v7, 0xff800000
.LBB44_102:                             ;   in Loop: Header=BB44_5 Depth=1
	s_or_b64 exec, exec, s[8:9]
.LBB44_103:                             ;   in Loop: Header=BB44_5 Depth=1
	s_or_b64 exec, exec, s[6:7]
	v_cmp_o_f32_e32 vcc, v12, v12
	v_cmp_o_f32_e64 s[6:7], v13, v13
	v_pk_mov_b32 v[8:9], s[26:27], s[26:27] op_sel:[0,1]
	s_and_b64 s[6:7], vcc, s[6:7]
	flat_store_dword v[8:9], v29
	s_waitcnt vmcnt(0)
	s_and_saveexec_b64 s[8:9], s[6:7]
	s_xor_b64 s[42:43], exec, s[8:9]
	s_cbranch_execz .LBB44_187
; %bb.104:                              ;   in Loop: Header=BB44_5 Depth=1
	v_max_f32_e64 v1, |v13|, |v13|
	v_max_f32_e64 v11, |v12|, |v12|
	v_max_f32_e32 v10, v11, v1
	v_cmp_gt_i32_e64 s[8:9], 0, v12
	v_cmp_lt_i32_e64 s[10:11], -1, v12
	v_cmp_gt_i32_e64 s[6:7], 0, v13
	v_cmp_nlt_f32_e32 vcc, s65, v10
	s_and_saveexec_b64 s[12:13], vcc
	s_xor_b64 s[44:45], exec, s[12:13]
	s_cbranch_execz .LBB44_176
; %bb.105:                              ;   in Loop: Header=BB44_5 Depth=1
	v_cmp_neq_f32_e32 vcc, 1.0, v12
	v_cmp_neq_f32_e64 s[12:13], 0, v13
	s_or_b64 s[12:13], vcc, s[12:13]
	s_and_saveexec_b64 s[46:47], s[12:13]
	s_xor_b64 s[46:47], exec, s[46:47]
	s_cbranch_execz .LBB44_173
; %bb.106:                              ;   in Loop: Header=BB44_5 Depth=1
	v_pk_mov_b32 v[8:9], s[28:29], s[28:29] op_sel:[0,1]
	flat_store_dword v[8:9], v30
	s_waitcnt vmcnt(0)
	flat_load_dword v8, v[8:9] glc
	s_waitcnt vmcnt(0)
	v_cmp_nlt_f32_e64 s[12:13], |v12|, s66
	v_cmp_nlt_f32_e64 s[48:49], |v13|, s66
	s_or_b64 s[12:13], s[12:13], s[48:49]
	s_waitcnt lgkmcnt(0)
	v_add_f32_e32 v10, 1.0, v8
	v_pk_mov_b32 v[8:9], s[30:31], s[30:31] op_sel:[0,1]
	flat_store_dword v[8:9], v10
	s_waitcnt vmcnt(0)
	flat_load_dword v8, v[8:9] glc
	s_waitcnt vmcnt(0)
	s_and_saveexec_b64 s[48:49], s[12:13]
	s_xor_b64 s[48:49], exec, s[48:49]
	s_cbranch_execz .LBB44_170
; %bb.107:                              ;   in Loop: Header=BB44_5 Depth=1
	v_and_b32_e32 v24, 0x7fffffff, v12
	v_pk_add_f32 v[10:11], v[24:25], s[36:37] op_sel_hi:[0,1]
	v_max_f32_e64 v17, v1, |v11|
	v_max_f32_e64 v1, v1, |v10|
	s_waitcnt lgkmcnt(0)
	v_cvt_f64_f32_e32 v[8:9], v1
	v_frexp_exp_i32_f64_e32 v19, v[8:9]
	v_sub_u32_e32 v8, 0, v19
	v_ldexp_f32 v9, |v13|, v8
	v_ldexp_f32 v8, |v10|, v8
	v_mul_f32_e32 v8, v8, v8
	v_fmac_f32_e32 v8, v9, v9
	v_sqrt_f32_e32 v25, v8
	v_cvt_f64_f32_e32 v[8:9], v17
	v_frexp_exp_i32_f64_e32 v8, v[8:9]
	v_sub_u32_e32 v9, 0, v8
	v_ldexp_f32 v26, |v13|, v9
	v_ldexp_f32 v9, |v11|, v9
	v_mul_f32_e32 v9, v9, v9
	v_fmac_f32_e32 v9, v26, v26
	v_sqrt_f32_e32 v9, v9
	v_cmp_neq_f32_e32 vcc, s68, v17
	v_ldexp_f32 v19, v25, v19
	v_ldexp_f32 v8, v9, v8
	v_cndmask_b32_e32 v25, v43, v8, vcc
	v_cmp_neq_f32_e32 vcc, s68, v1
	v_cndmask_b32_e32 v51, v43, v19, vcc
	v_add_f32_e32 v1, v51, v25
	v_mul_f32_e32 v1, 0.5, v1
	v_cmp_ngt_f32_e32 vcc, 1.0, v1
	v_cndmask_b32_e32 v8, 1.0, v1, vcc
	v_cmp_ngt_f32_e32 vcc, s69, v8
                                        ; implicit-def: $vgpr1
	s_and_saveexec_b64 s[12:13], vcc
	s_xor_b64 s[50:51], exec, s[12:13]
	s_cbranch_execz .LBB44_109
; %bb.108:                              ;   in Loop: Header=BB44_5 Depth=1
	v_fma_f32 v1, v8, v8, -1.0
	v_mul_f32_e32 v9, 0x4f800000, v1
	v_cmp_gt_f32_e32 vcc, s70, v1
	v_cndmask_b32_e32 v1, v1, v9, vcc
	v_sqrt_f32_e32 v9, v1
	v_add_u32_e32 v17, -1, v9
	v_fma_f32 v26, -v17, v9, v1
	v_add_u32_e32 v19, 1, v9
	v_cmp_ge_f32_e64 s[12:13], 0, v26
	v_cndmask_b32_e64 v17, v9, v17, s[12:13]
	v_fma_f32 v9, -v19, v9, v1
	v_cmp_lt_f32_e64 s[12:13], 0, v9
	v_cndmask_b32_e64 v9, v17, v19, s[12:13]
	v_mul_f32_e32 v17, 0x37800000, v9
	v_cndmask_b32_e32 v9, v9, v17, vcc
	v_cmp_class_f32_e32 vcc, v1, v31
	v_cndmask_b32_e32 v1, v9, v1, vcc
	v_add_f32_e32 v1, v8, v1
	v_cmp_gt_f32_e32 vcc, s72, v1
	v_cndmask_b32_e32 v9, 1.0, v44, vcc
	v_mul_f32_e32 v1, v1, v9
	v_log_f32_e32 v1, v1
	v_mul_f32_e32 v9, 0x3f317217, v1
	v_fma_f32 v17, v1, s73, -v9
	v_fmac_f32_e32 v17, 0x3377d1cf, v1
	v_add_f32_e32 v9, v9, v17
	v_cmp_lt_f32_e64 s[12:13], |v1|, s68
	v_cndmask_b32_e64 v1, v1, v9, s[12:13]
	v_cndmask_b32_e32 v9, 0, v45, vcc
	v_sub_f32_e32 v1, v1, v9
.LBB44_109:                             ;   in Loop: Header=BB44_5 Depth=1
	s_or_saveexec_b64 s[50:51], s[50:51]
	v_and_b32_e32 v27, 0x7fffffff, v13
	v_and_b32_e32 v52, 0x7fffffff, v11
	s_xor_b64 exec, exec, s[50:51]
	s_cbranch_execz .LBB44_131
; %bb.110:                              ;   in Loop: Header=BB44_5 Depth=1
	v_cmp_neq_f32_e64 s[12:13], |v12|, 1.0
	v_cmp_nlt_f32_e64 s[52:53], |v13|, s74
	s_or_b64 s[12:13], s[12:13], s[52:53]
                                        ; implicit-def: $vgpr1
	s_and_saveexec_b64 s[52:53], s[12:13]
	s_xor_b64 s[52:53], exec, s[52:53]
	s_cbranch_execz .LBB44_128
; %bb.111:                              ;   in Loop: Header=BB44_5 Depth=1
	v_mul_f32_e32 v1, 0x34000000, v52
	v_cmp_le_f32_e64 s[12:13], v1, |v13|
                                        ; implicit-def: $vgpr1
	s_and_saveexec_b64 s[54:55], s[12:13]
	s_xor_b64 s[54:55], exec, s[54:55]
	s_cbranch_execz .LBB44_121
; %bb.112:                              ;   in Loop: Header=BB44_5 Depth=1
	v_cmp_neq_f32_e32 vcc, 0, v10
	v_mov_b32_e32 v1, v27
	s_and_saveexec_b64 s[12:13], vcc
	s_cbranch_execz .LBB44_114
; %bb.113:                              ;   in Loop: Header=BB44_5 Depth=1
	v_mul_f32_e32 v1, v13, v13
	v_add_f32_e32 v9, v10, v51
	v_div_scale_f32 v17, s[56:57], v9, v9, v1
	v_rcp_f32_e32 v19, v17
	v_fma_f32 v26, -v17, v19, 1.0
	v_fmac_f32_e32 v19, v26, v19
	v_div_scale_f32 v26, vcc, v1, v9, v1
	v_mul_f32_e32 v53, v26, v19
	v_fma_f32 v54, -v17, v53, v26
	v_fmac_f32_e32 v53, v54, v19
	v_fma_f32 v17, -v17, v53, v26
	v_div_fmas_f32 v17, v17, v19, v53
	v_div_fixup_f32 v1, v17, v9, v1
.LBB44_114:                             ;   in Loop: Header=BB44_5 Depth=1
	s_or_b64 exec, exec, s[12:13]
	v_sub_f32_e64 v9, 1.0, |v12|
	v_cmp_ngt_f32_e32 vcc, 0, v9
                                        ; implicit-def: $vgpr17
	s_and_saveexec_b64 s[12:13], vcc
	s_xor_b64 s[12:13], exec, s[12:13]
	s_cbranch_execz .LBB44_118
; %bb.115:                              ;   in Loop: Header=BB44_5 Depth=1
	v_cmp_neq_f32_e32 vcc, 0, v9
	v_mov_b32_e32 v17, v27
	s_and_saveexec_b64 s[56:57], vcc
	s_cbranch_execz .LBB44_117
; %bb.116:                              ;   in Loop: Header=BB44_5 Depth=1
	v_mul_f32_e32 v17, v13, v13
	v_add_f32_e32 v9, v9, v25
	v_div_scale_f32 v19, s[58:59], v9, v9, v17
	v_rcp_f32_e32 v26, v19
	v_fma_f32 v53, -v19, v26, 1.0
	v_fmac_f32_e32 v26, v53, v26
	v_div_scale_f32 v53, vcc, v17, v9, v17
	v_mul_f32_e32 v54, v53, v26
	v_fma_f32 v55, -v19, v54, v53
	v_fmac_f32_e32 v54, v55, v26
	v_fma_f32 v19, -v19, v54, v53
	v_div_fmas_f32 v19, v19, v26, v54
	v_div_fixup_f32 v17, v19, v9, v17
.LBB44_117:                             ;   in Loop: Header=BB44_5 Depth=1
	s_or_b64 exec, exec, s[56:57]
                                        ; implicit-def: $vgpr9
.LBB44_118:                             ;   in Loop: Header=BB44_5 Depth=1
	s_andn2_saveexec_b64 s[12:13], s[12:13]
; %bb.119:                              ;   in Loop: Header=BB44_5 Depth=1
	v_sub_f32_e32 v17, v25, v9
; %bb.120:                              ;   in Loop: Header=BB44_5 Depth=1
	s_or_b64 exec, exec, s[12:13]
	v_mul_f32_e32 v9, 0.5, v1
	v_mul_f32_e32 v17, 0.5, v17
	v_pk_add_f32 v[54:55], v[8:9], v[16:17]
	v_mul_f32_e32 v1, v54, v55
	v_mul_f32_e32 v9, 0x4f800000, v1
	v_cmp_gt_f32_e32 vcc, s70, v1
	v_cndmask_b32_e32 v1, v1, v9, vcc
	v_sqrt_f32_e32 v9, v1
	v_add_u32_e32 v17, -1, v9
	v_fma_f32 v19, -v17, v9, v1
	v_cmp_ge_f32_e64 s[12:13], 0, v19
	v_add_u32_e32 v19, 1, v9
	v_cndmask_b32_e64 v17, v9, v17, s[12:13]
	v_fma_f32 v9, -v19, v9, v1
	v_cmp_lt_f32_e64 s[12:13], 0, v9
	v_cndmask_b32_e64 v9, v17, v19, s[12:13]
	v_mul_f32_e32 v17, 0x37800000, v9
	v_cndmask_b32_e32 v9, v9, v17, vcc
	v_cmp_class_f32_e32 vcc, v1, v31
	v_cndmask_b32_e32 v1, v9, v1, vcc
	v_add_f32_e32 v54, v55, v1
	v_add_f32_e32 v57, 1.0, v54
	v_add_f32_e32 v55, -1.0, v57
	v_mov_b32_e32 v56, v55
	v_pk_add_f32 v[58:59], v[54:55], v[56:57] neg_lo:[0,1] neg_hi:[0,1]
	v_add_f32_e32 v1, 1.0, v59
	v_add_f32_e32 v1, v58, v1
	v_frexp_mant_f32_e32 v9, v57
	v_cvt_f64_f32_e32 v[58:59], v57
	v_frexp_exp_i32_f64_e32 v17, v[58:59]
	v_cmp_gt_f32_e32 vcc, s75, v9
	v_subbrev_co_u32_e32 v9, vcc, 0, v17, vcc
	v_sub_u32_e32 v17, 0, v9
	v_ldexp_f32 v19, v57, v17
	v_ldexp_f32 v1, v1, v17
	v_add_f32_e32 v17, -1.0, v19
	v_add_f32_e32 v53, 1.0, v19
	v_add_f32_e32 v26, 1.0, v17
	v_add_f32_e32 v55, -1.0, v53
	v_sub_f32_e32 v26, v19, v26
	v_sub_f32_e32 v19, v19, v55
	v_add_f32_e32 v26, v1, v26
	v_add_f32_e32 v1, v1, v19
	;; [unrolled: 1-line block ×3, first 2 shown]
	v_sub_f32_e32 v53, v19, v53
	v_sub_f32_e32 v1, v1, v53
	v_rcp_f32_e32 v53, v19
	v_add_f32_e32 v57, v17, v26
	v_sub_f32_e32 v17, v57, v17
	v_sub_f32_e32 v17, v26, v17
	v_mul_f32_e32 v26, v57, v53
	v_mul_f32_e32 v58, v19, v26
	v_fma_f32 v60, v26, v19, -v58
	v_fmac_f32_e32 v60, v26, v1
	v_add_f32_e32 v56, v58, v60
	v_sub_f32_e32 v59, v57, v56
	v_pk_add_f32 v[62:63], v[56:57], v[58:59] neg_lo:[0,1] neg_hi:[0,1]
	v_mov_b32_e32 v61, v56
	v_pk_add_f32 v[56:57], v[62:63], v[60:61] neg_lo:[0,1] neg_hi:[0,1]
	v_add_f32_e32 v17, v17, v57
	v_add_f32_e32 v17, v56, v17
	;; [unrolled: 1-line block ×3, first 2 shown]
	v_mul_f32_e32 v55, v53, v57
	v_mul_f32_e32 v58, v19, v55
	v_fma_f32 v60, v55, v19, -v58
	v_fmac_f32_e32 v60, v55, v1
	v_add_f32_e32 v56, v58, v60
	v_sub_f32_e32 v1, v59, v57
	v_sub_f32_e32 v59, v57, v56
	v_pk_add_f32 v[62:63], v[56:57], v[58:59] neg_lo:[0,1] neg_hi:[0,1]
	v_mov_b32_e32 v61, v56
	v_add_f32_e32 v1, v17, v1
	v_pk_add_f32 v[56:57], v[62:63], v[60:61] neg_lo:[0,1] neg_hi:[0,1]
	v_add_f32_e32 v1, v1, v57
	v_add_f32_e32 v1, v56, v1
	;; [unrolled: 1-line block ×4, first 2 shown]
	v_sub_f32_e32 v19, v17, v26
	v_mul_f32_e32 v1, v53, v1
	v_sub_f32_e32 v19, v55, v19
	v_add_f32_e32 v1, v19, v1
	v_add_f32_e32 v26, v17, v1
	v_cvt_f32_i32_e32 v56, v9
	v_mul_f32_e32 v53, v26, v26
	v_mov_b32_e32 v19, 0x3ecc95a3
	v_fmac_f32_e32 v19, 0x3e9b6dac, v53
	v_fma_f32 v19, v53, v19, v32
	v_mul_f32_e32 v57, v26, v53
	v_pk_mul_f32 v[60:61], v[56:57], v[18:19]
	v_fma_f32 v58, v56, s76, -v60
	v_ldexp_f32 v59, v26, 1
	v_fmac_f32_e32 v58, 0xb102e308, v56
	v_sub_f32_e32 v9, v26, v17
	v_pk_add_f32 v[56:57], v[60:61], v[58:59]
	v_sub_f32_e32 v1, v1, v9
	v_sub_f32_e32 v9, v57, v59
	v_ldexp_f32 v1, v1, 1
	v_sub_f32_e32 v9, v61, v9
	v_add_f32_e32 v63, v1, v9
	v_mov_b32_e32 v62, v60
	v_pk_add_f32 v[60:61], v[56:57], v[60:61] neg_lo:[0,1] neg_hi:[0,1]
	v_pk_add_f32 v[64:65], v[56:57], v[62:63]
	v_mov_b32_e32 v61, v65
	v_mov_b32_e32 v59, v56
	v_pk_add_f32 v[66:67], v[58:59], v[60:61] neg_lo:[0,1] neg_hi:[0,1]
	v_pk_add_f32 v[58:59], v[58:59], v[60:61]
	v_mov_b32_e32 v26, v59
	v_pk_add_f32 v[60:61], v[26:27], v[56:57] neg_lo:[0,1] neg_hi:[0,1]
	v_mov_b32_e32 v1, v60
	v_pk_add_f32 v[68:69], v[64:65], v[0:1] neg_lo:[0,1] neg_hi:[0,1]
	v_mov_b32_e32 v58, v65
	v_mov_b32_e32 v64, v57
	v_mov_b32_e32 v65, v60
	v_mov_b32_e32 v67, v59
	v_pk_add_f32 v[58:59], v[58:59], v[64:65] neg_lo:[0,1] neg_hi:[0,1]
	v_mov_b32_e32 v60, v63
	v_mov_b32_e32 v61, v56
	v_pk_add_f32 v[56:57], v[60:61], v[58:59] neg_lo:[0,1] neg_hi:[0,1]
	v_mov_b32_e32 v68, v66
	v_pk_add_f32 v[58:59], v[68:69], v[56:57]
	v_mov_b32_e32 v60, v59
	v_pk_add_f32 v[60:61], v[58:59], v[60:61]
	v_pk_add_f32 v[62:63], v[26:27], v[60:61]
	v_mov_b32_e32 v59, v62
	v_pk_add_f32 v[64:65], v[58:59], v[66:67] neg_lo:[0,1] neg_hi:[0,1]
	v_mov_b32_e32 v57, v60
	v_sub_f32_e32 v1, v58, v64
	v_pk_add_f32 v[56:57], v[56:57], v[64:65] neg_lo:[0,1] neg_hi:[0,1]
	v_sub_f32_e32 v1, v66, v1
	v_add_f32_e32 v1, v56, v1
	v_add_f32_e32 v1, v1, v57
	;; [unrolled: 1-line block ×3, first 2 shown]
	v_cmp_eq_f32_e32 vcc, s68, v54
	v_cndmask_b32_e32 v1, v1, v54, vcc
	v_cmp_ngt_f32_e32 vcc, -1.0, v54
	v_cndmask_b32_e32 v1, v46, v1, vcc
	v_cmp_neq_f32_e32 vcc, -1.0, v54
	v_cndmask_b32_e32 v1, v47, v1, vcc
	v_cmp_lt_f32_e64 vcc, |v54|, s77
	v_cndmask_b32_e32 v1, v1, v54, vcc
.LBB44_121:                             ;   in Loop: Header=BB44_5 Depth=1
	s_andn2_saveexec_b64 s[54:55], s[54:55]
	s_cbranch_execz .LBB44_127
; %bb.122:                              ;   in Loop: Header=BB44_5 Depth=1
	v_cmp_nlt_f32_e64 s[12:13], |v12|, 1.0
                                        ; implicit-def: $vgpr1
	s_and_saveexec_b64 s[56:57], s[12:13]
	s_xor_b64 s[56:57], exec, s[56:57]
	s_cbranch_execz .LBB44_124
; %bb.123:                              ;   in Loop: Header=BB44_5 Depth=1
	v_mul_f32_e32 v1, v11, v10
	v_mul_f32_e32 v9, 0x4f800000, v1
	v_cmp_gt_f32_e32 vcc, s70, v1
	v_cndmask_b32_e32 v1, v1, v9, vcc
	v_sqrt_f32_e32 v9, v1
	v_add_u32_e32 v17, -1, v9
	v_fma_f32 v26, -v17, v9, v1
	v_add_u32_e32 v19, 1, v9
	v_cmp_ge_f32_e64 s[12:13], 0, v26
	v_cndmask_b32_e64 v17, v9, v17, s[12:13]
	v_fma_f32 v9, -v19, v9, v1
	v_cmp_lt_f32_e64 s[12:13], 0, v9
	v_cndmask_b32_e64 v9, v17, v19, s[12:13]
	v_mul_f32_e32 v17, 0x37800000, v9
	v_cndmask_b32_e32 v9, v9, v17, vcc
	v_cmp_class_f32_e32 vcc, v1, v31
	v_cndmask_b32_e32 v1, v9, v1, vcc
	v_add_f32_e32 v54, v11, v1
	v_add_f32_e32 v57, 1.0, v54
	v_add_f32_e32 v55, -1.0, v57
	v_mov_b32_e32 v56, v55
	v_pk_add_f32 v[58:59], v[54:55], v[56:57] neg_lo:[0,1] neg_hi:[0,1]
	v_add_f32_e32 v1, 1.0, v59
	v_add_f32_e32 v1, v58, v1
	v_frexp_mant_f32_e32 v9, v57
	v_cvt_f64_f32_e32 v[58:59], v57
	v_frexp_exp_i32_f64_e32 v17, v[58:59]
	v_cmp_gt_f32_e32 vcc, s75, v9
	v_subbrev_co_u32_e32 v9, vcc, 0, v17, vcc
	v_sub_u32_e32 v17, 0, v9
	v_ldexp_f32 v19, v57, v17
	v_ldexp_f32 v1, v1, v17
	v_add_f32_e32 v17, -1.0, v19
	v_add_f32_e32 v53, 1.0, v19
	v_add_f32_e32 v26, 1.0, v17
	v_add_f32_e32 v55, -1.0, v53
	v_sub_f32_e32 v26, v19, v26
	v_sub_f32_e32 v19, v19, v55
	v_add_f32_e32 v26, v1, v26
	v_add_f32_e32 v1, v1, v19
	;; [unrolled: 1-line block ×3, first 2 shown]
	v_sub_f32_e32 v53, v19, v53
	v_sub_f32_e32 v1, v1, v53
	v_rcp_f32_e32 v53, v19
	v_add_f32_e32 v57, v17, v26
	v_sub_f32_e32 v17, v57, v17
	v_sub_f32_e32 v17, v26, v17
	v_mul_f32_e32 v26, v57, v53
	v_mul_f32_e32 v58, v19, v26
	v_fma_f32 v60, v26, v19, -v58
	v_fmac_f32_e32 v60, v26, v1
	v_add_f32_e32 v56, v58, v60
	v_sub_f32_e32 v59, v57, v56
	v_pk_add_f32 v[62:63], v[56:57], v[58:59] neg_lo:[0,1] neg_hi:[0,1]
	v_mov_b32_e32 v61, v56
	v_pk_add_f32 v[56:57], v[62:63], v[60:61] neg_lo:[0,1] neg_hi:[0,1]
	v_add_f32_e32 v17, v17, v57
	v_add_f32_e32 v17, v56, v17
	;; [unrolled: 1-line block ×3, first 2 shown]
	v_mul_f32_e32 v55, v53, v57
	v_mul_f32_e32 v58, v19, v55
	v_fma_f32 v60, v55, v19, -v58
	v_fmac_f32_e32 v60, v55, v1
	v_add_f32_e32 v56, v58, v60
	v_sub_f32_e32 v1, v59, v57
	v_sub_f32_e32 v59, v57, v56
	v_pk_add_f32 v[62:63], v[56:57], v[58:59] neg_lo:[0,1] neg_hi:[0,1]
	v_mov_b32_e32 v61, v56
	v_add_f32_e32 v1, v17, v1
	v_pk_add_f32 v[56:57], v[62:63], v[60:61] neg_lo:[0,1] neg_hi:[0,1]
	v_add_f32_e32 v1, v1, v57
	v_add_f32_e32 v1, v56, v1
	;; [unrolled: 1-line block ×4, first 2 shown]
	v_sub_f32_e32 v19, v17, v26
	v_mul_f32_e32 v1, v53, v1
	v_sub_f32_e32 v19, v55, v19
	v_add_f32_e32 v1, v19, v1
	v_add_f32_e32 v26, v17, v1
	v_cvt_f32_i32_e32 v56, v9
	v_mul_f32_e32 v53, v26, v26
	v_mov_b32_e32 v19, 0x3ecc95a3
	v_fmac_f32_e32 v19, 0x3e9b6dac, v53
	v_fma_f32 v19, v53, v19, v32
	v_mul_f32_e32 v57, v26, v53
	v_pk_mul_f32 v[60:61], v[56:57], v[18:19]
	v_fma_f32 v58, v56, s76, -v60
	v_ldexp_f32 v59, v26, 1
	v_fmac_f32_e32 v58, 0xb102e308, v56
	v_sub_f32_e32 v9, v26, v17
	v_pk_add_f32 v[56:57], v[60:61], v[58:59]
	v_sub_f32_e32 v1, v1, v9
	v_sub_f32_e32 v9, v57, v59
	v_ldexp_f32 v1, v1, 1
	v_sub_f32_e32 v9, v61, v9
	v_add_f32_e32 v63, v1, v9
	v_mov_b32_e32 v62, v60
	v_pk_add_f32 v[60:61], v[56:57], v[60:61] neg_lo:[0,1] neg_hi:[0,1]
	v_pk_add_f32 v[64:65], v[56:57], v[62:63]
	v_mov_b32_e32 v61, v65
	v_mov_b32_e32 v59, v56
	v_pk_add_f32 v[66:67], v[58:59], v[60:61] neg_lo:[0,1] neg_hi:[0,1]
	v_pk_add_f32 v[58:59], v[58:59], v[60:61]
	v_mov_b32_e32 v26, v59
	v_pk_add_f32 v[60:61], v[26:27], v[56:57] neg_lo:[0,1] neg_hi:[0,1]
	v_mov_b32_e32 v1, v60
	v_pk_add_f32 v[68:69], v[64:65], v[0:1] neg_lo:[0,1] neg_hi:[0,1]
	v_mov_b32_e32 v58, v65
	v_mov_b32_e32 v64, v57
	;; [unrolled: 1-line block ×4, first 2 shown]
	v_pk_add_f32 v[58:59], v[58:59], v[64:65] neg_lo:[0,1] neg_hi:[0,1]
	v_mov_b32_e32 v60, v63
	v_mov_b32_e32 v61, v56
	v_pk_add_f32 v[56:57], v[60:61], v[58:59] neg_lo:[0,1] neg_hi:[0,1]
	v_mov_b32_e32 v68, v66
	v_pk_add_f32 v[58:59], v[68:69], v[56:57]
	v_mov_b32_e32 v60, v59
	v_pk_add_f32 v[60:61], v[58:59], v[60:61]
	v_pk_add_f32 v[62:63], v[26:27], v[60:61]
	v_mov_b32_e32 v59, v62
	v_pk_add_f32 v[64:65], v[58:59], v[66:67] neg_lo:[0,1] neg_hi:[0,1]
	v_mov_b32_e32 v57, v60
	v_sub_f32_e32 v1, v58, v64
	v_pk_add_f32 v[56:57], v[56:57], v[64:65] neg_lo:[0,1] neg_hi:[0,1]
	v_sub_f32_e32 v1, v66, v1
	v_add_f32_e32 v1, v56, v1
	v_add_f32_e32 v1, v1, v57
	;; [unrolled: 1-line block ×3, first 2 shown]
	v_cmp_eq_f32_e32 vcc, s68, v54
	v_cndmask_b32_e32 v1, v1, v54, vcc
	v_cmp_ngt_f32_e32 vcc, -1.0, v54
	v_cndmask_b32_e32 v1, v46, v1, vcc
	v_cmp_neq_f32_e32 vcc, -1.0, v54
	v_cndmask_b32_e32 v1, v47, v1, vcc
	v_cmp_lt_f32_e64 vcc, |v54|, s77
	v_cndmask_b32_e32 v1, v1, v54, vcc
.LBB44_124:                             ;   in Loop: Header=BB44_5 Depth=1
	s_andn2_saveexec_b64 s[56:57], s[56:57]
	s_cbranch_execz .LBB44_126
; %bb.125:                              ;   in Loop: Header=BB44_5 Depth=1
	v_sub_f32_e64 v1, 1.0, |v12|
	v_mul_f32_e32 v1, v1, v10
	v_mul_f32_e32 v9, 0x4f800000, v1
	v_cmp_gt_f32_e32 vcc, s70, v1
	v_cndmask_b32_e32 v1, v1, v9, vcc
	v_sqrt_f32_e32 v9, v1
	v_add_u32_e32 v17, -1, v9
	v_fma_f32 v26, -v17, v9, v1
	v_add_u32_e32 v19, 1, v9
	v_cmp_ge_f32_e64 s[12:13], 0, v26
	v_cndmask_b32_e64 v17, v9, v17, s[12:13]
	v_fma_f32 v9, -v19, v9, v1
	v_cmp_lt_f32_e64 s[12:13], 0, v9
	v_cndmask_b32_e64 v9, v17, v19, s[12:13]
	v_mul_f32_e32 v17, 0x37800000, v9
	v_cndmask_b32_e32 v9, v9, v17, vcc
	v_cmp_class_f32_e32 vcc, v1, v31
	v_cndmask_b32_e32 v1, v9, v1, vcc
	v_and_b32_e32 v9, 0x7fffffff, v13
	v_div_scale_f32 v17, s[12:13], v1, v1, v9
	v_rcp_f32_e32 v19, v17
	v_div_scale_f32 v9, vcc, v9, v1, v9
	v_fma_f32 v26, -v17, v19, 1.0
	v_fmac_f32_e32 v19, v26, v19
	v_mul_f32_e32 v26, v9, v19
	v_fma_f32 v53, -v17, v26, v9
	v_fmac_f32_e32 v26, v53, v19
	v_fma_f32 v9, -v17, v26, v9
	v_div_fmas_f32 v9, v9, v19, v26
	v_div_fixup_f32 v1, v9, v1, |v13|
.LBB44_126:                             ;   in Loop: Header=BB44_5 Depth=1
	s_or_b64 exec, exec, s[56:57]
.LBB44_127:                             ;   in Loop: Header=BB44_5 Depth=1
	s_or_b64 exec, exec, s[54:55]
.LBB44_128:                             ;   in Loop: Header=BB44_5 Depth=1
	s_andn2_saveexec_b64 s[52:53], s[52:53]
	s_cbranch_execz .LBB44_130
; %bb.129:                              ;   in Loop: Header=BB44_5 Depth=1
	v_mul_f32_e64 v1, |v13|, s71
	v_cmp_lt_f32_e64 vcc, |v13|, s70
	v_cndmask_b32_e64 v1, |v13|, v1, vcc
	v_sqrt_f32_e32 v9, v1
	v_add_u32_e32 v17, -1, v9
	v_fma_f32 v26, -v17, v9, v1
	v_add_u32_e32 v19, 1, v9
	v_cmp_ge_f32_e64 s[12:13], 0, v26
	v_cndmask_b32_e64 v17, v9, v17, s[12:13]
	v_fma_f32 v9, -v19, v9, v1
	v_cmp_lt_f32_e64 s[12:13], 0, v9
	v_cndmask_b32_e64 v9, v17, v19, s[12:13]
	v_mul_f32_e32 v17, 0x37800000, v9
	v_cndmask_b32_e32 v9, v9, v17, vcc
	v_cmp_class_f32_e32 vcc, v1, v31
	v_cndmask_b32_e32 v1, v9, v1, vcc
.LBB44_130:                             ;   in Loop: Header=BB44_5 Depth=1
	s_or_b64 exec, exec, s[52:53]
.LBB44_131:                             ;   in Loop: Header=BB44_5 Depth=1
	s_or_b64 exec, exec, s[50:51]
	v_cmp_nlt_f32_e64 s[50:51], |v12|, s78
                                        ; implicit-def: $sgpr12_sgpr13
                                        ; implicit-def: $vgpr26
                                        ; implicit-def: $vgpr17
	s_and_saveexec_b64 s[52:53], s[50:51]
	s_xor_b64 s[50:51], exec, s[52:53]
	s_cbranch_execz .LBB44_155
; %bb.132:                              ;   in Loop: Header=BB44_5 Depth=1
	v_div_scale_f32 v9, s[12:13], v8, v8, v24
	v_rcp_f32_e32 v17, v9
	v_div_scale_f32 v19, vcc, v24, v8, v24
	s_mov_b64 s[12:13], 0
	v_fma_f32 v26, -v9, v17, 1.0
	v_fmac_f32_e32 v17, v26, v17
	v_mul_f32_e32 v26, v19, v17
	v_fma_f32 v53, -v9, v26, v19
	v_fmac_f32_e32 v26, v53, v17
	v_fma_f32 v9, -v9, v26, v19
	v_div_fmas_f32 v9, v9, v17, v26
	v_div_fixup_f32 v17, v9, v8, |v12|
	v_cmp_lt_f32_e32 vcc, s79, v17
                                        ; implicit-def: $vgpr26
	s_and_saveexec_b64 s[52:53], vcc
	s_cbranch_execz .LBB44_154
; %bb.133:                              ;   in Loop: Header=BB44_5 Depth=1
	v_cmp_neq_f32_e64 s[12:13], |v12|, 1.0
	v_cmp_nlt_f32_e64 s[54:55], |v13|, s80
	s_or_b64 s[12:13], s[12:13], s[54:55]
                                        ; implicit-def: $sgpr56_sgpr57
                                        ; implicit-def: $vgpr26
	s_and_saveexec_b64 s[54:55], s[12:13]
	s_xor_b64 s[54:55], exec, s[54:55]
	s_cbranch_execz .LBB44_151
; %bb.134:                              ;   in Loop: Header=BB44_5 Depth=1
	v_mul_f32_e32 v9, 0x34000000, v52
	v_cmp_le_f32_e64 s[12:13], v9, |v13|
                                        ; implicit-def: $vgpr26
                                        ; implicit-def: $sgpr56_sgpr57
	s_and_saveexec_b64 s[58:59], s[12:13]
	s_xor_b64 s[58:59], exec, s[58:59]
	s_cbranch_execz .LBB44_144
; %bb.135:                              ;   in Loop: Header=BB44_5 Depth=1
	v_cmp_neq_f32_e32 vcc, 0, v10
	v_mov_b32_e32 v9, v27
	s_and_saveexec_b64 s[12:13], vcc
	s_cbranch_execz .LBB44_137
; %bb.136:                              ;   in Loop: Header=BB44_5 Depth=1
	v_mul_f32_e32 v9, v13, v13
	v_add_f32_e32 v10, v10, v51
	v_div_scale_f32 v12, s[56:57], v10, v10, v9
	v_rcp_f32_e32 v19, v12
	v_fma_f32 v26, -v12, v19, 1.0
	v_fmac_f32_e32 v19, v26, v19
	v_div_scale_f32 v26, vcc, v9, v10, v9
	v_mul_f32_e32 v51, v26, v19
	v_fma_f32 v52, -v12, v51, v26
	v_fmac_f32_e32 v51, v52, v19
	v_fma_f32 v12, -v12, v51, v26
	v_div_fmas_f32 v12, v12, v19, v51
	v_div_fixup_f32 v9, v12, v10, v9
.LBB44_137:                             ;   in Loop: Header=BB44_5 Depth=1
	s_or_b64 exec, exec, s[12:13]
	v_cmp_ngt_f32_e32 vcc, 0, v11
	s_and_saveexec_b64 s[12:13], vcc
	s_xor_b64 s[12:13], exec, s[12:13]
	s_cbranch_execz .LBB44_141
; %bb.138:                              ;   in Loop: Header=BB44_5 Depth=1
	v_cmp_neq_f32_e32 vcc, 0, v11
	s_and_saveexec_b64 s[56:57], vcc
	s_cbranch_execz .LBB44_140
; %bb.139:                              ;   in Loop: Header=BB44_5 Depth=1
	v_mul_f32_e32 v10, v13, v13
	v_add_f32_e32 v11, v11, v25
	v_div_scale_f32 v12, s[60:61], v11, v11, v10
	v_rcp_f32_e32 v13, v12
	v_fma_f32 v19, -v12, v13, 1.0
	v_fmac_f32_e32 v13, v19, v13
	v_div_scale_f32 v19, vcc, v10, v11, v10
	v_mul_f32_e32 v25, v19, v13
	v_fma_f32 v26, -v12, v25, v19
	v_fmac_f32_e32 v25, v26, v13
	v_fma_f32 v12, -v12, v25, v19
	v_div_fmas_f32 v12, v12, v13, v25
	v_div_fixup_f32 v27, v12, v11, v10
.LBB44_140:                             ;   in Loop: Header=BB44_5 Depth=1
	s_or_b64 exec, exec, s[56:57]
                                        ; implicit-def: $vgpr25
                                        ; implicit-def: $vgpr10_vgpr11
.LBB44_141:                             ;   in Loop: Header=BB44_5 Depth=1
	s_andn2_saveexec_b64 s[12:13], s[12:13]
; %bb.142:                              ;   in Loop: Header=BB44_5 Depth=1
	v_sub_f32_e32 v27, v25, v11
; %bb.143:                              ;   in Loop: Header=BB44_5 Depth=1
	s_or_b64 exec, exec, s[12:13]
	v_mul_f32_e32 v25, 0.5, v9
	v_mul_f32_e32 v9, 0.5, v27
	v_pk_add_f32 v[8:9], v[24:25], v[8:9]
	v_mul_f32_e32 v8, v8, v9
	v_mul_f32_e32 v9, 0x4f800000, v8
	v_cmp_gt_f32_e32 vcc, s70, v8
	v_cndmask_b32_e32 v8, v8, v9, vcc
	v_sqrt_f32_e32 v9, v8
	s_mov_b64 s[56:57], -1
	v_add_u32_e32 v10, -1, v9
	v_fma_f32 v11, -v10, v9, v8
	v_cmp_ge_f32_e64 s[12:13], 0, v11
	v_add_u32_e32 v11, 1, v9
	v_cndmask_b32_e64 v10, v9, v10, s[12:13]
	v_fma_f32 v9, -v11, v9, v8
	v_cmp_lt_f32_e64 s[12:13], 0, v9
	v_cndmask_b32_e64 v9, v10, v11, s[12:13]
	v_mul_f32_e32 v10, 0x37800000, v9
	v_cndmask_b32_e32 v9, v9, v10, vcc
	v_cmp_class_f32_e32 vcc, v8, v31
	v_cndmask_b32_e32 v26, v9, v8, vcc
                                        ; implicit-def: $vgpr10_vgpr11_vgpr12_vgpr13
                                        ; implicit-def: $vgpr10_vgpr11
.LBB44_144:                             ;   in Loop: Header=BB44_5 Depth=1
	s_andn2_saveexec_b64 s[58:59], s[58:59]
	s_cbranch_execz .LBB44_150
; %bb.145:                              ;   in Loop: Header=BB44_5 Depth=1
	v_cmp_ngt_f32_e64 s[12:13], |v12|, 1.0
                                        ; implicit-def: $vgpr26
                                        ; implicit-def: $sgpr60_sgpr61
	s_and_saveexec_b64 s[62:63], s[12:13]
	s_xor_b64 s[62:63], exec, s[62:63]
	s_cbranch_execz .LBB44_147
; %bb.146:                              ;   in Loop: Header=BB44_5 Depth=1
	v_sub_f32_e64 v8, 1.0, |v12|
	v_mul_f32_e32 v8, v8, v10
	v_mul_f32_e32 v9, 0x4f800000, v8
	v_cmp_gt_f32_e32 vcc, s70, v8
	v_cndmask_b32_e32 v8, v8, v9, vcc
	v_sqrt_f32_e32 v9, v8
	s_mov_b64 s[60:61], -1
	v_add_u32_e32 v10, -1, v9
	v_fma_f32 v12, -v10, v9, v8
	v_add_u32_e32 v11, 1, v9
	v_cmp_ge_f32_e64 s[12:13], 0, v12
	v_cndmask_b32_e64 v10, v9, v10, s[12:13]
	v_fma_f32 v9, -v11, v9, v8
	v_cmp_lt_f32_e64 s[12:13], 0, v9
	v_cndmask_b32_e64 v9, v10, v11, s[12:13]
	v_mul_f32_e32 v10, 0x37800000, v9
	v_cndmask_b32_e32 v9, v9, v10, vcc
	v_cmp_class_f32_e32 vcc, v8, v31
	v_cndmask_b32_e32 v26, v9, v8, vcc
                                        ; implicit-def: $vgpr10_vgpr11_vgpr12_vgpr13
                                        ; implicit-def: $vgpr10_vgpr11
.LBB44_147:                             ;   in Loop: Header=BB44_5 Depth=1
	s_andn2_saveexec_b64 s[62:63], s[62:63]
	s_cbranch_execz .LBB44_149
; %bb.148:                              ;   in Loop: Header=BB44_5 Depth=1
	v_mul_f32_e32 v8, v10, v11
	v_mul_f32_e32 v9, 0x4f800000, v8
	v_cmp_gt_f32_e32 vcc, s70, v8
	v_cndmask_b32_e32 v8, v8, v9, vcc
	v_sqrt_f32_e32 v9, v8
	v_mul_f32_e64 v10, |v13|, s81
	v_mul_f32_e64 v10, |v12|, v10
	s_or_b64 s[60:61], s[60:61], exec
	v_add_u32_e32 v11, -1, v9
	v_fma_f32 v13, -v11, v9, v8
	v_cmp_ge_f32_e64 s[12:13], 0, v13
	v_add_u32_e32 v13, 1, v9
	v_cndmask_b32_e64 v11, v9, v11, s[12:13]
	v_fma_f32 v9, -v13, v9, v8
	v_cmp_lt_f32_e64 s[12:13], 0, v9
	v_cndmask_b32_e64 v9, v11, v13, s[12:13]
	v_mul_f32_e32 v11, 0x37800000, v9
	v_cndmask_b32_e32 v9, v9, v11, vcc
	v_cmp_class_f32_e32 vcc, v8, v31
	v_cndmask_b32_e32 v8, v9, v8, vcc
	v_div_scale_f32 v9, s[12:13], v8, v8, v10
	v_rcp_f32_e32 v11, v9
	v_fma_f32 v13, -v9, v11, 1.0
	v_fmac_f32_e32 v11, v13, v11
	v_div_scale_f32 v13, vcc, v10, v8, v10
	v_mul_f32_e32 v19, v13, v11
	v_fma_f32 v24, -v9, v19, v13
	v_fmac_f32_e32 v19, v24, v11
	v_fma_f32 v9, -v9, v19, v13
	v_div_fmas_f32 v9, v9, v11, v19
	v_div_fixup_f32 v26, v9, v8, v10
	v_mul_f32_e64 v24, |v12|, s81
.LBB44_149:                             ;   in Loop: Header=BB44_5 Depth=1
	s_or_b64 exec, exec, s[62:63]
	s_andn2_b64 s[12:13], s[56:57], exec
	s_and_b64 s[56:57], s[60:61], exec
	s_or_b64 s[56:57], s[12:13], s[56:57]
.LBB44_150:                             ;   in Loop: Header=BB44_5 Depth=1
	s_or_b64 exec, exec, s[58:59]
	s_and_b64 s[56:57], s[56:57], exec
                                        ; implicit-def: $vgpr10_vgpr11_vgpr12_vgpr13
                                        ; implicit-def: $vgpr8
.LBB44_151:                             ;   in Loop: Header=BB44_5 Depth=1
	s_andn2_saveexec_b64 s[54:55], s[54:55]
	s_cbranch_execz .LBB44_153
; %bb.152:                              ;   in Loop: Header=BB44_5 Depth=1
	v_mul_f32_e64 v9, |v13|, s71
	v_cmp_lt_f32_e64 vcc, |v13|, s70
	v_cndmask_b32_e64 v9, |v13|, v9, vcc
	v_sqrt_f32_e32 v10, v9
	v_add_f32_e32 v8, 1.0, v8
	v_mul_f32_e32 v8, 0.5, v8
	v_mov_b32_e32 v24, 1.0
	v_add_u32_e32 v11, -1, v10
	v_fma_f32 v13, -v11, v10, v9
	v_add_u32_e32 v12, 1, v10
	v_cmp_ge_f32_e64 s[12:13], 0, v13
	v_cndmask_b32_e64 v11, v10, v11, s[12:13]
	v_fma_f32 v10, -v12, v10, v9
	v_cmp_lt_f32_e64 s[12:13], 0, v10
	v_cndmask_b32_e64 v10, v11, v12, s[12:13]
	v_mul_f32_e32 v12, 0x4f800000, v8
	v_cmp_gt_f32_e64 s[12:13], s70, v8
	v_cndmask_b32_e64 v8, v8, v12, s[12:13]
	v_sqrt_f32_e32 v12, v8
	v_mul_f32_e32 v11, 0x37800000, v10
	v_cndmask_b32_e32 v10, v10, v11, vcc
	v_cmp_class_f32_e32 vcc, v9, v31
	v_cndmask_b32_e32 v9, v10, v9, vcc
	v_add_u32_e32 v10, -1, v12
	v_fma_f32 v11, -v10, v12, v8
	v_cmp_ge_f32_e32 vcc, 0, v11
	v_add_u32_e32 v11, 1, v12
	v_cndmask_b32_e32 v10, v12, v10, vcc
	v_fma_f32 v12, -v11, v12, v8
	v_cmp_lt_f32_e32 vcc, 0, v12
	v_cndmask_b32_e32 v10, v10, v11, vcc
	v_mul_f32_e32 v11, 0x37800000, v10
	v_cndmask_b32_e64 v10, v10, v11, s[12:13]
	v_cmp_class_f32_e32 vcc, v8, v31
	v_cndmask_b32_e32 v8, v10, v8, vcc
	v_mul_f32_e32 v26, v9, v8
	s_or_b64 s[56:57], s[56:57], exec
.LBB44_153:                             ;   in Loop: Header=BB44_5 Depth=1
	s_or_b64 exec, exec, s[54:55]
	s_and_b64 s[12:13], s[56:57], exec
.LBB44_154:                             ;   in Loop: Header=BB44_5 Depth=1
	s_or_b64 exec, exec, s[52:53]
	s_and_b64 s[12:13], s[12:13], exec
                                        ; implicit-def: $vgpr8
.LBB44_155:                             ;   in Loop: Header=BB44_5 Depth=1
	s_andn2_saveexec_b64 s[50:51], s[50:51]
; %bb.156:                              ;   in Loop: Header=BB44_5 Depth=1
	v_mov_b32_e32 v9, v24
	v_pk_mul_f32 v[26:27], v[8:9], s[38:39] op_sel_hi:[1,0]
	s_or_b64 s[12:13], s[12:13], exec
	v_mov_b32_e32 v24, v27
                                        ; implicit-def: $vgpr17
; %bb.157:                              ;   in Loop: Header=BB44_5 Depth=1
	s_or_b64 exec, exec, s[50:51]
	s_xor_b64 s[12:13], s[12:13], -1
	s_and_saveexec_b64 s[50:51], s[12:13]
	s_xor_b64 s[50:51], exec, s[50:51]
	s_cbranch_execz .LBB44_163
; %bb.158:                              ;   in Loop: Header=BB44_5 Depth=1
	s_and_saveexec_b64 s[12:13], s[10:11]
	s_xor_b64 s[12:13], exec, s[12:13]
	s_cbranch_execz .LBB44_160
; %bb.159:                              ;   in Loop: Header=BB44_5 Depth=1
	v_fma_f32 v8, |v17|, -0.5, 0.5
	v_mul_f32_e32 v9, v17, v17
	v_cmp_gt_f32_e64 vcc, |v17|, 0.5
	v_cndmask_b32_e32 v8, v9, v8, vcc
	v_mov_b32_e32 v9, 0x3c5fc5da
	v_fmac_f32_e32 v9, 0x3d1c21a7, v8
	v_fma_f32 v9, v8, v9, v33
	v_fma_f32 v9, v8, v9, v34
	v_sqrt_f32_e32 v10, v8
	v_fma_f32 v9, v8, v9, v35
	v_fma_f32 v9, v8, v9, v36
	v_mul_f32_e32 v8, v8, v9
	v_fmac_f32_e32 v10, v10, v8
	v_fmac_f32_e32 v17, v17, v8
	v_add_f32_e32 v9, v10, v10
	v_sub_f32_e32 v8, 0x3fc90fdb, v17
	v_cndmask_b32_e32 v8, v8, v9, vcc
                                        ; implicit-def: $vgpr17
.LBB44_160:                             ;   in Loop: Header=BB44_5 Depth=1
	s_andn2_saveexec_b64 s[52:53], s[12:13]
	s_cbranch_execz .LBB44_162
; %bb.161:                              ;   in Loop: Header=BB44_5 Depth=1
	v_fma_f32 v8, |v17|, -0.5, 0.5
	v_mul_f32_e32 v9, v17, v17
	v_cmp_gt_f32_e64 vcc, |v17|, 0.5
	v_cndmask_b32_e32 v8, v9, v8, vcc
	v_mov_b32_e32 v9, 0x3c5fc5da
	v_fmac_f32_e32 v9, 0x3d1c21a7, v8
	v_fma_f32 v9, v8, v9, v33
	v_fma_f32 v9, v8, v9, v34
	v_sqrt_f32_e32 v10, v8
	v_fma_f32 v9, v8, v9, v35
	v_fma_f32 v9, v8, v9, v36
	v_mul_f32_e32 v8, v8, v9
	v_fmac_f32_e32 v10, v10, v8
	v_add_f32_e32 v9, v10, v10
	v_sub_f32_e32 v10, 0x40490fdb, v9
	v_cmp_lt_f32_e64 s[12:13], 0, v17
	v_fma_f32 v8, -v17, v8, -v17
	v_cndmask_b32_e64 v9, v9, v10, s[12:13]
	v_sub_f32_e32 v8, 0x3fc90fdb, v8
	v_cndmask_b32_e32 v8, v8, v9, vcc
.LBB44_162:                             ;   in Loop: Header=BB44_5 Depth=1
	s_or_b64 exec, exec, s[52:53]
                                        ; implicit-def: $vgpr26
                                        ; implicit-def: $vgpr24
.LBB44_163:                             ;   in Loop: Header=BB44_5 Depth=1
	s_andn2_saveexec_b64 s[12:13], s[50:51]
	s_cbranch_execz .LBB44_169
; %bb.164:                              ;   in Loop: Header=BB44_5 Depth=1
	s_and_saveexec_b64 s[50:51], s[10:11]
	s_xor_b64 s[10:11], exec, s[50:51]
	s_cbranch_execz .LBB44_166
; %bb.165:                              ;   in Loop: Header=BB44_5 Depth=1
	v_max_f32_e64 v8, |v26|, |v26|
	v_max_f32_e32 v9, v24, v24
	v_min_f32_e32 v10, v9, v8
	v_max_f32_e32 v8, v9, v8
	v_frexp_mant_f32_e32 v9, v8
	v_rcp_f32_e32 v9, v9
	v_frexp_exp_i32_f32_e32 v8, v8
	v_frexp_exp_i32_f32_e32 v11, v10
	v_frexp_mant_f32_e32 v10, v10
	v_mul_f32_e32 v9, v10, v9
	v_sub_u32_e32 v8, v11, v8
	v_ldexp_f32 v8, v9, v8
	v_mul_f32_e32 v9, v8, v8
	v_mov_b32_e32 v10, 0xbc7a590c
	v_fmac_f32_e32 v10, 0x3b2d2a58, v9
	v_fma_f32 v10, v9, v10, v37
	v_fma_f32 v10, v9, v10, v38
	;; [unrolled: 1-line block ×6, first 2 shown]
	v_mul_f32_e32 v9, v9, v10
	v_fmac_f32_e32 v8, v8, v9
	v_sub_f32_e32 v9, 0x3fc90fdb, v8
	v_cmp_gt_f32_e64 vcc, |v26|, v24
	v_cndmask_b32_e32 v8, v8, v9, vcc
	v_cmp_neq_f32_e32 vcc, 0, v26
	v_cndmask_b32_e32 v8, 0, v8, vcc
	v_cmp_eq_f32_e32 vcc, s68, v24
	v_cmp_class_f32_e64 s[50:51], v26, s82
	s_and_b64 vcc, vcc, s[50:51]
	v_cndmask_b32_e32 v8, v8, v48, vcc
	v_cmp_o_f32_e32 vcc, v24, v26
	v_cndmask_b32_e32 v8, v46, v8, vcc
	v_bfi_b32 v8, s67, v8, v26
                                        ; implicit-def: $vgpr26
                                        ; implicit-def: $vgpr24
.LBB44_166:                             ;   in Loop: Header=BB44_5 Depth=1
	s_andn2_saveexec_b64 s[50:51], s[10:11]
	s_cbranch_execz .LBB44_168
; %bb.167:                              ;   in Loop: Header=BB44_5 Depth=1
	v_max_f32_e64 v8, |v26|, |v26|
	v_max_f32_e32 v9, v24, v24
	v_min_f32_e32 v10, v9, v8
	v_max_f32_e32 v8, v9, v8
	v_frexp_mant_f32_e32 v9, v8
	v_rcp_f32_e32 v9, v9
	v_frexp_exp_i32_f32_e32 v8, v8
	v_frexp_exp_i32_f32_e32 v11, v10
	v_frexp_mant_f32_e32 v10, v10
	v_mul_f32_e32 v9, v10, v9
	v_sub_u32_e32 v8, v11, v8
	v_ldexp_f32 v8, v9, v8
	v_mul_f32_e32 v9, v8, v8
	v_mov_b32_e32 v10, 0xbc7a590c
	v_fmac_f32_e32 v10, 0x3b2d2a58, v9
	v_fma_f32 v10, v9, v10, v37
	v_fma_f32 v10, v9, v10, v38
	;; [unrolled: 1-line block ×6, first 2 shown]
	v_mul_f32_e32 v9, v9, v10
	v_fmac_f32_e32 v8, v8, v9
	v_sub_f32_e32 v9, 0x3fc90fdb, v8
	v_cmp_gt_f32_e64 vcc, |v26|, v24
	v_cndmask_b32_e32 v8, v8, v9, vcc
	v_sub_f32_e32 v9, 0x40490fdb, v8
	v_cmp_lt_f32_e32 vcc, 0, v24
	v_cndmask_b32_e32 v8, v8, v9, vcc
	v_cmp_neq_f32_e64 s[10:11], 0, v26
	v_cndmask_b32_e64 v8, v49, v8, s[10:11]
	v_cndmask_b32_e32 v9, v48, v50, vcc
	v_cmp_eq_f32_e32 vcc, s68, v24
	v_cmp_class_f32_e64 s[10:11], v26, s82
	s_and_b64 vcc, vcc, s[10:11]
	v_cndmask_b32_e32 v8, v8, v9, vcc
	v_cmp_o_f32_e64 vcc, v26, -v24
	v_cndmask_b32_e32 v8, v46, v8, vcc
	v_bfi_b32 v8, s67, v8, v26
.LBB44_168:                             ;   in Loop: Header=BB44_5 Depth=1
	s_or_b64 exec, exec, s[50:51]
.LBB44_169:                             ;   in Loop: Header=BB44_5 Depth=1
	s_or_b64 exec, exec, s[12:13]
	v_cndmask_b32_e64 v9, -v1, v1, s[6:7]
                                        ; implicit-def: $vgpr10_vgpr11_vgpr12_vgpr13
.LBB44_170:                             ;   in Loop: Header=BB44_5 Depth=1
	s_andn2_saveexec_b64 s[10:11], s[48:49]
	s_cbranch_execz .LBB44_172
; %bb.171:                              ;   in Loop: Header=BB44_5 Depth=1
	s_waitcnt lgkmcnt(0)
	v_pk_mov_b32 v[8:9], s[26:27], s[26:27] op_sel:[0,1]
	flat_load_dword v1, v[8:9] glc
	s_waitcnt vmcnt(0)
	v_xor_b32_e32 v9, 0x80000000, v13
	s_waitcnt lgkmcnt(0)
	v_sub_f32_e32 v1, v1, v12
	v_add_f32_e32 v8, 0x3fc90fdb, v1
.LBB44_172:                             ;   in Loop: Header=BB44_5 Depth=1
	s_or_b64 exec, exec, s[10:11]
                                        ; implicit-def: $vgpr10_vgpr11_vgpr12_vgpr13
.LBB44_173:                             ;   in Loop: Header=BB44_5 Depth=1
	s_andn2_saveexec_b64 s[10:11], s[46:47]
	s_cbranch_execz .LBB44_175
; %bb.174:                              ;   in Loop: Header=BB44_5 Depth=1
	v_xor_b32_e32 v9, 0x80000000, v13
	s_waitcnt lgkmcnt(0)
	v_mov_b32_e32 v8, 0
.LBB44_175:                             ;   in Loop: Header=BB44_5 Depth=1
	s_or_b64 exec, exec, s[10:11]
                                        ; implicit-def: $vgpr10_vgpr11_vgpr12_vgpr13
                                        ; implicit-def: $vgpr1
                                        ; implicit-def: $vgpr11
                                        ; implicit-def: $vgpr10
.LBB44_176:                             ;   in Loop: Header=BB44_5 Depth=1
	s_andn2_saveexec_b64 s[44:45], s[44:45]
	s_cbranch_execz .LBB44_186
; %bb.177:                              ;   in Loop: Header=BB44_5 Depth=1
	v_cmp_lt_f32_e64 s[10:11], |v12|, |v13|
	v_cndmask_b32_e64 v17, |v12|, |v13|, s[10:11]
	v_cmp_nlt_f32_e32 vcc, s83, v17
                                        ; implicit-def: $vgpr9
                                        ; implicit-def: $vgpr8
	s_and_saveexec_b64 s[12:13], vcc
	s_xor_b64 s[46:47], exec, s[12:13]
	s_cbranch_execz .LBB44_183
; %bb.178:                              ;   in Loop: Header=BB44_5 Depth=1
	v_cndmask_b32_e64 v19, |v13|, |v12|, s[10:11]
	v_cmp_nlt_f32_e32 vcc, s84, v17
	v_cmp_ngt_f32_e64 s[12:13], s85, v19
	s_and_b64 s[12:13], vcc, s[12:13]
                                        ; implicit-def: $vgpr9
                                        ; implicit-def: $vgpr8
	s_and_saveexec_b64 s[48:49], s[12:13]
	s_xor_b64 s[12:13], exec, s[48:49]
	s_cbranch_execz .LBB44_180
; %bb.179:                              ;   in Loop: Header=BB44_5 Depth=1
	s_waitcnt lgkmcnt(0)
	v_mul_f32_e32 v8, v19, v19
	v_fmac_f32_e32 v8, v17, v17
	v_cmp_gt_f32_e32 vcc, s72, v8
	v_cndmask_b32_e32 v9, 1.0, v44, vcc
	v_mul_f32_e32 v8, v8, v9
	v_log_f32_e32 v8, v8
	v_cndmask_b32_e32 v9, 0, v45, vcc
	v_min_f32_e32 v1, v11, v1
	v_frexp_exp_i32_f32_e32 v11, v1
	v_mul_f32_e32 v17, 0x3f317217, v8
	v_fma_f32 v19, v8, s73, -v17
	v_fmac_f32_e32 v19, 0x3377d1cf, v8
	v_add_f32_e32 v17, v17, v19
	v_cmp_lt_f32_e64 vcc, |v8|, s68
	v_cndmask_b32_e32 v8, v8, v17, vcc
	v_sub_f32_e32 v8, v8, v9
	v_mul_f32_e32 v9, 0.5, v8
	v_frexp_mant_f32_e32 v8, v10
	v_rcp_f32_e32 v8, v8
	v_frexp_exp_i32_f32_e32 v10, v10
	v_frexp_mant_f32_e32 v1, v1
	v_mul_f32_e32 v1, v1, v8
	v_sub_u32_e32 v8, v11, v10
	v_ldexp_f32 v8, v1, v8
	v_mul_f32_e32 v1, v8, v8
	v_mov_b32_e32 v10, 0xbc7a590c
	v_fmac_f32_e32 v10, 0x3b2d2a58, v1
	v_fma_f32 v10, v1, v10, v37
	v_fma_f32 v10, v1, v10, v38
	;; [unrolled: 1-line block ×6, first 2 shown]
	v_mul_f32_e32 v1, v1, v10
	v_fmac_f32_e32 v8, v8, v1
                                        ; implicit-def: $vgpr10
                                        ; implicit-def: $vgpr11
                                        ; implicit-def: $vgpr1
.LBB44_180:                             ;   in Loop: Header=BB44_5 Depth=1
	s_andn2_saveexec_b64 s[12:13], s[12:13]
	s_cbranch_execz .LBB44_182
; %bb.181:                              ;   in Loop: Header=BB44_5 Depth=1
	s_waitcnt lgkmcnt(0)
	v_cvt_f64_f32_e32 v[8:9], v10
	v_frexp_exp_i32_f64_e32 v8, v[8:9]
	v_sub_u32_e32 v9, 0, v8
	v_ldexp_f32 v17, |v12|, v9
	v_ldexp_f32 v9, |v13|, v9
	v_mul_f32_e32 v9, v9, v9
	v_fmac_f32_e32 v9, v17, v17
	v_sqrt_f32_e32 v9, v9
	v_cmp_neq_f32_e32 vcc, s68, v10
	v_min_f32_e32 v1, v11, v1
	v_ldexp_f32 v8, v9, v8
	v_cndmask_b32_e32 v8, v43, v8, vcc
	v_cmp_gt_f32_e32 vcc, s72, v8
	v_cndmask_b32_e32 v9, 1.0, v44, vcc
	v_mul_f32_e32 v8, v8, v9
	v_log_f32_e32 v8, v8
	v_cndmask_b32_e32 v9, 0, v45, vcc
	v_mul_f32_e32 v11, 0x3f317217, v8
	v_fma_f32 v17, v8, s73, -v11
	v_fmac_f32_e32 v17, 0x3377d1cf, v8
	v_add_f32_e32 v11, v11, v17
	v_cmp_lt_f32_e64 vcc, |v8|, s68
	v_cndmask_b32_e32 v8, v8, v11, vcc
	v_sub_f32_e32 v9, v8, v9
	v_frexp_mant_f32_e32 v8, v10
	v_rcp_f32_e32 v8, v8
	v_frexp_exp_i32_f32_e32 v10, v10
	v_frexp_exp_i32_f32_e32 v11, v1
	v_frexp_mant_f32_e32 v1, v1
	v_mul_f32_e32 v1, v1, v8
	v_sub_u32_e32 v8, v11, v10
	v_ldexp_f32 v8, v1, v8
	v_mul_f32_e32 v1, v8, v8
	v_mov_b32_e32 v10, 0xbc7a590c
	v_fmac_f32_e32 v10, 0x3b2d2a58, v1
	v_fma_f32 v10, v1, v10, v37
	v_fma_f32 v10, v1, v10, v38
	;; [unrolled: 1-line block ×6, first 2 shown]
	v_mul_f32_e32 v1, v1, v10
	v_fmac_f32_e32 v8, v8, v1
.LBB44_182:                             ;   in Loop: Header=BB44_5 Depth=1
	s_or_b64 exec, exec, s[12:13]
                                        ; implicit-def: $vgpr11
                                        ; implicit-def: $vgpr1
                                        ; implicit-def: $vgpr10
.LBB44_183:                             ;   in Loop: Header=BB44_5 Depth=1
	s_andn2_saveexec_b64 s[46:47], s[46:47]
	s_cbranch_execz .LBB44_185
; %bb.184:                              ;   in Loop: Header=BB44_5 Depth=1
	s_waitcnt lgkmcnt(0)
	v_div_scale_f32 v8, s[12:13], s86, s86, v12
	v_rcp_f32_e32 v9, v8
	v_div_scale_f32 v17, vcc, v12, s86, v12
	v_min_f32_e32 v1, v11, v1
	v_fma_f32 v19, -v8, v9, 1.0
	v_fmac_f32_e32 v9, v19, v9
	v_mul_f32_e32 v19, v17, v9
	v_fma_f32 v24, -v8, v19, v17
	v_fmac_f32_e32 v19, v24, v9
	v_fma_f32 v8, -v8, v19, v17
	v_div_scale_f32 v17, s[12:13], s86, s86, v13
	v_rcp_f32_e32 v24, v17
	v_div_fmas_f32 v8, v8, v9, v19
	v_div_fixup_f32 v19, v8, s86, v12
	v_frexp_exp_i32_f32_e32 v11, v1
	v_fma_f32 v8, -v17, v24, 1.0
	v_fmac_f32_e32 v24, v8, v24
	v_div_scale_f32 v8, vcc, v13, s86, v13
	v_mul_f32_e32 v9, v8, v24
	v_fma_f32 v25, -v17, v9, v8
	v_fmac_f32_e32 v9, v25, v24
	v_fma_f32 v8, -v17, v9, v8
	v_div_fmas_f32 v8, v8, v24, v9
	v_div_fixup_f32 v17, v8, s86, v13
	v_max_f32_e64 v24, |v19|, |v17|
	v_cvt_f64_f32_e32 v[8:9], v24
	v_frexp_exp_i32_f64_e32 v8, v[8:9]
	v_sub_u32_e32 v9, 0, v8
	v_ldexp_f32 v19, |v19|, v9
	v_ldexp_f32 v9, |v17|, v9
	v_mul_f32_e32 v9, v9, v9
	v_fmac_f32_e32 v9, v19, v19
	v_sqrt_f32_e32 v9, v9
	v_cmp_neq_f32_e32 vcc, s68, v24
	v_frexp_mant_f32_e32 v1, v1
	v_ldexp_f32 v8, v9, v8
	v_cndmask_b32_e32 v8, v43, v8, vcc
	v_cmp_gt_f32_e32 vcc, s72, v8
	v_cndmask_b32_e32 v9, 1.0, v44, vcc
	v_mul_f32_e32 v8, v8, v9
	v_log_f32_e32 v8, v8
	v_mul_f32_e32 v9, 0x3f317217, v8
	v_fma_f32 v17, v8, s73, -v9
	v_fmac_f32_e32 v17, 0x3377d1cf, v8
	v_add_f32_e32 v9, v9, v17
	v_cmp_lt_f32_e64 s[12:13], |v8|, s68
	v_cndmask_b32_e64 v8, v8, v9, s[12:13]
	v_cndmask_b32_e32 v9, 0, v45, vcc
	v_sub_f32_e32 v8, v8, v9
	v_add_f32_e32 v9, 1.0, v8
	v_frexp_mant_f32_e32 v8, v10
	v_rcp_f32_e32 v8, v8
	v_frexp_exp_i32_f32_e32 v10, v10
	v_mul_f32_e32 v1, v1, v8
	v_sub_u32_e32 v8, v11, v10
	v_ldexp_f32 v8, v1, v8
	v_mul_f32_e32 v1, v8, v8
	v_mov_b32_e32 v10, 0xbc7a590c
	v_fmac_f32_e32 v10, 0x3b2d2a58, v1
	v_fma_f32 v10, v1, v10, v37
	v_fma_f32 v10, v1, v10, v38
	;; [unrolled: 1-line block ×6, first 2 shown]
	v_mul_f32_e32 v1, v1, v10
	v_fmac_f32_e32 v8, v8, v1
.LBB44_185:                             ;   in Loop: Header=BB44_5 Depth=1
	s_or_b64 exec, exec, s[46:47]
	s_waitcnt lgkmcnt(0)
	v_sub_f32_e32 v1, 0x3fc90fdb, v8
	v_cndmask_b32_e64 v1, v8, v1, s[10:11]
	v_sub_f32_e32 v8, 0x40490fdb, v1
	v_cmp_gt_f32_e32 vcc, 0, v12
	v_cndmask_b32_e32 v1, v1, v8, vcc
	v_cndmask_b32_e64 v8, 0, v49, s[8:9]
	v_cmp_eq_f32_e64 s[8:9], 0, v13
	v_cndmask_b32_e64 v1, v1, v8, s[8:9]
	v_cmp_class_f32_e64 s[8:9], v12, s82
	v_cmp_class_f32_e64 s[10:11], v13, s82
	v_cndmask_b32_e32 v8, v48, v50, vcc
	s_and_b64 vcc, s[8:9], s[10:11]
	v_cndmask_b32_e32 v1, v1, v8, vcc
	v_cmp_o_f32_e32 vcc, v12, v13
	v_cndmask_b32_e64 v8, v46, |v1|, vcc
	v_add_f32_e32 v1, 0x3f317218, v9
	v_cndmask_b32_e64 v9, -v1, v1, s[6:7]
.LBB44_186:                             ;   in Loop: Header=BB44_5 Depth=1
	s_or_b64 exec, exec, s[44:45]
                                        ; implicit-def: $vgpr10_vgpr11_vgpr12_vgpr13
.LBB44_187:                             ;   in Loop: Header=BB44_5 Depth=1
	s_andn2_saveexec_b64 s[6:7], s[42:43]
	s_cbranch_execz .LBB44_201
; %bb.188:                              ;   in Loop: Header=BB44_5 Depth=1
	v_cmp_neq_f32_e64 s[8:9], |v12|, s68
	s_and_saveexec_b64 s[10:11], s[8:9]
	s_xor_b64 s[8:9], exec, s[10:11]
	s_cbranch_execz .LBB44_198
; %bb.189:                              ;   in Loop: Header=BB44_5 Depth=1
	v_cmp_neq_f32_e64 s[10:11], |v13|, s68
	s_and_saveexec_b64 s[12:13], s[10:11]
	s_xor_b64 s[10:11], exec, s[12:13]
	s_cbranch_execz .LBB44_195
; %bb.190:                              ;   in Loop: Header=BB44_5 Depth=1
	v_cmp_neq_f32_e32 vcc, 0, v12
	s_and_saveexec_b64 s[12:13], vcc
	s_xor_b64 s[12:13], exec, s[12:13]
; %bb.191:                              ;   in Loop: Header=BB44_5 Depth=1
	v_add_f32_e32 v1, 0, v13
	v_add_f32_e32 v9, v12, v1
                                        ; implicit-def: $vgpr10_vgpr11_vgpr12_vgpr13
; %bb.192:                              ;   in Loop: Header=BB44_5 Depth=1
	s_or_saveexec_b64 s[12:13], s[12:13]
	s_waitcnt lgkmcnt(0)
	v_mov_b32_e32 v8, v9
	s_xor_b64 exec, exec, s[12:13]
	s_cbranch_execz .LBB44_194
; %bb.193:                              ;   in Loop: Header=BB44_5 Depth=1
	v_pk_mov_b32 v[8:9], s[26:27], s[26:27] op_sel:[0,1]
	flat_load_dword v1, v[8:9] glc
	s_waitcnt vmcnt(0)
	v_add_f32_e32 v9, v13, v13
	s_waitcnt lgkmcnt(0)
	v_add_f32_e32 v8, 0x3fc90fdb, v1
.LBB44_194:                             ;   in Loop: Header=BB44_5 Depth=1
	s_or_b64 exec, exec, s[12:13]
                                        ; implicit-def: $vgpr10_vgpr11_vgpr12_vgpr13
.LBB44_195:                             ;   in Loop: Header=BB44_5 Depth=1
	s_andn2_saveexec_b64 s[10:11], s[10:11]
	s_cbranch_execz .LBB44_197
; %bb.196:                              ;   in Loop: Header=BB44_5 Depth=1
	s_waitcnt lgkmcnt(0)
	v_add_f32_e32 v8, v12, v12
	v_xor_b32_e32 v9, 0x80000000, v13
.LBB44_197:                             ;   in Loop: Header=BB44_5 Depth=1
	s_or_b64 exec, exec, s[10:11]
                                        ; implicit-def: $vgpr10_vgpr11_vgpr12_vgpr13
.LBB44_198:                             ;   in Loop: Header=BB44_5 Depth=1
	s_andn2_saveexec_b64 s[8:9], s[8:9]
	s_cbranch_execz .LBB44_200
; %bb.199:                              ;   in Loop: Header=BB44_5 Depth=1
	s_waitcnt lgkmcnt(0)
	v_add_f32_e32 v8, v13, v13
	v_mov_b32_e32 v9, 0xff800000
.LBB44_200:                             ;   in Loop: Header=BB44_5 Depth=1
	s_or_b64 exec, exec, s[8:9]
.LBB44_201:                             ;   in Loop: Header=BB44_5 Depth=1
	s_or_b64 exec, exec, s[6:7]
	v_cmp_o_f32_e32 vcc, v2, v2
	v_cmp_o_f32_e64 s[6:7], v3, v3
	v_pk_mov_b32 v[10:11], s[26:27], s[26:27] op_sel:[0,1]
	s_and_b64 s[6:7], vcc, s[6:7]
	flat_store_dword v[10:11], v29
	s_waitcnt vmcnt(0)
                                        ; implicit-def: $vgpr11
	s_and_saveexec_b64 s[8:9], s[6:7]
	s_xor_b64 s[42:43], exec, s[8:9]
	s_cbranch_execz .LBB44_285
; %bb.202:                              ;   in Loop: Header=BB44_5 Depth=1
	v_max_f32_e64 v1, |v3|, |v3|
	v_max_f32_e64 v13, |v2|, |v2|
	v_max_f32_e32 v12, v13, v1
	v_cmp_gt_i32_e64 s[8:9], 0, v2
	v_cmp_lt_i32_e64 s[10:11], -1, v2
	v_cmp_gt_i32_e64 s[6:7], 0, v3
	v_cmp_nlt_f32_e32 vcc, s65, v12
                                        ; implicit-def: $vgpr11
	s_and_saveexec_b64 s[12:13], vcc
	s_xor_b64 s[44:45], exec, s[12:13]
	s_cbranch_execz .LBB44_274
; %bb.203:                              ;   in Loop: Header=BB44_5 Depth=1
	v_cmp_neq_f32_e32 vcc, 1.0, v2
	v_cmp_neq_f32_e64 s[12:13], 0, v3
	s_or_b64 s[12:13], vcc, s[12:13]
                                        ; implicit-def: $vgpr11
	s_and_saveexec_b64 s[46:47], s[12:13]
	s_xor_b64 s[46:47], exec, s[46:47]
	s_cbranch_execz .LBB44_271
; %bb.204:                              ;   in Loop: Header=BB44_5 Depth=1
	v_pk_mov_b32 v[10:11], s[28:29], s[28:29] op_sel:[0,1]
	flat_store_dword v[10:11], v30
	s_waitcnt vmcnt(0)
	flat_load_dword v10, v[10:11] glc
	s_waitcnt vmcnt(0)
	v_cmp_nlt_f32_e64 s[12:13], |v2|, s66
	v_cmp_nlt_f32_e64 s[48:49], |v3|, s66
	s_or_b64 s[12:13], s[12:13], s[48:49]
	s_waitcnt lgkmcnt(0)
	v_add_f32_e32 v12, 1.0, v10
	v_pk_mov_b32 v[10:11], s[30:31], s[30:31] op_sel:[0,1]
	flat_store_dword v[10:11], v12
	s_waitcnt vmcnt(0)
	flat_load_dword v10, v[10:11] glc
	s_waitcnt vmcnt(0)
                                        ; implicit-def: $vgpr11
	s_and_saveexec_b64 s[48:49], s[12:13]
	s_xor_b64 s[48:49], exec, s[48:49]
	s_cbranch_execz .LBB44_268
; %bb.205:                              ;   in Loop: Header=BB44_5 Depth=1
	v_and_b32_e32 v12, 0x7fffffff, v2
	v_pk_add_f32 v[24:25], v[12:13], s[36:37] op_sel_hi:[0,1]
	v_max_f32_e64 v17, v1, |v24|
	s_waitcnt vmcnt(0) lgkmcnt(0)
	v_cvt_f64_f32_e32 v[10:11], v17
	v_max_f32_e64 v13, v1, |v25|
	v_frexp_exp_i32_f64_e32 v1, v[10:11]
	v_sub_u32_e32 v10, 0, v1
	v_ldexp_f32 v11, |v3|, v10
	v_ldexp_f32 v10, |v24|, v10
	v_mul_f32_e32 v10, v10, v10
	v_fmac_f32_e32 v10, v11, v11
	v_sqrt_f32_e32 v19, v10
	v_cvt_f64_f32_e32 v[10:11], v13
	v_frexp_exp_i32_f64_e32 v10, v[10:11]
	v_sub_u32_e32 v11, 0, v10
	v_ldexp_f32 v26, |v3|, v11
	v_ldexp_f32 v11, |v25|, v11
	v_mul_f32_e32 v11, v11, v11
	v_fmac_f32_e32 v11, v26, v26
	v_sqrt_f32_e32 v11, v11
	v_ldexp_f32 v19, v19, v1
	v_cmp_neq_f32_e32 vcc, s68, v13
	v_ldexp_f32 v1, v11, v10
	v_cndmask_b32_e32 v1, v43, v1, vcc
	v_cmp_neq_f32_e32 vcc, s68, v17
	v_cndmask_b32_e32 v13, v43, v19, vcc
	v_add_f32_e32 v10, v13, v1
	v_mul_f32_e32 v10, 0.5, v10
	v_cmp_ngt_f32_e32 vcc, 1.0, v10
	v_cndmask_b32_e32 v10, 1.0, v10, vcc
	v_cmp_ngt_f32_e32 vcc, s69, v10
                                        ; implicit-def: $vgpr17
	s_and_saveexec_b64 s[12:13], vcc
	s_xor_b64 s[50:51], exec, s[12:13]
	s_cbranch_execz .LBB44_207
; %bb.206:                              ;   in Loop: Header=BB44_5 Depth=1
	v_fma_f32 v11, v10, v10, -1.0
	v_mul_f32_e32 v17, 0x4f800000, v11
	v_cmp_gt_f32_e32 vcc, s70, v11
	v_cndmask_b32_e32 v11, v11, v17, vcc
	v_sqrt_f32_e32 v17, v11
	v_add_u32_e32 v19, -1, v17
	v_fma_f32 v27, -v19, v17, v11
	v_add_u32_e32 v26, 1, v17
	v_cmp_ge_f32_e64 s[12:13], 0, v27
	v_cndmask_b32_e64 v19, v17, v19, s[12:13]
	v_fma_f32 v17, -v26, v17, v11
	v_cmp_lt_f32_e64 s[12:13], 0, v17
	v_cndmask_b32_e64 v17, v19, v26, s[12:13]
	v_mul_f32_e32 v19, 0x37800000, v17
	v_cndmask_b32_e32 v17, v17, v19, vcc
	v_cmp_class_f32_e32 vcc, v11, v31
	v_cndmask_b32_e32 v11, v17, v11, vcc
	v_add_f32_e32 v11, v10, v11
	v_cmp_gt_f32_e32 vcc, s72, v11
	v_cndmask_b32_e32 v17, 1.0, v44, vcc
	v_mul_f32_e32 v11, v11, v17
	v_log_f32_e32 v11, v11
	v_mul_f32_e32 v17, 0x3f317217, v11
	v_fma_f32 v19, v11, s73, -v17
	v_fmac_f32_e32 v19, 0x3377d1cf, v11
	v_add_f32_e32 v17, v17, v19
	v_cmp_lt_f32_e64 s[12:13], |v11|, s68
	v_cndmask_b32_e64 v11, v11, v17, s[12:13]
	v_cndmask_b32_e32 v17, 0, v45, vcc
	v_sub_f32_e32 v17, v11, v17
.LBB44_207:                             ;   in Loop: Header=BB44_5 Depth=1
	s_or_saveexec_b64 s[50:51], s[50:51]
	v_and_b32_e32 v27, 0x7fffffff, v3
	v_and_b32_e32 v51, 0x7fffffff, v25
	s_xor_b64 exec, exec, s[50:51]
	s_cbranch_execz .LBB44_229
; %bb.208:                              ;   in Loop: Header=BB44_5 Depth=1
	v_cmp_neq_f32_e64 s[12:13], |v2|, 1.0
	v_cmp_nlt_f32_e64 s[52:53], |v3|, s74
	s_or_b64 s[12:13], s[12:13], s[52:53]
                                        ; implicit-def: $vgpr17
	s_and_saveexec_b64 s[52:53], s[12:13]
	s_xor_b64 s[52:53], exec, s[52:53]
	s_cbranch_execz .LBB44_226
; %bb.209:                              ;   in Loop: Header=BB44_5 Depth=1
	v_mul_f32_e32 v11, 0x34000000, v51
	v_cmp_le_f32_e64 s[12:13], v11, |v3|
                                        ; implicit-def: $vgpr17
	s_and_saveexec_b64 s[54:55], s[12:13]
	s_xor_b64 s[54:55], exec, s[54:55]
	s_cbranch_execz .LBB44_219
; %bb.210:                              ;   in Loop: Header=BB44_5 Depth=1
	v_cmp_neq_f32_e32 vcc, 0, v24
	v_mov_b32_e32 v11, v27
	s_and_saveexec_b64 s[12:13], vcc
	s_cbranch_execz .LBB44_212
; %bb.211:                              ;   in Loop: Header=BB44_5 Depth=1
	v_mul_f32_e32 v11, v3, v3
	v_add_f32_e32 v17, v24, v13
	v_div_scale_f32 v19, s[56:57], v17, v17, v11
	v_rcp_f32_e32 v26, v19
	v_fma_f32 v52, -v19, v26, 1.0
	v_fmac_f32_e32 v26, v52, v26
	v_div_scale_f32 v52, vcc, v11, v17, v11
	v_mul_f32_e32 v53, v52, v26
	v_fma_f32 v54, -v19, v53, v52
	v_fmac_f32_e32 v53, v54, v26
	v_fma_f32 v19, -v19, v53, v52
	v_div_fmas_f32 v19, v19, v26, v53
	v_div_fixup_f32 v11, v19, v17, v11
.LBB44_212:                             ;   in Loop: Header=BB44_5 Depth=1
	s_or_b64 exec, exec, s[12:13]
	v_sub_f32_e64 v19, 1.0, |v2|
	v_cmp_ngt_f32_e32 vcc, 0, v19
                                        ; implicit-def: $vgpr17
	s_and_saveexec_b64 s[12:13], vcc
	s_xor_b64 s[12:13], exec, s[12:13]
	s_cbranch_execz .LBB44_216
; %bb.213:                              ;   in Loop: Header=BB44_5 Depth=1
	v_cmp_neq_f32_e32 vcc, 0, v19
	v_mov_b32_e32 v17, v27
	s_and_saveexec_b64 s[56:57], vcc
	s_cbranch_execz .LBB44_215
; %bb.214:                              ;   in Loop: Header=BB44_5 Depth=1
	v_mul_f32_e32 v17, v3, v3
	v_add_f32_e32 v19, v19, v1
	v_div_scale_f32 v26, s[58:59], v19, v19, v17
	v_rcp_f32_e32 v52, v26
	v_fma_f32 v53, -v26, v52, 1.0
	v_fmac_f32_e32 v52, v53, v52
	v_div_scale_f32 v53, vcc, v17, v19, v17
	v_mul_f32_e32 v54, v53, v52
	v_fma_f32 v55, -v26, v54, v53
	v_fmac_f32_e32 v54, v55, v52
	v_fma_f32 v26, -v26, v54, v53
	v_div_fmas_f32 v26, v26, v52, v54
	v_div_fixup_f32 v17, v26, v19, v17
.LBB44_215:                             ;   in Loop: Header=BB44_5 Depth=1
	s_or_b64 exec, exec, s[56:57]
                                        ; implicit-def: $vgpr19
.LBB44_216:                             ;   in Loop: Header=BB44_5 Depth=1
	s_andn2_saveexec_b64 s[12:13], s[12:13]
; %bb.217:                              ;   in Loop: Header=BB44_5 Depth=1
	v_sub_f32_e32 v17, v1, v19
; %bb.218:                              ;   in Loop: Header=BB44_5 Depth=1
	s_or_b64 exec, exec, s[12:13]
	v_mul_f32_e32 v11, 0.5, v11
	v_mul_f32_e32 v17, 0.5, v17
	v_pk_add_f32 v[52:53], v[10:11], v[16:17]
	v_mul_f32_e32 v11, v52, v53
	v_mul_f32_e32 v17, 0x4f800000, v11
	v_cmp_gt_f32_e32 vcc, s70, v11
	v_cndmask_b32_e32 v11, v11, v17, vcc
	v_sqrt_f32_e32 v17, v11
	v_add_u32_e32 v19, -1, v17
	v_fma_f32 v26, -v19, v17, v11
	v_cmp_ge_f32_e64 s[12:13], 0, v26
	v_add_u32_e32 v26, 1, v17
	v_cndmask_b32_e64 v19, v17, v19, s[12:13]
	v_fma_f32 v17, -v26, v17, v11
	v_cmp_lt_f32_e64 s[12:13], 0, v17
	v_cndmask_b32_e64 v17, v19, v26, s[12:13]
	v_mul_f32_e32 v19, 0x37800000, v17
	v_cndmask_b32_e32 v17, v17, v19, vcc
	v_cmp_class_f32_e32 vcc, v11, v31
	v_cndmask_b32_e32 v11, v17, v11, vcc
	v_add_f32_e32 v52, v53, v11
	v_add_f32_e32 v55, 1.0, v52
	v_add_f32_e32 v53, -1.0, v55
	v_mov_b32_e32 v54, v53
	v_pk_add_f32 v[56:57], v[52:53], v[54:55] neg_lo:[0,1] neg_hi:[0,1]
	v_add_f32_e32 v11, 1.0, v57
	v_add_f32_e32 v11, v56, v11
	v_frexp_mant_f32_e32 v17, v55
	v_cvt_f64_f32_e32 v[56:57], v55
	v_frexp_exp_i32_f64_e32 v19, v[56:57]
	v_cmp_gt_f32_e32 vcc, s75, v17
	v_subbrev_co_u32_e32 v17, vcc, 0, v19, vcc
	v_sub_u32_e32 v19, 0, v17
	v_ldexp_f32 v26, v55, v19
	v_ldexp_f32 v11, v11, v19
	v_add_f32_e32 v19, -1.0, v26
	v_add_f32_e32 v54, 1.0, v26
	v_add_f32_e32 v53, 1.0, v19
	v_add_f32_e32 v55, -1.0, v54
	v_sub_f32_e32 v53, v26, v53
	v_sub_f32_e32 v26, v26, v55
	v_add_f32_e32 v53, v11, v53
	v_add_f32_e32 v11, v11, v26
	;; [unrolled: 1-line block ×3, first 2 shown]
	v_rcp_f32_e32 v62, v26
	v_add_f32_e32 v55, v19, v53
	v_sub_f32_e32 v19, v55, v19
	v_sub_f32_e32 v19, v53, v19
	v_mul_f32_e32 v53, v55, v62
	v_sub_f32_e32 v54, v26, v54
	v_mul_f32_e32 v56, v26, v53
	v_sub_f32_e32 v11, v11, v54
	v_fma_f32 v58, v53, v26, -v56
	v_fmac_f32_e32 v58, v53, v11
	v_add_f32_e32 v54, v56, v58
	v_sub_f32_e32 v57, v55, v54
	v_pk_add_f32 v[60:61], v[54:55], v[56:57] neg_lo:[0,1] neg_hi:[0,1]
	v_mov_b32_e32 v59, v54
	v_pk_add_f32 v[54:55], v[60:61], v[58:59] neg_lo:[0,1] neg_hi:[0,1]
	v_add_f32_e32 v19, v19, v55
	v_add_f32_e32 v19, v54, v19
	;; [unrolled: 1-line block ×3, first 2 shown]
	v_mul_f32_e32 v63, v62, v55
	v_mul_f32_e32 v56, v26, v63
	v_fma_f32 v58, v63, v26, -v56
	v_fmac_f32_e32 v58, v63, v11
	v_add_f32_e32 v54, v56, v58
	v_sub_f32_e32 v11, v57, v55
	v_sub_f32_e32 v57, v55, v54
	v_pk_add_f32 v[60:61], v[54:55], v[56:57] neg_lo:[0,1] neg_hi:[0,1]
	v_mov_b32_e32 v59, v54
	v_add_f32_e32 v11, v19, v11
	v_pk_add_f32 v[54:55], v[60:61], v[58:59] neg_lo:[0,1] neg_hi:[0,1]
	v_add_f32_e32 v11, v11, v55
	v_add_f32_e32 v11, v54, v11
	;; [unrolled: 1-line block ×4, first 2 shown]
	v_sub_f32_e32 v19, v26, v53
	v_mul_f32_e32 v11, v62, v11
	v_sub_f32_e32 v19, v63, v19
	v_add_f32_e32 v11, v19, v11
	v_add_f32_e32 v53, v26, v11
	v_cvt_f32_i32_e32 v54, v17
	v_mul_f32_e32 v55, v53, v53
	v_mov_b32_e32 v19, 0x3ecc95a3
	v_fmac_f32_e32 v19, 0x3e9b6dac, v55
	v_fma_f32 v19, v55, v19, v32
	v_mul_f32_e32 v55, v53, v55
	v_pk_mul_f32 v[58:59], v[54:55], v[18:19]
	v_fma_f32 v56, v54, s76, -v58
	v_ldexp_f32 v57, v53, 1
	v_fmac_f32_e32 v56, 0xb102e308, v54
	v_sub_f32_e32 v17, v53, v26
	v_pk_add_f32 v[54:55], v[58:59], v[56:57]
	v_sub_f32_e32 v11, v11, v17
	v_sub_f32_e32 v17, v55, v57
	v_ldexp_f32 v11, v11, 1
	v_sub_f32_e32 v17, v59, v17
	v_add_f32_e32 v61, v11, v17
	v_mov_b32_e32 v60, v58
	v_pk_add_f32 v[58:59], v[54:55], v[58:59] neg_lo:[0,1] neg_hi:[0,1]
	v_pk_add_f32 v[62:63], v[54:55], v[60:61]
	v_mov_b32_e32 v59, v63
	v_mov_b32_e32 v57, v54
	v_pk_add_f32 v[64:65], v[56:57], v[58:59] neg_lo:[0,1] neg_hi:[0,1]
	v_pk_add_f32 v[56:57], v[56:57], v[58:59]
	v_mov_b32_e32 v26, v57
	v_pk_add_f32 v[58:59], v[26:27], v[54:55] neg_lo:[0,1] neg_hi:[0,1]
	v_mov_b32_e32 v11, v58
	v_pk_add_f32 v[66:67], v[62:63], v[10:11] neg_lo:[0,1] neg_hi:[0,1]
	v_mov_b32_e32 v56, v63
	v_mov_b32_e32 v62, v55
	;; [unrolled: 1-line block ×4, first 2 shown]
	v_pk_add_f32 v[56:57], v[56:57], v[62:63] neg_lo:[0,1] neg_hi:[0,1]
	v_mov_b32_e32 v58, v61
	v_mov_b32_e32 v59, v54
	v_pk_add_f32 v[54:55], v[58:59], v[56:57] neg_lo:[0,1] neg_hi:[0,1]
	v_mov_b32_e32 v66, v64
	v_pk_add_f32 v[56:57], v[66:67], v[54:55]
	v_mov_b32_e32 v58, v57
	v_pk_add_f32 v[58:59], v[56:57], v[58:59]
	v_pk_add_f32 v[60:61], v[26:27], v[58:59]
	v_mov_b32_e32 v57, v60
	v_pk_add_f32 v[62:63], v[56:57], v[64:65] neg_lo:[0,1] neg_hi:[0,1]
	v_mov_b32_e32 v55, v58
	v_sub_f32_e32 v11, v56, v62
	v_pk_add_f32 v[54:55], v[54:55], v[62:63] neg_lo:[0,1] neg_hi:[0,1]
	v_sub_f32_e32 v11, v64, v11
	v_add_f32_e32 v11, v54, v11
	v_add_f32_e32 v11, v11, v55
	;; [unrolled: 1-line block ×3, first 2 shown]
	v_cmp_eq_f32_e32 vcc, s68, v52
	v_cndmask_b32_e32 v11, v11, v52, vcc
	v_cmp_ngt_f32_e32 vcc, -1.0, v52
	v_cndmask_b32_e32 v11, v46, v11, vcc
	v_cmp_neq_f32_e32 vcc, -1.0, v52
	v_cndmask_b32_e32 v11, v47, v11, vcc
	v_cmp_lt_f32_e64 vcc, |v52|, s77
	v_cndmask_b32_e32 v17, v11, v52, vcc
.LBB44_219:                             ;   in Loop: Header=BB44_5 Depth=1
	s_andn2_saveexec_b64 s[54:55], s[54:55]
	s_cbranch_execz .LBB44_225
; %bb.220:                              ;   in Loop: Header=BB44_5 Depth=1
	v_cmp_nlt_f32_e64 s[12:13], |v2|, 1.0
                                        ; implicit-def: $vgpr17
	s_and_saveexec_b64 s[56:57], s[12:13]
	s_xor_b64 s[56:57], exec, s[56:57]
	s_cbranch_execz .LBB44_222
; %bb.221:                              ;   in Loop: Header=BB44_5 Depth=1
	v_mul_f32_e32 v11, v25, v24
	v_mul_f32_e32 v17, 0x4f800000, v11
	v_cmp_gt_f32_e32 vcc, s70, v11
	v_cndmask_b32_e32 v11, v11, v17, vcc
	v_sqrt_f32_e32 v17, v11
	v_add_u32_e32 v19, -1, v17
	v_fma_f32 v52, -v19, v17, v11
	v_add_u32_e32 v26, 1, v17
	v_cmp_ge_f32_e64 s[12:13], 0, v52
	v_cndmask_b32_e64 v19, v17, v19, s[12:13]
	v_fma_f32 v17, -v26, v17, v11
	v_cmp_lt_f32_e64 s[12:13], 0, v17
	v_cndmask_b32_e64 v17, v19, v26, s[12:13]
	v_mul_f32_e32 v19, 0x37800000, v17
	v_cndmask_b32_e32 v17, v17, v19, vcc
	v_cmp_class_f32_e32 vcc, v11, v31
	v_cndmask_b32_e32 v11, v17, v11, vcc
	v_add_f32_e32 v52, v25, v11
	v_add_f32_e32 v55, 1.0, v52
	v_add_f32_e32 v53, -1.0, v55
	v_mov_b32_e32 v54, v53
	v_pk_add_f32 v[56:57], v[52:53], v[54:55] neg_lo:[0,1] neg_hi:[0,1]
	v_add_f32_e32 v11, 1.0, v57
	v_add_f32_e32 v11, v56, v11
	v_frexp_mant_f32_e32 v17, v55
	v_cvt_f64_f32_e32 v[56:57], v55
	v_frexp_exp_i32_f64_e32 v19, v[56:57]
	v_cmp_gt_f32_e32 vcc, s75, v17
	v_subbrev_co_u32_e32 v17, vcc, 0, v19, vcc
	v_sub_u32_e32 v19, 0, v17
	v_ldexp_f32 v26, v55, v19
	v_ldexp_f32 v11, v11, v19
	v_add_f32_e32 v19, -1.0, v26
	v_add_f32_e32 v54, 1.0, v26
	v_add_f32_e32 v53, 1.0, v19
	v_add_f32_e32 v55, -1.0, v54
	v_sub_f32_e32 v53, v26, v53
	v_sub_f32_e32 v26, v26, v55
	v_add_f32_e32 v53, v11, v53
	v_add_f32_e32 v11, v11, v26
	;; [unrolled: 1-line block ×3, first 2 shown]
	v_rcp_f32_e32 v62, v26
	v_add_f32_e32 v55, v19, v53
	v_sub_f32_e32 v19, v55, v19
	v_sub_f32_e32 v19, v53, v19
	v_mul_f32_e32 v53, v55, v62
	v_sub_f32_e32 v54, v26, v54
	v_mul_f32_e32 v56, v26, v53
	v_sub_f32_e32 v11, v11, v54
	v_fma_f32 v58, v53, v26, -v56
	v_fmac_f32_e32 v58, v53, v11
	v_add_f32_e32 v54, v56, v58
	v_sub_f32_e32 v57, v55, v54
	v_pk_add_f32 v[60:61], v[54:55], v[56:57] neg_lo:[0,1] neg_hi:[0,1]
	v_mov_b32_e32 v59, v54
	v_pk_add_f32 v[54:55], v[60:61], v[58:59] neg_lo:[0,1] neg_hi:[0,1]
	v_add_f32_e32 v19, v19, v55
	v_add_f32_e32 v19, v54, v19
	;; [unrolled: 1-line block ×3, first 2 shown]
	v_mul_f32_e32 v63, v62, v55
	v_mul_f32_e32 v56, v26, v63
	v_fma_f32 v58, v63, v26, -v56
	v_fmac_f32_e32 v58, v63, v11
	v_add_f32_e32 v54, v56, v58
	v_sub_f32_e32 v11, v57, v55
	v_sub_f32_e32 v57, v55, v54
	v_pk_add_f32 v[60:61], v[54:55], v[56:57] neg_lo:[0,1] neg_hi:[0,1]
	v_mov_b32_e32 v59, v54
	v_add_f32_e32 v11, v19, v11
	v_pk_add_f32 v[54:55], v[60:61], v[58:59] neg_lo:[0,1] neg_hi:[0,1]
	v_add_f32_e32 v11, v11, v55
	v_add_f32_e32 v11, v54, v11
	;; [unrolled: 1-line block ×4, first 2 shown]
	v_sub_f32_e32 v19, v26, v53
	v_mul_f32_e32 v11, v62, v11
	v_sub_f32_e32 v19, v63, v19
	v_add_f32_e32 v11, v19, v11
	v_add_f32_e32 v53, v26, v11
	v_cvt_f32_i32_e32 v54, v17
	v_mul_f32_e32 v55, v53, v53
	v_mov_b32_e32 v19, 0x3ecc95a3
	v_fmac_f32_e32 v19, 0x3e9b6dac, v55
	v_fma_f32 v19, v55, v19, v32
	v_mul_f32_e32 v55, v53, v55
	v_pk_mul_f32 v[58:59], v[54:55], v[18:19]
	v_fma_f32 v56, v54, s76, -v58
	v_ldexp_f32 v57, v53, 1
	v_fmac_f32_e32 v56, 0xb102e308, v54
	v_sub_f32_e32 v17, v53, v26
	v_pk_add_f32 v[54:55], v[58:59], v[56:57]
	v_sub_f32_e32 v11, v11, v17
	v_sub_f32_e32 v17, v55, v57
	v_ldexp_f32 v11, v11, 1
	v_sub_f32_e32 v17, v59, v17
	v_add_f32_e32 v61, v11, v17
	v_mov_b32_e32 v60, v58
	v_pk_add_f32 v[58:59], v[54:55], v[58:59] neg_lo:[0,1] neg_hi:[0,1]
	v_pk_add_f32 v[62:63], v[54:55], v[60:61]
	v_mov_b32_e32 v59, v63
	v_mov_b32_e32 v57, v54
	v_pk_add_f32 v[64:65], v[56:57], v[58:59] neg_lo:[0,1] neg_hi:[0,1]
	v_pk_add_f32 v[56:57], v[56:57], v[58:59]
	v_mov_b32_e32 v26, v57
	v_pk_add_f32 v[58:59], v[26:27], v[54:55] neg_lo:[0,1] neg_hi:[0,1]
	v_mov_b32_e32 v11, v58
	v_pk_add_f32 v[66:67], v[62:63], v[10:11] neg_lo:[0,1] neg_hi:[0,1]
	v_mov_b32_e32 v56, v63
	v_mov_b32_e32 v62, v55
	;; [unrolled: 1-line block ×4, first 2 shown]
	v_pk_add_f32 v[56:57], v[56:57], v[62:63] neg_lo:[0,1] neg_hi:[0,1]
	v_mov_b32_e32 v58, v61
	v_mov_b32_e32 v59, v54
	v_pk_add_f32 v[54:55], v[58:59], v[56:57] neg_lo:[0,1] neg_hi:[0,1]
	v_mov_b32_e32 v66, v64
	v_pk_add_f32 v[56:57], v[66:67], v[54:55]
	v_mov_b32_e32 v58, v57
	v_pk_add_f32 v[58:59], v[56:57], v[58:59]
	v_pk_add_f32 v[60:61], v[26:27], v[58:59]
	v_mov_b32_e32 v57, v60
	v_pk_add_f32 v[62:63], v[56:57], v[64:65] neg_lo:[0,1] neg_hi:[0,1]
	v_mov_b32_e32 v55, v58
	v_sub_f32_e32 v11, v56, v62
	v_pk_add_f32 v[54:55], v[54:55], v[62:63] neg_lo:[0,1] neg_hi:[0,1]
	v_sub_f32_e32 v11, v64, v11
	v_add_f32_e32 v11, v54, v11
	v_add_f32_e32 v11, v11, v55
	v_add_f32_e32 v11, v60, v11
	v_cmp_eq_f32_e32 vcc, s68, v52
	v_cndmask_b32_e32 v11, v11, v52, vcc
	v_cmp_ngt_f32_e32 vcc, -1.0, v52
	v_cndmask_b32_e32 v11, v46, v11, vcc
	v_cmp_neq_f32_e32 vcc, -1.0, v52
	v_cndmask_b32_e32 v11, v47, v11, vcc
	v_cmp_lt_f32_e64 vcc, |v52|, s77
	v_cndmask_b32_e32 v17, v11, v52, vcc
.LBB44_222:                             ;   in Loop: Header=BB44_5 Depth=1
	s_andn2_saveexec_b64 s[56:57], s[56:57]
	s_cbranch_execz .LBB44_224
; %bb.223:                              ;   in Loop: Header=BB44_5 Depth=1
	v_sub_f32_e64 v11, 1.0, |v2|
	v_mul_f32_e32 v11, v11, v24
	v_mul_f32_e32 v17, 0x4f800000, v11
	v_cmp_gt_f32_e32 vcc, s70, v11
	v_cndmask_b32_e32 v11, v11, v17, vcc
	v_sqrt_f32_e32 v17, v11
	v_add_u32_e32 v19, -1, v17
	v_fma_f32 v52, -v19, v17, v11
	v_add_u32_e32 v26, 1, v17
	v_cmp_ge_f32_e64 s[12:13], 0, v52
	v_cndmask_b32_e64 v19, v17, v19, s[12:13]
	v_fma_f32 v17, -v26, v17, v11
	v_cmp_lt_f32_e64 s[12:13], 0, v17
	v_cndmask_b32_e64 v17, v19, v26, s[12:13]
	v_mul_f32_e32 v19, 0x37800000, v17
	v_cndmask_b32_e32 v17, v17, v19, vcc
	v_cmp_class_f32_e32 vcc, v11, v31
	v_cndmask_b32_e32 v11, v17, v11, vcc
	v_and_b32_e32 v17, 0x7fffffff, v3
	v_div_scale_f32 v19, s[12:13], v11, v11, v17
	v_rcp_f32_e32 v26, v19
	v_div_scale_f32 v17, vcc, v17, v11, v17
	v_fma_f32 v52, -v19, v26, 1.0
	v_fmac_f32_e32 v26, v52, v26
	v_mul_f32_e32 v52, v17, v26
	v_fma_f32 v53, -v19, v52, v17
	v_fmac_f32_e32 v52, v53, v26
	v_fma_f32 v17, -v19, v52, v17
	v_div_fmas_f32 v17, v17, v26, v52
	v_div_fixup_f32 v17, v17, v11, |v3|
.LBB44_224:                             ;   in Loop: Header=BB44_5 Depth=1
	s_or_b64 exec, exec, s[56:57]
.LBB44_225:                             ;   in Loop: Header=BB44_5 Depth=1
	s_or_b64 exec, exec, s[54:55]
.LBB44_226:                             ;   in Loop: Header=BB44_5 Depth=1
	s_andn2_saveexec_b64 s[52:53], s[52:53]
	s_cbranch_execz .LBB44_228
; %bb.227:                              ;   in Loop: Header=BB44_5 Depth=1
	v_mul_f32_e64 v11, |v3|, s71
	v_cmp_lt_f32_e64 vcc, |v3|, s70
	v_cndmask_b32_e64 v11, |v3|, v11, vcc
	v_sqrt_f32_e32 v17, v11
	v_add_u32_e32 v19, -1, v17
	v_fma_f32 v52, -v19, v17, v11
	v_add_u32_e32 v26, 1, v17
	v_cmp_ge_f32_e64 s[12:13], 0, v52
	v_cndmask_b32_e64 v19, v17, v19, s[12:13]
	v_fma_f32 v17, -v26, v17, v11
	v_cmp_lt_f32_e64 s[12:13], 0, v17
	v_cndmask_b32_e64 v17, v19, v26, s[12:13]
	v_mul_f32_e32 v19, 0x37800000, v17
	v_cndmask_b32_e32 v17, v17, v19, vcc
	v_cmp_class_f32_e32 vcc, v11, v31
	v_cndmask_b32_e32 v17, v17, v11, vcc
.LBB44_228:                             ;   in Loop: Header=BB44_5 Depth=1
	s_or_b64 exec, exec, s[52:53]
.LBB44_229:                             ;   in Loop: Header=BB44_5 Depth=1
	s_or_b64 exec, exec, s[50:51]
	v_cmp_nlt_f32_e64 s[50:51], |v2|, s78
                                        ; implicit-def: $sgpr12_sgpr13
                                        ; implicit-def: $vgpr26
                                        ; implicit-def: $vgpr19
	s_and_saveexec_b64 s[52:53], s[50:51]
	s_xor_b64 s[50:51], exec, s[52:53]
	s_cbranch_execz .LBB44_253
; %bb.230:                              ;   in Loop: Header=BB44_5 Depth=1
	v_div_scale_f32 v11, s[12:13], v10, v10, v12
	v_rcp_f32_e32 v19, v11
	v_div_scale_f32 v26, vcc, v12, v10, v12
	s_mov_b64 s[12:13], 0
	v_fma_f32 v52, -v11, v19, 1.0
	v_fmac_f32_e32 v19, v52, v19
	v_mul_f32_e32 v52, v26, v19
	v_fma_f32 v53, -v11, v52, v26
	v_fmac_f32_e32 v52, v53, v19
	v_fma_f32 v11, -v11, v52, v26
	v_div_fmas_f32 v11, v11, v19, v52
	v_div_fixup_f32 v19, v11, v10, |v2|
	v_cmp_lt_f32_e32 vcc, s79, v19
                                        ; implicit-def: $vgpr26
	s_and_saveexec_b64 s[52:53], vcc
	s_cbranch_execz .LBB44_252
; %bb.231:                              ;   in Loop: Header=BB44_5 Depth=1
	v_cmp_neq_f32_e64 s[12:13], |v2|, 1.0
	v_cmp_nlt_f32_e64 s[54:55], |v3|, s80
	s_or_b64 s[12:13], s[12:13], s[54:55]
                                        ; implicit-def: $sgpr56_sgpr57
                                        ; implicit-def: $vgpr26
	s_and_saveexec_b64 s[54:55], s[12:13]
	s_xor_b64 s[54:55], exec, s[54:55]
	s_cbranch_execz .LBB44_249
; %bb.232:                              ;   in Loop: Header=BB44_5 Depth=1
	v_mul_f32_e32 v11, 0x34000000, v51
	v_cmp_le_f32_e64 s[12:13], v11, |v3|
                                        ; implicit-def: $vgpr26
                                        ; implicit-def: $sgpr56_sgpr57
	s_and_saveexec_b64 s[58:59], s[12:13]
	s_xor_b64 s[58:59], exec, s[58:59]
	s_cbranch_execz .LBB44_242
; %bb.233:                              ;   in Loop: Header=BB44_5 Depth=1
	v_cmp_neq_f32_e32 vcc, 0, v24
	v_mov_b32_e32 v11, v27
	s_and_saveexec_b64 s[12:13], vcc
	s_cbranch_execz .LBB44_235
; %bb.234:                              ;   in Loop: Header=BB44_5 Depth=1
	v_mul_f32_e32 v11, v3, v3
	v_add_f32_e32 v13, v24, v13
	v_div_scale_f32 v24, s[56:57], v13, v13, v11
	v_rcp_f32_e32 v26, v24
	v_fma_f32 v51, -v24, v26, 1.0
	v_fmac_f32_e32 v26, v51, v26
	v_div_scale_f32 v51, vcc, v11, v13, v11
	v_mul_f32_e32 v52, v51, v26
	v_fma_f32 v53, -v24, v52, v51
	v_fmac_f32_e32 v52, v53, v26
	v_fma_f32 v24, -v24, v52, v51
	v_div_fmas_f32 v24, v24, v26, v52
	v_div_fixup_f32 v11, v24, v13, v11
.LBB44_235:                             ;   in Loop: Header=BB44_5 Depth=1
	s_or_b64 exec, exec, s[12:13]
	v_cmp_ngt_f32_e32 vcc, 0, v25
	s_and_saveexec_b64 s[12:13], vcc
	s_xor_b64 s[12:13], exec, s[12:13]
	s_cbranch_execz .LBB44_239
; %bb.236:                              ;   in Loop: Header=BB44_5 Depth=1
	v_cmp_neq_f32_e32 vcc, 0, v25
	s_and_saveexec_b64 s[56:57], vcc
	s_cbranch_execz .LBB44_238
; %bb.237:                              ;   in Loop: Header=BB44_5 Depth=1
	v_mul_f32_e32 v13, v3, v3
	v_add_f32_e32 v1, v25, v1
	v_div_scale_f32 v24, s[60:61], v1, v1, v13
	v_rcp_f32_e32 v25, v24
	v_fma_f32 v26, -v24, v25, 1.0
	v_fmac_f32_e32 v25, v26, v25
	v_div_scale_f32 v26, vcc, v13, v1, v13
	v_mul_f32_e32 v27, v26, v25
	v_fma_f32 v51, -v24, v27, v26
	v_fmac_f32_e32 v27, v51, v25
	v_fma_f32 v24, -v24, v27, v26
	v_div_fmas_f32 v24, v24, v25, v27
	v_div_fixup_f32 v27, v24, v1, v13
.LBB44_238:                             ;   in Loop: Header=BB44_5 Depth=1
	s_or_b64 exec, exec, s[56:57]
                                        ; implicit-def: $vgpr1
                                        ; implicit-def: $vgpr24_vgpr25
.LBB44_239:                             ;   in Loop: Header=BB44_5 Depth=1
	s_andn2_saveexec_b64 s[12:13], s[12:13]
; %bb.240:                              ;   in Loop: Header=BB44_5 Depth=1
	v_sub_f32_e32 v27, v1, v25
; %bb.241:                              ;   in Loop: Header=BB44_5 Depth=1
	s_or_b64 exec, exec, s[12:13]
	v_mul_f32_e32 v13, 0.5, v11
	v_mul_f32_e32 v11, 0.5, v27
	v_pk_add_f32 v[10:11], v[12:13], v[10:11]
	v_mul_f32_e32 v1, v10, v11
	v_mul_f32_e32 v10, 0x4f800000, v1
	v_cmp_gt_f32_e32 vcc, s70, v1
	v_cndmask_b32_e32 v1, v1, v10, vcc
	v_sqrt_f32_e32 v10, v1
	s_mov_b64 s[56:57], -1
                                        ; implicit-def: $vgpr24_vgpr25
	v_add_u32_e32 v11, -1, v10
	v_fma_f32 v13, -v11, v10, v1
	v_cmp_ge_f32_e64 s[12:13], 0, v13
	v_add_u32_e32 v13, 1, v10
	v_cndmask_b32_e64 v11, v10, v11, s[12:13]
	v_fma_f32 v10, -v13, v10, v1
	v_cmp_lt_f32_e64 s[12:13], 0, v10
	v_cndmask_b32_e64 v10, v11, v13, s[12:13]
	v_mul_f32_e32 v11, 0x37800000, v10
	v_cndmask_b32_e32 v10, v10, v11, vcc
	v_cmp_class_f32_e32 vcc, v1, v31
	v_cndmask_b32_e32 v26, v10, v1, vcc
.LBB44_242:                             ;   in Loop: Header=BB44_5 Depth=1
	s_andn2_saveexec_b64 s[58:59], s[58:59]
	s_cbranch_execz .LBB44_248
; %bb.243:                              ;   in Loop: Header=BB44_5 Depth=1
	v_cmp_ngt_f32_e64 s[12:13], |v2|, 1.0
                                        ; implicit-def: $vgpr26
                                        ; implicit-def: $sgpr60_sgpr61
	s_and_saveexec_b64 s[62:63], s[12:13]
	s_xor_b64 s[62:63], exec, s[62:63]
	s_cbranch_execz .LBB44_245
; %bb.244:                              ;   in Loop: Header=BB44_5 Depth=1
	v_sub_f32_e64 v1, 1.0, |v2|
	v_mul_f32_e32 v1, v1, v24
	v_mul_f32_e32 v10, 0x4f800000, v1
	v_cmp_gt_f32_e32 vcc, s70, v1
	v_cndmask_b32_e32 v1, v1, v10, vcc
	v_sqrt_f32_e32 v10, v1
	s_mov_b64 s[60:61], -1
	v_add_u32_e32 v11, -1, v10
	v_fma_f32 v24, -v11, v10, v1
	v_add_u32_e32 v13, 1, v10
	v_cmp_ge_f32_e64 s[12:13], 0, v24
	v_cndmask_b32_e64 v11, v10, v11, s[12:13]
	v_fma_f32 v10, -v13, v10, v1
	v_cmp_lt_f32_e64 s[12:13], 0, v10
	v_cndmask_b32_e64 v10, v11, v13, s[12:13]
	v_mul_f32_e32 v11, 0x37800000, v10
	v_cndmask_b32_e32 v10, v10, v11, vcc
	v_cmp_class_f32_e32 vcc, v1, v31
	v_cndmask_b32_e32 v26, v10, v1, vcc
                                        ; implicit-def: $vgpr24_vgpr25
.LBB44_245:                             ;   in Loop: Header=BB44_5 Depth=1
	s_andn2_saveexec_b64 s[62:63], s[62:63]
	s_cbranch_execz .LBB44_247
; %bb.246:                              ;   in Loop: Header=BB44_5 Depth=1
	v_mul_f32_e32 v1, v24, v25
	v_mul_f32_e32 v10, 0x4f800000, v1
	v_cmp_gt_f32_e32 vcc, s70, v1
	v_cndmask_b32_e32 v1, v1, v10, vcc
	v_sqrt_f32_e32 v10, v1
	v_mul_f32_e64 v11, |v3|, s81
	v_mul_f32_e64 v11, |v2|, v11
	s_or_b64 s[60:61], s[60:61], exec
	v_add_u32_e32 v12, -1, v10
	v_fma_f32 v13, -v12, v10, v1
	v_cmp_ge_f32_e64 s[12:13], 0, v13
	v_add_u32_e32 v13, 1, v10
	v_cndmask_b32_e64 v12, v10, v12, s[12:13]
	v_fma_f32 v10, -v13, v10, v1
	v_cmp_lt_f32_e64 s[12:13], 0, v10
	v_cndmask_b32_e64 v10, v12, v13, s[12:13]
	v_mul_f32_e32 v12, 0x37800000, v10
	v_cndmask_b32_e32 v10, v10, v12, vcc
	v_cmp_class_f32_e32 vcc, v1, v31
	v_cndmask_b32_e32 v1, v10, v1, vcc
	v_div_scale_f32 v10, s[12:13], v1, v1, v11
	v_rcp_f32_e32 v12, v10
	v_fma_f32 v13, -v10, v12, 1.0
	v_fmac_f32_e32 v12, v13, v12
	v_div_scale_f32 v13, vcc, v11, v1, v11
	v_mul_f32_e32 v24, v13, v12
	v_fma_f32 v25, -v10, v24, v13
	v_fmac_f32_e32 v24, v25, v12
	v_fma_f32 v10, -v10, v24, v13
	v_div_fmas_f32 v10, v10, v12, v24
	v_div_fixup_f32 v26, v10, v1, v11
	v_mul_f32_e64 v12, |v2|, s81
.LBB44_247:                             ;   in Loop: Header=BB44_5 Depth=1
	s_or_b64 exec, exec, s[62:63]
	s_andn2_b64 s[12:13], s[56:57], exec
	s_and_b64 s[56:57], s[60:61], exec
	s_or_b64 s[56:57], s[12:13], s[56:57]
.LBB44_248:                             ;   in Loop: Header=BB44_5 Depth=1
	s_or_b64 exec, exec, s[58:59]
	s_and_b64 s[56:57], s[56:57], exec
                                        ; implicit-def: $vgpr10
.LBB44_249:                             ;   in Loop: Header=BB44_5 Depth=1
	s_andn2_saveexec_b64 s[54:55], s[54:55]
	s_cbranch_execz .LBB44_251
; %bb.250:                              ;   in Loop: Header=BB44_5 Depth=1
	v_mul_f32_e64 v1, |v3|, s71
	v_cmp_lt_f32_e64 vcc, |v3|, s70
	v_cndmask_b32_e64 v1, |v3|, v1, vcc
	v_sqrt_f32_e32 v11, v1
	v_add_f32_e32 v10, 1.0, v10
	v_mul_f32_e32 v10, 0.5, v10
	s_or_b64 s[56:57], s[56:57], exec
	v_add_u32_e32 v12, -1, v11
	v_fma_f32 v24, -v12, v11, v1
	v_add_u32_e32 v13, 1, v11
	v_cmp_ge_f32_e64 s[12:13], 0, v24
	v_cndmask_b32_e64 v12, v11, v12, s[12:13]
	v_fma_f32 v11, -v13, v11, v1
	v_cmp_lt_f32_e64 s[12:13], 0, v11
	v_cndmask_b32_e64 v11, v12, v13, s[12:13]
	v_mul_f32_e32 v13, 0x4f800000, v10
	v_cmp_gt_f32_e64 s[12:13], s70, v10
	v_cndmask_b32_e64 v10, v10, v13, s[12:13]
	v_sqrt_f32_e32 v13, v10
	v_mul_f32_e32 v12, 0x37800000, v11
	v_cndmask_b32_e32 v11, v11, v12, vcc
	v_cmp_class_f32_e32 vcc, v1, v31
	v_cndmask_b32_e32 v1, v11, v1, vcc
	v_add_u32_e32 v11, -1, v13
	v_fma_f32 v12, -v11, v13, v10
	v_cmp_ge_f32_e32 vcc, 0, v12
	v_add_u32_e32 v12, 1, v13
	v_cndmask_b32_e32 v11, v13, v11, vcc
	v_fma_f32 v13, -v12, v13, v10
	v_cmp_lt_f32_e32 vcc, 0, v13
	v_cndmask_b32_e32 v11, v11, v12, vcc
	v_mul_f32_e32 v12, 0x37800000, v11
	v_cndmask_b32_e64 v11, v11, v12, s[12:13]
	v_cmp_class_f32_e32 vcc, v10, v31
	v_cndmask_b32_e32 v10, v11, v10, vcc
	v_mul_f32_e32 v26, v1, v10
	v_mov_b32_e32 v12, 1.0
.LBB44_251:                             ;   in Loop: Header=BB44_5 Depth=1
	s_or_b64 exec, exec, s[54:55]
	s_and_b64 s[12:13], s[56:57], exec
.LBB44_252:                             ;   in Loop: Header=BB44_5 Depth=1
	s_or_b64 exec, exec, s[52:53]
	s_and_b64 s[12:13], s[12:13], exec
                                        ; implicit-def: $vgpr10
.LBB44_253:                             ;   in Loop: Header=BB44_5 Depth=1
	s_andn2_saveexec_b64 s[50:51], s[50:51]
; %bb.254:                              ;   in Loop: Header=BB44_5 Depth=1
	v_mov_b32_e32 v11, v12
	v_pk_mul_f32 v[26:27], v[10:11], s[38:39] op_sel_hi:[1,0]
	s_or_b64 s[12:13], s[12:13], exec
	v_mov_b32_e32 v12, v27
                                        ; implicit-def: $vgpr19
; %bb.255:                              ;   in Loop: Header=BB44_5 Depth=1
	s_or_b64 exec, exec, s[50:51]
	s_xor_b64 s[12:13], s[12:13], -1
                                        ; implicit-def: $vgpr10
	s_and_saveexec_b64 s[50:51], s[12:13]
	s_xor_b64 s[50:51], exec, s[50:51]
	s_cbranch_execz .LBB44_261
; %bb.256:                              ;   in Loop: Header=BB44_5 Depth=1
                                        ; implicit-def: $vgpr10
	s_and_saveexec_b64 s[12:13], s[10:11]
	s_xor_b64 s[12:13], exec, s[12:13]
	s_cbranch_execz .LBB44_258
; %bb.257:                              ;   in Loop: Header=BB44_5 Depth=1
	v_fma_f32 v1, |v19|, -0.5, 0.5
	v_mul_f32_e32 v10, v19, v19
	v_cmp_gt_f32_e64 vcc, |v19|, 0.5
	v_cndmask_b32_e32 v1, v10, v1, vcc
	v_mov_b32_e32 v10, 0x3c5fc5da
	v_fmac_f32_e32 v10, 0x3d1c21a7, v1
	v_fma_f32 v10, v1, v10, v33
	v_fma_f32 v10, v1, v10, v34
	v_sqrt_f32_e32 v11, v1
	v_fma_f32 v10, v1, v10, v35
	v_fma_f32 v10, v1, v10, v36
	v_mul_f32_e32 v1, v1, v10
	v_fmac_f32_e32 v11, v11, v1
	v_fmac_f32_e32 v19, v19, v1
	v_add_f32_e32 v10, v11, v11
	v_sub_f32_e32 v1, 0x3fc90fdb, v19
	v_cndmask_b32_e32 v10, v1, v10, vcc
                                        ; implicit-def: $vgpr19
.LBB44_258:                             ;   in Loop: Header=BB44_5 Depth=1
	s_andn2_saveexec_b64 s[52:53], s[12:13]
	s_cbranch_execz .LBB44_260
; %bb.259:                              ;   in Loop: Header=BB44_5 Depth=1
	v_fma_f32 v1, |v19|, -0.5, 0.5
	v_mul_f32_e32 v10, v19, v19
	v_cmp_gt_f32_e64 vcc, |v19|, 0.5
	v_cndmask_b32_e32 v1, v10, v1, vcc
	v_mov_b32_e32 v10, 0x3c5fc5da
	v_fmac_f32_e32 v10, 0x3d1c21a7, v1
	v_fma_f32 v10, v1, v10, v33
	v_fma_f32 v10, v1, v10, v34
	v_sqrt_f32_e32 v11, v1
	v_fma_f32 v10, v1, v10, v35
	v_fma_f32 v10, v1, v10, v36
	v_mul_f32_e32 v1, v1, v10
	v_fmac_f32_e32 v11, v11, v1
	v_add_f32_e32 v10, v11, v11
	v_sub_f32_e32 v11, 0x40490fdb, v10
	v_cmp_lt_f32_e64 s[12:13], 0, v19
	v_fma_f32 v1, -v19, v1, -v19
	v_cndmask_b32_e64 v10, v10, v11, s[12:13]
	v_sub_f32_e32 v1, 0x3fc90fdb, v1
	v_cndmask_b32_e32 v10, v1, v10, vcc
.LBB44_260:                             ;   in Loop: Header=BB44_5 Depth=1
	s_or_b64 exec, exec, s[52:53]
                                        ; implicit-def: $vgpr26
                                        ; implicit-def: $vgpr12
.LBB44_261:                             ;   in Loop: Header=BB44_5 Depth=1
	s_andn2_saveexec_b64 s[12:13], s[50:51]
	s_cbranch_execz .LBB44_267
; %bb.262:                              ;   in Loop: Header=BB44_5 Depth=1
                                        ; implicit-def: $vgpr10
	s_and_saveexec_b64 s[50:51], s[10:11]
	s_xor_b64 s[10:11], exec, s[50:51]
	s_cbranch_execz .LBB44_264
; %bb.263:                              ;   in Loop: Header=BB44_5 Depth=1
	v_max_f32_e64 v1, |v26|, |v26|
	v_max_f32_e32 v10, v12, v12
	v_min_f32_e32 v11, v10, v1
	v_max_f32_e32 v1, v10, v1
	v_frexp_mant_f32_e32 v10, v1
	v_rcp_f32_e32 v10, v10
	v_frexp_exp_i32_f32_e32 v1, v1
	v_frexp_exp_i32_f32_e32 v13, v11
	v_frexp_mant_f32_e32 v11, v11
	v_mul_f32_e32 v10, v11, v10
	v_sub_u32_e32 v1, v13, v1
	v_ldexp_f32 v1, v10, v1
	v_mul_f32_e32 v10, v1, v1
	v_mov_b32_e32 v11, 0xbc7a590c
	v_fmac_f32_e32 v11, 0x3b2d2a58, v10
	v_fma_f32 v11, v10, v11, v37
	v_fma_f32 v11, v10, v11, v38
	;; [unrolled: 1-line block ×6, first 2 shown]
	v_mul_f32_e32 v10, v10, v11
	v_fmac_f32_e32 v1, v1, v10
	v_sub_f32_e32 v10, 0x3fc90fdb, v1
	v_cmp_gt_f32_e64 vcc, |v26|, v12
	v_cndmask_b32_e32 v1, v1, v10, vcc
	v_cmp_neq_f32_e32 vcc, 0, v26
	v_cndmask_b32_e32 v1, 0, v1, vcc
	v_cmp_eq_f32_e32 vcc, s68, v12
	v_cmp_class_f32_e64 s[50:51], v26, s82
	s_and_b64 vcc, vcc, s[50:51]
	v_cndmask_b32_e32 v1, v1, v48, vcc
	v_cmp_o_f32_e32 vcc, v12, v26
	v_cndmask_b32_e32 v1, v46, v1, vcc
	v_bfi_b32 v10, s67, v1, v26
                                        ; implicit-def: $vgpr26
                                        ; implicit-def: $vgpr12
.LBB44_264:                             ;   in Loop: Header=BB44_5 Depth=1
	s_andn2_saveexec_b64 s[50:51], s[10:11]
	s_cbranch_execz .LBB44_266
; %bb.265:                              ;   in Loop: Header=BB44_5 Depth=1
	v_max_f32_e64 v1, |v26|, |v26|
	v_max_f32_e32 v10, v12, v12
	v_min_f32_e32 v11, v10, v1
	v_max_f32_e32 v1, v10, v1
	v_frexp_mant_f32_e32 v10, v1
	v_rcp_f32_e32 v10, v10
	v_frexp_exp_i32_f32_e32 v1, v1
	v_frexp_exp_i32_f32_e32 v13, v11
	v_frexp_mant_f32_e32 v11, v11
	v_mul_f32_e32 v10, v11, v10
	v_sub_u32_e32 v1, v13, v1
	v_ldexp_f32 v1, v10, v1
	v_mul_f32_e32 v10, v1, v1
	v_mov_b32_e32 v11, 0xbc7a590c
	v_fmac_f32_e32 v11, 0x3b2d2a58, v10
	v_fma_f32 v11, v10, v11, v37
	v_fma_f32 v11, v10, v11, v38
	;; [unrolled: 1-line block ×6, first 2 shown]
	v_mul_f32_e32 v10, v10, v11
	v_fmac_f32_e32 v1, v1, v10
	v_sub_f32_e32 v10, 0x3fc90fdb, v1
	v_cmp_gt_f32_e64 vcc, |v26|, v12
	v_cndmask_b32_e32 v1, v1, v10, vcc
	v_sub_f32_e32 v10, 0x40490fdb, v1
	v_cmp_lt_f32_e32 vcc, 0, v12
	v_cndmask_b32_e32 v1, v1, v10, vcc
	v_cmp_neq_f32_e64 s[10:11], 0, v26
	v_cndmask_b32_e64 v1, v49, v1, s[10:11]
	v_cndmask_b32_e32 v10, v48, v50, vcc
	v_cmp_eq_f32_e32 vcc, s68, v12
	v_cmp_class_f32_e64 s[10:11], v26, s82
	s_and_b64 vcc, vcc, s[10:11]
	v_cndmask_b32_e32 v1, v1, v10, vcc
	v_cmp_o_f32_e64 vcc, v26, -v12
	v_cndmask_b32_e32 v1, v46, v1, vcc
	v_bfi_b32 v10, s67, v1, v26
.LBB44_266:                             ;   in Loop: Header=BB44_5 Depth=1
	s_or_b64 exec, exec, s[50:51]
.LBB44_267:                             ;   in Loop: Header=BB44_5 Depth=1
	s_or_b64 exec, exec, s[12:13]
	v_cndmask_b32_e64 v11, -v17, v17, s[6:7]
.LBB44_268:                             ;   in Loop: Header=BB44_5 Depth=1
	s_andn2_saveexec_b64 s[10:11], s[48:49]
	s_cbranch_execz .LBB44_270
; %bb.269:                              ;   in Loop: Header=BB44_5 Depth=1
	s_waitcnt vmcnt(0) lgkmcnt(0)
	v_pk_mov_b32 v[10:11], s[26:27], s[26:27] op_sel:[0,1]
	flat_load_dword v1, v[10:11] glc
	s_waitcnt vmcnt(0)
	v_xor_b32_e32 v11, 0x80000000, v3
	s_waitcnt lgkmcnt(0)
	v_sub_f32_e32 v1, v1, v2
	v_add_f32_e32 v10, 0x3fc90fdb, v1
.LBB44_270:                             ;   in Loop: Header=BB44_5 Depth=1
	s_or_b64 exec, exec, s[10:11]
.LBB44_271:                             ;   in Loop: Header=BB44_5 Depth=1
	s_andn2_saveexec_b64 s[10:11], s[46:47]
	s_cbranch_execz .LBB44_273
; %bb.272:                              ;   in Loop: Header=BB44_5 Depth=1
	v_xor_b32_e32 v11, 0x80000000, v3
	s_waitcnt vmcnt(0) lgkmcnt(0)
	v_mov_b32_e32 v10, 0
.LBB44_273:                             ;   in Loop: Header=BB44_5 Depth=1
	s_or_b64 exec, exec, s[10:11]
                                        ; implicit-def: $vgpr13
                                        ; implicit-def: $vgpr1
                                        ; implicit-def: $vgpr12
.LBB44_274:                             ;   in Loop: Header=BB44_5 Depth=1
	s_andn2_saveexec_b64 s[44:45], s[44:45]
	s_cbranch_execz .LBB44_284
; %bb.275:                              ;   in Loop: Header=BB44_5 Depth=1
	v_cmp_lt_f32_e64 s[10:11], |v2|, |v3|
	v_cndmask_b32_e64 v17, |v2|, |v3|, s[10:11]
	v_cmp_nlt_f32_e32 vcc, s83, v17
                                        ; implicit-def: $vgpr11
                                        ; implicit-def: $vgpr10
	s_and_saveexec_b64 s[12:13], vcc
	s_xor_b64 s[46:47], exec, s[12:13]
	s_cbranch_execz .LBB44_281
; %bb.276:                              ;   in Loop: Header=BB44_5 Depth=1
	v_cndmask_b32_e64 v19, |v3|, |v2|, s[10:11]
	v_cmp_nlt_f32_e32 vcc, s84, v17
	v_cmp_ngt_f32_e64 s[12:13], s85, v19
	s_and_b64 s[12:13], vcc, s[12:13]
                                        ; implicit-def: $vgpr11
                                        ; implicit-def: $vgpr10
	s_and_saveexec_b64 s[48:49], s[12:13]
	s_xor_b64 s[12:13], exec, s[48:49]
	s_cbranch_execz .LBB44_278
; %bb.277:                              ;   in Loop: Header=BB44_5 Depth=1
	s_waitcnt vmcnt(0) lgkmcnt(0)
	v_mul_f32_e32 v10, v19, v19
	v_fmac_f32_e32 v10, v17, v17
	v_cmp_gt_f32_e32 vcc, s72, v10
	v_cndmask_b32_e32 v11, 1.0, v44, vcc
	v_mul_f32_e32 v10, v10, v11
	v_log_f32_e32 v10, v10
	v_cndmask_b32_e32 v11, 0, v45, vcc
	v_min_f32_e32 v1, v13, v1
	v_frexp_exp_i32_f32_e32 v13, v1
	v_mul_f32_e32 v17, 0x3f317217, v10
	v_fma_f32 v19, v10, s73, -v17
	v_fmac_f32_e32 v19, 0x3377d1cf, v10
	v_add_f32_e32 v17, v17, v19
	v_cmp_lt_f32_e64 vcc, |v10|, s68
	v_cndmask_b32_e32 v10, v10, v17, vcc
	v_sub_f32_e32 v10, v10, v11
	v_mul_f32_e32 v11, 0.5, v10
	v_frexp_mant_f32_e32 v10, v12
	v_rcp_f32_e32 v10, v10
	v_frexp_exp_i32_f32_e32 v12, v12
	v_frexp_mant_f32_e32 v1, v1
	v_mul_f32_e32 v1, v1, v10
	v_sub_u32_e32 v10, v13, v12
	v_ldexp_f32 v10, v1, v10
	v_mul_f32_e32 v1, v10, v10
	v_mov_b32_e32 v12, 0xbc7a590c
	v_fmac_f32_e32 v12, 0x3b2d2a58, v1
	v_fma_f32 v12, v1, v12, v37
	v_fma_f32 v12, v1, v12, v38
	;; [unrolled: 1-line block ×6, first 2 shown]
	v_mul_f32_e32 v1, v1, v12
	v_fmac_f32_e32 v10, v10, v1
                                        ; implicit-def: $vgpr12
                                        ; implicit-def: $vgpr13
                                        ; implicit-def: $vgpr1
.LBB44_278:                             ;   in Loop: Header=BB44_5 Depth=1
	s_andn2_saveexec_b64 s[12:13], s[12:13]
	s_cbranch_execz .LBB44_280
; %bb.279:                              ;   in Loop: Header=BB44_5 Depth=1
	s_waitcnt vmcnt(0) lgkmcnt(0)
	v_cvt_f64_f32_e32 v[10:11], v12
	v_frexp_exp_i32_f64_e32 v10, v[10:11]
	v_sub_u32_e32 v11, 0, v10
	v_ldexp_f32 v17, |v2|, v11
	v_ldexp_f32 v11, |v3|, v11
	v_mul_f32_e32 v11, v11, v11
	v_fmac_f32_e32 v11, v17, v17
	v_sqrt_f32_e32 v11, v11
	v_cmp_neq_f32_e32 vcc, s68, v12
	v_min_f32_e32 v1, v13, v1
	v_ldexp_f32 v10, v11, v10
	v_cndmask_b32_e32 v10, v43, v10, vcc
	v_cmp_gt_f32_e32 vcc, s72, v10
	v_cndmask_b32_e32 v11, 1.0, v44, vcc
	v_mul_f32_e32 v10, v10, v11
	v_log_f32_e32 v10, v10
	v_cndmask_b32_e32 v11, 0, v45, vcc
	v_mul_f32_e32 v13, 0x3f317217, v10
	v_fma_f32 v17, v10, s73, -v13
	v_fmac_f32_e32 v17, 0x3377d1cf, v10
	v_add_f32_e32 v13, v13, v17
	v_cmp_lt_f32_e64 vcc, |v10|, s68
	v_cndmask_b32_e32 v10, v10, v13, vcc
	v_sub_f32_e32 v11, v10, v11
	v_frexp_mant_f32_e32 v10, v12
	v_rcp_f32_e32 v10, v10
	v_frexp_exp_i32_f32_e32 v12, v12
	v_frexp_exp_i32_f32_e32 v13, v1
	v_frexp_mant_f32_e32 v1, v1
	v_mul_f32_e32 v1, v1, v10
	v_sub_u32_e32 v10, v13, v12
	v_ldexp_f32 v10, v1, v10
	v_mul_f32_e32 v1, v10, v10
	v_mov_b32_e32 v12, 0xbc7a590c
	v_fmac_f32_e32 v12, 0x3b2d2a58, v1
	v_fma_f32 v12, v1, v12, v37
	v_fma_f32 v12, v1, v12, v38
	;; [unrolled: 1-line block ×6, first 2 shown]
	v_mul_f32_e32 v1, v1, v12
	v_fmac_f32_e32 v10, v10, v1
.LBB44_280:                             ;   in Loop: Header=BB44_5 Depth=1
	s_or_b64 exec, exec, s[12:13]
                                        ; implicit-def: $vgpr13
                                        ; implicit-def: $vgpr1
                                        ; implicit-def: $vgpr12
.LBB44_281:                             ;   in Loop: Header=BB44_5 Depth=1
	s_andn2_saveexec_b64 s[46:47], s[46:47]
	s_cbranch_execz .LBB44_283
; %bb.282:                              ;   in Loop: Header=BB44_5 Depth=1
	s_waitcnt vmcnt(0) lgkmcnt(0)
	v_div_scale_f32 v10, s[12:13], s86, s86, v2
	v_rcp_f32_e32 v11, v10
	v_div_scale_f32 v17, vcc, v2, s86, v2
	v_min_f32_e32 v1, v13, v1
	v_fma_f32 v19, -v10, v11, 1.0
	v_fmac_f32_e32 v11, v19, v11
	v_mul_f32_e32 v19, v17, v11
	v_fma_f32 v24, -v10, v19, v17
	v_fmac_f32_e32 v19, v24, v11
	v_fma_f32 v10, -v10, v19, v17
	v_div_scale_f32 v17, s[12:13], s86, s86, v3
	v_rcp_f32_e32 v24, v17
	v_div_fmas_f32 v10, v10, v11, v19
	v_div_fixup_f32 v19, v10, s86, v2
	v_frexp_exp_i32_f32_e32 v13, v1
	v_fma_f32 v10, -v17, v24, 1.0
	v_fmac_f32_e32 v24, v10, v24
	v_div_scale_f32 v10, vcc, v3, s86, v3
	v_mul_f32_e32 v11, v10, v24
	v_fma_f32 v25, -v17, v11, v10
	v_fmac_f32_e32 v11, v25, v24
	v_fma_f32 v10, -v17, v11, v10
	v_div_fmas_f32 v10, v10, v24, v11
	v_div_fixup_f32 v17, v10, s86, v3
	v_max_f32_e64 v24, |v19|, |v17|
	v_cvt_f64_f32_e32 v[10:11], v24
	v_frexp_exp_i32_f64_e32 v10, v[10:11]
	v_sub_u32_e32 v11, 0, v10
	v_ldexp_f32 v19, |v19|, v11
	v_ldexp_f32 v11, |v17|, v11
	v_mul_f32_e32 v11, v11, v11
	v_fmac_f32_e32 v11, v19, v19
	v_sqrt_f32_e32 v11, v11
	v_cmp_neq_f32_e32 vcc, s68, v24
	v_frexp_mant_f32_e32 v1, v1
	v_ldexp_f32 v10, v11, v10
	v_cndmask_b32_e32 v10, v43, v10, vcc
	v_cmp_gt_f32_e32 vcc, s72, v10
	v_cndmask_b32_e32 v11, 1.0, v44, vcc
	v_mul_f32_e32 v10, v10, v11
	v_log_f32_e32 v10, v10
	v_mul_f32_e32 v11, 0x3f317217, v10
	v_fma_f32 v17, v10, s73, -v11
	v_fmac_f32_e32 v17, 0x3377d1cf, v10
	v_add_f32_e32 v11, v11, v17
	v_cmp_lt_f32_e64 s[12:13], |v10|, s68
	v_cndmask_b32_e64 v10, v10, v11, s[12:13]
	v_cndmask_b32_e32 v11, 0, v45, vcc
	v_sub_f32_e32 v10, v10, v11
	v_add_f32_e32 v11, 1.0, v10
	v_frexp_mant_f32_e32 v10, v12
	v_rcp_f32_e32 v10, v10
	v_frexp_exp_i32_f32_e32 v12, v12
	v_mul_f32_e32 v1, v1, v10
	v_sub_u32_e32 v10, v13, v12
	v_ldexp_f32 v10, v1, v10
	v_mul_f32_e32 v1, v10, v10
	v_mov_b32_e32 v12, 0xbc7a590c
	v_fmac_f32_e32 v12, 0x3b2d2a58, v1
	v_fma_f32 v12, v1, v12, v37
	v_fma_f32 v12, v1, v12, v38
	;; [unrolled: 1-line block ×6, first 2 shown]
	v_mul_f32_e32 v1, v1, v12
	v_fmac_f32_e32 v10, v10, v1
.LBB44_283:                             ;   in Loop: Header=BB44_5 Depth=1
	s_or_b64 exec, exec, s[46:47]
	s_waitcnt vmcnt(0) lgkmcnt(0)
	v_sub_f32_e32 v1, 0x3fc90fdb, v10
	v_cndmask_b32_e64 v1, v10, v1, s[10:11]
	v_sub_f32_e32 v10, 0x40490fdb, v1
	v_cmp_gt_f32_e32 vcc, 0, v2
	v_cndmask_b32_e32 v1, v1, v10, vcc
	v_cndmask_b32_e64 v10, 0, v49, s[8:9]
	v_cmp_eq_f32_e64 s[8:9], 0, v3
	v_cndmask_b32_e64 v1, v1, v10, s[8:9]
	v_cmp_class_f32_e64 s[8:9], v2, s82
	v_cmp_class_f32_e64 s[10:11], v3, s82
	v_cndmask_b32_e32 v10, v48, v50, vcc
	s_and_b64 vcc, s[8:9], s[10:11]
	v_cndmask_b32_e32 v1, v1, v10, vcc
	v_cmp_o_f32_e32 vcc, v2, v3
	v_cndmask_b32_e64 v10, v46, |v1|, vcc
	v_add_f32_e32 v1, 0x3f317218, v11
	v_cndmask_b32_e64 v11, -v1, v1, s[6:7]
.LBB44_284:                             ;   in Loop: Header=BB44_5 Depth=1
	s_or_b64 exec, exec, s[44:45]
.LBB44_285:                             ;   in Loop: Header=BB44_5 Depth=1
	s_andn2_saveexec_b64 s[6:7], s[42:43]
	s_cbranch_execz .LBB44_299
; %bb.286:                              ;   in Loop: Header=BB44_5 Depth=1
	v_cmp_neq_f32_e64 s[8:9], |v2|, s68
                                        ; implicit-def: $vgpr11
	s_and_saveexec_b64 s[10:11], s[8:9]
	s_xor_b64 s[8:9], exec, s[10:11]
	s_cbranch_execz .LBB44_296
; %bb.287:                              ;   in Loop: Header=BB44_5 Depth=1
	v_cmp_neq_f32_e64 s[10:11], |v3|, s68
                                        ; implicit-def: $vgpr11
	s_and_saveexec_b64 s[12:13], s[10:11]
	s_xor_b64 s[10:11], exec, s[12:13]
	s_cbranch_execz .LBB44_293
; %bb.288:                              ;   in Loop: Header=BB44_5 Depth=1
	v_cmp_neq_f32_e32 vcc, 0, v2
                                        ; implicit-def: $vgpr11
	s_and_saveexec_b64 s[12:13], vcc
	s_xor_b64 s[12:13], exec, s[12:13]
; %bb.289:                              ;   in Loop: Header=BB44_5 Depth=1
	v_add_f32_e32 v1, 0, v3
	v_add_f32_e32 v11, v2, v1
; %bb.290:                              ;   in Loop: Header=BB44_5 Depth=1
	s_or_saveexec_b64 s[12:13], s[12:13]
	s_waitcnt vmcnt(0) lgkmcnt(0)
	v_mov_b32_e32 v10, v11
	s_xor_b64 exec, exec, s[12:13]
	s_cbranch_execz .LBB44_292
; %bb.291:                              ;   in Loop: Header=BB44_5 Depth=1
	v_pk_mov_b32 v[10:11], s[26:27], s[26:27] op_sel:[0,1]
	flat_load_dword v1, v[10:11] glc
	s_waitcnt vmcnt(0)
	v_add_f32_e32 v11, v3, v3
	s_waitcnt lgkmcnt(0)
	v_add_f32_e32 v10, 0x3fc90fdb, v1
.LBB44_292:                             ;   in Loop: Header=BB44_5 Depth=1
	s_or_b64 exec, exec, s[12:13]
.LBB44_293:                             ;   in Loop: Header=BB44_5 Depth=1
	s_andn2_saveexec_b64 s[10:11], s[10:11]
	s_cbranch_execz .LBB44_295
; %bb.294:                              ;   in Loop: Header=BB44_5 Depth=1
	s_waitcnt vmcnt(0) lgkmcnt(0)
	v_add_f32_e32 v10, v2, v2
	v_xor_b32_e32 v11, 0x80000000, v3
.LBB44_295:                             ;   in Loop: Header=BB44_5 Depth=1
	s_or_b64 exec, exec, s[10:11]
.LBB44_296:                             ;   in Loop: Header=BB44_5 Depth=1
	s_andn2_saveexec_b64 s[8:9], s[8:9]
	s_cbranch_execz .LBB44_298
; %bb.297:                              ;   in Loop: Header=BB44_5 Depth=1
	s_waitcnt vmcnt(0) lgkmcnt(0)
	v_add_f32_e32 v10, v3, v3
	v_mov_b32_e32 v11, 0xff800000
.LBB44_298:                             ;   in Loop: Header=BB44_5 Depth=1
	s_or_b64 exec, exec, s[8:9]
.LBB44_299:                             ;   in Loop: Header=BB44_5 Depth=1
	s_or_b64 exec, exec, s[6:7]
	v_cmp_o_f32_e32 vcc, v4, v4
	v_cmp_o_f32_e64 s[6:7], v5, v5
	v_pk_mov_b32 v[2:3], s[26:27], s[26:27] op_sel:[0,1]
	s_and_b64 s[6:7], vcc, s[6:7]
	flat_store_dword v[2:3], v29
	s_waitcnt vmcnt(0)
	s_and_saveexec_b64 s[8:9], s[6:7]
	s_xor_b64 s[42:43], exec, s[8:9]
	s_cbranch_execz .LBB44_383
; %bb.300:                              ;   in Loop: Header=BB44_5 Depth=1
	v_max_f32_e64 v1, |v5|, |v5|
	v_max_f32_e64 v3, |v4|, |v4|
	v_max_f32_e32 v2, v3, v1
	v_cmp_gt_i32_e64 s[8:9], 0, v4
	v_cmp_lt_i32_e64 s[10:11], -1, v4
	v_cmp_gt_i32_e64 s[6:7], 0, v5
	v_cmp_nlt_f32_e32 vcc, s65, v2
	s_and_saveexec_b64 s[12:13], vcc
	s_xor_b64 s[44:45], exec, s[12:13]
	s_cbranch_execz .LBB44_372
; %bb.301:                              ;   in Loop: Header=BB44_5 Depth=1
	v_cmp_neq_f32_e32 vcc, 1.0, v4
	v_cmp_neq_f32_e64 s[12:13], 0, v5
	s_or_b64 s[12:13], vcc, s[12:13]
	s_and_saveexec_b64 s[46:47], s[12:13]
	s_xor_b64 s[46:47], exec, s[46:47]
	s_cbranch_execz .LBB44_369
; %bb.302:                              ;   in Loop: Header=BB44_5 Depth=1
	v_pk_mov_b32 v[2:3], s[28:29], s[28:29] op_sel:[0,1]
	flat_store_dword v[2:3], v30
	s_waitcnt vmcnt(0)
	flat_load_dword v2, v[2:3] glc
	s_waitcnt vmcnt(0)
	v_cmp_nlt_f32_e64 s[12:13], |v4|, s66
	v_cmp_nlt_f32_e64 s[48:49], |v5|, s66
	s_or_b64 s[12:13], s[12:13], s[48:49]
	s_waitcnt lgkmcnt(0)
	v_add_f32_e32 v12, 1.0, v2
	v_pk_mov_b32 v[2:3], s[30:31], s[30:31] op_sel:[0,1]
	flat_store_dword v[2:3], v12
	s_waitcnt vmcnt(0)
	flat_load_dword v2, v[2:3] glc
	s_waitcnt vmcnt(0)
	s_and_saveexec_b64 s[48:49], s[12:13]
	s_xor_b64 s[48:49], exec, s[48:49]
	s_cbranch_execz .LBB44_366
; %bb.303:                              ;   in Loop: Header=BB44_5 Depth=1
	v_and_b32_e32 v24, 0x7fffffff, v4
	v_pk_add_f32 v[12:13], v[24:25], s[36:37] op_sel_hi:[0,1]
	v_max_f32_e64 v17, v1, |v13|
	v_max_f32_e64 v1, v1, |v12|
	s_waitcnt lgkmcnt(0)
	v_cvt_f64_f32_e32 v[2:3], v1
	v_frexp_exp_i32_f64_e32 v19, v[2:3]
	v_sub_u32_e32 v2, 0, v19
	v_ldexp_f32 v3, |v5|, v2
	v_ldexp_f32 v2, |v12|, v2
	v_mul_f32_e32 v2, v2, v2
	v_fmac_f32_e32 v2, v3, v3
	v_sqrt_f32_e32 v25, v2
	v_cvt_f64_f32_e32 v[2:3], v17
	v_frexp_exp_i32_f64_e32 v2, v[2:3]
	v_sub_u32_e32 v3, 0, v2
	v_ldexp_f32 v26, |v5|, v3
	v_ldexp_f32 v3, |v13|, v3
	v_mul_f32_e32 v3, v3, v3
	v_fmac_f32_e32 v3, v26, v26
	v_sqrt_f32_e32 v3, v3
	v_cmp_neq_f32_e32 vcc, s68, v17
	v_ldexp_f32 v19, v25, v19
	v_ldexp_f32 v2, v3, v2
	v_cndmask_b32_e32 v25, v43, v2, vcc
	v_cmp_neq_f32_e32 vcc, s68, v1
	v_cndmask_b32_e32 v51, v43, v19, vcc
	v_add_f32_e32 v1, v51, v25
	v_mul_f32_e32 v1, 0.5, v1
	v_cmp_ngt_f32_e32 vcc, 1.0, v1
	v_cndmask_b32_e32 v2, 1.0, v1, vcc
	v_cmp_ngt_f32_e32 vcc, s69, v2
                                        ; implicit-def: $vgpr1
	s_and_saveexec_b64 s[12:13], vcc
	s_xor_b64 s[50:51], exec, s[12:13]
	s_cbranch_execz .LBB44_305
; %bb.304:                              ;   in Loop: Header=BB44_5 Depth=1
	v_fma_f32 v1, v2, v2, -1.0
	v_mul_f32_e32 v3, 0x4f800000, v1
	v_cmp_gt_f32_e32 vcc, s70, v1
	v_cndmask_b32_e32 v1, v1, v3, vcc
	v_sqrt_f32_e32 v3, v1
	v_add_u32_e32 v17, -1, v3
	v_fma_f32 v26, -v17, v3, v1
	v_add_u32_e32 v19, 1, v3
	v_cmp_ge_f32_e64 s[12:13], 0, v26
	v_cndmask_b32_e64 v17, v3, v17, s[12:13]
	v_fma_f32 v3, -v19, v3, v1
	v_cmp_lt_f32_e64 s[12:13], 0, v3
	v_cndmask_b32_e64 v3, v17, v19, s[12:13]
	v_mul_f32_e32 v17, 0x37800000, v3
	v_cndmask_b32_e32 v3, v3, v17, vcc
	v_cmp_class_f32_e32 vcc, v1, v31
	v_cndmask_b32_e32 v1, v3, v1, vcc
	v_add_f32_e32 v1, v2, v1
	v_cmp_gt_f32_e32 vcc, s72, v1
	v_cndmask_b32_e32 v3, 1.0, v44, vcc
	v_mul_f32_e32 v1, v1, v3
	v_log_f32_e32 v1, v1
	v_mul_f32_e32 v3, 0x3f317217, v1
	v_fma_f32 v17, v1, s73, -v3
	v_fmac_f32_e32 v17, 0x3377d1cf, v1
	v_add_f32_e32 v3, v3, v17
	v_cmp_lt_f32_e64 s[12:13], |v1|, s68
	v_cndmask_b32_e64 v1, v1, v3, s[12:13]
	v_cndmask_b32_e32 v3, 0, v45, vcc
	v_sub_f32_e32 v1, v1, v3
.LBB44_305:                             ;   in Loop: Header=BB44_5 Depth=1
	s_or_saveexec_b64 s[50:51], s[50:51]
	v_and_b32_e32 v27, 0x7fffffff, v5
	v_and_b32_e32 v52, 0x7fffffff, v13
	s_xor_b64 exec, exec, s[50:51]
	s_cbranch_execz .LBB44_327
; %bb.306:                              ;   in Loop: Header=BB44_5 Depth=1
	v_cmp_neq_f32_e64 s[12:13], |v4|, 1.0
	v_cmp_nlt_f32_e64 s[52:53], |v5|, s74
	s_or_b64 s[12:13], s[12:13], s[52:53]
                                        ; implicit-def: $vgpr1
	s_and_saveexec_b64 s[52:53], s[12:13]
	s_xor_b64 s[52:53], exec, s[52:53]
	s_cbranch_execz .LBB44_324
; %bb.307:                              ;   in Loop: Header=BB44_5 Depth=1
	v_mul_f32_e32 v1, 0x34000000, v52
	v_cmp_le_f32_e64 s[12:13], v1, |v5|
                                        ; implicit-def: $vgpr1
	s_and_saveexec_b64 s[54:55], s[12:13]
	s_xor_b64 s[54:55], exec, s[54:55]
	s_cbranch_execz .LBB44_317
; %bb.308:                              ;   in Loop: Header=BB44_5 Depth=1
	v_cmp_neq_f32_e32 vcc, 0, v12
	v_mov_b32_e32 v1, v27
	s_and_saveexec_b64 s[12:13], vcc
	s_cbranch_execz .LBB44_310
; %bb.309:                              ;   in Loop: Header=BB44_5 Depth=1
	v_mul_f32_e32 v1, v5, v5
	v_add_f32_e32 v3, v12, v51
	v_div_scale_f32 v17, s[56:57], v3, v3, v1
	v_rcp_f32_e32 v19, v17
	v_fma_f32 v26, -v17, v19, 1.0
	v_fmac_f32_e32 v19, v26, v19
	v_div_scale_f32 v26, vcc, v1, v3, v1
	v_mul_f32_e32 v53, v26, v19
	v_fma_f32 v54, -v17, v53, v26
	v_fmac_f32_e32 v53, v54, v19
	v_fma_f32 v17, -v17, v53, v26
	v_div_fmas_f32 v17, v17, v19, v53
	v_div_fixup_f32 v1, v17, v3, v1
.LBB44_310:                             ;   in Loop: Header=BB44_5 Depth=1
	s_or_b64 exec, exec, s[12:13]
	v_sub_f32_e64 v3, 1.0, |v4|
	v_cmp_ngt_f32_e32 vcc, 0, v3
                                        ; implicit-def: $vgpr17
	s_and_saveexec_b64 s[12:13], vcc
	s_xor_b64 s[12:13], exec, s[12:13]
	s_cbranch_execz .LBB44_314
; %bb.311:                              ;   in Loop: Header=BB44_5 Depth=1
	v_cmp_neq_f32_e32 vcc, 0, v3
	v_mov_b32_e32 v17, v27
	s_and_saveexec_b64 s[56:57], vcc
	s_cbranch_execz .LBB44_313
; %bb.312:                              ;   in Loop: Header=BB44_5 Depth=1
	v_mul_f32_e32 v17, v5, v5
	v_add_f32_e32 v3, v3, v25
	v_div_scale_f32 v19, s[58:59], v3, v3, v17
	v_rcp_f32_e32 v26, v19
	v_fma_f32 v53, -v19, v26, 1.0
	v_fmac_f32_e32 v26, v53, v26
	v_div_scale_f32 v53, vcc, v17, v3, v17
	v_mul_f32_e32 v54, v53, v26
	v_fma_f32 v55, -v19, v54, v53
	v_fmac_f32_e32 v54, v55, v26
	v_fma_f32 v19, -v19, v54, v53
	v_div_fmas_f32 v19, v19, v26, v54
	v_div_fixup_f32 v17, v19, v3, v17
.LBB44_313:                             ;   in Loop: Header=BB44_5 Depth=1
	s_or_b64 exec, exec, s[56:57]
                                        ; implicit-def: $vgpr3
.LBB44_314:                             ;   in Loop: Header=BB44_5 Depth=1
	s_andn2_saveexec_b64 s[12:13], s[12:13]
; %bb.315:                              ;   in Loop: Header=BB44_5 Depth=1
	v_sub_f32_e32 v17, v25, v3
; %bb.316:                              ;   in Loop: Header=BB44_5 Depth=1
	s_or_b64 exec, exec, s[12:13]
	v_mul_f32_e32 v3, 0.5, v1
	v_mul_f32_e32 v17, 0.5, v17
	v_pk_add_f32 v[54:55], v[2:3], v[16:17]
	v_mul_f32_e32 v1, v54, v55
	v_mul_f32_e32 v3, 0x4f800000, v1
	v_cmp_gt_f32_e32 vcc, s70, v1
	v_cndmask_b32_e32 v1, v1, v3, vcc
	v_sqrt_f32_e32 v3, v1
	v_add_u32_e32 v17, -1, v3
	v_fma_f32 v19, -v17, v3, v1
	v_cmp_ge_f32_e64 s[12:13], 0, v19
	v_add_u32_e32 v19, 1, v3
	v_cndmask_b32_e64 v17, v3, v17, s[12:13]
	v_fma_f32 v3, -v19, v3, v1
	v_cmp_lt_f32_e64 s[12:13], 0, v3
	v_cndmask_b32_e64 v3, v17, v19, s[12:13]
	v_mul_f32_e32 v17, 0x37800000, v3
	v_cndmask_b32_e32 v3, v3, v17, vcc
	v_cmp_class_f32_e32 vcc, v1, v31
	v_cndmask_b32_e32 v1, v3, v1, vcc
	v_add_f32_e32 v54, v55, v1
	v_add_f32_e32 v57, 1.0, v54
	v_add_f32_e32 v55, -1.0, v57
	v_mov_b32_e32 v56, v55
	v_pk_add_f32 v[58:59], v[54:55], v[56:57] neg_lo:[0,1] neg_hi:[0,1]
	v_add_f32_e32 v1, 1.0, v59
	v_add_f32_e32 v1, v58, v1
	v_frexp_mant_f32_e32 v3, v57
	v_cvt_f64_f32_e32 v[58:59], v57
	v_frexp_exp_i32_f64_e32 v17, v[58:59]
	v_cmp_gt_f32_e32 vcc, s75, v3
	v_subbrev_co_u32_e32 v3, vcc, 0, v17, vcc
	v_sub_u32_e32 v17, 0, v3
	v_ldexp_f32 v19, v57, v17
	v_ldexp_f32 v1, v1, v17
	v_add_f32_e32 v17, -1.0, v19
	v_add_f32_e32 v53, 1.0, v19
	v_add_f32_e32 v26, 1.0, v17
	v_add_f32_e32 v55, -1.0, v53
	v_sub_f32_e32 v26, v19, v26
	v_sub_f32_e32 v19, v19, v55
	v_add_f32_e32 v26, v1, v26
	v_add_f32_e32 v1, v1, v19
	;; [unrolled: 1-line block ×3, first 2 shown]
	v_sub_f32_e32 v53, v19, v53
	v_sub_f32_e32 v1, v1, v53
	v_rcp_f32_e32 v53, v19
	v_add_f32_e32 v57, v17, v26
	v_sub_f32_e32 v17, v57, v17
	v_sub_f32_e32 v17, v26, v17
	v_mul_f32_e32 v26, v57, v53
	v_mul_f32_e32 v58, v19, v26
	v_fma_f32 v60, v26, v19, -v58
	v_fmac_f32_e32 v60, v26, v1
	v_add_f32_e32 v56, v58, v60
	v_sub_f32_e32 v59, v57, v56
	v_pk_add_f32 v[62:63], v[56:57], v[58:59] neg_lo:[0,1] neg_hi:[0,1]
	v_mov_b32_e32 v61, v56
	v_pk_add_f32 v[56:57], v[62:63], v[60:61] neg_lo:[0,1] neg_hi:[0,1]
	v_add_f32_e32 v17, v17, v57
	v_add_f32_e32 v17, v56, v17
	;; [unrolled: 1-line block ×3, first 2 shown]
	v_mul_f32_e32 v55, v53, v57
	v_mul_f32_e32 v58, v19, v55
	v_fma_f32 v60, v55, v19, -v58
	v_fmac_f32_e32 v60, v55, v1
	v_add_f32_e32 v56, v58, v60
	v_sub_f32_e32 v1, v59, v57
	v_sub_f32_e32 v59, v57, v56
	v_pk_add_f32 v[62:63], v[56:57], v[58:59] neg_lo:[0,1] neg_hi:[0,1]
	v_mov_b32_e32 v61, v56
	v_add_f32_e32 v1, v17, v1
	v_pk_add_f32 v[56:57], v[62:63], v[60:61] neg_lo:[0,1] neg_hi:[0,1]
	v_add_f32_e32 v1, v1, v57
	v_add_f32_e32 v1, v56, v1
	;; [unrolled: 1-line block ×4, first 2 shown]
	v_sub_f32_e32 v19, v17, v26
	v_mul_f32_e32 v1, v53, v1
	v_sub_f32_e32 v19, v55, v19
	v_add_f32_e32 v1, v19, v1
	v_add_f32_e32 v26, v17, v1
	v_cvt_f32_i32_e32 v56, v3
	v_mul_f32_e32 v53, v26, v26
	v_mov_b32_e32 v19, 0x3ecc95a3
	v_fmac_f32_e32 v19, 0x3e9b6dac, v53
	v_fma_f32 v19, v53, v19, v32
	v_mul_f32_e32 v57, v26, v53
	v_pk_mul_f32 v[60:61], v[56:57], v[18:19]
	v_fma_f32 v58, v56, s76, -v60
	v_ldexp_f32 v59, v26, 1
	v_fmac_f32_e32 v58, 0xb102e308, v56
	v_sub_f32_e32 v3, v26, v17
	v_pk_add_f32 v[56:57], v[60:61], v[58:59]
	v_sub_f32_e32 v1, v1, v3
	v_sub_f32_e32 v3, v57, v59
	v_ldexp_f32 v1, v1, 1
	v_sub_f32_e32 v3, v61, v3
	v_add_f32_e32 v63, v1, v3
	v_mov_b32_e32 v62, v60
	v_pk_add_f32 v[60:61], v[56:57], v[60:61] neg_lo:[0,1] neg_hi:[0,1]
	v_pk_add_f32 v[64:65], v[56:57], v[62:63]
	v_mov_b32_e32 v61, v65
	v_mov_b32_e32 v59, v56
	v_pk_add_f32 v[66:67], v[58:59], v[60:61] neg_lo:[0,1] neg_hi:[0,1]
	v_pk_add_f32 v[58:59], v[58:59], v[60:61]
	v_mov_b32_e32 v26, v59
	v_pk_add_f32 v[60:61], v[26:27], v[56:57] neg_lo:[0,1] neg_hi:[0,1]
	v_mov_b32_e32 v1, v60
	v_pk_add_f32 v[68:69], v[64:65], v[0:1] neg_lo:[0,1] neg_hi:[0,1]
	v_mov_b32_e32 v58, v65
	v_mov_b32_e32 v64, v57
	;; [unrolled: 1-line block ×4, first 2 shown]
	v_pk_add_f32 v[58:59], v[58:59], v[64:65] neg_lo:[0,1] neg_hi:[0,1]
	v_mov_b32_e32 v60, v63
	v_mov_b32_e32 v61, v56
	v_pk_add_f32 v[56:57], v[60:61], v[58:59] neg_lo:[0,1] neg_hi:[0,1]
	v_mov_b32_e32 v68, v66
	v_pk_add_f32 v[58:59], v[68:69], v[56:57]
	v_mov_b32_e32 v60, v59
	v_pk_add_f32 v[60:61], v[58:59], v[60:61]
	v_pk_add_f32 v[62:63], v[26:27], v[60:61]
	v_mov_b32_e32 v59, v62
	v_pk_add_f32 v[64:65], v[58:59], v[66:67] neg_lo:[0,1] neg_hi:[0,1]
	v_mov_b32_e32 v57, v60
	v_sub_f32_e32 v1, v58, v64
	v_pk_add_f32 v[56:57], v[56:57], v[64:65] neg_lo:[0,1] neg_hi:[0,1]
	v_sub_f32_e32 v1, v66, v1
	v_add_f32_e32 v1, v56, v1
	v_add_f32_e32 v1, v1, v57
	;; [unrolled: 1-line block ×3, first 2 shown]
	v_cmp_eq_f32_e32 vcc, s68, v54
	v_cndmask_b32_e32 v1, v1, v54, vcc
	v_cmp_ngt_f32_e32 vcc, -1.0, v54
	v_cndmask_b32_e32 v1, v46, v1, vcc
	v_cmp_neq_f32_e32 vcc, -1.0, v54
	v_cndmask_b32_e32 v1, v47, v1, vcc
	v_cmp_lt_f32_e64 vcc, |v54|, s77
	v_cndmask_b32_e32 v1, v1, v54, vcc
.LBB44_317:                             ;   in Loop: Header=BB44_5 Depth=1
	s_andn2_saveexec_b64 s[54:55], s[54:55]
	s_cbranch_execz .LBB44_323
; %bb.318:                              ;   in Loop: Header=BB44_5 Depth=1
	v_cmp_nlt_f32_e64 s[12:13], |v4|, 1.0
                                        ; implicit-def: $vgpr1
	s_and_saveexec_b64 s[56:57], s[12:13]
	s_xor_b64 s[56:57], exec, s[56:57]
	s_cbranch_execz .LBB44_320
; %bb.319:                              ;   in Loop: Header=BB44_5 Depth=1
	v_mul_f32_e32 v1, v13, v12
	v_mul_f32_e32 v3, 0x4f800000, v1
	v_cmp_gt_f32_e32 vcc, s70, v1
	v_cndmask_b32_e32 v1, v1, v3, vcc
	v_sqrt_f32_e32 v3, v1
	v_add_u32_e32 v17, -1, v3
	v_fma_f32 v26, -v17, v3, v1
	v_add_u32_e32 v19, 1, v3
	v_cmp_ge_f32_e64 s[12:13], 0, v26
	v_cndmask_b32_e64 v17, v3, v17, s[12:13]
	v_fma_f32 v3, -v19, v3, v1
	v_cmp_lt_f32_e64 s[12:13], 0, v3
	v_cndmask_b32_e64 v3, v17, v19, s[12:13]
	v_mul_f32_e32 v17, 0x37800000, v3
	v_cndmask_b32_e32 v3, v3, v17, vcc
	v_cmp_class_f32_e32 vcc, v1, v31
	v_cndmask_b32_e32 v1, v3, v1, vcc
	v_add_f32_e32 v54, v13, v1
	v_add_f32_e32 v57, 1.0, v54
	v_add_f32_e32 v55, -1.0, v57
	v_mov_b32_e32 v56, v55
	v_pk_add_f32 v[58:59], v[54:55], v[56:57] neg_lo:[0,1] neg_hi:[0,1]
	v_add_f32_e32 v1, 1.0, v59
	v_add_f32_e32 v1, v58, v1
	v_frexp_mant_f32_e32 v3, v57
	v_cvt_f64_f32_e32 v[58:59], v57
	v_frexp_exp_i32_f64_e32 v17, v[58:59]
	v_cmp_gt_f32_e32 vcc, s75, v3
	v_subbrev_co_u32_e32 v3, vcc, 0, v17, vcc
	v_sub_u32_e32 v17, 0, v3
	v_ldexp_f32 v19, v57, v17
	v_ldexp_f32 v1, v1, v17
	v_add_f32_e32 v17, -1.0, v19
	v_add_f32_e32 v53, 1.0, v19
	v_add_f32_e32 v26, 1.0, v17
	v_add_f32_e32 v55, -1.0, v53
	v_sub_f32_e32 v26, v19, v26
	v_sub_f32_e32 v19, v19, v55
	v_add_f32_e32 v26, v1, v26
	v_add_f32_e32 v1, v1, v19
	v_add_f32_e32 v19, v53, v1
	v_sub_f32_e32 v53, v19, v53
	v_sub_f32_e32 v1, v1, v53
	v_rcp_f32_e32 v53, v19
	v_add_f32_e32 v57, v17, v26
	v_sub_f32_e32 v17, v57, v17
	v_sub_f32_e32 v17, v26, v17
	v_mul_f32_e32 v26, v57, v53
	v_mul_f32_e32 v58, v19, v26
	v_fma_f32 v60, v26, v19, -v58
	v_fmac_f32_e32 v60, v26, v1
	v_add_f32_e32 v56, v58, v60
	v_sub_f32_e32 v59, v57, v56
	v_pk_add_f32 v[62:63], v[56:57], v[58:59] neg_lo:[0,1] neg_hi:[0,1]
	v_mov_b32_e32 v61, v56
	v_pk_add_f32 v[56:57], v[62:63], v[60:61] neg_lo:[0,1] neg_hi:[0,1]
	v_add_f32_e32 v17, v17, v57
	v_add_f32_e32 v17, v56, v17
	;; [unrolled: 1-line block ×3, first 2 shown]
	v_mul_f32_e32 v55, v53, v57
	v_mul_f32_e32 v58, v19, v55
	v_fma_f32 v60, v55, v19, -v58
	v_fmac_f32_e32 v60, v55, v1
	v_add_f32_e32 v56, v58, v60
	v_sub_f32_e32 v1, v59, v57
	v_sub_f32_e32 v59, v57, v56
	v_pk_add_f32 v[62:63], v[56:57], v[58:59] neg_lo:[0,1] neg_hi:[0,1]
	v_mov_b32_e32 v61, v56
	v_add_f32_e32 v1, v17, v1
	v_pk_add_f32 v[56:57], v[62:63], v[60:61] neg_lo:[0,1] neg_hi:[0,1]
	v_add_f32_e32 v1, v1, v57
	v_add_f32_e32 v1, v56, v1
	;; [unrolled: 1-line block ×4, first 2 shown]
	v_sub_f32_e32 v19, v17, v26
	v_mul_f32_e32 v1, v53, v1
	v_sub_f32_e32 v19, v55, v19
	v_add_f32_e32 v1, v19, v1
	v_add_f32_e32 v26, v17, v1
	v_cvt_f32_i32_e32 v56, v3
	v_mul_f32_e32 v53, v26, v26
	v_mov_b32_e32 v19, 0x3ecc95a3
	v_fmac_f32_e32 v19, 0x3e9b6dac, v53
	v_fma_f32 v19, v53, v19, v32
	v_mul_f32_e32 v57, v26, v53
	v_pk_mul_f32 v[60:61], v[56:57], v[18:19]
	v_fma_f32 v58, v56, s76, -v60
	v_ldexp_f32 v59, v26, 1
	v_fmac_f32_e32 v58, 0xb102e308, v56
	v_sub_f32_e32 v3, v26, v17
	v_pk_add_f32 v[56:57], v[60:61], v[58:59]
	v_sub_f32_e32 v1, v1, v3
	v_sub_f32_e32 v3, v57, v59
	v_ldexp_f32 v1, v1, 1
	v_sub_f32_e32 v3, v61, v3
	v_add_f32_e32 v63, v1, v3
	v_mov_b32_e32 v62, v60
	v_pk_add_f32 v[60:61], v[56:57], v[60:61] neg_lo:[0,1] neg_hi:[0,1]
	v_pk_add_f32 v[64:65], v[56:57], v[62:63]
	v_mov_b32_e32 v61, v65
	v_mov_b32_e32 v59, v56
	v_pk_add_f32 v[66:67], v[58:59], v[60:61] neg_lo:[0,1] neg_hi:[0,1]
	v_pk_add_f32 v[58:59], v[58:59], v[60:61]
	v_mov_b32_e32 v26, v59
	v_pk_add_f32 v[60:61], v[26:27], v[56:57] neg_lo:[0,1] neg_hi:[0,1]
	v_mov_b32_e32 v1, v60
	v_pk_add_f32 v[68:69], v[64:65], v[0:1] neg_lo:[0,1] neg_hi:[0,1]
	v_mov_b32_e32 v58, v65
	v_mov_b32_e32 v64, v57
	;; [unrolled: 1-line block ×4, first 2 shown]
	v_pk_add_f32 v[58:59], v[58:59], v[64:65] neg_lo:[0,1] neg_hi:[0,1]
	v_mov_b32_e32 v60, v63
	v_mov_b32_e32 v61, v56
	v_pk_add_f32 v[56:57], v[60:61], v[58:59] neg_lo:[0,1] neg_hi:[0,1]
	v_mov_b32_e32 v68, v66
	v_pk_add_f32 v[58:59], v[68:69], v[56:57]
	v_mov_b32_e32 v60, v59
	v_pk_add_f32 v[60:61], v[58:59], v[60:61]
	v_pk_add_f32 v[62:63], v[26:27], v[60:61]
	v_mov_b32_e32 v59, v62
	v_pk_add_f32 v[64:65], v[58:59], v[66:67] neg_lo:[0,1] neg_hi:[0,1]
	v_mov_b32_e32 v57, v60
	v_sub_f32_e32 v1, v58, v64
	v_pk_add_f32 v[56:57], v[56:57], v[64:65] neg_lo:[0,1] neg_hi:[0,1]
	v_sub_f32_e32 v1, v66, v1
	v_add_f32_e32 v1, v56, v1
	v_add_f32_e32 v1, v1, v57
	v_add_f32_e32 v1, v62, v1
	v_cmp_eq_f32_e32 vcc, s68, v54
	v_cndmask_b32_e32 v1, v1, v54, vcc
	v_cmp_ngt_f32_e32 vcc, -1.0, v54
	v_cndmask_b32_e32 v1, v46, v1, vcc
	v_cmp_neq_f32_e32 vcc, -1.0, v54
	v_cndmask_b32_e32 v1, v47, v1, vcc
	v_cmp_lt_f32_e64 vcc, |v54|, s77
	v_cndmask_b32_e32 v1, v1, v54, vcc
.LBB44_320:                             ;   in Loop: Header=BB44_5 Depth=1
	s_andn2_saveexec_b64 s[56:57], s[56:57]
	s_cbranch_execz .LBB44_322
; %bb.321:                              ;   in Loop: Header=BB44_5 Depth=1
	v_sub_f32_e64 v1, 1.0, |v4|
	v_mul_f32_e32 v1, v1, v12
	v_mul_f32_e32 v3, 0x4f800000, v1
	v_cmp_gt_f32_e32 vcc, s70, v1
	v_cndmask_b32_e32 v1, v1, v3, vcc
	v_sqrt_f32_e32 v3, v1
	v_add_u32_e32 v17, -1, v3
	v_fma_f32 v26, -v17, v3, v1
	v_add_u32_e32 v19, 1, v3
	v_cmp_ge_f32_e64 s[12:13], 0, v26
	v_cndmask_b32_e64 v17, v3, v17, s[12:13]
	v_fma_f32 v3, -v19, v3, v1
	v_cmp_lt_f32_e64 s[12:13], 0, v3
	v_cndmask_b32_e64 v3, v17, v19, s[12:13]
	v_mul_f32_e32 v17, 0x37800000, v3
	v_cndmask_b32_e32 v3, v3, v17, vcc
	v_cmp_class_f32_e32 vcc, v1, v31
	v_cndmask_b32_e32 v1, v3, v1, vcc
	v_and_b32_e32 v3, 0x7fffffff, v5
	v_div_scale_f32 v17, s[12:13], v1, v1, v3
	v_rcp_f32_e32 v19, v17
	v_div_scale_f32 v3, vcc, v3, v1, v3
	v_fma_f32 v26, -v17, v19, 1.0
	v_fmac_f32_e32 v19, v26, v19
	v_mul_f32_e32 v26, v3, v19
	v_fma_f32 v53, -v17, v26, v3
	v_fmac_f32_e32 v26, v53, v19
	v_fma_f32 v3, -v17, v26, v3
	v_div_fmas_f32 v3, v3, v19, v26
	v_div_fixup_f32 v1, v3, v1, |v5|
.LBB44_322:                             ;   in Loop: Header=BB44_5 Depth=1
	s_or_b64 exec, exec, s[56:57]
.LBB44_323:                             ;   in Loop: Header=BB44_5 Depth=1
	s_or_b64 exec, exec, s[54:55]
.LBB44_324:                             ;   in Loop: Header=BB44_5 Depth=1
	s_andn2_saveexec_b64 s[52:53], s[52:53]
	s_cbranch_execz .LBB44_326
; %bb.325:                              ;   in Loop: Header=BB44_5 Depth=1
	v_mul_f32_e64 v1, |v5|, s71
	v_cmp_lt_f32_e64 vcc, |v5|, s70
	v_cndmask_b32_e64 v1, |v5|, v1, vcc
	v_sqrt_f32_e32 v3, v1
	v_add_u32_e32 v17, -1, v3
	v_fma_f32 v26, -v17, v3, v1
	v_add_u32_e32 v19, 1, v3
	v_cmp_ge_f32_e64 s[12:13], 0, v26
	v_cndmask_b32_e64 v17, v3, v17, s[12:13]
	v_fma_f32 v3, -v19, v3, v1
	v_cmp_lt_f32_e64 s[12:13], 0, v3
	v_cndmask_b32_e64 v3, v17, v19, s[12:13]
	v_mul_f32_e32 v17, 0x37800000, v3
	v_cndmask_b32_e32 v3, v3, v17, vcc
	v_cmp_class_f32_e32 vcc, v1, v31
	v_cndmask_b32_e32 v1, v3, v1, vcc
.LBB44_326:                             ;   in Loop: Header=BB44_5 Depth=1
	s_or_b64 exec, exec, s[52:53]
.LBB44_327:                             ;   in Loop: Header=BB44_5 Depth=1
	s_or_b64 exec, exec, s[50:51]
	v_cmp_nlt_f32_e64 s[50:51], |v4|, s78
                                        ; implicit-def: $sgpr12_sgpr13
                                        ; implicit-def: $vgpr26
                                        ; implicit-def: $vgpr17
	s_and_saveexec_b64 s[52:53], s[50:51]
	s_xor_b64 s[50:51], exec, s[52:53]
	s_cbranch_execz .LBB44_351
; %bb.328:                              ;   in Loop: Header=BB44_5 Depth=1
	v_div_scale_f32 v3, s[12:13], v2, v2, v24
	v_rcp_f32_e32 v17, v3
	v_div_scale_f32 v19, vcc, v24, v2, v24
	s_mov_b64 s[12:13], 0
	v_fma_f32 v26, -v3, v17, 1.0
	v_fmac_f32_e32 v17, v26, v17
	v_mul_f32_e32 v26, v19, v17
	v_fma_f32 v53, -v3, v26, v19
	v_fmac_f32_e32 v26, v53, v17
	v_fma_f32 v3, -v3, v26, v19
	v_div_fmas_f32 v3, v3, v17, v26
	v_div_fixup_f32 v17, v3, v2, |v4|
	v_cmp_lt_f32_e32 vcc, s79, v17
                                        ; implicit-def: $vgpr26
	s_and_saveexec_b64 s[52:53], vcc
	s_cbranch_execz .LBB44_350
; %bb.329:                              ;   in Loop: Header=BB44_5 Depth=1
	v_cmp_neq_f32_e64 s[12:13], |v4|, 1.0
	v_cmp_nlt_f32_e64 s[54:55], |v5|, s80
	s_or_b64 s[12:13], s[12:13], s[54:55]
                                        ; implicit-def: $sgpr56_sgpr57
                                        ; implicit-def: $vgpr26
	s_and_saveexec_b64 s[54:55], s[12:13]
	s_xor_b64 s[54:55], exec, s[54:55]
	s_cbranch_execz .LBB44_347
; %bb.330:                              ;   in Loop: Header=BB44_5 Depth=1
	v_mul_f32_e32 v3, 0x34000000, v52
	v_cmp_le_f32_e64 s[12:13], v3, |v5|
                                        ; implicit-def: $vgpr26
                                        ; implicit-def: $sgpr56_sgpr57
	s_and_saveexec_b64 s[58:59], s[12:13]
	s_xor_b64 s[58:59], exec, s[58:59]
	s_cbranch_execz .LBB44_340
; %bb.331:                              ;   in Loop: Header=BB44_5 Depth=1
	v_cmp_neq_f32_e32 vcc, 0, v12
	v_mov_b32_e32 v3, v27
	s_and_saveexec_b64 s[12:13], vcc
	s_cbranch_execz .LBB44_333
; %bb.332:                              ;   in Loop: Header=BB44_5 Depth=1
	v_mul_f32_e32 v3, v5, v5
	v_add_f32_e32 v4, v12, v51
	v_div_scale_f32 v12, s[56:57], v4, v4, v3
	v_rcp_f32_e32 v19, v12
	v_fma_f32 v26, -v12, v19, 1.0
	v_fmac_f32_e32 v19, v26, v19
	v_div_scale_f32 v26, vcc, v3, v4, v3
	v_mul_f32_e32 v51, v26, v19
	v_fma_f32 v52, -v12, v51, v26
	v_fmac_f32_e32 v51, v52, v19
	v_fma_f32 v12, -v12, v51, v26
	v_div_fmas_f32 v12, v12, v19, v51
	v_div_fixup_f32 v3, v12, v4, v3
.LBB44_333:                             ;   in Loop: Header=BB44_5 Depth=1
	s_or_b64 exec, exec, s[12:13]
	v_cmp_ngt_f32_e32 vcc, 0, v13
	s_and_saveexec_b64 s[12:13], vcc
	s_xor_b64 s[12:13], exec, s[12:13]
	s_cbranch_execz .LBB44_337
; %bb.334:                              ;   in Loop: Header=BB44_5 Depth=1
	v_cmp_neq_f32_e32 vcc, 0, v13
	s_and_saveexec_b64 s[56:57], vcc
	s_cbranch_execz .LBB44_336
; %bb.335:                              ;   in Loop: Header=BB44_5 Depth=1
	v_mul_f32_e32 v4, v5, v5
	v_add_f32_e32 v5, v13, v25
	v_div_scale_f32 v12, s[60:61], v5, v5, v4
	v_rcp_f32_e32 v13, v12
	v_fma_f32 v19, -v12, v13, 1.0
	v_fmac_f32_e32 v13, v19, v13
	v_div_scale_f32 v19, vcc, v4, v5, v4
	v_mul_f32_e32 v25, v19, v13
	v_fma_f32 v26, -v12, v25, v19
	v_fmac_f32_e32 v25, v26, v13
	v_fma_f32 v12, -v12, v25, v19
	v_div_fmas_f32 v12, v12, v13, v25
	v_div_fixup_f32 v27, v12, v5, v4
.LBB44_336:                             ;   in Loop: Header=BB44_5 Depth=1
	s_or_b64 exec, exec, s[56:57]
                                        ; implicit-def: $vgpr25
                                        ; implicit-def: $vgpr12_vgpr13
.LBB44_337:                             ;   in Loop: Header=BB44_5 Depth=1
	s_andn2_saveexec_b64 s[12:13], s[12:13]
; %bb.338:                              ;   in Loop: Header=BB44_5 Depth=1
	v_sub_f32_e32 v27, v25, v13
; %bb.339:                              ;   in Loop: Header=BB44_5 Depth=1
	s_or_b64 exec, exec, s[12:13]
	v_mul_f32_e32 v25, 0.5, v3
	v_mul_f32_e32 v3, 0.5, v27
	v_pk_add_f32 v[2:3], v[24:25], v[2:3]
	v_mul_f32_e32 v2, v2, v3
	v_mul_f32_e32 v3, 0x4f800000, v2
	v_cmp_gt_f32_e32 vcc, s70, v2
	v_cndmask_b32_e32 v2, v2, v3, vcc
	v_sqrt_f32_e32 v3, v2
	s_mov_b64 s[56:57], -1
                                        ; implicit-def: $vgpr12_vgpr13
	v_add_u32_e32 v4, -1, v3
	v_fma_f32 v5, -v4, v3, v2
	v_cmp_ge_f32_e64 s[12:13], 0, v5
	v_add_u32_e32 v5, 1, v3
	v_cndmask_b32_e64 v4, v3, v4, s[12:13]
	v_fma_f32 v3, -v5, v3, v2
	v_cmp_lt_f32_e64 s[12:13], 0, v3
	v_cndmask_b32_e64 v3, v4, v5, s[12:13]
	v_mul_f32_e32 v4, 0x37800000, v3
	v_cndmask_b32_e32 v3, v3, v4, vcc
	v_cmp_class_f32_e32 vcc, v2, v31
	v_cndmask_b32_e32 v26, v3, v2, vcc
                                        ; implicit-def: $vgpr2_vgpr3_vgpr4_vgpr5
.LBB44_340:                             ;   in Loop: Header=BB44_5 Depth=1
	s_andn2_saveexec_b64 s[58:59], s[58:59]
	s_cbranch_execz .LBB44_346
; %bb.341:                              ;   in Loop: Header=BB44_5 Depth=1
	v_cmp_ngt_f32_e64 s[12:13], |v4|, 1.0
                                        ; implicit-def: $vgpr26
                                        ; implicit-def: $sgpr60_sgpr61
	s_and_saveexec_b64 s[62:63], s[12:13]
	s_xor_b64 s[62:63], exec, s[62:63]
	s_cbranch_execz .LBB44_343
; %bb.342:                              ;   in Loop: Header=BB44_5 Depth=1
	v_sub_f32_e64 v2, 1.0, |v4|
	v_mul_f32_e32 v2, v2, v12
	v_mul_f32_e32 v3, 0x4f800000, v2
	v_cmp_gt_f32_e32 vcc, s70, v2
	v_cndmask_b32_e32 v2, v2, v3, vcc
	v_sqrt_f32_e32 v3, v2
	s_mov_b64 s[60:61], -1
	v_add_u32_e32 v4, -1, v3
	v_fma_f32 v12, -v4, v3, v2
	v_add_u32_e32 v5, 1, v3
	v_cmp_ge_f32_e64 s[12:13], 0, v12
	v_cndmask_b32_e64 v4, v3, v4, s[12:13]
	v_fma_f32 v3, -v5, v3, v2
	v_cmp_lt_f32_e64 s[12:13], 0, v3
	v_cndmask_b32_e64 v3, v4, v5, s[12:13]
	v_mul_f32_e32 v4, 0x37800000, v3
	v_cndmask_b32_e32 v3, v3, v4, vcc
	v_cmp_class_f32_e32 vcc, v2, v31
	v_cndmask_b32_e32 v26, v3, v2, vcc
                                        ; implicit-def: $vgpr2_vgpr3_vgpr4_vgpr5
                                        ; implicit-def: $vgpr12_vgpr13
.LBB44_343:                             ;   in Loop: Header=BB44_5 Depth=1
	s_andn2_saveexec_b64 s[62:63], s[62:63]
	s_cbranch_execz .LBB44_345
; %bb.344:                              ;   in Loop: Header=BB44_5 Depth=1
	v_mul_f32_e32 v2, v12, v13
	v_mul_f32_e32 v3, 0x4f800000, v2
	v_cmp_gt_f32_e32 vcc, s70, v2
	v_cndmask_b32_e32 v2, v2, v3, vcc
	v_sqrt_f32_e32 v3, v2
	v_mul_f32_e64 v5, |v5|, s81
	v_mul_f32_e64 v5, |v4|, v5
	s_or_b64 s[60:61], s[60:61], exec
	v_add_u32_e32 v12, -1, v3
	v_fma_f32 v13, -v12, v3, v2
	v_cmp_ge_f32_e64 s[12:13], 0, v13
	v_add_u32_e32 v13, 1, v3
	v_cndmask_b32_e64 v12, v3, v12, s[12:13]
	v_fma_f32 v3, -v13, v3, v2
	v_cmp_lt_f32_e64 s[12:13], 0, v3
	v_cndmask_b32_e64 v3, v12, v13, s[12:13]
	v_mul_f32_e32 v12, 0x37800000, v3
	v_cndmask_b32_e32 v3, v3, v12, vcc
	v_cmp_class_f32_e32 vcc, v2, v31
	v_cndmask_b32_e32 v2, v3, v2, vcc
	v_div_scale_f32 v3, s[12:13], v2, v2, v5
	v_rcp_f32_e32 v12, v3
	v_fma_f32 v13, -v3, v12, 1.0
	v_fmac_f32_e32 v12, v13, v12
	v_div_scale_f32 v13, vcc, v5, v2, v5
	v_mul_f32_e32 v19, v13, v12
	v_fma_f32 v24, -v3, v19, v13
	v_fmac_f32_e32 v19, v24, v12
	v_fma_f32 v3, -v3, v19, v13
	v_div_fmas_f32 v3, v3, v12, v19
	v_div_fixup_f32 v26, v3, v2, v5
	v_mul_f32_e64 v24, |v4|, s81
.LBB44_345:                             ;   in Loop: Header=BB44_5 Depth=1
	s_or_b64 exec, exec, s[62:63]
	s_andn2_b64 s[12:13], s[56:57], exec
	s_and_b64 s[56:57], s[60:61], exec
	s_or_b64 s[56:57], s[12:13], s[56:57]
.LBB44_346:                             ;   in Loop: Header=BB44_5 Depth=1
	s_or_b64 exec, exec, s[58:59]
	s_and_b64 s[56:57], s[56:57], exec
                                        ; implicit-def: $vgpr2_vgpr3_vgpr4_vgpr5
                                        ; implicit-def: $vgpr2
.LBB44_347:                             ;   in Loop: Header=BB44_5 Depth=1
	s_andn2_saveexec_b64 s[54:55], s[54:55]
	s_cbranch_execz .LBB44_349
; %bb.348:                              ;   in Loop: Header=BB44_5 Depth=1
	v_mul_f32_e64 v3, |v5|, s71
	v_cmp_lt_f32_e64 vcc, |v5|, s70
	v_cndmask_b32_e64 v3, |v5|, v3, vcc
	v_sqrt_f32_e32 v4, v3
	v_add_f32_e32 v2, 1.0, v2
	v_mul_f32_e32 v2, 0.5, v2
	v_mov_b32_e32 v24, 1.0
	v_add_u32_e32 v5, -1, v4
	v_fma_f32 v13, -v5, v4, v3
	v_add_u32_e32 v12, 1, v4
	v_cmp_ge_f32_e64 s[12:13], 0, v13
	v_cndmask_b32_e64 v5, v4, v5, s[12:13]
	v_fma_f32 v4, -v12, v4, v3
	v_cmp_lt_f32_e64 s[12:13], 0, v4
	v_cndmask_b32_e64 v4, v5, v12, s[12:13]
	v_mul_f32_e32 v12, 0x4f800000, v2
	v_cmp_gt_f32_e64 s[12:13], s70, v2
	v_cndmask_b32_e64 v2, v2, v12, s[12:13]
	v_sqrt_f32_e32 v12, v2
	v_mul_f32_e32 v5, 0x37800000, v4
	v_cndmask_b32_e32 v4, v4, v5, vcc
	v_cmp_class_f32_e32 vcc, v3, v31
	v_cndmask_b32_e32 v3, v4, v3, vcc
	v_add_u32_e32 v4, -1, v12
	v_fma_f32 v5, -v4, v12, v2
	v_cmp_ge_f32_e32 vcc, 0, v5
	v_add_u32_e32 v5, 1, v12
	v_cndmask_b32_e32 v4, v12, v4, vcc
	v_fma_f32 v12, -v5, v12, v2
	v_cmp_lt_f32_e32 vcc, 0, v12
	v_cndmask_b32_e32 v4, v4, v5, vcc
	v_mul_f32_e32 v5, 0x37800000, v4
	v_cndmask_b32_e64 v4, v4, v5, s[12:13]
	v_cmp_class_f32_e32 vcc, v2, v31
	v_cndmask_b32_e32 v2, v4, v2, vcc
	v_mul_f32_e32 v26, v3, v2
	s_or_b64 s[56:57], s[56:57], exec
.LBB44_349:                             ;   in Loop: Header=BB44_5 Depth=1
	s_or_b64 exec, exec, s[54:55]
	s_and_b64 s[12:13], s[56:57], exec
.LBB44_350:                             ;   in Loop: Header=BB44_5 Depth=1
	s_or_b64 exec, exec, s[52:53]
	s_and_b64 s[12:13], s[12:13], exec
                                        ; implicit-def: $vgpr2
.LBB44_351:                             ;   in Loop: Header=BB44_5 Depth=1
	s_andn2_saveexec_b64 s[50:51], s[50:51]
; %bb.352:                              ;   in Loop: Header=BB44_5 Depth=1
	v_mov_b32_e32 v3, v24
	v_pk_mul_f32 v[26:27], v[2:3], s[38:39] op_sel_hi:[1,0]
	s_or_b64 s[12:13], s[12:13], exec
	v_mov_b32_e32 v24, v27
                                        ; implicit-def: $vgpr17
; %bb.353:                              ;   in Loop: Header=BB44_5 Depth=1
	s_or_b64 exec, exec, s[50:51]
	s_xor_b64 s[12:13], s[12:13], -1
	s_and_saveexec_b64 s[50:51], s[12:13]
	s_xor_b64 s[50:51], exec, s[50:51]
	s_cbranch_execz .LBB44_359
; %bb.354:                              ;   in Loop: Header=BB44_5 Depth=1
	s_and_saveexec_b64 s[12:13], s[10:11]
	s_xor_b64 s[12:13], exec, s[12:13]
	s_cbranch_execz .LBB44_356
; %bb.355:                              ;   in Loop: Header=BB44_5 Depth=1
	v_fma_f32 v2, |v17|, -0.5, 0.5
	v_mul_f32_e32 v3, v17, v17
	v_cmp_gt_f32_e64 vcc, |v17|, 0.5
	v_cndmask_b32_e32 v2, v3, v2, vcc
	v_mov_b32_e32 v3, 0x3c5fc5da
	v_fmac_f32_e32 v3, 0x3d1c21a7, v2
	v_fma_f32 v3, v2, v3, v33
	v_fma_f32 v3, v2, v3, v34
	v_sqrt_f32_e32 v4, v2
	v_fma_f32 v3, v2, v3, v35
	v_fma_f32 v3, v2, v3, v36
	v_mul_f32_e32 v2, v2, v3
	v_fmac_f32_e32 v4, v4, v2
	v_fmac_f32_e32 v17, v17, v2
	v_add_f32_e32 v3, v4, v4
	v_sub_f32_e32 v2, 0x3fc90fdb, v17
	v_cndmask_b32_e32 v12, v2, v3, vcc
                                        ; implicit-def: $vgpr17
.LBB44_356:                             ;   in Loop: Header=BB44_5 Depth=1
	s_andn2_saveexec_b64 s[52:53], s[12:13]
	s_cbranch_execz .LBB44_358
; %bb.357:                              ;   in Loop: Header=BB44_5 Depth=1
	v_fma_f32 v2, |v17|, -0.5, 0.5
	v_mul_f32_e32 v3, v17, v17
	v_cmp_gt_f32_e64 vcc, |v17|, 0.5
	v_cndmask_b32_e32 v2, v3, v2, vcc
	v_mov_b32_e32 v3, 0x3c5fc5da
	v_fmac_f32_e32 v3, 0x3d1c21a7, v2
	v_fma_f32 v3, v2, v3, v33
	v_fma_f32 v3, v2, v3, v34
	v_sqrt_f32_e32 v4, v2
	v_fma_f32 v3, v2, v3, v35
	v_fma_f32 v3, v2, v3, v36
	v_mul_f32_e32 v2, v2, v3
	v_fmac_f32_e32 v4, v4, v2
	v_add_f32_e32 v3, v4, v4
	v_sub_f32_e32 v4, 0x40490fdb, v3
	v_cmp_lt_f32_e64 s[12:13], 0, v17
	v_fma_f32 v2, -v17, v2, -v17
	v_cndmask_b32_e64 v3, v3, v4, s[12:13]
	v_sub_f32_e32 v2, 0x3fc90fdb, v2
	v_cndmask_b32_e32 v12, v2, v3, vcc
.LBB44_358:                             ;   in Loop: Header=BB44_5 Depth=1
	s_or_b64 exec, exec, s[52:53]
                                        ; implicit-def: $vgpr26
                                        ; implicit-def: $vgpr24
.LBB44_359:                             ;   in Loop: Header=BB44_5 Depth=1
	s_andn2_saveexec_b64 s[12:13], s[50:51]
	s_cbranch_execz .LBB44_365
; %bb.360:                              ;   in Loop: Header=BB44_5 Depth=1
	s_and_saveexec_b64 s[50:51], s[10:11]
	s_xor_b64 s[10:11], exec, s[50:51]
	s_cbranch_execz .LBB44_362
; %bb.361:                              ;   in Loop: Header=BB44_5 Depth=1
	v_max_f32_e64 v2, |v26|, |v26|
	v_max_f32_e32 v3, v24, v24
	v_min_f32_e32 v4, v3, v2
	v_max_f32_e32 v2, v3, v2
	v_frexp_mant_f32_e32 v3, v2
	v_rcp_f32_e32 v3, v3
	v_frexp_exp_i32_f32_e32 v2, v2
	v_frexp_exp_i32_f32_e32 v5, v4
	v_frexp_mant_f32_e32 v4, v4
	v_mul_f32_e32 v3, v4, v3
	v_sub_u32_e32 v2, v5, v2
	v_ldexp_f32 v2, v3, v2
	v_mul_f32_e32 v3, v2, v2
	v_mov_b32_e32 v4, 0xbc7a590c
	v_fmac_f32_e32 v4, 0x3b2d2a58, v3
	v_fma_f32 v4, v3, v4, v37
	v_fma_f32 v4, v3, v4, v38
	;; [unrolled: 1-line block ×6, first 2 shown]
	v_mul_f32_e32 v3, v3, v4
	v_fmac_f32_e32 v2, v2, v3
	v_sub_f32_e32 v3, 0x3fc90fdb, v2
	v_cmp_gt_f32_e64 vcc, |v26|, v24
	v_cndmask_b32_e32 v2, v2, v3, vcc
	v_cmp_neq_f32_e32 vcc, 0, v26
	v_cndmask_b32_e32 v2, 0, v2, vcc
	v_cmp_eq_f32_e32 vcc, s68, v24
	v_cmp_class_f32_e64 s[50:51], v26, s82
	s_and_b64 vcc, vcc, s[50:51]
	v_cndmask_b32_e32 v2, v2, v48, vcc
	v_cmp_o_f32_e32 vcc, v24, v26
	v_cndmask_b32_e32 v2, v46, v2, vcc
	v_bfi_b32 v12, s67, v2, v26
                                        ; implicit-def: $vgpr26
                                        ; implicit-def: $vgpr24
.LBB44_362:                             ;   in Loop: Header=BB44_5 Depth=1
	s_andn2_saveexec_b64 s[50:51], s[10:11]
	s_cbranch_execz .LBB44_364
; %bb.363:                              ;   in Loop: Header=BB44_5 Depth=1
	v_max_f32_e64 v2, |v26|, |v26|
	v_max_f32_e32 v3, v24, v24
	v_min_f32_e32 v4, v3, v2
	v_max_f32_e32 v2, v3, v2
	v_frexp_mant_f32_e32 v3, v2
	v_rcp_f32_e32 v3, v3
	v_frexp_exp_i32_f32_e32 v2, v2
	v_frexp_exp_i32_f32_e32 v5, v4
	v_frexp_mant_f32_e32 v4, v4
	v_mul_f32_e32 v3, v4, v3
	v_sub_u32_e32 v2, v5, v2
	v_ldexp_f32 v2, v3, v2
	v_mul_f32_e32 v3, v2, v2
	v_mov_b32_e32 v4, 0xbc7a590c
	v_fmac_f32_e32 v4, 0x3b2d2a58, v3
	v_fma_f32 v4, v3, v4, v37
	v_fma_f32 v4, v3, v4, v38
	;; [unrolled: 1-line block ×6, first 2 shown]
	v_mul_f32_e32 v3, v3, v4
	v_fmac_f32_e32 v2, v2, v3
	v_sub_f32_e32 v3, 0x3fc90fdb, v2
	v_cmp_gt_f32_e64 vcc, |v26|, v24
	v_cndmask_b32_e32 v2, v2, v3, vcc
	v_sub_f32_e32 v3, 0x40490fdb, v2
	v_cmp_lt_f32_e32 vcc, 0, v24
	v_cndmask_b32_e32 v2, v2, v3, vcc
	v_cmp_neq_f32_e64 s[10:11], 0, v26
	v_cndmask_b32_e64 v2, v49, v2, s[10:11]
	v_cndmask_b32_e32 v3, v48, v50, vcc
	v_cmp_eq_f32_e32 vcc, s68, v24
	v_cmp_class_f32_e64 s[10:11], v26, s82
	s_and_b64 vcc, vcc, s[10:11]
	v_cndmask_b32_e32 v2, v2, v3, vcc
	v_cmp_o_f32_e64 vcc, v26, -v24
	v_cndmask_b32_e32 v2, v46, v2, vcc
	v_bfi_b32 v12, s67, v2, v26
.LBB44_364:                             ;   in Loop: Header=BB44_5 Depth=1
	s_or_b64 exec, exec, s[50:51]
.LBB44_365:                             ;   in Loop: Header=BB44_5 Depth=1
	s_or_b64 exec, exec, s[12:13]
	v_cndmask_b32_e64 v13, -v1, v1, s[6:7]
                                        ; implicit-def: $vgpr2_vgpr3_vgpr4_vgpr5
.LBB44_366:                             ;   in Loop: Header=BB44_5 Depth=1
	s_andn2_saveexec_b64 s[10:11], s[48:49]
	s_cbranch_execz .LBB44_368
; %bb.367:                              ;   in Loop: Header=BB44_5 Depth=1
	s_waitcnt lgkmcnt(0)
	v_pk_mov_b32 v[2:3], s[26:27], s[26:27] op_sel:[0,1]
	flat_load_dword v1, v[2:3] glc
	s_waitcnt vmcnt(0)
	v_xor_b32_e32 v13, 0x80000000, v5
	s_waitcnt lgkmcnt(0)
	v_sub_f32_e32 v1, v1, v4
	v_add_f32_e32 v12, 0x3fc90fdb, v1
.LBB44_368:                             ;   in Loop: Header=BB44_5 Depth=1
	s_or_b64 exec, exec, s[10:11]
                                        ; implicit-def: $vgpr2_vgpr3_vgpr4_vgpr5
.LBB44_369:                             ;   in Loop: Header=BB44_5 Depth=1
	s_andn2_saveexec_b64 s[10:11], s[46:47]
; %bb.370:                              ;   in Loop: Header=BB44_5 Depth=1
	v_xor_b32_e32 v13, 0x80000000, v5
	v_mov_b32_e32 v12, 0
; %bb.371:                              ;   in Loop: Header=BB44_5 Depth=1
	s_or_b64 exec, exec, s[10:11]
                                        ; implicit-def: $vgpr2_vgpr3_vgpr4_vgpr5
                                        ; implicit-def: $vgpr1
                                        ; implicit-def: $vgpr3
                                        ; implicit-def: $vgpr2
.LBB44_372:                             ;   in Loop: Header=BB44_5 Depth=1
	s_andn2_saveexec_b64 s[44:45], s[44:45]
	s_cbranch_execz .LBB44_382
; %bb.373:                              ;   in Loop: Header=BB44_5 Depth=1
	v_cmp_lt_f32_e64 s[10:11], |v4|, |v5|
	v_cndmask_b32_e64 v17, |v4|, |v5|, s[10:11]
	v_cmp_nlt_f32_e32 vcc, s83, v17
                                        ; implicit-def: $vgpr13
                                        ; implicit-def: $vgpr12
	s_and_saveexec_b64 s[12:13], vcc
	s_xor_b64 s[46:47], exec, s[12:13]
	s_cbranch_execz .LBB44_379
; %bb.374:                              ;   in Loop: Header=BB44_5 Depth=1
	v_cndmask_b32_e64 v19, |v5|, |v4|, s[10:11]
	v_cmp_nlt_f32_e32 vcc, s84, v17
	v_cmp_ngt_f32_e64 s[12:13], s85, v19
	s_and_b64 s[12:13], vcc, s[12:13]
                                        ; implicit-def: $vgpr13
                                        ; implicit-def: $vgpr12
	s_and_saveexec_b64 s[48:49], s[12:13]
	s_xor_b64 s[12:13], exec, s[48:49]
	s_cbranch_execz .LBB44_376
; %bb.375:                              ;   in Loop: Header=BB44_5 Depth=1
	v_mul_f32_e32 v12, v19, v19
	v_fmac_f32_e32 v12, v17, v17
	v_cmp_gt_f32_e32 vcc, s72, v12
	v_cndmask_b32_e32 v13, 1.0, v44, vcc
	v_mul_f32_e32 v12, v12, v13
	v_log_f32_e32 v12, v12
	v_min_f32_e32 v1, v3, v1
	s_waitcnt lgkmcnt(0)
	v_frexp_mant_f32_e32 v3, v2
	v_cndmask_b32_e32 v13, 0, v45, vcc
	v_mul_f32_e32 v17, 0x3f317217, v12
	v_fma_f32 v19, v12, s73, -v17
	v_fmac_f32_e32 v19, 0x3377d1cf, v12
	v_add_f32_e32 v17, v17, v19
	v_cmp_lt_f32_e64 vcc, |v12|, s68
	v_rcp_f32_e32 v3, v3
	v_cndmask_b32_e32 v12, v12, v17, vcc
	v_sub_f32_e32 v12, v12, v13
	v_mul_f32_e32 v13, 0.5, v12
	v_frexp_exp_i32_f32_e32 v2, v2
	v_frexp_exp_i32_f32_e32 v12, v1
	v_frexp_mant_f32_e32 v1, v1
	v_mul_f32_e32 v1, v1, v3
	v_sub_u32_e32 v2, v12, v2
	v_ldexp_f32 v12, v1, v2
	v_mul_f32_e32 v1, v12, v12
	v_mov_b32_e32 v2, 0xbc7a590c
	v_fmac_f32_e32 v2, 0x3b2d2a58, v1
	v_fma_f32 v2, v1, v2, v37
	v_fma_f32 v2, v1, v2, v38
	;; [unrolled: 1-line block ×6, first 2 shown]
	v_mul_f32_e32 v1, v1, v2
	v_fmac_f32_e32 v12, v12, v1
                                        ; implicit-def: $vgpr2
                                        ; implicit-def: $vgpr3
                                        ; implicit-def: $vgpr1
.LBB44_376:                             ;   in Loop: Header=BB44_5 Depth=1
	s_andn2_saveexec_b64 s[12:13], s[12:13]
	s_cbranch_execz .LBB44_378
; %bb.377:                              ;   in Loop: Header=BB44_5 Depth=1
	s_waitcnt lgkmcnt(0)
	v_cvt_f64_f32_e32 v[12:13], v2
	v_frexp_exp_i32_f64_e32 v12, v[12:13]
	v_sub_u32_e32 v13, 0, v12
	v_ldexp_f32 v17, |v4|, v13
	v_ldexp_f32 v13, |v5|, v13
	v_mul_f32_e32 v13, v13, v13
	v_fmac_f32_e32 v13, v17, v17
	v_sqrt_f32_e32 v13, v13
	v_cmp_neq_f32_e32 vcc, s68, v2
	v_min_f32_e32 v1, v3, v1
	v_ldexp_f32 v12, v13, v12
	v_cndmask_b32_e32 v12, v43, v12, vcc
	v_cmp_gt_f32_e32 vcc, s72, v12
	v_cndmask_b32_e32 v13, 1.0, v44, vcc
	v_mul_f32_e32 v12, v12, v13
	v_log_f32_e32 v12, v12
	v_cndmask_b32_e32 v3, 0, v45, vcc
	v_mul_f32_e32 v13, 0x3f317217, v12
	v_fma_f32 v17, v12, s73, -v13
	v_fmac_f32_e32 v17, 0x3377d1cf, v12
	v_add_f32_e32 v13, v13, v17
	v_cmp_lt_f32_e64 vcc, |v12|, s68
	v_cndmask_b32_e32 v12, v12, v13, vcc
	v_sub_f32_e32 v13, v12, v3
	v_frexp_mant_f32_e32 v3, v2
	v_rcp_f32_e32 v3, v3
	v_frexp_exp_i32_f32_e32 v2, v2
	v_frexp_exp_i32_f32_e32 v12, v1
	v_frexp_mant_f32_e32 v1, v1
	v_mul_f32_e32 v1, v1, v3
	v_sub_u32_e32 v2, v12, v2
	v_ldexp_f32 v12, v1, v2
	v_mul_f32_e32 v1, v12, v12
	v_mov_b32_e32 v2, 0xbc7a590c
	v_fmac_f32_e32 v2, 0x3b2d2a58, v1
	v_fma_f32 v2, v1, v2, v37
	v_fma_f32 v2, v1, v2, v38
	;; [unrolled: 1-line block ×6, first 2 shown]
	v_mul_f32_e32 v1, v1, v2
	v_fmac_f32_e32 v12, v12, v1
.LBB44_378:                             ;   in Loop: Header=BB44_5 Depth=1
	s_or_b64 exec, exec, s[12:13]
                                        ; implicit-def: $vgpr3
                                        ; implicit-def: $vgpr1
                                        ; implicit-def: $vgpr2
.LBB44_379:                             ;   in Loop: Header=BB44_5 Depth=1
	s_andn2_saveexec_b64 s[46:47], s[46:47]
	s_cbranch_execz .LBB44_381
; %bb.380:                              ;   in Loop: Header=BB44_5 Depth=1
	v_div_scale_f32 v12, s[12:13], s86, s86, v4
	v_rcp_f32_e32 v13, v12
	v_div_scale_f32 v17, vcc, v4, s86, v4
	v_min_f32_e32 v1, v3, v1
	v_fma_f32 v19, -v12, v13, 1.0
	v_fmac_f32_e32 v13, v19, v13
	v_mul_f32_e32 v19, v17, v13
	v_fma_f32 v24, -v12, v19, v17
	v_fmac_f32_e32 v19, v24, v13
	v_fma_f32 v12, -v12, v19, v17
	v_div_scale_f32 v17, s[12:13], s86, s86, v5
	v_rcp_f32_e32 v24, v17
	v_div_fmas_f32 v12, v12, v13, v19
	v_div_fixup_f32 v19, v12, s86, v4
	s_waitcnt lgkmcnt(0)
	v_frexp_mant_f32_e32 v3, v2
	v_fma_f32 v12, -v17, v24, 1.0
	v_fmac_f32_e32 v24, v12, v24
	v_div_scale_f32 v12, vcc, v5, s86, v5
	v_mul_f32_e32 v13, v12, v24
	v_fma_f32 v25, -v17, v13, v12
	v_fmac_f32_e32 v13, v25, v24
	v_fma_f32 v12, -v17, v13, v12
	v_div_fmas_f32 v12, v12, v24, v13
	v_div_fixup_f32 v17, v12, s86, v5
	v_max_f32_e64 v24, |v19|, |v17|
	v_cvt_f64_f32_e32 v[12:13], v24
	v_frexp_exp_i32_f64_e32 v12, v[12:13]
	v_sub_u32_e32 v13, 0, v12
	v_ldexp_f32 v19, |v19|, v13
	v_ldexp_f32 v13, |v17|, v13
	v_mul_f32_e32 v13, v13, v13
	v_fmac_f32_e32 v13, v19, v19
	v_sqrt_f32_e32 v13, v13
	v_cmp_neq_f32_e32 vcc, s68, v24
	v_rcp_f32_e32 v3, v3
	v_frexp_exp_i32_f32_e32 v2, v2
	v_ldexp_f32 v12, v13, v12
	v_cndmask_b32_e32 v12, v43, v12, vcc
	v_cmp_gt_f32_e32 vcc, s72, v12
	v_cndmask_b32_e32 v13, 1.0, v44, vcc
	v_mul_f32_e32 v12, v12, v13
	v_log_f32_e32 v12, v12
	v_mul_f32_e32 v13, 0x3f317217, v12
	v_fma_f32 v17, v12, s73, -v13
	v_fmac_f32_e32 v17, 0x3377d1cf, v12
	v_add_f32_e32 v13, v13, v17
	v_cmp_lt_f32_e64 s[12:13], |v12|, s68
	v_cndmask_b32_e64 v12, v12, v13, s[12:13]
	v_cndmask_b32_e32 v13, 0, v45, vcc
	v_sub_f32_e32 v12, v12, v13
	v_add_f32_e32 v13, 1.0, v12
	v_frexp_exp_i32_f32_e32 v12, v1
	v_frexp_mant_f32_e32 v1, v1
	v_mul_f32_e32 v1, v1, v3
	v_sub_u32_e32 v2, v12, v2
	v_ldexp_f32 v12, v1, v2
	v_mul_f32_e32 v1, v12, v12
	v_mov_b32_e32 v2, 0xbc7a590c
	v_fmac_f32_e32 v2, 0x3b2d2a58, v1
	v_fma_f32 v2, v1, v2, v37
	v_fma_f32 v2, v1, v2, v38
	;; [unrolled: 1-line block ×6, first 2 shown]
	v_mul_f32_e32 v1, v1, v2
	v_fmac_f32_e32 v12, v12, v1
.LBB44_381:                             ;   in Loop: Header=BB44_5 Depth=1
	s_or_b64 exec, exec, s[46:47]
	v_sub_f32_e32 v1, 0x3fc90fdb, v12
	v_cndmask_b32_e64 v1, v12, v1, s[10:11]
	s_waitcnt lgkmcnt(0)
	v_sub_f32_e32 v2, 0x40490fdb, v1
	v_cmp_gt_f32_e32 vcc, 0, v4
	v_cndmask_b32_e32 v1, v1, v2, vcc
	v_cndmask_b32_e64 v2, 0, v49, s[8:9]
	v_cmp_eq_f32_e64 s[8:9], 0, v5
	v_cndmask_b32_e64 v1, v1, v2, s[8:9]
	v_cmp_class_f32_e64 s[8:9], v4, s82
	v_cmp_class_f32_e64 s[10:11], v5, s82
	v_cndmask_b32_e32 v2, v48, v50, vcc
	s_and_b64 vcc, s[8:9], s[10:11]
	v_cndmask_b32_e32 v1, v1, v2, vcc
	v_cmp_o_f32_e32 vcc, v4, v5
	v_cndmask_b32_e64 v12, v46, |v1|, vcc
	v_add_f32_e32 v1, 0x3f317218, v13
	v_cndmask_b32_e64 v13, -v1, v1, s[6:7]
.LBB44_382:                             ;   in Loop: Header=BB44_5 Depth=1
	s_or_b64 exec, exec, s[44:45]
                                        ; implicit-def: $vgpr2_vgpr3_vgpr4_vgpr5
.LBB44_383:                             ;   in Loop: Header=BB44_5 Depth=1
	s_andn2_saveexec_b64 s[6:7], s[42:43]
	s_cbranch_execz .LBB44_4
; %bb.384:                              ;   in Loop: Header=BB44_5 Depth=1
	v_cmp_neq_f32_e64 s[8:9], |v4|, s68
	s_and_saveexec_b64 s[10:11], s[8:9]
	s_xor_b64 s[8:9], exec, s[10:11]
	s_cbranch_execz .LBB44_394
; %bb.385:                              ;   in Loop: Header=BB44_5 Depth=1
	v_cmp_neq_f32_e64 s[10:11], |v5|, s68
	s_and_saveexec_b64 s[12:13], s[10:11]
	s_xor_b64 s[10:11], exec, s[12:13]
	s_cbranch_execz .LBB44_391
; %bb.386:                              ;   in Loop: Header=BB44_5 Depth=1
	v_cmp_neq_f32_e32 vcc, 0, v4
	s_and_saveexec_b64 s[12:13], vcc
	s_xor_b64 s[12:13], exec, s[12:13]
; %bb.387:                              ;   in Loop: Header=BB44_5 Depth=1
	v_add_f32_e32 v1, 0, v5
	v_add_f32_e32 v13, v4, v1
                                        ; implicit-def: $vgpr2_vgpr3_vgpr4_vgpr5
; %bb.388:                              ;   in Loop: Header=BB44_5 Depth=1
	s_or_saveexec_b64 s[12:13], s[12:13]
	v_mov_b32_e32 v12, v13
	s_xor_b64 exec, exec, s[12:13]
	s_cbranch_execz .LBB44_390
; %bb.389:                              ;   in Loop: Header=BB44_5 Depth=1
	s_waitcnt lgkmcnt(0)
	v_pk_mov_b32 v[2:3], s[26:27], s[26:27] op_sel:[0,1]
	flat_load_dword v1, v[2:3] glc
	s_waitcnt vmcnt(0)
	v_add_f32_e32 v13, v5, v5
	s_waitcnt lgkmcnt(0)
	v_add_f32_e32 v12, 0x3fc90fdb, v1
.LBB44_390:                             ;   in Loop: Header=BB44_5 Depth=1
	s_or_b64 exec, exec, s[12:13]
                                        ; implicit-def: $vgpr2_vgpr3_vgpr4_vgpr5
.LBB44_391:                             ;   in Loop: Header=BB44_5 Depth=1
	s_andn2_saveexec_b64 s[10:11], s[10:11]
; %bb.392:                              ;   in Loop: Header=BB44_5 Depth=1
	v_add_f32_e32 v12, v4, v4
	v_xor_b32_e32 v13, 0x80000000, v5
; %bb.393:                              ;   in Loop: Header=BB44_5 Depth=1
	s_or_b64 exec, exec, s[10:11]
                                        ; implicit-def: $vgpr2_vgpr3_vgpr4_vgpr5
.LBB44_394:                             ;   in Loop: Header=BB44_5 Depth=1
	s_andn2_saveexec_b64 s[8:9], s[8:9]
	s_cbranch_execz .LBB44_3
; %bb.395:                              ;   in Loop: Header=BB44_5 Depth=1
	v_add_f32_e32 v12, v5, v5
	v_mov_b32_e32 v13, 0xff800000
	s_branch .LBB44_3
.LBB44_396:
	s_or_b64 exec, exec, s[18:19]
	s_mov_b64 s[6:7], 0
.LBB44_397:
	s_andn2_b64 vcc, exec, s[6:7]
	s_cbranch_vccnz .LBB44_809
; %bb.398:
	v_cmp_lt_i64_e64 s[6:7], s[22:23], 1
	s_and_b64 vcc, exec, s[6:7]
	s_cbranch_vccnz .LBB44_809
; %bb.399:
	s_load_dword s4, s[4:5], 0xc5c
	v_mov_b32_e32 v2, 0x10000
	v_mov_b32_e32 v3, 0
	v_cmp_lt_u64_e32 vcc, s[22:23], v[2:3]
	v_lshlrev_b32_e32 v10, 3, v0
	s_waitcnt lgkmcnt(0)
	s_and_b32 s39, s4, 0xffff
	s_and_b64 s[4:5], vcc, exec
	v_mov_b32_e32 v17, s15
	v_add_co_u32_e32 v2, vcc, s14, v10
	v_addc_co_u32_e32 v3, vcc, 0, v17, vcc
	v_mov_b32_e32 v14, s17
	v_add_co_u32_e32 v4, vcc, s16, v10
	v_mov_b32_e32 v1, 0
	v_addc_co_u32_e32 v5, vcc, 0, v14, vcc
	v_mov_b32_e32 v11, v1
	v_add_co_u32_e32 v4, vcc, 4, v4
	v_addc_co_u32_e32 v5, vcc, 0, v5, vcc
	v_mad_u64_u32 v[8:9], s[4:5], s39, 24, v[10:11]
	v_add_co_u32_e32 v6, vcc, s14, v8
	v_addc_co_u32_e32 v7, vcc, v17, v9, vcc
	v_add_co_u32_e32 v8, vcc, s16, v8
	v_addc_co_u32_e32 v9, vcc, v9, v14, vcc
	v_add_co_u32_e32 v8, vcc, 4, v8
	s_cselect_b32 s25, s23, 0
	s_cselect_b32 s24, s22, 0x10000
	v_addc_co_u32_e32 v9, vcc, 0, v9, vcc
	s_lshl_b32 s4, s39, 4
	v_add_co_u32_e32 v15, vcc, s4, v10
	v_addc_co_u32_e64 v16, s[4:5], 0, 0, vcc
	v_add_co_u32_e32 v10, vcc, s14, v15
	v_addc_co_u32_e32 v11, vcc, v17, v16, vcc
	v_add_lshl_u32 v18, v0, s39, 3
	v_mov_b32_e32 v13, s17
	v_add_co_u32_e32 v12, vcc, s16, v18
	v_addc_co_u32_e32 v13, vcc, 0, v13, vcc
	v_add_co_u32_e32 v15, vcc, s16, v15
	v_addc_co_u32_e32 v16, vcc, v16, v14, vcc
	v_add_co_u32_e32 v14, vcc, 4, v15
	s_mov_b32 s33, 0
	v_addc_co_u32_e32 v15, vcc, 0, v16, vcc
	s_lshl_b32 s26, s39, 2
	s_mov_b32 s27, s33
	s_mov_b64 s[28:29], src_private_base
	v_add_co_u32_e32 v16, vcc, s14, v18
	s_mov_b32 s36, 1.0
	s_lshl_b32 s64, s39, 1
	s_mov_b32 s65, s33
	s_mul_i32 s66, s39, 3
	s_mov_b32 s67, s33
	s_mov_b32 s28, 8
	;; [unrolled: 1-line block ×6, first 2 shown]
	s_lshl_b32 s68, s39, 5
	s_mov_b32 s69, s33
	v_addc_co_u32_e32 v17, vcc, 0, v17, vcc
	v_mov_b32_e32 v38, 0x248d3132
	s_mov_b32 s70, 0x4b000000
	s_mov_b32 s37, -1.0
	v_mov_b32_e32 v39, 0xd800000
	s_mov_b32 s71, 0x395db3d7
	s_brev_b32 s72, -2
	s_mov_b32 s73, 0x7f800000
	s_mov_b32 s74, 0x41200000
	;; [unrolled: 1-line block ×4, first 2 shown]
	v_mov_b32_e32 v40, 0x260
	s_mov_b32 s77, 0x800000
	s_mov_b32 s78, 0x3f317217
	;; [unrolled: 1-line block ×4, first 2 shown]
	v_mov_b32_e32 v41, 0x3f2aaada
	s_mov_b32 s81, 0x3f317218
	s_mov_b32 s82, 0x33800000
	;; [unrolled: 1-line block ×7, first 2 shown]
	v_mov_b32_e32 v42, 0x3d034c3c
	v_mov_b32_e32 v43, 0x3d3641b1
	;; [unrolled: 1-line block ×10, first 2 shown]
	s_movk_i32 s87, 0x204
	s_mov_b32 s88, 0x7effffff
	s_mov_b32 s89, 0x5e000000
	s_brev_b32 s90, 4
	s_mov_b32 s91, 0x402df854
	v_mov_b32_e32 v52, 0x7f800000
	v_mov_b32_e32 v53, 0x4f800000
	;; [unrolled: 1-line block ×3, first 2 shown]
	v_mov_b32_e32 v18, 1.0
	v_mov_b32_e32 v20, 0x3f317218
	v_mov_b32_e32 v55, 0x7fc00000
	;; [unrolled: 1-line block ×6, first 2 shown]
	s_mov_b64 s[40:41], s[26:27]
	s_branch .LBB44_401
.LBB44_400:                             ;   in Loop: Header=BB44_401 Depth=1
	s_or_b64 exec, exec, s[4:5]
	v_pk_mov_b32 v[22:23], s[22:23], s[22:23] op_sel:[0,1]
	v_cmp_ge_i64_e32 vcc, s[40:41], v[22:23]
	v_mov_b32_e32 v22, 0xffff
	v_mov_b32_e32 v23, 0
	v_cmp_gt_u64_e64 s[4:5], s[40:41], v[22:23]
	s_or_b64 s[4:5], vcc, s[4:5]
	v_mov_b32_e32 v19, s69
	v_add_co_u32_e32 v2, vcc, s68, v2
	v_addc_co_u32_e32 v3, vcc, v3, v19, vcc
	s_waitcnt vmcnt(0) lgkmcnt(0)
	v_mov_b32_e32 v21, s27
	v_add_co_u32_e32 v0, vcc, s26, v0
	v_addc_co_u32_e32 v1, vcc, v1, v21, vcc
	v_add_co_u32_e32 v4, vcc, s68, v4
	v_addc_co_u32_e32 v5, vcc, v5, v19, vcc
	;; [unrolled: 2-line block ×7, first 2 shown]
	v_add_co_u32_e32 v16, vcc, s68, v16
	s_add_u32 s40, s40, s26
	v_addc_co_u32_e32 v17, vcc, v17, v19, vcc
	s_addc_u32 s41, s41, 0
	s_and_b64 vcc, exec, s[4:5]
	s_cbranch_vccnz .LBB44_809
.LBB44_401:                             ; =>This Inner Loop Header: Depth=1
	v_cmp_gt_u64_e64 s[4:5], s[24:25], v[0:1]
	v_mov_b32_e32 v28, 0
	v_mov_b32_e32 v29, 0
	s_and_saveexec_b64 s[6:7], s[4:5]
	s_cbranch_execz .LBB44_403
; %bb.402:                              ;   in Loop: Header=BB44_401 Depth=1
	v_mov_b32_e32 v19, s21
	v_add_co_u32_e32 v22, vcc, s20, v2
	v_addc_co_u32_e32 v23, vcc, v3, v19, vcc
	global_load_dwordx2 v[28:29], v[22:23], off
.LBB44_403:                             ;   in Loop: Header=BB44_401 Depth=1
	s_or_b64 exec, exec, s[6:7]
	v_mov_b32_e32 v19, s33
	v_add_co_u32_e32 v22, vcc, s39, v0
	v_addc_co_u32_e32 v23, vcc, v19, v1, vcc
	v_cmp_gt_u64_e64 s[6:7], s[24:25], v[22:23]
	v_mov_b32_e32 v26, 0
	v_mov_b32_e32 v30, 0
	;; [unrolled: 1-line block ×3, first 2 shown]
	s_and_saveexec_b64 s[8:9], s[6:7]
	s_cbranch_execz .LBB44_405
; %bb.404:                              ;   in Loop: Header=BB44_401 Depth=1
	v_mov_b32_e32 v19, s21
	v_add_co_u32_e32 v22, vcc, s20, v16
	v_addc_co_u32_e32 v23, vcc, v17, v19, vcc
	global_load_dwordx2 v[30:31], v[22:23], off
.LBB44_405:                             ;   in Loop: Header=BB44_401 Depth=1
	s_or_b64 exec, exec, s[8:9]
	v_mov_b32_e32 v19, s65
	v_add_co_u32_e32 v22, vcc, s64, v0
	v_addc_co_u32_e32 v23, vcc, v19, v1, vcc
	v_cmp_gt_u64_e64 s[8:9], s[24:25], v[22:23]
	v_mov_b32_e32 v27, 0
	s_and_saveexec_b64 s[10:11], s[8:9]
	s_cbranch_execz .LBB44_407
; %bb.406:                              ;   in Loop: Header=BB44_401 Depth=1
	v_mov_b32_e32 v19, s21
	v_add_co_u32_e32 v22, vcc, s20, v10
	v_addc_co_u32_e32 v23, vcc, v11, v19, vcc
	global_load_dwordx2 v[26:27], v[22:23], off
.LBB44_407:                             ;   in Loop: Header=BB44_401 Depth=1
	s_or_b64 exec, exec, s[10:11]
	v_mov_b32_e32 v19, s67
	v_add_co_u32_e32 v22, vcc, s66, v0
	v_addc_co_u32_e32 v23, vcc, v19, v1, vcc
	v_cmp_gt_u64_e64 s[10:11], s[24:25], v[22:23]
	v_mov_b32_e32 v22, 0
	v_mov_b32_e32 v23, 0
	s_and_saveexec_b64 s[12:13], s[10:11]
	s_cbranch_execz .LBB44_409
; %bb.408:                              ;   in Loop: Header=BB44_401 Depth=1
	v_mov_b32_e32 v19, s21
	v_add_co_u32_e32 v22, vcc, s20, v6
	v_addc_co_u32_e32 v23, vcc, v7, v19, vcc
	global_load_dwordx2 v[22:23], v[22:23], off
.LBB44_409:                             ;   in Loop: Header=BB44_401 Depth=1
	s_or_b64 exec, exec, s[12:13]
	s_waitcnt vmcnt(0)
	v_cmp_o_f32_e32 vcc, v28, v28
	v_cmp_o_f32_e64 s[12:13], v29, v29
	v_pk_mov_b32 v[24:25], s[28:29], s[28:29] op_sel:[0,1]
	s_and_b64 s[12:13], vcc, s[12:13]
	flat_store_dword v[24:25], v38
	s_waitcnt vmcnt(0)
                                        ; implicit-def: $vgpr25
	s_and_saveexec_b64 s[14:15], s[12:13]
	s_xor_b64 s[42:43], exec, s[14:15]
	s_cbranch_execz .LBB44_493
; %bb.410:                              ;   in Loop: Header=BB44_401 Depth=1
	v_max_f32_e64 v32, |v28|, |v28|
	v_max_f32_e64 v19, |v29|, |v29|
	v_max_f32_e32 v21, v19, v32
	v_cmp_gt_i32_e64 s[14:15], 0, v28
	v_cmp_lt_i32_e64 s[16:17], -1, v28
	v_cmp_gt_i32_e64 s[12:13], 0, v29
	v_cmp_nlt_f32_e32 vcc, s70, v21
                                        ; implicit-def: $vgpr25
	s_and_saveexec_b64 s[18:19], vcc
	s_xor_b64 s[44:45], exec, s[18:19]
	s_cbranch_execz .LBB44_482
; %bb.411:                              ;   in Loop: Header=BB44_401 Depth=1
	v_cmp_neq_f32_e32 vcc, 1.0, v28
	v_cmp_neq_f32_e64 s[18:19], 0, v29
	s_or_b64 s[18:19], s[18:19], vcc
                                        ; implicit-def: $vgpr25
	s_and_saveexec_b64 s[46:47], s[18:19]
	s_xor_b64 s[46:47], exec, s[46:47]
	s_cbranch_execz .LBB44_479
; %bb.412:                              ;   in Loop: Header=BB44_401 Depth=1
	v_pk_mov_b32 v[24:25], s[30:31], s[30:31] op_sel:[0,1]
	flat_store_dword v[24:25], v39
	s_waitcnt vmcnt(0)
	flat_load_dword v21, v[24:25] glc
	s_waitcnt vmcnt(0)
	v_pk_mov_b32 v[24:25], s[34:35], s[34:35] op_sel:[0,1]
	v_cmp_nlt_f32_e64 s[18:19], |v28|, s71
	v_cmp_nlt_f32_e64 s[48:49], |v29|, s71
	s_or_b64 s[18:19], s[48:49], s[18:19]
	s_waitcnt lgkmcnt(0)
	v_add_f32_e32 v21, 1.0, v21
	flat_store_dword v[24:25], v21
	s_waitcnt vmcnt(0)
	flat_load_dword v21, v[24:25] glc
	s_waitcnt vmcnt(0)
                                        ; implicit-def: $vgpr25
	s_and_saveexec_b64 s[48:49], s[18:19]
	s_xor_b64 s[48:49], exec, s[48:49]
	s_cbranch_execz .LBB44_476
; %bb.413:                              ;   in Loop: Header=BB44_401 Depth=1
	v_and_b32_e32 v32, 0x7fffffff, v28
	v_pk_add_f32 v[34:35], v[32:33], s[36:37] op_sel_hi:[0,1]
	s_waitcnt vmcnt(0) lgkmcnt(0)
	v_max_f32_e64 v21, v19, |v35|
	v_max_f32_e64 v19, v19, |v34|
	v_cvt_f64_f32_e32 v[24:25], v19
	v_frexp_exp_i32_f64_e32 v33, v[24:25]
	v_sub_u32_e32 v24, 0, v33
	v_ldexp_f32 v25, |v29|, v24
	v_ldexp_f32 v24, |v34|, v24
	v_mul_f32_e32 v24, v24, v24
	v_fmac_f32_e32 v24, v25, v25
	v_sqrt_f32_e32 v36, v24
	v_cvt_f64_f32_e32 v[24:25], v21
	v_frexp_exp_i32_f64_e32 v24, v[24:25]
	v_sub_u32_e32 v25, 0, v24
	v_ldexp_f32 v37, |v29|, v25
	v_ldexp_f32 v25, |v35|, v25
	v_mul_f32_e32 v25, v25, v25
	v_fmac_f32_e32 v25, v37, v37
	v_sqrt_f32_e32 v25, v25
	v_cmp_neq_f32_e32 vcc, s73, v21
	v_ldexp_f32 v36, v36, v33
	v_ldexp_f32 v24, v25, v24
	v_cndmask_b32_e32 v33, v52, v24, vcc
	v_cmp_neq_f32_e32 vcc, s73, v19
	v_cndmask_b32_e32 v60, v52, v36, vcc
	v_add_f32_e32 v19, v60, v33
	v_mul_f32_e32 v19, 0.5, v19
	v_cmp_ngt_f32_e32 vcc, 1.0, v19
	v_cndmask_b32_e32 v24, 1.0, v19, vcc
	v_cmp_ngt_f32_e32 vcc, s74, v24
                                        ; implicit-def: $vgpr19
	s_and_saveexec_b64 s[18:19], vcc
	s_xor_b64 s[50:51], exec, s[18:19]
	s_cbranch_execz .LBB44_415
; %bb.414:                              ;   in Loop: Header=BB44_401 Depth=1
	v_fma_f32 v19, v24, v24, -1.0
	v_mul_f32_e32 v21, 0x4f800000, v19
	v_cmp_gt_f32_e32 vcc, s75, v19
	v_cndmask_b32_e32 v19, v19, v21, vcc
	v_sqrt_f32_e32 v21, v19
	v_add_u32_e32 v25, -1, v21
	v_fma_f32 v37, -v25, v21, v19
	v_add_u32_e32 v36, 1, v21
	v_cmp_ge_f32_e64 s[18:19], 0, v37
	v_cndmask_b32_e64 v25, v21, v25, s[18:19]
	v_fma_f32 v21, -v36, v21, v19
	v_cmp_lt_f32_e64 s[18:19], 0, v21
	v_cndmask_b32_e64 v21, v25, v36, s[18:19]
	v_mul_f32_e32 v25, 0x37800000, v21
	v_cndmask_b32_e32 v21, v21, v25, vcc
	v_cmp_class_f32_e32 vcc, v19, v40
	v_cndmask_b32_e32 v19, v21, v19, vcc
	v_add_f32_e32 v19, v24, v19
	v_cmp_gt_f32_e32 vcc, s77, v19
	v_cndmask_b32_e32 v21, 1.0, v53, vcc
	v_mul_f32_e32 v19, v19, v21
	v_log_f32_e32 v19, v19
	v_mul_f32_e32 v21, 0x3f317217, v19
	v_fma_f32 v25, v19, s78, -v21
	v_fmac_f32_e32 v25, 0x3377d1cf, v19
	v_add_f32_e32 v21, v21, v25
	v_cmp_lt_f32_e64 s[18:19], |v19|, s73
	v_cndmask_b32_e64 v19, v19, v21, s[18:19]
	v_cndmask_b32_e32 v21, 0, v54, vcc
	v_sub_f32_e32 v19, v19, v21
.LBB44_415:                             ;   in Loop: Header=BB44_401 Depth=1
	s_or_saveexec_b64 s[50:51], s[50:51]
	v_and_b32_e32 v37, 0x7fffffff, v29
	v_and_b32_e32 v61, 0x7fffffff, v35
	s_xor_b64 exec, exec, s[50:51]
	s_cbranch_execz .LBB44_437
; %bb.416:                              ;   in Loop: Header=BB44_401 Depth=1
	v_cmp_neq_f32_e64 s[18:19], |v28|, 1.0
	v_cmp_nlt_f32_e64 s[52:53], |v29|, s79
	s_or_b64 s[18:19], s[52:53], s[18:19]
                                        ; implicit-def: $vgpr19
	s_and_saveexec_b64 s[52:53], s[18:19]
	s_xor_b64 s[52:53], exec, s[52:53]
	s_cbranch_execz .LBB44_434
; %bb.417:                              ;   in Loop: Header=BB44_401 Depth=1
	v_mul_f32_e32 v19, 0x34000000, v61
	v_cmp_le_f32_e64 s[18:19], v19, |v29|
                                        ; implicit-def: $vgpr19
	s_and_saveexec_b64 s[54:55], s[18:19]
	s_xor_b64 s[54:55], exec, s[54:55]
	s_cbranch_execz .LBB44_427
; %bb.418:                              ;   in Loop: Header=BB44_401 Depth=1
	v_cmp_neq_f32_e32 vcc, 0, v34
	v_mov_b32_e32 v19, v37
	s_and_saveexec_b64 s[18:19], vcc
	s_cbranch_execz .LBB44_420
; %bb.419:                              ;   in Loop: Header=BB44_401 Depth=1
	v_mul_f32_e32 v19, v29, v29
	v_add_f32_e32 v21, v34, v60
	v_div_scale_f32 v25, s[56:57], v21, v21, v19
	v_rcp_f32_e32 v36, v25
	v_fma_f32 v62, -v25, v36, 1.0
	v_fmac_f32_e32 v36, v62, v36
	v_div_scale_f32 v62, vcc, v19, v21, v19
	v_mul_f32_e32 v63, v62, v36
	v_fma_f32 v64, -v25, v63, v62
	v_fmac_f32_e32 v63, v64, v36
	v_fma_f32 v25, -v25, v63, v62
	v_div_fmas_f32 v25, v25, v36, v63
	v_div_fixup_f32 v19, v25, v21, v19
.LBB44_420:                             ;   in Loop: Header=BB44_401 Depth=1
	s_or_b64 exec, exec, s[18:19]
	v_sub_f32_e64 v25, 1.0, |v28|
	v_cmp_ngt_f32_e32 vcc, 0, v25
                                        ; implicit-def: $vgpr21
	s_and_saveexec_b64 s[18:19], vcc
	s_xor_b64 s[18:19], exec, s[18:19]
	s_cbranch_execz .LBB44_424
; %bb.421:                              ;   in Loop: Header=BB44_401 Depth=1
	v_cmp_neq_f32_e32 vcc, 0, v25
	v_mov_b32_e32 v21, v37
	s_and_saveexec_b64 s[56:57], vcc
	s_cbranch_execz .LBB44_423
; %bb.422:                              ;   in Loop: Header=BB44_401 Depth=1
	v_mul_f32_e32 v21, v29, v29
	v_add_f32_e32 v25, v25, v33
	v_div_scale_f32 v36, s[58:59], v25, v25, v21
	v_rcp_f32_e32 v62, v36
	v_fma_f32 v63, -v36, v62, 1.0
	v_fmac_f32_e32 v62, v63, v62
	v_div_scale_f32 v63, vcc, v21, v25, v21
	v_mul_f32_e32 v64, v63, v62
	v_fma_f32 v65, -v36, v64, v63
	v_fmac_f32_e32 v64, v65, v62
	v_fma_f32 v36, -v36, v64, v63
	v_div_fmas_f32 v36, v36, v62, v64
	v_div_fixup_f32 v21, v36, v25, v21
.LBB44_423:                             ;   in Loop: Header=BB44_401 Depth=1
	s_or_b64 exec, exec, s[56:57]
                                        ; implicit-def: $vgpr25
.LBB44_424:                             ;   in Loop: Header=BB44_401 Depth=1
	s_andn2_saveexec_b64 s[18:19], s[18:19]
; %bb.425:                              ;   in Loop: Header=BB44_401 Depth=1
	v_sub_f32_e32 v21, v33, v25
; %bb.426:                              ;   in Loop: Header=BB44_401 Depth=1
	s_or_b64 exec, exec, s[18:19]
	v_mul_f32_e32 v25, 0.5, v19
	v_mul_f32_e32 v19, 0.5, v21
	v_pk_add_f32 v[62:63], v[24:25], v[18:19]
	v_mul_f32_e32 v19, v62, v63
	v_mul_f32_e32 v21, 0x4f800000, v19
	v_cmp_gt_f32_e32 vcc, s75, v19
	v_cndmask_b32_e32 v19, v19, v21, vcc
	v_sqrt_f32_e32 v21, v19
	v_add_u32_e32 v25, -1, v21
	v_fma_f32 v36, -v25, v21, v19
	v_cmp_ge_f32_e64 s[18:19], 0, v36
	v_add_u32_e32 v36, 1, v21
	v_cndmask_b32_e64 v25, v21, v25, s[18:19]
	v_fma_f32 v21, -v36, v21, v19
	v_cmp_lt_f32_e64 s[18:19], 0, v21
	v_cndmask_b32_e64 v21, v25, v36, s[18:19]
	v_mul_f32_e32 v25, 0x37800000, v21
	v_cndmask_b32_e32 v21, v21, v25, vcc
	v_cmp_class_f32_e32 vcc, v19, v40
	v_cndmask_b32_e32 v19, v21, v19, vcc
	v_add_f32_e32 v62, v63, v19
	v_add_f32_e32 v65, 1.0, v62
	v_add_f32_e32 v63, -1.0, v65
	v_mov_b32_e32 v64, v63
	v_pk_add_f32 v[66:67], v[62:63], v[64:65] neg_lo:[0,1] neg_hi:[0,1]
	v_add_f32_e32 v19, 1.0, v67
	v_add_f32_e32 v19, v66, v19
	v_frexp_mant_f32_e32 v21, v65
	v_cvt_f64_f32_e32 v[66:67], v65
	v_frexp_exp_i32_f64_e32 v25, v[66:67]
	v_cmp_gt_f32_e32 vcc, s80, v21
	v_subbrev_co_u32_e32 v25, vcc, 0, v25, vcc
	v_sub_u32_e32 v21, 0, v25
	v_ldexp_f32 v36, v65, v21
	v_ldexp_f32 v19, v19, v21
	v_add_f32_e32 v21, -1.0, v36
	v_add_f32_e32 v64, 1.0, v36
	v_add_f32_e32 v63, 1.0, v21
	v_add_f32_e32 v65, -1.0, v64
	v_sub_f32_e32 v63, v36, v63
	v_sub_f32_e32 v36, v36, v65
	v_add_f32_e32 v63, v19, v63
	v_add_f32_e32 v19, v19, v36
	;; [unrolled: 1-line block ×3, first 2 shown]
	v_rcp_f32_e32 v72, v36
	v_add_f32_e32 v65, v21, v63
	v_sub_f32_e32 v21, v65, v21
	v_sub_f32_e32 v21, v63, v21
	v_mul_f32_e32 v63, v65, v72
	v_sub_f32_e32 v64, v36, v64
	v_mul_f32_e32 v66, v36, v63
	v_sub_f32_e32 v19, v19, v64
	v_fma_f32 v68, v63, v36, -v66
	v_fmac_f32_e32 v68, v63, v19
	v_add_f32_e32 v64, v66, v68
	v_sub_f32_e32 v67, v65, v64
	v_pk_add_f32 v[70:71], v[64:65], v[66:67] neg_lo:[0,1] neg_hi:[0,1]
	v_mov_b32_e32 v69, v64
	v_pk_add_f32 v[64:65], v[70:71], v[68:69] neg_lo:[0,1] neg_hi:[0,1]
	v_add_f32_e32 v21, v21, v65
	v_add_f32_e32 v21, v64, v21
	;; [unrolled: 1-line block ×3, first 2 shown]
	v_mul_f32_e32 v73, v72, v65
	v_mul_f32_e32 v66, v36, v73
	v_fma_f32 v68, v73, v36, -v66
	v_fmac_f32_e32 v68, v73, v19
	v_add_f32_e32 v64, v66, v68
	v_sub_f32_e32 v19, v67, v65
	v_sub_f32_e32 v67, v65, v64
	v_pk_add_f32 v[70:71], v[64:65], v[66:67] neg_lo:[0,1] neg_hi:[0,1]
	v_mov_b32_e32 v69, v64
	v_add_f32_e32 v19, v21, v19
	v_pk_add_f32 v[64:65], v[70:71], v[68:69] neg_lo:[0,1] neg_hi:[0,1]
	v_add_f32_e32 v19, v19, v65
	v_add_f32_e32 v19, v64, v19
	;; [unrolled: 1-line block ×4, first 2 shown]
	v_sub_f32_e32 v21, v36, v63
	v_mul_f32_e32 v19, v72, v19
	v_sub_f32_e32 v21, v73, v21
	v_add_f32_e32 v19, v21, v19
	v_add_f32_e32 v63, v36, v19
	v_cvt_f32_i32_e32 v64, v25
	v_mul_f32_e32 v65, v63, v63
	v_mov_b32_e32 v21, 0x3ecc95a3
	v_fmac_f32_e32 v21, 0x3e9b6dac, v65
	v_fma_f32 v21, v65, v21, v41
	v_mul_f32_e32 v65, v63, v65
	v_pk_mul_f32 v[68:69], v[64:65], v[20:21]
	v_fma_f32 v66, v64, s81, -v68
	v_ldexp_f32 v67, v63, 1
	v_fmac_f32_e32 v66, 0xb102e308, v64
	v_sub_f32_e32 v25, v63, v36
	v_pk_add_f32 v[64:65], v[68:69], v[66:67]
	v_sub_f32_e32 v19, v19, v25
	v_sub_f32_e32 v21, v65, v67
	v_ldexp_f32 v19, v19, 1
	v_sub_f32_e32 v21, v69, v21
	v_add_f32_e32 v71, v19, v21
	v_mov_b32_e32 v70, v68
	v_pk_add_f32 v[68:69], v[64:65], v[68:69] neg_lo:[0,1] neg_hi:[0,1]
	v_pk_add_f32 v[72:73], v[64:65], v[70:71]
	v_mov_b32_e32 v69, v73
	v_mov_b32_e32 v67, v64
	v_pk_add_f32 v[74:75], v[66:67], v[68:69] neg_lo:[0,1] neg_hi:[0,1]
	v_pk_add_f32 v[66:67], v[66:67], v[68:69]
	v_mov_b32_e32 v36, v67
	v_pk_add_f32 v[68:69], v[36:37], v[64:65] neg_lo:[0,1] neg_hi:[0,1]
	v_mov_b32_e32 v19, v68
	v_pk_add_f32 v[76:77], v[72:73], v[18:19] neg_lo:[0,1] neg_hi:[0,1]
	v_mov_b32_e32 v66, v73
	v_mov_b32_e32 v72, v65
	;; [unrolled: 1-line block ×4, first 2 shown]
	v_pk_add_f32 v[66:67], v[66:67], v[72:73] neg_lo:[0,1] neg_hi:[0,1]
	v_mov_b32_e32 v68, v71
	v_mov_b32_e32 v69, v64
	v_pk_add_f32 v[64:65], v[68:69], v[66:67] neg_lo:[0,1] neg_hi:[0,1]
	v_mov_b32_e32 v76, v74
	v_pk_add_f32 v[66:67], v[76:77], v[64:65]
	v_mov_b32_e32 v68, v67
	v_pk_add_f32 v[68:69], v[66:67], v[68:69]
	v_pk_add_f32 v[70:71], v[36:37], v[68:69]
	v_mov_b32_e32 v67, v70
	v_pk_add_f32 v[72:73], v[66:67], v[74:75] neg_lo:[0,1] neg_hi:[0,1]
	v_mov_b32_e32 v65, v68
	v_sub_f32_e32 v19, v66, v72
	v_pk_add_f32 v[64:65], v[64:65], v[72:73] neg_lo:[0,1] neg_hi:[0,1]
	v_sub_f32_e32 v19, v74, v19
	v_add_f32_e32 v19, v64, v19
	v_add_f32_e32 v19, v19, v65
	;; [unrolled: 1-line block ×3, first 2 shown]
	v_cmp_eq_f32_e32 vcc, s73, v62
	v_cndmask_b32_e32 v19, v19, v62, vcc
	v_cmp_ngt_f32_e32 vcc, -1.0, v62
	v_cndmask_b32_e32 v19, v55, v19, vcc
	v_cmp_neq_f32_e32 vcc, -1.0, v62
	v_cndmask_b32_e32 v19, v56, v19, vcc
	v_cmp_lt_f32_e64 vcc, |v62|, s82
	v_cndmask_b32_e32 v19, v19, v62, vcc
.LBB44_427:                             ;   in Loop: Header=BB44_401 Depth=1
	s_andn2_saveexec_b64 s[54:55], s[54:55]
	s_cbranch_execz .LBB44_433
; %bb.428:                              ;   in Loop: Header=BB44_401 Depth=1
	v_cmp_nlt_f32_e64 s[18:19], |v28|, 1.0
                                        ; implicit-def: $vgpr19
	s_and_saveexec_b64 s[56:57], s[18:19]
	s_xor_b64 s[56:57], exec, s[56:57]
	s_cbranch_execz .LBB44_430
; %bb.429:                              ;   in Loop: Header=BB44_401 Depth=1
	v_mul_f32_e32 v19, v35, v34
	v_mul_f32_e32 v21, 0x4f800000, v19
	v_cmp_gt_f32_e32 vcc, s75, v19
	v_cndmask_b32_e32 v19, v19, v21, vcc
	v_sqrt_f32_e32 v21, v19
	v_add_u32_e32 v25, -1, v21
	v_fma_f32 v62, -v25, v21, v19
	v_add_u32_e32 v36, 1, v21
	v_cmp_ge_f32_e64 s[18:19], 0, v62
	v_cndmask_b32_e64 v25, v21, v25, s[18:19]
	v_fma_f32 v21, -v36, v21, v19
	v_cmp_lt_f32_e64 s[18:19], 0, v21
	v_cndmask_b32_e64 v21, v25, v36, s[18:19]
	v_mul_f32_e32 v25, 0x37800000, v21
	v_cndmask_b32_e32 v21, v21, v25, vcc
	v_cmp_class_f32_e32 vcc, v19, v40
	v_cndmask_b32_e32 v19, v21, v19, vcc
	v_add_f32_e32 v62, v35, v19
	v_add_f32_e32 v65, 1.0, v62
	v_add_f32_e32 v63, -1.0, v65
	v_mov_b32_e32 v64, v63
	v_pk_add_f32 v[66:67], v[62:63], v[64:65] neg_lo:[0,1] neg_hi:[0,1]
	v_add_f32_e32 v19, 1.0, v67
	v_add_f32_e32 v19, v66, v19
	v_frexp_mant_f32_e32 v21, v65
	v_cvt_f64_f32_e32 v[66:67], v65
	v_frexp_exp_i32_f64_e32 v25, v[66:67]
	v_cmp_gt_f32_e32 vcc, s80, v21
	v_subbrev_co_u32_e32 v25, vcc, 0, v25, vcc
	v_sub_u32_e32 v21, 0, v25
	v_ldexp_f32 v36, v65, v21
	v_ldexp_f32 v19, v19, v21
	v_add_f32_e32 v21, -1.0, v36
	v_add_f32_e32 v64, 1.0, v36
	v_add_f32_e32 v63, 1.0, v21
	v_add_f32_e32 v65, -1.0, v64
	v_sub_f32_e32 v63, v36, v63
	v_sub_f32_e32 v36, v36, v65
	v_add_f32_e32 v63, v19, v63
	v_add_f32_e32 v19, v19, v36
	;; [unrolled: 1-line block ×3, first 2 shown]
	v_rcp_f32_e32 v72, v36
	v_add_f32_e32 v65, v21, v63
	v_sub_f32_e32 v21, v65, v21
	v_sub_f32_e32 v21, v63, v21
	v_mul_f32_e32 v63, v65, v72
	v_sub_f32_e32 v64, v36, v64
	v_mul_f32_e32 v66, v36, v63
	v_sub_f32_e32 v19, v19, v64
	v_fma_f32 v68, v63, v36, -v66
	v_fmac_f32_e32 v68, v63, v19
	v_add_f32_e32 v64, v66, v68
	v_sub_f32_e32 v67, v65, v64
	v_pk_add_f32 v[70:71], v[64:65], v[66:67] neg_lo:[0,1] neg_hi:[0,1]
	v_mov_b32_e32 v69, v64
	v_pk_add_f32 v[64:65], v[70:71], v[68:69] neg_lo:[0,1] neg_hi:[0,1]
	v_add_f32_e32 v21, v21, v65
	v_add_f32_e32 v21, v64, v21
	;; [unrolled: 1-line block ×3, first 2 shown]
	v_mul_f32_e32 v73, v72, v65
	v_mul_f32_e32 v66, v36, v73
	v_fma_f32 v68, v73, v36, -v66
	v_fmac_f32_e32 v68, v73, v19
	v_add_f32_e32 v64, v66, v68
	v_sub_f32_e32 v19, v67, v65
	v_sub_f32_e32 v67, v65, v64
	v_pk_add_f32 v[70:71], v[64:65], v[66:67] neg_lo:[0,1] neg_hi:[0,1]
	v_mov_b32_e32 v69, v64
	v_add_f32_e32 v19, v21, v19
	v_pk_add_f32 v[64:65], v[70:71], v[68:69] neg_lo:[0,1] neg_hi:[0,1]
	v_add_f32_e32 v19, v19, v65
	v_add_f32_e32 v19, v64, v19
	;; [unrolled: 1-line block ×4, first 2 shown]
	v_sub_f32_e32 v21, v36, v63
	v_mul_f32_e32 v19, v72, v19
	v_sub_f32_e32 v21, v73, v21
	v_add_f32_e32 v19, v21, v19
	v_add_f32_e32 v63, v36, v19
	v_cvt_f32_i32_e32 v64, v25
	v_mul_f32_e32 v65, v63, v63
	v_mov_b32_e32 v21, 0x3ecc95a3
	v_fmac_f32_e32 v21, 0x3e9b6dac, v65
	v_fma_f32 v21, v65, v21, v41
	v_mul_f32_e32 v65, v63, v65
	v_pk_mul_f32 v[68:69], v[64:65], v[20:21]
	v_fma_f32 v66, v64, s81, -v68
	v_ldexp_f32 v67, v63, 1
	v_fmac_f32_e32 v66, 0xb102e308, v64
	v_sub_f32_e32 v25, v63, v36
	v_pk_add_f32 v[64:65], v[68:69], v[66:67]
	v_sub_f32_e32 v19, v19, v25
	v_sub_f32_e32 v21, v65, v67
	v_ldexp_f32 v19, v19, 1
	v_sub_f32_e32 v21, v69, v21
	v_add_f32_e32 v71, v19, v21
	v_mov_b32_e32 v70, v68
	v_pk_add_f32 v[68:69], v[64:65], v[68:69] neg_lo:[0,1] neg_hi:[0,1]
	v_pk_add_f32 v[72:73], v[64:65], v[70:71]
	v_mov_b32_e32 v69, v73
	v_mov_b32_e32 v67, v64
	v_pk_add_f32 v[74:75], v[66:67], v[68:69] neg_lo:[0,1] neg_hi:[0,1]
	v_pk_add_f32 v[66:67], v[66:67], v[68:69]
	v_mov_b32_e32 v36, v67
	v_pk_add_f32 v[68:69], v[36:37], v[64:65] neg_lo:[0,1] neg_hi:[0,1]
	v_mov_b32_e32 v19, v68
	v_pk_add_f32 v[76:77], v[72:73], v[18:19] neg_lo:[0,1] neg_hi:[0,1]
	v_mov_b32_e32 v66, v73
	v_mov_b32_e32 v72, v65
	;; [unrolled: 1-line block ×4, first 2 shown]
	v_pk_add_f32 v[66:67], v[66:67], v[72:73] neg_lo:[0,1] neg_hi:[0,1]
	v_mov_b32_e32 v68, v71
	v_mov_b32_e32 v69, v64
	v_pk_add_f32 v[64:65], v[68:69], v[66:67] neg_lo:[0,1] neg_hi:[0,1]
	v_mov_b32_e32 v76, v74
	v_pk_add_f32 v[66:67], v[76:77], v[64:65]
	v_mov_b32_e32 v68, v67
	v_pk_add_f32 v[68:69], v[66:67], v[68:69]
	v_pk_add_f32 v[70:71], v[36:37], v[68:69]
	v_mov_b32_e32 v67, v70
	v_pk_add_f32 v[72:73], v[66:67], v[74:75] neg_lo:[0,1] neg_hi:[0,1]
	v_mov_b32_e32 v65, v68
	v_sub_f32_e32 v19, v66, v72
	v_pk_add_f32 v[64:65], v[64:65], v[72:73] neg_lo:[0,1] neg_hi:[0,1]
	v_sub_f32_e32 v19, v74, v19
	v_add_f32_e32 v19, v64, v19
	v_add_f32_e32 v19, v19, v65
	v_add_f32_e32 v19, v70, v19
	v_cmp_eq_f32_e32 vcc, s73, v62
	v_cndmask_b32_e32 v19, v19, v62, vcc
	v_cmp_ngt_f32_e32 vcc, -1.0, v62
	v_cndmask_b32_e32 v19, v55, v19, vcc
	v_cmp_neq_f32_e32 vcc, -1.0, v62
	v_cndmask_b32_e32 v19, v56, v19, vcc
	v_cmp_lt_f32_e64 vcc, |v62|, s82
	v_cndmask_b32_e32 v19, v19, v62, vcc
.LBB44_430:                             ;   in Loop: Header=BB44_401 Depth=1
	s_andn2_saveexec_b64 s[56:57], s[56:57]
	s_cbranch_execz .LBB44_432
; %bb.431:                              ;   in Loop: Header=BB44_401 Depth=1
	v_sub_f32_e64 v19, 1.0, |v28|
	v_mul_f32_e32 v19, v19, v34
	v_mul_f32_e32 v21, 0x4f800000, v19
	v_cmp_gt_f32_e32 vcc, s75, v19
	v_cndmask_b32_e32 v19, v19, v21, vcc
	v_sqrt_f32_e32 v21, v19
	v_add_u32_e32 v25, -1, v21
	v_fma_f32 v62, -v25, v21, v19
	v_add_u32_e32 v36, 1, v21
	v_cmp_ge_f32_e64 s[18:19], 0, v62
	v_cndmask_b32_e64 v25, v21, v25, s[18:19]
	v_fma_f32 v21, -v36, v21, v19
	v_cmp_lt_f32_e64 s[18:19], 0, v21
	v_cndmask_b32_e64 v21, v25, v36, s[18:19]
	v_mul_f32_e32 v25, 0x37800000, v21
	v_cndmask_b32_e32 v21, v21, v25, vcc
	v_cmp_class_f32_e32 vcc, v19, v40
	v_cndmask_b32_e32 v19, v21, v19, vcc
	v_and_b32_e32 v21, 0x7fffffff, v29
	v_div_scale_f32 v25, s[18:19], v19, v19, v21
	v_rcp_f32_e32 v36, v25
	v_div_scale_f32 v21, vcc, v21, v19, v21
	v_fma_f32 v62, -v25, v36, 1.0
	v_fmac_f32_e32 v36, v62, v36
	v_mul_f32_e32 v62, v21, v36
	v_fma_f32 v63, -v25, v62, v21
	v_fmac_f32_e32 v62, v63, v36
	v_fma_f32 v21, -v25, v62, v21
	v_div_fmas_f32 v21, v21, v36, v62
	v_div_fixup_f32 v19, v21, v19, |v29|
.LBB44_432:                             ;   in Loop: Header=BB44_401 Depth=1
	s_or_b64 exec, exec, s[56:57]
.LBB44_433:                             ;   in Loop: Header=BB44_401 Depth=1
	s_or_b64 exec, exec, s[54:55]
.LBB44_434:                             ;   in Loop: Header=BB44_401 Depth=1
	s_andn2_saveexec_b64 s[52:53], s[52:53]
	s_cbranch_execz .LBB44_436
; %bb.435:                              ;   in Loop: Header=BB44_401 Depth=1
	v_mul_f32_e64 v19, |v29|, s76
	v_cmp_lt_f32_e64 vcc, |v29|, s75
	v_cndmask_b32_e64 v19, |v29|, v19, vcc
	v_sqrt_f32_e32 v21, v19
	v_add_u32_e32 v25, -1, v21
	v_fma_f32 v62, -v25, v21, v19
	v_add_u32_e32 v36, 1, v21
	v_cmp_ge_f32_e64 s[18:19], 0, v62
	v_cndmask_b32_e64 v25, v21, v25, s[18:19]
	v_fma_f32 v21, -v36, v21, v19
	v_cmp_lt_f32_e64 s[18:19], 0, v21
	v_cndmask_b32_e64 v21, v25, v36, s[18:19]
	v_mul_f32_e32 v25, 0x37800000, v21
	v_cndmask_b32_e32 v21, v21, v25, vcc
	v_cmp_class_f32_e32 vcc, v19, v40
	v_cndmask_b32_e32 v19, v21, v19, vcc
.LBB44_436:                             ;   in Loop: Header=BB44_401 Depth=1
	s_or_b64 exec, exec, s[52:53]
.LBB44_437:                             ;   in Loop: Header=BB44_401 Depth=1
	s_or_b64 exec, exec, s[50:51]
	v_cmp_nlt_f32_e64 s[50:51], |v28|, s83
                                        ; implicit-def: $sgpr18_sgpr19
                                        ; implicit-def: $vgpr36
                                        ; implicit-def: $vgpr21
	s_and_saveexec_b64 s[52:53], s[50:51]
	s_xor_b64 s[50:51], exec, s[52:53]
	s_cbranch_execz .LBB44_461
; %bb.438:                              ;   in Loop: Header=BB44_401 Depth=1
	v_div_scale_f32 v21, s[18:19], v24, v24, v32
	v_rcp_f32_e32 v25, v21
	v_div_scale_f32 v36, vcc, v32, v24, v32
	s_mov_b64 s[18:19], 0
	v_fma_f32 v62, -v21, v25, 1.0
	v_fmac_f32_e32 v25, v62, v25
	v_mul_f32_e32 v62, v36, v25
	v_fma_f32 v63, -v21, v62, v36
	v_fmac_f32_e32 v62, v63, v25
	v_fma_f32 v21, -v21, v62, v36
	v_div_fmas_f32 v21, v21, v25, v62
	v_div_fixup_f32 v21, v21, v24, |v28|
	v_cmp_lt_f32_e32 vcc, s84, v21
                                        ; implicit-def: $vgpr36
	s_and_saveexec_b64 s[52:53], vcc
	s_cbranch_execz .LBB44_460
; %bb.439:                              ;   in Loop: Header=BB44_401 Depth=1
	v_cmp_neq_f32_e64 s[18:19], |v28|, 1.0
	v_cmp_nlt_f32_e64 s[54:55], |v29|, s85
	s_or_b64 s[18:19], s[54:55], s[18:19]
                                        ; implicit-def: $sgpr56_sgpr57
                                        ; implicit-def: $vgpr36
	s_and_saveexec_b64 s[54:55], s[18:19]
	s_xor_b64 s[54:55], exec, s[54:55]
	s_cbranch_execz .LBB44_457
; %bb.440:                              ;   in Loop: Header=BB44_401 Depth=1
	v_mul_f32_e32 v25, 0x34000000, v61
	v_cmp_le_f32_e64 s[18:19], v25, |v29|
                                        ; implicit-def: $vgpr36
                                        ; implicit-def: $sgpr56_sgpr57
	s_and_saveexec_b64 s[58:59], s[18:19]
	s_xor_b64 s[58:59], exec, s[58:59]
	s_cbranch_execz .LBB44_450
; %bb.441:                              ;   in Loop: Header=BB44_401 Depth=1
	v_cmp_neq_f32_e32 vcc, 0, v34
	v_mov_b32_e32 v25, v37
	s_and_saveexec_b64 s[18:19], vcc
	s_cbranch_execz .LBB44_443
; %bb.442:                              ;   in Loop: Header=BB44_401 Depth=1
	v_mul_f32_e32 v25, v29, v29
	v_add_f32_e32 v28, v34, v60
	v_div_scale_f32 v34, s[56:57], v28, v28, v25
	v_rcp_f32_e32 v36, v34
	v_fma_f32 v60, -v34, v36, 1.0
	v_fmac_f32_e32 v36, v60, v36
	v_div_scale_f32 v60, vcc, v25, v28, v25
	v_mul_f32_e32 v61, v60, v36
	v_fma_f32 v62, -v34, v61, v60
	v_fmac_f32_e32 v61, v62, v36
	v_fma_f32 v34, -v34, v61, v60
	v_div_fmas_f32 v34, v34, v36, v61
	v_div_fixup_f32 v25, v34, v28, v25
.LBB44_443:                             ;   in Loop: Header=BB44_401 Depth=1
	s_or_b64 exec, exec, s[18:19]
	v_cmp_ngt_f32_e32 vcc, 0, v35
	s_and_saveexec_b64 s[18:19], vcc
	s_xor_b64 s[18:19], exec, s[18:19]
	s_cbranch_execz .LBB44_447
; %bb.444:                              ;   in Loop: Header=BB44_401 Depth=1
	v_cmp_neq_f32_e32 vcc, 0, v35
	s_and_saveexec_b64 s[56:57], vcc
	s_cbranch_execz .LBB44_446
; %bb.445:                              ;   in Loop: Header=BB44_401 Depth=1
	v_mul_f32_e32 v28, v29, v29
	v_add_f32_e32 v29, v35, v33
	v_div_scale_f32 v33, s[60:61], v29, v29, v28
	v_rcp_f32_e32 v34, v33
	v_fma_f32 v35, -v33, v34, 1.0
	v_fmac_f32_e32 v34, v35, v34
	v_div_scale_f32 v35, vcc, v28, v29, v28
	v_mul_f32_e32 v36, v35, v34
	v_fma_f32 v37, -v33, v36, v35
	v_fmac_f32_e32 v36, v37, v34
	v_fma_f32 v33, -v33, v36, v35
	v_div_fmas_f32 v33, v33, v34, v36
	v_div_fixup_f32 v37, v33, v29, v28
.LBB44_446:                             ;   in Loop: Header=BB44_401 Depth=1
	s_or_b64 exec, exec, s[56:57]
                                        ; implicit-def: $vgpr33
                                        ; implicit-def: $vgpr34_vgpr35
.LBB44_447:                             ;   in Loop: Header=BB44_401 Depth=1
	s_andn2_saveexec_b64 s[18:19], s[18:19]
; %bb.448:                              ;   in Loop: Header=BB44_401 Depth=1
	v_sub_f32_e32 v37, v33, v35
; %bb.449:                              ;   in Loop: Header=BB44_401 Depth=1
	s_or_b64 exec, exec, s[18:19]
	v_mul_f32_e32 v33, 0.5, v25
	v_mul_f32_e32 v25, 0.5, v37
	v_pk_add_f32 v[24:25], v[32:33], v[24:25]
	v_mul_f32_e32 v24, v24, v25
	v_mul_f32_e32 v25, 0x4f800000, v24
	v_cmp_gt_f32_e32 vcc, s75, v24
	v_cndmask_b32_e32 v24, v24, v25, vcc
	v_sqrt_f32_e32 v25, v24
	s_mov_b64 s[56:57], -1
                                        ; implicit-def: $vgpr34_vgpr35
	v_add_u32_e32 v28, -1, v25
	v_fma_f32 v29, -v28, v25, v24
	v_cmp_ge_f32_e64 s[18:19], 0, v29
	v_add_u32_e32 v29, 1, v25
	v_cndmask_b32_e64 v28, v25, v28, s[18:19]
	v_fma_f32 v25, -v29, v25, v24
	v_cmp_lt_f32_e64 s[18:19], 0, v25
	v_cndmask_b32_e64 v25, v28, v29, s[18:19]
	v_mul_f32_e32 v28, 0x37800000, v25
	v_cndmask_b32_e32 v25, v25, v28, vcc
	v_cmp_class_f32_e32 vcc, v24, v40
	v_cndmask_b32_e32 v36, v25, v24, vcc
                                        ; implicit-def: $vgpr29
.LBB44_450:                             ;   in Loop: Header=BB44_401 Depth=1
	s_andn2_saveexec_b64 s[58:59], s[58:59]
	s_cbranch_execz .LBB44_456
; %bb.451:                              ;   in Loop: Header=BB44_401 Depth=1
	v_cmp_ngt_f32_e64 s[18:19], |v28|, 1.0
                                        ; implicit-def: $vgpr36
                                        ; implicit-def: $sgpr60_sgpr61
	s_and_saveexec_b64 s[62:63], s[18:19]
	s_xor_b64 s[62:63], exec, s[62:63]
	s_cbranch_execz .LBB44_453
; %bb.452:                              ;   in Loop: Header=BB44_401 Depth=1
	v_sub_f32_e64 v24, 1.0, |v28|
	v_mul_f32_e32 v24, v24, v34
	v_mul_f32_e32 v25, 0x4f800000, v24
	v_cmp_gt_f32_e32 vcc, s75, v24
	v_cndmask_b32_e32 v24, v24, v25, vcc
	v_sqrt_f32_e32 v25, v24
	s_mov_b64 s[60:61], -1
                                        ; implicit-def: $vgpr34_vgpr35
	v_add_u32_e32 v28, -1, v25
	v_fma_f32 v33, -v28, v25, v24
	v_add_u32_e32 v29, 1, v25
	v_cmp_ge_f32_e64 s[18:19], 0, v33
	v_cndmask_b32_e64 v28, v25, v28, s[18:19]
	v_fma_f32 v25, -v29, v25, v24
	v_cmp_lt_f32_e64 s[18:19], 0, v25
	v_cndmask_b32_e64 v25, v28, v29, s[18:19]
	v_mul_f32_e32 v28, 0x37800000, v25
	v_cndmask_b32_e32 v25, v25, v28, vcc
	v_cmp_class_f32_e32 vcc, v24, v40
	v_cndmask_b32_e32 v36, v25, v24, vcc
                                        ; implicit-def: $vgpr29
.LBB44_453:                             ;   in Loop: Header=BB44_401 Depth=1
	s_andn2_saveexec_b64 s[62:63], s[62:63]
	s_cbranch_execz .LBB44_455
; %bb.454:                              ;   in Loop: Header=BB44_401 Depth=1
	v_mul_f32_e32 v24, v34, v35
	v_mul_f32_e32 v25, 0x4f800000, v24
	v_cmp_gt_f32_e32 vcc, s75, v24
	v_cndmask_b32_e32 v24, v24, v25, vcc
	v_sqrt_f32_e32 v25, v24
	v_mul_f32_e64 v29, |v29|, s86
	v_mul_f32_e64 v29, |v28|, v29
	s_or_b64 s[60:61], s[60:61], exec
	v_add_u32_e32 v32, -1, v25
	v_fma_f32 v33, -v32, v25, v24
	v_cmp_ge_f32_e64 s[18:19], 0, v33
	v_add_u32_e32 v33, 1, v25
	v_cndmask_b32_e64 v32, v25, v32, s[18:19]
	v_fma_f32 v25, -v33, v25, v24
	v_cmp_lt_f32_e64 s[18:19], 0, v25
	v_cndmask_b32_e64 v25, v32, v33, s[18:19]
	v_mul_f32_e32 v32, 0x37800000, v25
	v_cndmask_b32_e32 v25, v25, v32, vcc
	v_cmp_class_f32_e32 vcc, v24, v40
	v_cndmask_b32_e32 v24, v25, v24, vcc
	v_div_scale_f32 v25, s[18:19], v24, v24, v29
	v_rcp_f32_e32 v32, v25
	v_fma_f32 v33, -v25, v32, 1.0
	v_fmac_f32_e32 v32, v33, v32
	v_div_scale_f32 v33, vcc, v29, v24, v29
	v_mul_f32_e32 v34, v33, v32
	v_fma_f32 v35, -v25, v34, v33
	v_fmac_f32_e32 v34, v35, v32
	v_fma_f32 v25, -v25, v34, v33
	v_div_fmas_f32 v25, v25, v32, v34
	v_div_fixup_f32 v36, v25, v24, v29
	v_mul_f32_e64 v32, |v28|, s86
.LBB44_455:                             ;   in Loop: Header=BB44_401 Depth=1
	s_or_b64 exec, exec, s[62:63]
	s_andn2_b64 s[18:19], s[56:57], exec
	s_and_b64 s[56:57], s[60:61], exec
	s_or_b64 s[56:57], s[18:19], s[56:57]
.LBB44_456:                             ;   in Loop: Header=BB44_401 Depth=1
	s_or_b64 exec, exec, s[58:59]
	s_and_b64 s[56:57], s[56:57], exec
                                        ; implicit-def: $vgpr29
                                        ; implicit-def: $vgpr24
.LBB44_457:                             ;   in Loop: Header=BB44_401 Depth=1
	s_andn2_saveexec_b64 s[54:55], s[54:55]
	s_cbranch_execz .LBB44_459
; %bb.458:                              ;   in Loop: Header=BB44_401 Depth=1
	v_mul_f32_e64 v25, |v29|, s76
	v_cmp_lt_f32_e64 vcc, |v29|, s75
	v_cndmask_b32_e64 v25, |v29|, v25, vcc
	v_sqrt_f32_e32 v28, v25
	v_add_f32_e32 v24, 1.0, v24
	v_mul_f32_e32 v24, 0.5, v24
	s_or_b64 s[56:57], s[56:57], exec
	v_add_u32_e32 v29, -1, v28
	v_fma_f32 v33, -v29, v28, v25
	v_add_u32_e32 v32, 1, v28
	v_cmp_ge_f32_e64 s[18:19], 0, v33
	v_cndmask_b32_e64 v29, v28, v29, s[18:19]
	v_fma_f32 v28, -v32, v28, v25
	v_cmp_lt_f32_e64 s[18:19], 0, v28
	v_cndmask_b32_e64 v28, v29, v32, s[18:19]
	v_mul_f32_e32 v32, 0x4f800000, v24
	v_cmp_gt_f32_e64 s[18:19], s75, v24
	v_cndmask_b32_e64 v24, v24, v32, s[18:19]
	v_sqrt_f32_e32 v32, v24
	v_mul_f32_e32 v29, 0x37800000, v28
	v_cndmask_b32_e32 v28, v28, v29, vcc
	v_cmp_class_f32_e32 vcc, v25, v40
	v_cndmask_b32_e32 v25, v28, v25, vcc
	v_add_u32_e32 v28, -1, v32
	v_fma_f32 v29, -v28, v32, v24
	v_cmp_ge_f32_e32 vcc, 0, v29
	v_add_u32_e32 v29, 1, v32
	v_cndmask_b32_e32 v28, v32, v28, vcc
	v_fma_f32 v32, -v29, v32, v24
	v_cmp_lt_f32_e32 vcc, 0, v32
	v_cndmask_b32_e32 v28, v28, v29, vcc
	v_mul_f32_e32 v29, 0x37800000, v28
	v_cndmask_b32_e64 v28, v28, v29, s[18:19]
	v_cmp_class_f32_e32 vcc, v24, v40
	v_cndmask_b32_e32 v24, v28, v24, vcc
	v_mul_f32_e32 v36, v25, v24
	v_mov_b32_e32 v32, 1.0
.LBB44_459:                             ;   in Loop: Header=BB44_401 Depth=1
	s_or_b64 exec, exec, s[54:55]
	s_and_b64 s[18:19], s[56:57], exec
.LBB44_460:                             ;   in Loop: Header=BB44_401 Depth=1
	s_or_b64 exec, exec, s[52:53]
	s_and_b64 s[18:19], s[18:19], exec
                                        ; implicit-def: $vgpr24
.LBB44_461:                             ;   in Loop: Header=BB44_401 Depth=1
	s_andn2_saveexec_b64 s[50:51], s[50:51]
; %bb.462:                              ;   in Loop: Header=BB44_401 Depth=1
	v_mov_b32_e32 v25, v32
	v_pk_mul_f32 v[36:37], v[24:25], s[38:39] op_sel_hi:[1,0]
	s_or_b64 s[18:19], s[18:19], exec
	v_mov_b32_e32 v32, v37
                                        ; implicit-def: $vgpr21
; %bb.463:                              ;   in Loop: Header=BB44_401 Depth=1
	s_or_b64 exec, exec, s[50:51]
	s_xor_b64 s[18:19], s[18:19], -1
                                        ; implicit-def: $vgpr24
	s_and_saveexec_b64 s[50:51], s[18:19]
	s_xor_b64 s[50:51], exec, s[50:51]
	s_cbranch_execz .LBB44_469
; %bb.464:                              ;   in Loop: Header=BB44_401 Depth=1
                                        ; implicit-def: $vgpr24
	s_and_saveexec_b64 s[18:19], s[16:17]
	s_xor_b64 s[18:19], exec, s[18:19]
	s_cbranch_execz .LBB44_466
; %bb.465:                              ;   in Loop: Header=BB44_401 Depth=1
	v_fma_f32 v24, |v21|, -0.5, 0.5
	v_mul_f32_e32 v25, v21, v21
	v_cmp_gt_f32_e64 vcc, |v21|, 0.5
	v_cndmask_b32_e32 v24, v25, v24, vcc
	v_mov_b32_e32 v25, 0x3c5fc5da
	v_fmac_f32_e32 v25, 0x3d1c21a7, v24
	v_fma_f32 v25, v24, v25, v42
	v_fma_f32 v25, v24, v25, v43
	v_sqrt_f32_e32 v28, v24
	v_fma_f32 v25, v24, v25, v44
	v_fma_f32 v25, v24, v25, v45
	v_mul_f32_e32 v24, v24, v25
	v_fmac_f32_e32 v28, v28, v24
	v_fmac_f32_e32 v21, v21, v24
	v_add_f32_e32 v25, v28, v28
	v_sub_f32_e32 v21, 0x3fc90fdb, v21
	v_cndmask_b32_e32 v24, v21, v25, vcc
                                        ; implicit-def: $vgpr21
.LBB44_466:                             ;   in Loop: Header=BB44_401 Depth=1
	s_andn2_saveexec_b64 s[52:53], s[18:19]
	s_cbranch_execz .LBB44_468
; %bb.467:                              ;   in Loop: Header=BB44_401 Depth=1
	v_fma_f32 v24, |v21|, -0.5, 0.5
	v_mul_f32_e32 v25, v21, v21
	v_cmp_gt_f32_e64 vcc, |v21|, 0.5
	v_cndmask_b32_e32 v24, v25, v24, vcc
	v_mov_b32_e32 v25, 0x3c5fc5da
	v_fmac_f32_e32 v25, 0x3d1c21a7, v24
	v_fma_f32 v25, v24, v25, v42
	v_fma_f32 v25, v24, v25, v43
	v_sqrt_f32_e32 v28, v24
	v_fma_f32 v25, v24, v25, v44
	v_fma_f32 v25, v24, v25, v45
	v_mul_f32_e32 v24, v24, v25
	v_fmac_f32_e32 v28, v28, v24
	v_add_f32_e32 v25, v28, v28
	v_sub_f32_e32 v28, 0x40490fdb, v25
	v_cmp_lt_f32_e64 s[18:19], 0, v21
	v_fma_f32 v21, -v21, v24, -v21
	v_cndmask_b32_e64 v25, v25, v28, s[18:19]
	v_sub_f32_e32 v21, 0x3fc90fdb, v21
	v_cndmask_b32_e32 v24, v21, v25, vcc
.LBB44_468:                             ;   in Loop: Header=BB44_401 Depth=1
	s_or_b64 exec, exec, s[52:53]
                                        ; implicit-def: $vgpr36
                                        ; implicit-def: $vgpr32
.LBB44_469:                             ;   in Loop: Header=BB44_401 Depth=1
	s_andn2_saveexec_b64 s[18:19], s[50:51]
	s_cbranch_execz .LBB44_475
; %bb.470:                              ;   in Loop: Header=BB44_401 Depth=1
                                        ; implicit-def: $vgpr24
	s_and_saveexec_b64 s[50:51], s[16:17]
	s_xor_b64 s[16:17], exec, s[50:51]
	s_cbranch_execz .LBB44_472
; %bb.471:                              ;   in Loop: Header=BB44_401 Depth=1
	v_max_f32_e64 v21, |v36|, |v36|
	v_max_f32_e32 v24, v32, v32
	v_min_f32_e32 v25, v24, v21
	v_max_f32_e32 v21, v24, v21
	v_frexp_mant_f32_e32 v24, v21
	v_rcp_f32_e32 v24, v24
	v_frexp_exp_i32_f32_e32 v21, v21
	v_frexp_exp_i32_f32_e32 v28, v25
	v_frexp_mant_f32_e32 v25, v25
	v_mul_f32_e32 v24, v25, v24
	v_sub_u32_e32 v21, v28, v21
	v_ldexp_f32 v21, v24, v21
	v_mul_f32_e32 v24, v21, v21
	v_mov_b32_e32 v25, 0xbc7a590c
	v_fmac_f32_e32 v25, 0x3b2d2a58, v24
	v_fma_f32 v25, v24, v25, v46
	v_fma_f32 v25, v24, v25, v47
	;; [unrolled: 1-line block ×6, first 2 shown]
	v_mul_f32_e32 v24, v24, v25
	v_fmac_f32_e32 v21, v21, v24
	v_sub_f32_e32 v24, 0x3fc90fdb, v21
	v_cmp_gt_f32_e64 vcc, |v36|, v32
	v_cndmask_b32_e32 v21, v21, v24, vcc
	v_cmp_neq_f32_e32 vcc, 0, v36
	v_cndmask_b32_e32 v21, 0, v21, vcc
	v_cmp_eq_f32_e32 vcc, s73, v32
	v_cmp_class_f32_e64 s[50:51], v36, s87
	s_and_b64 vcc, vcc, s[50:51]
	v_cndmask_b32_e32 v21, v21, v57, vcc
	v_cmp_o_f32_e32 vcc, v32, v36
	v_cndmask_b32_e32 v21, v55, v21, vcc
	v_bfi_b32 v24, s72, v21, v36
                                        ; implicit-def: $vgpr36
                                        ; implicit-def: $vgpr32
.LBB44_472:                             ;   in Loop: Header=BB44_401 Depth=1
	s_andn2_saveexec_b64 s[50:51], s[16:17]
	s_cbranch_execz .LBB44_474
; %bb.473:                              ;   in Loop: Header=BB44_401 Depth=1
	v_max_f32_e64 v21, |v36|, |v36|
	v_max_f32_e32 v24, v32, v32
	v_min_f32_e32 v25, v24, v21
	v_max_f32_e32 v21, v24, v21
	v_frexp_mant_f32_e32 v24, v21
	v_rcp_f32_e32 v24, v24
	v_frexp_exp_i32_f32_e32 v21, v21
	v_frexp_exp_i32_f32_e32 v28, v25
	v_frexp_mant_f32_e32 v25, v25
	v_mul_f32_e32 v24, v25, v24
	v_sub_u32_e32 v21, v28, v21
	v_ldexp_f32 v21, v24, v21
	v_mul_f32_e32 v24, v21, v21
	v_mov_b32_e32 v25, 0xbc7a590c
	v_fmac_f32_e32 v25, 0x3b2d2a58, v24
	v_fma_f32 v25, v24, v25, v46
	v_fma_f32 v25, v24, v25, v47
	;; [unrolled: 1-line block ×6, first 2 shown]
	v_mul_f32_e32 v24, v24, v25
	v_fmac_f32_e32 v21, v21, v24
	v_sub_f32_e32 v24, 0x3fc90fdb, v21
	v_cmp_gt_f32_e64 vcc, |v36|, v32
	v_cndmask_b32_e32 v21, v21, v24, vcc
	v_sub_f32_e32 v24, 0x40490fdb, v21
	v_cmp_lt_f32_e32 vcc, 0, v32
	v_cndmask_b32_e32 v21, v21, v24, vcc
	v_cmp_neq_f32_e64 s[16:17], 0, v36
	v_cndmask_b32_e64 v21, v58, v21, s[16:17]
	v_cndmask_b32_e32 v24, v57, v59, vcc
	v_cmp_eq_f32_e32 vcc, s73, v32
	v_cmp_class_f32_e64 s[16:17], v36, s87
	s_and_b64 vcc, vcc, s[16:17]
	v_cndmask_b32_e32 v21, v21, v24, vcc
	v_cmp_o_f32_e64 vcc, v36, -v32
	v_cndmask_b32_e32 v21, v55, v21, vcc
	v_bfi_b32 v24, s72, v21, v36
.LBB44_474:                             ;   in Loop: Header=BB44_401 Depth=1
	s_or_b64 exec, exec, s[50:51]
.LBB44_475:                             ;   in Loop: Header=BB44_401 Depth=1
	s_or_b64 exec, exec, s[18:19]
	v_cndmask_b32_e64 v25, -v19, v19, s[12:13]
                                        ; implicit-def: $vgpr28
.LBB44_476:                             ;   in Loop: Header=BB44_401 Depth=1
	s_andn2_saveexec_b64 s[16:17], s[48:49]
	s_cbranch_execz .LBB44_478
; %bb.477:                              ;   in Loop: Header=BB44_401 Depth=1
	v_pk_mov_b32 v[24:25], s[28:29], s[28:29] op_sel:[0,1]
	flat_load_dword v19, v[24:25] glc
	s_waitcnt vmcnt(0)
	v_xor_b32_e32 v25, 0x80000000, v29
	s_waitcnt lgkmcnt(0)
	v_sub_f32_e32 v19, v19, v28
	v_add_f32_e32 v24, 0x3fc90fdb, v19
.LBB44_478:                             ;   in Loop: Header=BB44_401 Depth=1
	s_or_b64 exec, exec, s[16:17]
                                        ; implicit-def: $vgpr29
.LBB44_479:                             ;   in Loop: Header=BB44_401 Depth=1
	s_andn2_saveexec_b64 s[16:17], s[46:47]
; %bb.480:                              ;   in Loop: Header=BB44_401 Depth=1
	v_xor_b32_e32 v25, 0x80000000, v29
	v_mov_b32_e32 v24, 0
; %bb.481:                              ;   in Loop: Header=BB44_401 Depth=1
	s_or_b64 exec, exec, s[16:17]
                                        ; implicit-def: $vgpr28
                                        ; implicit-def: $vgpr32
                                        ; implicit-def: $vgpr19
                                        ; implicit-def: $vgpr21
.LBB44_482:                             ;   in Loop: Header=BB44_401 Depth=1
	s_andn2_saveexec_b64 s[44:45], s[44:45]
	s_cbranch_execz .LBB44_492
; %bb.483:                              ;   in Loop: Header=BB44_401 Depth=1
	v_cmp_lt_f32_e64 s[16:17], |v28|, |v29|
	v_cndmask_b32_e64 v33, |v28|, |v29|, s[16:17]
	v_cmp_nlt_f32_e32 vcc, s88, v33
                                        ; implicit-def: $vgpr25
                                        ; implicit-def: $vgpr24
	s_and_saveexec_b64 s[18:19], vcc
	s_xor_b64 s[46:47], exec, s[18:19]
	s_cbranch_execz .LBB44_489
; %bb.484:                              ;   in Loop: Header=BB44_401 Depth=1
	v_cndmask_b32_e64 v34, |v29|, |v28|, s[16:17]
	v_cmp_nlt_f32_e32 vcc, s89, v33
	v_cmp_ngt_f32_e64 s[18:19], s90, v34
	s_and_b64 s[18:19], vcc, s[18:19]
                                        ; implicit-def: $vgpr25
                                        ; implicit-def: $vgpr24
	s_and_saveexec_b64 s[48:49], s[18:19]
	s_xor_b64 s[18:19], exec, s[48:49]
	s_cbranch_execz .LBB44_486
; %bb.485:                              ;   in Loop: Header=BB44_401 Depth=1
	v_mul_f32_e32 v24, v34, v34
	v_fmac_f32_e32 v24, v33, v33
	v_cmp_gt_f32_e32 vcc, s77, v24
	v_cndmask_b32_e32 v25, 1.0, v53, vcc
	v_mul_f32_e32 v24, v24, v25
	v_log_f32_e32 v24, v24
	v_cndmask_b32_e32 v25, 0, v54, vcc
	v_min_f32_e32 v19, v32, v19
	v_frexp_exp_i32_f32_e32 v32, v19
	v_mul_f32_e32 v33, 0x3f317217, v24
	v_fma_f32 v34, v24, s78, -v33
	v_fmac_f32_e32 v34, 0x3377d1cf, v24
	v_add_f32_e32 v33, v33, v34
	v_cmp_lt_f32_e64 vcc, |v24|, s73
	v_cndmask_b32_e32 v24, v24, v33, vcc
	v_sub_f32_e32 v24, v24, v25
	v_mul_f32_e32 v25, 0.5, v24
	s_waitcnt vmcnt(0) lgkmcnt(0)
	v_frexp_mant_f32_e32 v24, v21
	v_rcp_f32_e32 v24, v24
	v_frexp_exp_i32_f32_e32 v21, v21
	v_frexp_mant_f32_e32 v19, v19
	v_sub_u32_e32 v21, v32, v21
	v_mul_f32_e32 v19, v19, v24
	v_ldexp_f32 v24, v19, v21
	v_mul_f32_e32 v19, v24, v24
	v_mov_b32_e32 v21, 0xbc7a590c
	v_fmac_f32_e32 v21, 0x3b2d2a58, v19
	v_fma_f32 v21, v19, v21, v46
	v_fma_f32 v21, v19, v21, v47
	;; [unrolled: 1-line block ×6, first 2 shown]
	v_mul_f32_e32 v19, v19, v21
	v_fmac_f32_e32 v24, v24, v19
                                        ; implicit-def: $vgpr21
                                        ; implicit-def: $vgpr32
                                        ; implicit-def: $vgpr19
.LBB44_486:                             ;   in Loop: Header=BB44_401 Depth=1
	s_andn2_saveexec_b64 s[18:19], s[18:19]
	s_cbranch_execz .LBB44_488
; %bb.487:                              ;   in Loop: Header=BB44_401 Depth=1
	s_waitcnt vmcnt(0) lgkmcnt(0)
	v_cvt_f64_f32_e32 v[24:25], v21
	v_frexp_exp_i32_f64_e32 v24, v[24:25]
	v_sub_u32_e32 v25, 0, v24
	v_ldexp_f32 v33, |v28|, v25
	v_ldexp_f32 v25, |v29|, v25
	v_mul_f32_e32 v25, v25, v25
	v_fmac_f32_e32 v25, v33, v33
	v_sqrt_f32_e32 v25, v25
	v_cmp_neq_f32_e32 vcc, s73, v21
	v_min_f32_e32 v19, v32, v19
	v_ldexp_f32 v24, v25, v24
	v_cndmask_b32_e32 v24, v52, v24, vcc
	v_cmp_gt_f32_e32 vcc, s77, v24
	v_cndmask_b32_e32 v25, 1.0, v53, vcc
	v_mul_f32_e32 v24, v24, v25
	v_log_f32_e32 v24, v24
	v_cndmask_b32_e32 v25, 0, v54, vcc
	v_mul_f32_e32 v32, 0x3f317217, v24
	v_fma_f32 v33, v24, s78, -v32
	v_fmac_f32_e32 v33, 0x3377d1cf, v24
	v_add_f32_e32 v32, v32, v33
	v_cmp_lt_f32_e64 vcc, |v24|, s73
	v_cndmask_b32_e32 v24, v24, v32, vcc
	v_sub_f32_e32 v25, v24, v25
	v_frexp_mant_f32_e32 v24, v21
	v_rcp_f32_e32 v24, v24
	v_frexp_exp_i32_f32_e32 v21, v21
	v_frexp_exp_i32_f32_e32 v32, v19
	v_frexp_mant_f32_e32 v19, v19
	v_mul_f32_e32 v19, v19, v24
	v_sub_u32_e32 v21, v32, v21
	v_ldexp_f32 v24, v19, v21
	v_mul_f32_e32 v19, v24, v24
	v_mov_b32_e32 v21, 0xbc7a590c
	v_fmac_f32_e32 v21, 0x3b2d2a58, v19
	v_fma_f32 v21, v19, v21, v46
	v_fma_f32 v21, v19, v21, v47
	;; [unrolled: 1-line block ×6, first 2 shown]
	v_mul_f32_e32 v19, v19, v21
	v_fmac_f32_e32 v24, v24, v19
.LBB44_488:                             ;   in Loop: Header=BB44_401 Depth=1
	s_or_b64 exec, exec, s[18:19]
                                        ; implicit-def: $vgpr32
                                        ; implicit-def: $vgpr19
                                        ; implicit-def: $vgpr21
.LBB44_489:                             ;   in Loop: Header=BB44_401 Depth=1
	s_andn2_saveexec_b64 s[46:47], s[46:47]
	s_cbranch_execz .LBB44_491
; %bb.490:                              ;   in Loop: Header=BB44_401 Depth=1
	v_div_scale_f32 v24, s[18:19], s91, s91, v28
	v_rcp_f32_e32 v25, v24
	v_div_scale_f32 v33, vcc, v28, s91, v28
	v_min_f32_e32 v19, v32, v19
	v_fma_f32 v34, -v24, v25, 1.0
	v_fmac_f32_e32 v25, v34, v25
	v_mul_f32_e32 v34, v33, v25
	v_fma_f32 v35, -v24, v34, v33
	v_fmac_f32_e32 v34, v35, v25
	v_fma_f32 v24, -v24, v34, v33
	v_div_scale_f32 v33, s[18:19], s91, s91, v29
	v_rcp_f32_e32 v35, v33
	v_div_fmas_f32 v24, v24, v25, v34
	v_div_fixup_f32 v34, v24, s91, v28
	v_frexp_exp_i32_f32_e32 v32, v19
	v_fma_f32 v24, -v33, v35, 1.0
	v_fmac_f32_e32 v35, v24, v35
	v_div_scale_f32 v24, vcc, v29, s91, v29
	v_mul_f32_e32 v25, v24, v35
	v_fma_f32 v36, -v33, v25, v24
	v_fmac_f32_e32 v25, v36, v35
	v_fma_f32 v24, -v33, v25, v24
	v_div_fmas_f32 v24, v24, v35, v25
	v_div_fixup_f32 v33, v24, s91, v29
	v_max_f32_e64 v35, |v34|, |v33|
	v_cvt_f64_f32_e32 v[24:25], v35
	v_frexp_exp_i32_f64_e32 v24, v[24:25]
	v_sub_u32_e32 v25, 0, v24
	v_ldexp_f32 v34, |v34|, v25
	v_ldexp_f32 v25, |v33|, v25
	v_mul_f32_e32 v25, v25, v25
	v_fmac_f32_e32 v25, v34, v34
	v_sqrt_f32_e32 v25, v25
	v_cmp_neq_f32_e32 vcc, s73, v35
	v_frexp_mant_f32_e32 v19, v19
	v_ldexp_f32 v24, v25, v24
	v_cndmask_b32_e32 v24, v52, v24, vcc
	v_cmp_gt_f32_e32 vcc, s77, v24
	v_cndmask_b32_e32 v25, 1.0, v53, vcc
	v_mul_f32_e32 v24, v24, v25
	v_log_f32_e32 v24, v24
	v_mul_f32_e32 v25, 0x3f317217, v24
	v_fma_f32 v33, v24, s78, -v25
	v_fmac_f32_e32 v33, 0x3377d1cf, v24
	v_add_f32_e32 v25, v25, v33
	v_cmp_lt_f32_e64 s[18:19], |v24|, s73
	v_cndmask_b32_e64 v24, v24, v25, s[18:19]
	v_cndmask_b32_e32 v25, 0, v54, vcc
	v_sub_f32_e32 v24, v24, v25
	v_add_f32_e32 v25, 1.0, v24
	s_waitcnt vmcnt(0) lgkmcnt(0)
	v_frexp_mant_f32_e32 v24, v21
	v_rcp_f32_e32 v24, v24
	v_frexp_exp_i32_f32_e32 v21, v21
	v_sub_u32_e32 v21, v32, v21
	v_mul_f32_e32 v19, v19, v24
	v_ldexp_f32 v24, v19, v21
	v_mul_f32_e32 v19, v24, v24
	v_mov_b32_e32 v21, 0xbc7a590c
	v_fmac_f32_e32 v21, 0x3b2d2a58, v19
	v_fma_f32 v21, v19, v21, v46
	v_fma_f32 v21, v19, v21, v47
	;; [unrolled: 1-line block ×6, first 2 shown]
	v_mul_f32_e32 v19, v19, v21
	v_fmac_f32_e32 v24, v24, v19
.LBB44_491:                             ;   in Loop: Header=BB44_401 Depth=1
	s_or_b64 exec, exec, s[46:47]
	v_sub_f32_e32 v19, 0x3fc90fdb, v24
	v_cndmask_b32_e64 v19, v24, v19, s[16:17]
	s_waitcnt vmcnt(0) lgkmcnt(0)
	v_sub_f32_e32 v21, 0x40490fdb, v19
	v_cmp_gt_f32_e32 vcc, 0, v28
	v_cndmask_b32_e32 v19, v19, v21, vcc
	v_cndmask_b32_e64 v21, 0, v58, s[14:15]
	v_cmp_eq_f32_e64 s[14:15], 0, v29
	v_cndmask_b32_e64 v19, v19, v21, s[14:15]
	v_cmp_class_f32_e64 s[14:15], v28, s87
	v_cmp_class_f32_e64 s[16:17], v29, s87
	v_cndmask_b32_e32 v21, v57, v59, vcc
	s_and_b64 vcc, s[16:17], s[14:15]
	v_cndmask_b32_e32 v19, v19, v21, vcc
	v_cmp_o_f32_e32 vcc, v28, v29
	v_cndmask_b32_e64 v24, v55, |v19|, vcc
	v_add_f32_e32 v19, 0x3f317218, v25
	v_cndmask_b32_e64 v25, -v19, v19, s[12:13]
.LBB44_492:                             ;   in Loop: Header=BB44_401 Depth=1
	s_or_b64 exec, exec, s[44:45]
                                        ; implicit-def: $vgpr29
.LBB44_493:                             ;   in Loop: Header=BB44_401 Depth=1
	s_andn2_saveexec_b64 s[12:13], s[42:43]
	s_cbranch_execz .LBB44_507
; %bb.494:                              ;   in Loop: Header=BB44_401 Depth=1
	v_cmp_neq_f32_e64 s[14:15], |v28|, s73
                                        ; implicit-def: $vgpr25
	s_and_saveexec_b64 s[16:17], s[14:15]
	s_xor_b64 s[14:15], exec, s[16:17]
	s_cbranch_execz .LBB44_504
; %bb.495:                              ;   in Loop: Header=BB44_401 Depth=1
	v_cmp_neq_f32_e64 s[16:17], |v29|, s73
                                        ; implicit-def: $vgpr25
	s_and_saveexec_b64 s[18:19], s[16:17]
	s_xor_b64 s[16:17], exec, s[18:19]
	s_cbranch_execz .LBB44_501
; %bb.496:                              ;   in Loop: Header=BB44_401 Depth=1
	v_cmp_neq_f32_e32 vcc, 0, v28
                                        ; implicit-def: $vgpr25
	s_and_saveexec_b64 s[18:19], vcc
	s_xor_b64 s[18:19], exec, s[18:19]
; %bb.497:                              ;   in Loop: Header=BB44_401 Depth=1
	v_add_f32_e32 v19, 0, v29
	v_add_f32_e32 v25, v19, v28
                                        ; implicit-def: $vgpr29
; %bb.498:                              ;   in Loop: Header=BB44_401 Depth=1
	s_or_saveexec_b64 s[18:19], s[18:19]
	v_mov_b32_e32 v24, v25
	s_xor_b64 exec, exec, s[18:19]
	s_cbranch_execz .LBB44_500
; %bb.499:                              ;   in Loop: Header=BB44_401 Depth=1
	v_pk_mov_b32 v[24:25], s[28:29], s[28:29] op_sel:[0,1]
	flat_load_dword v19, v[24:25] glc
	s_waitcnt vmcnt(0)
	v_add_f32_e32 v25, v29, v29
	s_waitcnt lgkmcnt(0)
	v_add_f32_e32 v24, 0x3fc90fdb, v19
.LBB44_500:                             ;   in Loop: Header=BB44_401 Depth=1
	s_or_b64 exec, exec, s[18:19]
                                        ; implicit-def: $vgpr28
.LBB44_501:                             ;   in Loop: Header=BB44_401 Depth=1
	s_andn2_saveexec_b64 s[16:17], s[16:17]
; %bb.502:                              ;   in Loop: Header=BB44_401 Depth=1
	v_add_f32_e32 v24, v28, v28
	v_xor_b32_e32 v25, 0x80000000, v29
; %bb.503:                              ;   in Loop: Header=BB44_401 Depth=1
	s_or_b64 exec, exec, s[16:17]
                                        ; implicit-def: $vgpr29
.LBB44_504:                             ;   in Loop: Header=BB44_401 Depth=1
	s_andn2_saveexec_b64 s[14:15], s[14:15]
; %bb.505:                              ;   in Loop: Header=BB44_401 Depth=1
	v_add_f32_e32 v24, v29, v29
	v_mov_b32_e32 v25, 0xff800000
; %bb.506:                              ;   in Loop: Header=BB44_401 Depth=1
	s_or_b64 exec, exec, s[14:15]
.LBB44_507:                             ;   in Loop: Header=BB44_401 Depth=1
	s_or_b64 exec, exec, s[12:13]
	v_cmp_o_f32_e32 vcc, v30, v30
	v_cmp_o_f32_e64 s[12:13], v31, v31
	v_pk_mov_b32 v[28:29], s[28:29], s[28:29] op_sel:[0,1]
	s_and_b64 s[12:13], vcc, s[12:13]
	flat_store_dword v[28:29], v38
	s_waitcnt vmcnt(0)
                                        ; implicit-def: $vgpr29
	s_and_saveexec_b64 s[14:15], s[12:13]
	s_xor_b64 s[42:43], exec, s[14:15]
	s_cbranch_execz .LBB44_591
; %bb.508:                              ;   in Loop: Header=BB44_401 Depth=1
	v_max_f32_e64 v32, |v30|, |v30|
	v_max_f32_e64 v19, |v31|, |v31|
	s_waitcnt vmcnt(0) lgkmcnt(0)
	v_max_f32_e32 v21, v19, v32
	v_cmp_gt_i32_e64 s[14:15], 0, v30
	v_cmp_lt_i32_e64 s[16:17], -1, v30
	v_cmp_gt_i32_e64 s[12:13], 0, v31
	v_cmp_nlt_f32_e32 vcc, s70, v21
                                        ; implicit-def: $vgpr29
	s_and_saveexec_b64 s[18:19], vcc
	s_xor_b64 s[44:45], exec, s[18:19]
	s_cbranch_execz .LBB44_580
; %bb.509:                              ;   in Loop: Header=BB44_401 Depth=1
	v_cmp_neq_f32_e32 vcc, 1.0, v30
	v_cmp_neq_f32_e64 s[18:19], 0, v31
	s_or_b64 s[18:19], s[18:19], vcc
                                        ; implicit-def: $vgpr29
	s_and_saveexec_b64 s[46:47], s[18:19]
	s_xor_b64 s[46:47], exec, s[46:47]
	s_cbranch_execz .LBB44_577
; %bb.510:                              ;   in Loop: Header=BB44_401 Depth=1
	v_pk_mov_b32 v[28:29], s[30:31], s[30:31] op_sel:[0,1]
	flat_store_dword v[28:29], v39
	s_waitcnt vmcnt(0)
	flat_load_dword v21, v[28:29] glc
	s_waitcnt vmcnt(0)
	v_pk_mov_b32 v[28:29], s[34:35], s[34:35] op_sel:[0,1]
	v_cmp_nlt_f32_e64 s[18:19], |v30|, s71
	v_cmp_nlt_f32_e64 s[48:49], |v31|, s71
	s_or_b64 s[18:19], s[48:49], s[18:19]
	s_waitcnt lgkmcnt(0)
	v_add_f32_e32 v21, 1.0, v21
	flat_store_dword v[28:29], v21
	s_waitcnt vmcnt(0)
	flat_load_dword v21, v[28:29] glc
	s_waitcnt vmcnt(0)
                                        ; implicit-def: $vgpr29
	s_and_saveexec_b64 s[48:49], s[18:19]
	s_xor_b64 s[48:49], exec, s[48:49]
	s_cbranch_execz .LBB44_574
; %bb.511:                              ;   in Loop: Header=BB44_401 Depth=1
	v_and_b32_e32 v32, 0x7fffffff, v30
	v_pk_add_f32 v[34:35], v[32:33], s[36:37] op_sel_hi:[0,1]
	s_waitcnt vmcnt(0) lgkmcnt(0)
	v_max_f32_e64 v21, v19, |v35|
	v_max_f32_e64 v19, v19, |v34|
	v_cvt_f64_f32_e32 v[28:29], v19
	v_frexp_exp_i32_f64_e32 v33, v[28:29]
	v_sub_u32_e32 v28, 0, v33
	v_ldexp_f32 v29, |v31|, v28
	v_ldexp_f32 v28, |v34|, v28
	v_mul_f32_e32 v28, v28, v28
	v_fmac_f32_e32 v28, v29, v29
	v_sqrt_f32_e32 v36, v28
	v_cvt_f64_f32_e32 v[28:29], v21
	v_frexp_exp_i32_f64_e32 v28, v[28:29]
	v_sub_u32_e32 v29, 0, v28
	v_ldexp_f32 v37, |v31|, v29
	v_ldexp_f32 v29, |v35|, v29
	v_mul_f32_e32 v29, v29, v29
	v_fmac_f32_e32 v29, v37, v37
	v_sqrt_f32_e32 v29, v29
	v_cmp_neq_f32_e32 vcc, s73, v21
	v_ldexp_f32 v36, v36, v33
	v_ldexp_f32 v28, v29, v28
	v_cndmask_b32_e32 v33, v52, v28, vcc
	v_cmp_neq_f32_e32 vcc, s73, v19
	v_cndmask_b32_e32 v60, v52, v36, vcc
	v_add_f32_e32 v19, v60, v33
	v_mul_f32_e32 v19, 0.5, v19
	v_cmp_ngt_f32_e32 vcc, 1.0, v19
	v_cndmask_b32_e32 v28, 1.0, v19, vcc
	v_cmp_ngt_f32_e32 vcc, s74, v28
                                        ; implicit-def: $vgpr19
	s_and_saveexec_b64 s[18:19], vcc
	s_xor_b64 s[50:51], exec, s[18:19]
	s_cbranch_execz .LBB44_513
; %bb.512:                              ;   in Loop: Header=BB44_401 Depth=1
	v_fma_f32 v19, v28, v28, -1.0
	v_mul_f32_e32 v21, 0x4f800000, v19
	v_cmp_gt_f32_e32 vcc, s75, v19
	v_cndmask_b32_e32 v19, v19, v21, vcc
	v_sqrt_f32_e32 v21, v19
	v_add_u32_e32 v29, -1, v21
	v_fma_f32 v37, -v29, v21, v19
	v_add_u32_e32 v36, 1, v21
	v_cmp_ge_f32_e64 s[18:19], 0, v37
	v_cndmask_b32_e64 v29, v21, v29, s[18:19]
	v_fma_f32 v21, -v36, v21, v19
	v_cmp_lt_f32_e64 s[18:19], 0, v21
	v_cndmask_b32_e64 v21, v29, v36, s[18:19]
	v_mul_f32_e32 v29, 0x37800000, v21
	v_cndmask_b32_e32 v21, v21, v29, vcc
	v_cmp_class_f32_e32 vcc, v19, v40
	v_cndmask_b32_e32 v19, v21, v19, vcc
	v_add_f32_e32 v19, v28, v19
	v_cmp_gt_f32_e32 vcc, s77, v19
	v_cndmask_b32_e32 v21, 1.0, v53, vcc
	v_mul_f32_e32 v19, v19, v21
	v_log_f32_e32 v19, v19
	v_mul_f32_e32 v21, 0x3f317217, v19
	v_fma_f32 v29, v19, s78, -v21
	v_fmac_f32_e32 v29, 0x3377d1cf, v19
	v_add_f32_e32 v21, v21, v29
	v_cmp_lt_f32_e64 s[18:19], |v19|, s73
	v_cndmask_b32_e64 v19, v19, v21, s[18:19]
	v_cndmask_b32_e32 v21, 0, v54, vcc
	v_sub_f32_e32 v19, v19, v21
.LBB44_513:                             ;   in Loop: Header=BB44_401 Depth=1
	s_or_saveexec_b64 s[50:51], s[50:51]
	v_and_b32_e32 v37, 0x7fffffff, v31
	v_and_b32_e32 v61, 0x7fffffff, v35
	s_xor_b64 exec, exec, s[50:51]
	s_cbranch_execz .LBB44_535
; %bb.514:                              ;   in Loop: Header=BB44_401 Depth=1
	v_cmp_neq_f32_e64 s[18:19], |v30|, 1.0
	v_cmp_nlt_f32_e64 s[52:53], |v31|, s79
	s_or_b64 s[18:19], s[52:53], s[18:19]
                                        ; implicit-def: $vgpr19
	s_and_saveexec_b64 s[52:53], s[18:19]
	s_xor_b64 s[52:53], exec, s[52:53]
	s_cbranch_execz .LBB44_532
; %bb.515:                              ;   in Loop: Header=BB44_401 Depth=1
	v_mul_f32_e32 v19, 0x34000000, v61
	v_cmp_le_f32_e64 s[18:19], v19, |v31|
                                        ; implicit-def: $vgpr19
	s_and_saveexec_b64 s[54:55], s[18:19]
	s_xor_b64 s[54:55], exec, s[54:55]
	s_cbranch_execz .LBB44_525
; %bb.516:                              ;   in Loop: Header=BB44_401 Depth=1
	v_cmp_neq_f32_e32 vcc, 0, v34
	v_mov_b32_e32 v19, v37
	s_and_saveexec_b64 s[18:19], vcc
	s_cbranch_execz .LBB44_518
; %bb.517:                              ;   in Loop: Header=BB44_401 Depth=1
	v_mul_f32_e32 v19, v31, v31
	v_add_f32_e32 v21, v34, v60
	v_div_scale_f32 v29, s[56:57], v21, v21, v19
	v_rcp_f32_e32 v36, v29
	v_fma_f32 v62, -v29, v36, 1.0
	v_fmac_f32_e32 v36, v62, v36
	v_div_scale_f32 v62, vcc, v19, v21, v19
	v_mul_f32_e32 v63, v62, v36
	v_fma_f32 v64, -v29, v63, v62
	v_fmac_f32_e32 v63, v64, v36
	v_fma_f32 v29, -v29, v63, v62
	v_div_fmas_f32 v29, v29, v36, v63
	v_div_fixup_f32 v19, v29, v21, v19
.LBB44_518:                             ;   in Loop: Header=BB44_401 Depth=1
	s_or_b64 exec, exec, s[18:19]
	v_sub_f32_e64 v29, 1.0, |v30|
	v_cmp_ngt_f32_e32 vcc, 0, v29
                                        ; implicit-def: $vgpr21
	s_and_saveexec_b64 s[18:19], vcc
	s_xor_b64 s[18:19], exec, s[18:19]
	s_cbranch_execz .LBB44_522
; %bb.519:                              ;   in Loop: Header=BB44_401 Depth=1
	v_cmp_neq_f32_e32 vcc, 0, v29
	v_mov_b32_e32 v21, v37
	s_and_saveexec_b64 s[56:57], vcc
	s_cbranch_execz .LBB44_521
; %bb.520:                              ;   in Loop: Header=BB44_401 Depth=1
	v_mul_f32_e32 v21, v31, v31
	v_add_f32_e32 v29, v29, v33
	v_div_scale_f32 v36, s[58:59], v29, v29, v21
	v_rcp_f32_e32 v62, v36
	v_fma_f32 v63, -v36, v62, 1.0
	v_fmac_f32_e32 v62, v63, v62
	v_div_scale_f32 v63, vcc, v21, v29, v21
	v_mul_f32_e32 v64, v63, v62
	v_fma_f32 v65, -v36, v64, v63
	v_fmac_f32_e32 v64, v65, v62
	v_fma_f32 v36, -v36, v64, v63
	v_div_fmas_f32 v36, v36, v62, v64
	v_div_fixup_f32 v21, v36, v29, v21
.LBB44_521:                             ;   in Loop: Header=BB44_401 Depth=1
	s_or_b64 exec, exec, s[56:57]
                                        ; implicit-def: $vgpr29
.LBB44_522:                             ;   in Loop: Header=BB44_401 Depth=1
	s_andn2_saveexec_b64 s[18:19], s[18:19]
; %bb.523:                              ;   in Loop: Header=BB44_401 Depth=1
	v_sub_f32_e32 v21, v33, v29
; %bb.524:                              ;   in Loop: Header=BB44_401 Depth=1
	s_or_b64 exec, exec, s[18:19]
	v_mul_f32_e32 v29, 0.5, v19
	v_mul_f32_e32 v19, 0.5, v21
	v_pk_add_f32 v[62:63], v[28:29], v[18:19]
	v_mul_f32_e32 v19, v62, v63
	v_mul_f32_e32 v21, 0x4f800000, v19
	v_cmp_gt_f32_e32 vcc, s75, v19
	v_cndmask_b32_e32 v19, v19, v21, vcc
	v_sqrt_f32_e32 v21, v19
	v_add_u32_e32 v29, -1, v21
	v_fma_f32 v36, -v29, v21, v19
	v_cmp_ge_f32_e64 s[18:19], 0, v36
	v_add_u32_e32 v36, 1, v21
	v_cndmask_b32_e64 v29, v21, v29, s[18:19]
	v_fma_f32 v21, -v36, v21, v19
	v_cmp_lt_f32_e64 s[18:19], 0, v21
	v_cndmask_b32_e64 v21, v29, v36, s[18:19]
	v_mul_f32_e32 v29, 0x37800000, v21
	v_cndmask_b32_e32 v21, v21, v29, vcc
	v_cmp_class_f32_e32 vcc, v19, v40
	v_cndmask_b32_e32 v19, v21, v19, vcc
	v_add_f32_e32 v62, v63, v19
	v_add_f32_e32 v65, 1.0, v62
	v_add_f32_e32 v63, -1.0, v65
	v_mov_b32_e32 v64, v63
	v_pk_add_f32 v[66:67], v[62:63], v[64:65] neg_lo:[0,1] neg_hi:[0,1]
	v_add_f32_e32 v19, 1.0, v67
	v_add_f32_e32 v19, v66, v19
	v_frexp_mant_f32_e32 v21, v65
	v_cvt_f64_f32_e32 v[66:67], v65
	v_frexp_exp_i32_f64_e32 v29, v[66:67]
	v_cmp_gt_f32_e32 vcc, s80, v21
	v_subbrev_co_u32_e32 v29, vcc, 0, v29, vcc
	v_sub_u32_e32 v21, 0, v29
	v_ldexp_f32 v36, v65, v21
	v_ldexp_f32 v19, v19, v21
	v_add_f32_e32 v21, -1.0, v36
	v_add_f32_e32 v64, 1.0, v36
	v_add_f32_e32 v63, 1.0, v21
	v_add_f32_e32 v65, -1.0, v64
	v_sub_f32_e32 v63, v36, v63
	v_sub_f32_e32 v36, v36, v65
	v_add_f32_e32 v63, v19, v63
	v_add_f32_e32 v19, v19, v36
	;; [unrolled: 1-line block ×3, first 2 shown]
	v_rcp_f32_e32 v72, v36
	v_add_f32_e32 v65, v21, v63
	v_sub_f32_e32 v21, v65, v21
	v_sub_f32_e32 v21, v63, v21
	v_mul_f32_e32 v63, v65, v72
	v_sub_f32_e32 v64, v36, v64
	v_mul_f32_e32 v66, v36, v63
	v_sub_f32_e32 v19, v19, v64
	v_fma_f32 v68, v63, v36, -v66
	v_fmac_f32_e32 v68, v63, v19
	v_add_f32_e32 v64, v66, v68
	v_sub_f32_e32 v67, v65, v64
	v_pk_add_f32 v[70:71], v[64:65], v[66:67] neg_lo:[0,1] neg_hi:[0,1]
	v_mov_b32_e32 v69, v64
	v_pk_add_f32 v[64:65], v[70:71], v[68:69] neg_lo:[0,1] neg_hi:[0,1]
	v_add_f32_e32 v21, v21, v65
	v_add_f32_e32 v21, v64, v21
	;; [unrolled: 1-line block ×3, first 2 shown]
	v_mul_f32_e32 v73, v72, v65
	v_mul_f32_e32 v66, v36, v73
	v_fma_f32 v68, v73, v36, -v66
	v_fmac_f32_e32 v68, v73, v19
	v_add_f32_e32 v64, v66, v68
	v_sub_f32_e32 v19, v67, v65
	v_sub_f32_e32 v67, v65, v64
	v_pk_add_f32 v[70:71], v[64:65], v[66:67] neg_lo:[0,1] neg_hi:[0,1]
	v_mov_b32_e32 v69, v64
	v_add_f32_e32 v19, v21, v19
	v_pk_add_f32 v[64:65], v[70:71], v[68:69] neg_lo:[0,1] neg_hi:[0,1]
	v_add_f32_e32 v19, v19, v65
	v_add_f32_e32 v19, v64, v19
	;; [unrolled: 1-line block ×4, first 2 shown]
	v_sub_f32_e32 v21, v36, v63
	v_mul_f32_e32 v19, v72, v19
	v_sub_f32_e32 v21, v73, v21
	v_add_f32_e32 v19, v21, v19
	v_add_f32_e32 v63, v36, v19
	v_cvt_f32_i32_e32 v64, v29
	v_mul_f32_e32 v65, v63, v63
	v_mov_b32_e32 v21, 0x3ecc95a3
	v_fmac_f32_e32 v21, 0x3e9b6dac, v65
	v_fma_f32 v21, v65, v21, v41
	v_mul_f32_e32 v65, v63, v65
	v_pk_mul_f32 v[68:69], v[64:65], v[20:21]
	v_fma_f32 v66, v64, s81, -v68
	v_ldexp_f32 v67, v63, 1
	v_fmac_f32_e32 v66, 0xb102e308, v64
	v_sub_f32_e32 v29, v63, v36
	v_pk_add_f32 v[64:65], v[68:69], v[66:67]
	v_sub_f32_e32 v19, v19, v29
	v_sub_f32_e32 v21, v65, v67
	v_ldexp_f32 v19, v19, 1
	v_sub_f32_e32 v21, v69, v21
	v_add_f32_e32 v71, v19, v21
	v_mov_b32_e32 v70, v68
	v_pk_add_f32 v[68:69], v[64:65], v[68:69] neg_lo:[0,1] neg_hi:[0,1]
	v_pk_add_f32 v[72:73], v[64:65], v[70:71]
	v_mov_b32_e32 v69, v73
	v_mov_b32_e32 v67, v64
	v_pk_add_f32 v[74:75], v[66:67], v[68:69] neg_lo:[0,1] neg_hi:[0,1]
	v_pk_add_f32 v[66:67], v[66:67], v[68:69]
	v_mov_b32_e32 v36, v67
	v_pk_add_f32 v[68:69], v[36:37], v[64:65] neg_lo:[0,1] neg_hi:[0,1]
	v_mov_b32_e32 v19, v68
	v_pk_add_f32 v[76:77], v[72:73], v[18:19] neg_lo:[0,1] neg_hi:[0,1]
	v_mov_b32_e32 v66, v73
	v_mov_b32_e32 v72, v65
	;; [unrolled: 1-line block ×4, first 2 shown]
	v_pk_add_f32 v[66:67], v[66:67], v[72:73] neg_lo:[0,1] neg_hi:[0,1]
	v_mov_b32_e32 v68, v71
	v_mov_b32_e32 v69, v64
	v_pk_add_f32 v[64:65], v[68:69], v[66:67] neg_lo:[0,1] neg_hi:[0,1]
	v_mov_b32_e32 v76, v74
	v_pk_add_f32 v[66:67], v[76:77], v[64:65]
	v_mov_b32_e32 v68, v67
	v_pk_add_f32 v[68:69], v[66:67], v[68:69]
	v_pk_add_f32 v[70:71], v[36:37], v[68:69]
	v_mov_b32_e32 v67, v70
	v_pk_add_f32 v[72:73], v[66:67], v[74:75] neg_lo:[0,1] neg_hi:[0,1]
	v_mov_b32_e32 v65, v68
	v_sub_f32_e32 v19, v66, v72
	v_pk_add_f32 v[64:65], v[64:65], v[72:73] neg_lo:[0,1] neg_hi:[0,1]
	v_sub_f32_e32 v19, v74, v19
	v_add_f32_e32 v19, v64, v19
	v_add_f32_e32 v19, v19, v65
	;; [unrolled: 1-line block ×3, first 2 shown]
	v_cmp_eq_f32_e32 vcc, s73, v62
	v_cndmask_b32_e32 v19, v19, v62, vcc
	v_cmp_ngt_f32_e32 vcc, -1.0, v62
	v_cndmask_b32_e32 v19, v55, v19, vcc
	v_cmp_neq_f32_e32 vcc, -1.0, v62
	v_cndmask_b32_e32 v19, v56, v19, vcc
	v_cmp_lt_f32_e64 vcc, |v62|, s82
	v_cndmask_b32_e32 v19, v19, v62, vcc
.LBB44_525:                             ;   in Loop: Header=BB44_401 Depth=1
	s_andn2_saveexec_b64 s[54:55], s[54:55]
	s_cbranch_execz .LBB44_531
; %bb.526:                              ;   in Loop: Header=BB44_401 Depth=1
	v_cmp_nlt_f32_e64 s[18:19], |v30|, 1.0
                                        ; implicit-def: $vgpr19
	s_and_saveexec_b64 s[56:57], s[18:19]
	s_xor_b64 s[56:57], exec, s[56:57]
	s_cbranch_execz .LBB44_528
; %bb.527:                              ;   in Loop: Header=BB44_401 Depth=1
	v_mul_f32_e32 v19, v35, v34
	v_mul_f32_e32 v21, 0x4f800000, v19
	v_cmp_gt_f32_e32 vcc, s75, v19
	v_cndmask_b32_e32 v19, v19, v21, vcc
	v_sqrt_f32_e32 v21, v19
	v_add_u32_e32 v29, -1, v21
	v_fma_f32 v62, -v29, v21, v19
	v_add_u32_e32 v36, 1, v21
	v_cmp_ge_f32_e64 s[18:19], 0, v62
	v_cndmask_b32_e64 v29, v21, v29, s[18:19]
	v_fma_f32 v21, -v36, v21, v19
	v_cmp_lt_f32_e64 s[18:19], 0, v21
	v_cndmask_b32_e64 v21, v29, v36, s[18:19]
	v_mul_f32_e32 v29, 0x37800000, v21
	v_cndmask_b32_e32 v21, v21, v29, vcc
	v_cmp_class_f32_e32 vcc, v19, v40
	v_cndmask_b32_e32 v19, v21, v19, vcc
	v_add_f32_e32 v62, v35, v19
	v_add_f32_e32 v65, 1.0, v62
	v_add_f32_e32 v63, -1.0, v65
	v_mov_b32_e32 v64, v63
	v_pk_add_f32 v[66:67], v[62:63], v[64:65] neg_lo:[0,1] neg_hi:[0,1]
	v_add_f32_e32 v19, 1.0, v67
	v_add_f32_e32 v19, v66, v19
	v_frexp_mant_f32_e32 v21, v65
	v_cvt_f64_f32_e32 v[66:67], v65
	v_frexp_exp_i32_f64_e32 v29, v[66:67]
	v_cmp_gt_f32_e32 vcc, s80, v21
	v_subbrev_co_u32_e32 v29, vcc, 0, v29, vcc
	v_sub_u32_e32 v21, 0, v29
	v_ldexp_f32 v36, v65, v21
	v_ldexp_f32 v19, v19, v21
	v_add_f32_e32 v21, -1.0, v36
	v_add_f32_e32 v64, 1.0, v36
	v_add_f32_e32 v63, 1.0, v21
	v_add_f32_e32 v65, -1.0, v64
	v_sub_f32_e32 v63, v36, v63
	v_sub_f32_e32 v36, v36, v65
	v_add_f32_e32 v63, v19, v63
	v_add_f32_e32 v19, v19, v36
	;; [unrolled: 1-line block ×3, first 2 shown]
	v_rcp_f32_e32 v72, v36
	v_add_f32_e32 v65, v21, v63
	v_sub_f32_e32 v21, v65, v21
	v_sub_f32_e32 v21, v63, v21
	v_mul_f32_e32 v63, v65, v72
	v_sub_f32_e32 v64, v36, v64
	v_mul_f32_e32 v66, v36, v63
	v_sub_f32_e32 v19, v19, v64
	v_fma_f32 v68, v63, v36, -v66
	v_fmac_f32_e32 v68, v63, v19
	v_add_f32_e32 v64, v66, v68
	v_sub_f32_e32 v67, v65, v64
	v_pk_add_f32 v[70:71], v[64:65], v[66:67] neg_lo:[0,1] neg_hi:[0,1]
	v_mov_b32_e32 v69, v64
	v_pk_add_f32 v[64:65], v[70:71], v[68:69] neg_lo:[0,1] neg_hi:[0,1]
	v_add_f32_e32 v21, v21, v65
	v_add_f32_e32 v21, v64, v21
	;; [unrolled: 1-line block ×3, first 2 shown]
	v_mul_f32_e32 v73, v72, v65
	v_mul_f32_e32 v66, v36, v73
	v_fma_f32 v68, v73, v36, -v66
	v_fmac_f32_e32 v68, v73, v19
	v_add_f32_e32 v64, v66, v68
	v_sub_f32_e32 v19, v67, v65
	v_sub_f32_e32 v67, v65, v64
	v_pk_add_f32 v[70:71], v[64:65], v[66:67] neg_lo:[0,1] neg_hi:[0,1]
	v_mov_b32_e32 v69, v64
	v_add_f32_e32 v19, v21, v19
	v_pk_add_f32 v[64:65], v[70:71], v[68:69] neg_lo:[0,1] neg_hi:[0,1]
	v_add_f32_e32 v19, v19, v65
	v_add_f32_e32 v19, v64, v19
	;; [unrolled: 1-line block ×4, first 2 shown]
	v_sub_f32_e32 v21, v36, v63
	v_mul_f32_e32 v19, v72, v19
	v_sub_f32_e32 v21, v73, v21
	v_add_f32_e32 v19, v21, v19
	v_add_f32_e32 v63, v36, v19
	v_cvt_f32_i32_e32 v64, v29
	v_mul_f32_e32 v65, v63, v63
	v_mov_b32_e32 v21, 0x3ecc95a3
	v_fmac_f32_e32 v21, 0x3e9b6dac, v65
	v_fma_f32 v21, v65, v21, v41
	v_mul_f32_e32 v65, v63, v65
	v_pk_mul_f32 v[68:69], v[64:65], v[20:21]
	v_fma_f32 v66, v64, s81, -v68
	v_ldexp_f32 v67, v63, 1
	v_fmac_f32_e32 v66, 0xb102e308, v64
	v_sub_f32_e32 v29, v63, v36
	v_pk_add_f32 v[64:65], v[68:69], v[66:67]
	v_sub_f32_e32 v19, v19, v29
	v_sub_f32_e32 v21, v65, v67
	v_ldexp_f32 v19, v19, 1
	v_sub_f32_e32 v21, v69, v21
	v_add_f32_e32 v71, v19, v21
	v_mov_b32_e32 v70, v68
	v_pk_add_f32 v[68:69], v[64:65], v[68:69] neg_lo:[0,1] neg_hi:[0,1]
	v_pk_add_f32 v[72:73], v[64:65], v[70:71]
	v_mov_b32_e32 v69, v73
	v_mov_b32_e32 v67, v64
	v_pk_add_f32 v[74:75], v[66:67], v[68:69] neg_lo:[0,1] neg_hi:[0,1]
	v_pk_add_f32 v[66:67], v[66:67], v[68:69]
	v_mov_b32_e32 v36, v67
	v_pk_add_f32 v[68:69], v[36:37], v[64:65] neg_lo:[0,1] neg_hi:[0,1]
	v_mov_b32_e32 v19, v68
	v_pk_add_f32 v[76:77], v[72:73], v[18:19] neg_lo:[0,1] neg_hi:[0,1]
	v_mov_b32_e32 v66, v73
	v_mov_b32_e32 v72, v65
	;; [unrolled: 1-line block ×4, first 2 shown]
	v_pk_add_f32 v[66:67], v[66:67], v[72:73] neg_lo:[0,1] neg_hi:[0,1]
	v_mov_b32_e32 v68, v71
	v_mov_b32_e32 v69, v64
	v_pk_add_f32 v[64:65], v[68:69], v[66:67] neg_lo:[0,1] neg_hi:[0,1]
	v_mov_b32_e32 v76, v74
	v_pk_add_f32 v[66:67], v[76:77], v[64:65]
	v_mov_b32_e32 v68, v67
	v_pk_add_f32 v[68:69], v[66:67], v[68:69]
	v_pk_add_f32 v[70:71], v[36:37], v[68:69]
	v_mov_b32_e32 v67, v70
	v_pk_add_f32 v[72:73], v[66:67], v[74:75] neg_lo:[0,1] neg_hi:[0,1]
	v_mov_b32_e32 v65, v68
	v_sub_f32_e32 v19, v66, v72
	v_pk_add_f32 v[64:65], v[64:65], v[72:73] neg_lo:[0,1] neg_hi:[0,1]
	v_sub_f32_e32 v19, v74, v19
	v_add_f32_e32 v19, v64, v19
	v_add_f32_e32 v19, v19, v65
	;; [unrolled: 1-line block ×3, first 2 shown]
	v_cmp_eq_f32_e32 vcc, s73, v62
	v_cndmask_b32_e32 v19, v19, v62, vcc
	v_cmp_ngt_f32_e32 vcc, -1.0, v62
	v_cndmask_b32_e32 v19, v55, v19, vcc
	v_cmp_neq_f32_e32 vcc, -1.0, v62
	v_cndmask_b32_e32 v19, v56, v19, vcc
	v_cmp_lt_f32_e64 vcc, |v62|, s82
	v_cndmask_b32_e32 v19, v19, v62, vcc
.LBB44_528:                             ;   in Loop: Header=BB44_401 Depth=1
	s_andn2_saveexec_b64 s[56:57], s[56:57]
	s_cbranch_execz .LBB44_530
; %bb.529:                              ;   in Loop: Header=BB44_401 Depth=1
	v_sub_f32_e64 v19, 1.0, |v30|
	v_mul_f32_e32 v19, v19, v34
	v_mul_f32_e32 v21, 0x4f800000, v19
	v_cmp_gt_f32_e32 vcc, s75, v19
	v_cndmask_b32_e32 v19, v19, v21, vcc
	v_sqrt_f32_e32 v21, v19
	v_add_u32_e32 v29, -1, v21
	v_fma_f32 v62, -v29, v21, v19
	v_add_u32_e32 v36, 1, v21
	v_cmp_ge_f32_e64 s[18:19], 0, v62
	v_cndmask_b32_e64 v29, v21, v29, s[18:19]
	v_fma_f32 v21, -v36, v21, v19
	v_cmp_lt_f32_e64 s[18:19], 0, v21
	v_cndmask_b32_e64 v21, v29, v36, s[18:19]
	v_mul_f32_e32 v29, 0x37800000, v21
	v_cndmask_b32_e32 v21, v21, v29, vcc
	v_cmp_class_f32_e32 vcc, v19, v40
	v_cndmask_b32_e32 v19, v21, v19, vcc
	v_and_b32_e32 v21, 0x7fffffff, v31
	v_div_scale_f32 v29, s[18:19], v19, v19, v21
	v_rcp_f32_e32 v36, v29
	v_div_scale_f32 v21, vcc, v21, v19, v21
	v_fma_f32 v62, -v29, v36, 1.0
	v_fmac_f32_e32 v36, v62, v36
	v_mul_f32_e32 v62, v21, v36
	v_fma_f32 v63, -v29, v62, v21
	v_fmac_f32_e32 v62, v63, v36
	v_fma_f32 v21, -v29, v62, v21
	v_div_fmas_f32 v21, v21, v36, v62
	v_div_fixup_f32 v19, v21, v19, |v31|
.LBB44_530:                             ;   in Loop: Header=BB44_401 Depth=1
	s_or_b64 exec, exec, s[56:57]
.LBB44_531:                             ;   in Loop: Header=BB44_401 Depth=1
	s_or_b64 exec, exec, s[54:55]
.LBB44_532:                             ;   in Loop: Header=BB44_401 Depth=1
	s_andn2_saveexec_b64 s[52:53], s[52:53]
	s_cbranch_execz .LBB44_534
; %bb.533:                              ;   in Loop: Header=BB44_401 Depth=1
	v_mul_f32_e64 v19, |v31|, s76
	v_cmp_lt_f32_e64 vcc, |v31|, s75
	v_cndmask_b32_e64 v19, |v31|, v19, vcc
	v_sqrt_f32_e32 v21, v19
	v_add_u32_e32 v29, -1, v21
	v_fma_f32 v62, -v29, v21, v19
	v_add_u32_e32 v36, 1, v21
	v_cmp_ge_f32_e64 s[18:19], 0, v62
	v_cndmask_b32_e64 v29, v21, v29, s[18:19]
	v_fma_f32 v21, -v36, v21, v19
	v_cmp_lt_f32_e64 s[18:19], 0, v21
	v_cndmask_b32_e64 v21, v29, v36, s[18:19]
	v_mul_f32_e32 v29, 0x37800000, v21
	v_cndmask_b32_e32 v21, v21, v29, vcc
	v_cmp_class_f32_e32 vcc, v19, v40
	v_cndmask_b32_e32 v19, v21, v19, vcc
.LBB44_534:                             ;   in Loop: Header=BB44_401 Depth=1
	s_or_b64 exec, exec, s[52:53]
.LBB44_535:                             ;   in Loop: Header=BB44_401 Depth=1
	s_or_b64 exec, exec, s[50:51]
	v_cmp_nlt_f32_e64 s[50:51], |v30|, s83
                                        ; implicit-def: $sgpr18_sgpr19
                                        ; implicit-def: $vgpr36
                                        ; implicit-def: $vgpr21
	s_and_saveexec_b64 s[52:53], s[50:51]
	s_xor_b64 s[50:51], exec, s[52:53]
	s_cbranch_execz .LBB44_559
; %bb.536:                              ;   in Loop: Header=BB44_401 Depth=1
	v_div_scale_f32 v21, s[18:19], v28, v28, v32
	v_rcp_f32_e32 v29, v21
	v_div_scale_f32 v36, vcc, v32, v28, v32
	s_mov_b64 s[18:19], 0
	v_fma_f32 v62, -v21, v29, 1.0
	v_fmac_f32_e32 v29, v62, v29
	v_mul_f32_e32 v62, v36, v29
	v_fma_f32 v63, -v21, v62, v36
	v_fmac_f32_e32 v62, v63, v29
	v_fma_f32 v21, -v21, v62, v36
	v_div_fmas_f32 v21, v21, v29, v62
	v_div_fixup_f32 v21, v21, v28, |v30|
	v_cmp_lt_f32_e32 vcc, s84, v21
                                        ; implicit-def: $vgpr36
	s_and_saveexec_b64 s[52:53], vcc
	s_cbranch_execz .LBB44_558
; %bb.537:                              ;   in Loop: Header=BB44_401 Depth=1
	v_cmp_neq_f32_e64 s[18:19], |v30|, 1.0
	v_cmp_nlt_f32_e64 s[54:55], |v31|, s85
	s_or_b64 s[18:19], s[54:55], s[18:19]
                                        ; implicit-def: $sgpr56_sgpr57
                                        ; implicit-def: $vgpr36
	s_and_saveexec_b64 s[54:55], s[18:19]
	s_xor_b64 s[54:55], exec, s[54:55]
	s_cbranch_execz .LBB44_555
; %bb.538:                              ;   in Loop: Header=BB44_401 Depth=1
	v_mul_f32_e32 v29, 0x34000000, v61
	v_cmp_le_f32_e64 s[18:19], v29, |v31|
                                        ; implicit-def: $vgpr36
                                        ; implicit-def: $sgpr56_sgpr57
	s_and_saveexec_b64 s[58:59], s[18:19]
	s_xor_b64 s[58:59], exec, s[58:59]
	s_cbranch_execz .LBB44_548
; %bb.539:                              ;   in Loop: Header=BB44_401 Depth=1
	v_cmp_neq_f32_e32 vcc, 0, v34
	v_mov_b32_e32 v29, v37
	s_and_saveexec_b64 s[18:19], vcc
	s_cbranch_execz .LBB44_541
; %bb.540:                              ;   in Loop: Header=BB44_401 Depth=1
	v_mul_f32_e32 v29, v31, v31
	v_add_f32_e32 v30, v34, v60
	v_div_scale_f32 v34, s[56:57], v30, v30, v29
	v_rcp_f32_e32 v36, v34
	v_fma_f32 v60, -v34, v36, 1.0
	v_fmac_f32_e32 v36, v60, v36
	v_div_scale_f32 v60, vcc, v29, v30, v29
	v_mul_f32_e32 v61, v60, v36
	v_fma_f32 v62, -v34, v61, v60
	v_fmac_f32_e32 v61, v62, v36
	v_fma_f32 v34, -v34, v61, v60
	v_div_fmas_f32 v34, v34, v36, v61
	v_div_fixup_f32 v29, v34, v30, v29
.LBB44_541:                             ;   in Loop: Header=BB44_401 Depth=1
	s_or_b64 exec, exec, s[18:19]
	v_cmp_ngt_f32_e32 vcc, 0, v35
	s_and_saveexec_b64 s[18:19], vcc
	s_xor_b64 s[18:19], exec, s[18:19]
	s_cbranch_execz .LBB44_545
; %bb.542:                              ;   in Loop: Header=BB44_401 Depth=1
	v_cmp_neq_f32_e32 vcc, 0, v35
	s_and_saveexec_b64 s[56:57], vcc
	s_cbranch_execz .LBB44_544
; %bb.543:                              ;   in Loop: Header=BB44_401 Depth=1
	v_mul_f32_e32 v30, v31, v31
	v_add_f32_e32 v31, v35, v33
	v_div_scale_f32 v33, s[60:61], v31, v31, v30
	v_rcp_f32_e32 v34, v33
	v_fma_f32 v35, -v33, v34, 1.0
	v_fmac_f32_e32 v34, v35, v34
	v_div_scale_f32 v35, vcc, v30, v31, v30
	v_mul_f32_e32 v36, v35, v34
	v_fma_f32 v37, -v33, v36, v35
	v_fmac_f32_e32 v36, v37, v34
	v_fma_f32 v33, -v33, v36, v35
	v_div_fmas_f32 v33, v33, v34, v36
	v_div_fixup_f32 v37, v33, v31, v30
.LBB44_544:                             ;   in Loop: Header=BB44_401 Depth=1
	s_or_b64 exec, exec, s[56:57]
                                        ; implicit-def: $vgpr33
                                        ; implicit-def: $vgpr34_vgpr35
.LBB44_545:                             ;   in Loop: Header=BB44_401 Depth=1
	s_andn2_saveexec_b64 s[18:19], s[18:19]
; %bb.546:                              ;   in Loop: Header=BB44_401 Depth=1
	v_sub_f32_e32 v37, v33, v35
; %bb.547:                              ;   in Loop: Header=BB44_401 Depth=1
	s_or_b64 exec, exec, s[18:19]
	v_mul_f32_e32 v33, 0.5, v29
	v_mul_f32_e32 v29, 0.5, v37
	v_pk_add_f32 v[28:29], v[32:33], v[28:29]
	v_mul_f32_e32 v28, v28, v29
	v_mul_f32_e32 v29, 0x4f800000, v28
	v_cmp_gt_f32_e32 vcc, s75, v28
	v_cndmask_b32_e32 v28, v28, v29, vcc
	v_sqrt_f32_e32 v29, v28
	s_mov_b64 s[56:57], -1
                                        ; implicit-def: $vgpr34_vgpr35
	v_add_u32_e32 v30, -1, v29
	v_fma_f32 v31, -v30, v29, v28
	v_cmp_ge_f32_e64 s[18:19], 0, v31
	v_add_u32_e32 v31, 1, v29
	v_cndmask_b32_e64 v30, v29, v30, s[18:19]
	v_fma_f32 v29, -v31, v29, v28
	v_cmp_lt_f32_e64 s[18:19], 0, v29
	v_cndmask_b32_e64 v29, v30, v31, s[18:19]
	v_mul_f32_e32 v30, 0x37800000, v29
	v_cndmask_b32_e32 v29, v29, v30, vcc
	v_cmp_class_f32_e32 vcc, v28, v40
	v_cndmask_b32_e32 v36, v29, v28, vcc
                                        ; implicit-def: $vgpr31
.LBB44_548:                             ;   in Loop: Header=BB44_401 Depth=1
	s_andn2_saveexec_b64 s[58:59], s[58:59]
	s_cbranch_execz .LBB44_554
; %bb.549:                              ;   in Loop: Header=BB44_401 Depth=1
	v_cmp_ngt_f32_e64 s[18:19], |v30|, 1.0
                                        ; implicit-def: $vgpr36
                                        ; implicit-def: $sgpr60_sgpr61
	s_and_saveexec_b64 s[62:63], s[18:19]
	s_xor_b64 s[62:63], exec, s[62:63]
	s_cbranch_execz .LBB44_551
; %bb.550:                              ;   in Loop: Header=BB44_401 Depth=1
	v_sub_f32_e64 v28, 1.0, |v30|
	v_mul_f32_e32 v28, v28, v34
	v_mul_f32_e32 v29, 0x4f800000, v28
	v_cmp_gt_f32_e32 vcc, s75, v28
	v_cndmask_b32_e32 v28, v28, v29, vcc
	v_sqrt_f32_e32 v29, v28
	s_mov_b64 s[60:61], -1
                                        ; implicit-def: $vgpr34_vgpr35
	v_add_u32_e32 v30, -1, v29
	v_fma_f32 v33, -v30, v29, v28
	v_add_u32_e32 v31, 1, v29
	v_cmp_ge_f32_e64 s[18:19], 0, v33
	v_cndmask_b32_e64 v30, v29, v30, s[18:19]
	v_fma_f32 v29, -v31, v29, v28
	v_cmp_lt_f32_e64 s[18:19], 0, v29
	v_cndmask_b32_e64 v29, v30, v31, s[18:19]
	v_mul_f32_e32 v30, 0x37800000, v29
	v_cndmask_b32_e32 v29, v29, v30, vcc
	v_cmp_class_f32_e32 vcc, v28, v40
	v_cndmask_b32_e32 v36, v29, v28, vcc
                                        ; implicit-def: $vgpr31
.LBB44_551:                             ;   in Loop: Header=BB44_401 Depth=1
	s_andn2_saveexec_b64 s[62:63], s[62:63]
	s_cbranch_execz .LBB44_553
; %bb.552:                              ;   in Loop: Header=BB44_401 Depth=1
	v_mul_f32_e32 v28, v34, v35
	v_mul_f32_e32 v29, 0x4f800000, v28
	v_cmp_gt_f32_e32 vcc, s75, v28
	v_cndmask_b32_e32 v28, v28, v29, vcc
	v_sqrt_f32_e32 v29, v28
	v_mul_f32_e64 v31, |v31|, s86
	v_mul_f32_e64 v31, |v30|, v31
	s_or_b64 s[60:61], s[60:61], exec
	v_add_u32_e32 v32, -1, v29
	v_fma_f32 v33, -v32, v29, v28
	v_cmp_ge_f32_e64 s[18:19], 0, v33
	v_add_u32_e32 v33, 1, v29
	v_cndmask_b32_e64 v32, v29, v32, s[18:19]
	v_fma_f32 v29, -v33, v29, v28
	v_cmp_lt_f32_e64 s[18:19], 0, v29
	v_cndmask_b32_e64 v29, v32, v33, s[18:19]
	v_mul_f32_e32 v32, 0x37800000, v29
	v_cndmask_b32_e32 v29, v29, v32, vcc
	v_cmp_class_f32_e32 vcc, v28, v40
	v_cndmask_b32_e32 v28, v29, v28, vcc
	v_div_scale_f32 v29, s[18:19], v28, v28, v31
	v_rcp_f32_e32 v32, v29
	v_fma_f32 v33, -v29, v32, 1.0
	v_fmac_f32_e32 v32, v33, v32
	v_div_scale_f32 v33, vcc, v31, v28, v31
	v_mul_f32_e32 v34, v33, v32
	v_fma_f32 v35, -v29, v34, v33
	v_fmac_f32_e32 v34, v35, v32
	v_fma_f32 v29, -v29, v34, v33
	v_div_fmas_f32 v29, v29, v32, v34
	v_div_fixup_f32 v36, v29, v28, v31
	v_mul_f32_e64 v32, |v30|, s86
.LBB44_553:                             ;   in Loop: Header=BB44_401 Depth=1
	s_or_b64 exec, exec, s[62:63]
	s_andn2_b64 s[18:19], s[56:57], exec
	s_and_b64 s[56:57], s[60:61], exec
	s_or_b64 s[56:57], s[18:19], s[56:57]
.LBB44_554:                             ;   in Loop: Header=BB44_401 Depth=1
	s_or_b64 exec, exec, s[58:59]
	s_and_b64 s[56:57], s[56:57], exec
                                        ; implicit-def: $vgpr31
                                        ; implicit-def: $vgpr28
.LBB44_555:                             ;   in Loop: Header=BB44_401 Depth=1
	s_andn2_saveexec_b64 s[54:55], s[54:55]
	s_cbranch_execz .LBB44_557
; %bb.556:                              ;   in Loop: Header=BB44_401 Depth=1
	v_mul_f32_e64 v29, |v31|, s76
	v_cmp_lt_f32_e64 vcc, |v31|, s75
	v_cndmask_b32_e64 v29, |v31|, v29, vcc
	v_sqrt_f32_e32 v30, v29
	v_add_f32_e32 v28, 1.0, v28
	v_mul_f32_e32 v28, 0.5, v28
	s_or_b64 s[56:57], s[56:57], exec
	v_add_u32_e32 v31, -1, v30
	v_fma_f32 v33, -v31, v30, v29
	v_add_u32_e32 v32, 1, v30
	v_cmp_ge_f32_e64 s[18:19], 0, v33
	v_cndmask_b32_e64 v31, v30, v31, s[18:19]
	v_fma_f32 v30, -v32, v30, v29
	v_cmp_lt_f32_e64 s[18:19], 0, v30
	v_cndmask_b32_e64 v30, v31, v32, s[18:19]
	v_mul_f32_e32 v32, 0x4f800000, v28
	v_cmp_gt_f32_e64 s[18:19], s75, v28
	v_cndmask_b32_e64 v28, v28, v32, s[18:19]
	v_sqrt_f32_e32 v32, v28
	v_mul_f32_e32 v31, 0x37800000, v30
	v_cndmask_b32_e32 v30, v30, v31, vcc
	v_cmp_class_f32_e32 vcc, v29, v40
	v_cndmask_b32_e32 v29, v30, v29, vcc
	v_add_u32_e32 v30, -1, v32
	v_fma_f32 v31, -v30, v32, v28
	v_cmp_ge_f32_e32 vcc, 0, v31
	v_add_u32_e32 v31, 1, v32
	v_cndmask_b32_e32 v30, v32, v30, vcc
	v_fma_f32 v32, -v31, v32, v28
	v_cmp_lt_f32_e32 vcc, 0, v32
	v_cndmask_b32_e32 v30, v30, v31, vcc
	v_mul_f32_e32 v31, 0x37800000, v30
	v_cndmask_b32_e64 v30, v30, v31, s[18:19]
	v_cmp_class_f32_e32 vcc, v28, v40
	v_cndmask_b32_e32 v28, v30, v28, vcc
	v_mul_f32_e32 v36, v29, v28
	v_mov_b32_e32 v32, 1.0
.LBB44_557:                             ;   in Loop: Header=BB44_401 Depth=1
	s_or_b64 exec, exec, s[54:55]
	s_and_b64 s[18:19], s[56:57], exec
.LBB44_558:                             ;   in Loop: Header=BB44_401 Depth=1
	s_or_b64 exec, exec, s[52:53]
	s_and_b64 s[18:19], s[18:19], exec
                                        ; implicit-def: $vgpr28
.LBB44_559:                             ;   in Loop: Header=BB44_401 Depth=1
	s_andn2_saveexec_b64 s[50:51], s[50:51]
; %bb.560:                              ;   in Loop: Header=BB44_401 Depth=1
	v_mov_b32_e32 v29, v32
	v_pk_mul_f32 v[36:37], v[28:29], s[38:39] op_sel_hi:[1,0]
	s_or_b64 s[18:19], s[18:19], exec
	v_mov_b32_e32 v32, v37
                                        ; implicit-def: $vgpr21
; %bb.561:                              ;   in Loop: Header=BB44_401 Depth=1
	s_or_b64 exec, exec, s[50:51]
	s_xor_b64 s[18:19], s[18:19], -1
                                        ; implicit-def: $vgpr28
	s_and_saveexec_b64 s[50:51], s[18:19]
	s_xor_b64 s[50:51], exec, s[50:51]
	s_cbranch_execz .LBB44_567
; %bb.562:                              ;   in Loop: Header=BB44_401 Depth=1
                                        ; implicit-def: $vgpr28
	s_and_saveexec_b64 s[18:19], s[16:17]
	s_xor_b64 s[18:19], exec, s[18:19]
	s_cbranch_execz .LBB44_564
; %bb.563:                              ;   in Loop: Header=BB44_401 Depth=1
	v_fma_f32 v28, |v21|, -0.5, 0.5
	v_mul_f32_e32 v29, v21, v21
	v_cmp_gt_f32_e64 vcc, |v21|, 0.5
	v_cndmask_b32_e32 v28, v29, v28, vcc
	v_mov_b32_e32 v29, 0x3c5fc5da
	v_fmac_f32_e32 v29, 0x3d1c21a7, v28
	v_fma_f32 v29, v28, v29, v42
	v_fma_f32 v29, v28, v29, v43
	v_sqrt_f32_e32 v30, v28
	v_fma_f32 v29, v28, v29, v44
	v_fma_f32 v29, v28, v29, v45
	v_mul_f32_e32 v28, v28, v29
	v_fmac_f32_e32 v30, v30, v28
	v_fmac_f32_e32 v21, v21, v28
	v_add_f32_e32 v29, v30, v30
	v_sub_f32_e32 v21, 0x3fc90fdb, v21
	v_cndmask_b32_e32 v28, v21, v29, vcc
                                        ; implicit-def: $vgpr21
.LBB44_564:                             ;   in Loop: Header=BB44_401 Depth=1
	s_andn2_saveexec_b64 s[52:53], s[18:19]
	s_cbranch_execz .LBB44_566
; %bb.565:                              ;   in Loop: Header=BB44_401 Depth=1
	v_fma_f32 v28, |v21|, -0.5, 0.5
	v_mul_f32_e32 v29, v21, v21
	v_cmp_gt_f32_e64 vcc, |v21|, 0.5
	v_cndmask_b32_e32 v28, v29, v28, vcc
	v_mov_b32_e32 v29, 0x3c5fc5da
	v_fmac_f32_e32 v29, 0x3d1c21a7, v28
	v_fma_f32 v29, v28, v29, v42
	v_fma_f32 v29, v28, v29, v43
	v_sqrt_f32_e32 v30, v28
	v_fma_f32 v29, v28, v29, v44
	v_fma_f32 v29, v28, v29, v45
	v_mul_f32_e32 v28, v28, v29
	v_fmac_f32_e32 v30, v30, v28
	v_add_f32_e32 v29, v30, v30
	v_sub_f32_e32 v30, 0x40490fdb, v29
	v_cmp_lt_f32_e64 s[18:19], 0, v21
	v_fma_f32 v21, -v21, v28, -v21
	v_cndmask_b32_e64 v29, v29, v30, s[18:19]
	v_sub_f32_e32 v21, 0x3fc90fdb, v21
	v_cndmask_b32_e32 v28, v21, v29, vcc
.LBB44_566:                             ;   in Loop: Header=BB44_401 Depth=1
	s_or_b64 exec, exec, s[52:53]
                                        ; implicit-def: $vgpr36
                                        ; implicit-def: $vgpr32
.LBB44_567:                             ;   in Loop: Header=BB44_401 Depth=1
	s_andn2_saveexec_b64 s[18:19], s[50:51]
	s_cbranch_execz .LBB44_573
; %bb.568:                              ;   in Loop: Header=BB44_401 Depth=1
                                        ; implicit-def: $vgpr28
	s_and_saveexec_b64 s[50:51], s[16:17]
	s_xor_b64 s[16:17], exec, s[50:51]
	s_cbranch_execz .LBB44_570
; %bb.569:                              ;   in Loop: Header=BB44_401 Depth=1
	v_max_f32_e64 v21, |v36|, |v36|
	v_max_f32_e32 v28, v32, v32
	v_min_f32_e32 v29, v28, v21
	v_max_f32_e32 v21, v28, v21
	v_frexp_mant_f32_e32 v28, v21
	v_rcp_f32_e32 v28, v28
	v_frexp_exp_i32_f32_e32 v21, v21
	v_frexp_exp_i32_f32_e32 v30, v29
	v_frexp_mant_f32_e32 v29, v29
	v_mul_f32_e32 v28, v29, v28
	v_sub_u32_e32 v21, v30, v21
	v_ldexp_f32 v21, v28, v21
	v_mul_f32_e32 v28, v21, v21
	v_mov_b32_e32 v29, 0xbc7a590c
	v_fmac_f32_e32 v29, 0x3b2d2a58, v28
	v_fma_f32 v29, v28, v29, v46
	v_fma_f32 v29, v28, v29, v47
	;; [unrolled: 1-line block ×6, first 2 shown]
	v_mul_f32_e32 v28, v28, v29
	v_fmac_f32_e32 v21, v21, v28
	v_sub_f32_e32 v28, 0x3fc90fdb, v21
	v_cmp_gt_f32_e64 vcc, |v36|, v32
	v_cndmask_b32_e32 v21, v21, v28, vcc
	v_cmp_neq_f32_e32 vcc, 0, v36
	v_cndmask_b32_e32 v21, 0, v21, vcc
	v_cmp_eq_f32_e32 vcc, s73, v32
	v_cmp_class_f32_e64 s[50:51], v36, s87
	s_and_b64 vcc, vcc, s[50:51]
	v_cndmask_b32_e32 v21, v21, v57, vcc
	v_cmp_o_f32_e32 vcc, v32, v36
	v_cndmask_b32_e32 v21, v55, v21, vcc
	v_bfi_b32 v28, s72, v21, v36
                                        ; implicit-def: $vgpr36
                                        ; implicit-def: $vgpr32
.LBB44_570:                             ;   in Loop: Header=BB44_401 Depth=1
	s_andn2_saveexec_b64 s[50:51], s[16:17]
	s_cbranch_execz .LBB44_572
; %bb.571:                              ;   in Loop: Header=BB44_401 Depth=1
	v_max_f32_e64 v21, |v36|, |v36|
	v_max_f32_e32 v28, v32, v32
	v_min_f32_e32 v29, v28, v21
	v_max_f32_e32 v21, v28, v21
	v_frexp_mant_f32_e32 v28, v21
	v_rcp_f32_e32 v28, v28
	v_frexp_exp_i32_f32_e32 v21, v21
	v_frexp_exp_i32_f32_e32 v30, v29
	v_frexp_mant_f32_e32 v29, v29
	v_mul_f32_e32 v28, v29, v28
	v_sub_u32_e32 v21, v30, v21
	v_ldexp_f32 v21, v28, v21
	v_mul_f32_e32 v28, v21, v21
	v_mov_b32_e32 v29, 0xbc7a590c
	v_fmac_f32_e32 v29, 0x3b2d2a58, v28
	v_fma_f32 v29, v28, v29, v46
	v_fma_f32 v29, v28, v29, v47
	;; [unrolled: 1-line block ×6, first 2 shown]
	v_mul_f32_e32 v28, v28, v29
	v_fmac_f32_e32 v21, v21, v28
	v_sub_f32_e32 v28, 0x3fc90fdb, v21
	v_cmp_gt_f32_e64 vcc, |v36|, v32
	v_cndmask_b32_e32 v21, v21, v28, vcc
	v_sub_f32_e32 v28, 0x40490fdb, v21
	v_cmp_lt_f32_e32 vcc, 0, v32
	v_cndmask_b32_e32 v21, v21, v28, vcc
	v_cmp_neq_f32_e64 s[16:17], 0, v36
	v_cndmask_b32_e64 v21, v58, v21, s[16:17]
	v_cndmask_b32_e32 v28, v57, v59, vcc
	v_cmp_eq_f32_e32 vcc, s73, v32
	v_cmp_class_f32_e64 s[16:17], v36, s87
	s_and_b64 vcc, vcc, s[16:17]
	v_cndmask_b32_e32 v21, v21, v28, vcc
	v_cmp_o_f32_e64 vcc, v36, -v32
	v_cndmask_b32_e32 v21, v55, v21, vcc
	v_bfi_b32 v28, s72, v21, v36
.LBB44_572:                             ;   in Loop: Header=BB44_401 Depth=1
	s_or_b64 exec, exec, s[50:51]
.LBB44_573:                             ;   in Loop: Header=BB44_401 Depth=1
	s_or_b64 exec, exec, s[18:19]
	v_cndmask_b32_e64 v29, -v19, v19, s[12:13]
                                        ; implicit-def: $vgpr30
.LBB44_574:                             ;   in Loop: Header=BB44_401 Depth=1
	s_andn2_saveexec_b64 s[16:17], s[48:49]
	s_cbranch_execz .LBB44_576
; %bb.575:                              ;   in Loop: Header=BB44_401 Depth=1
	v_pk_mov_b32 v[28:29], s[28:29], s[28:29] op_sel:[0,1]
	flat_load_dword v19, v[28:29] glc
	s_waitcnt vmcnt(0)
	v_xor_b32_e32 v29, 0x80000000, v31
	s_waitcnt lgkmcnt(0)
	v_sub_f32_e32 v19, v19, v30
	v_add_f32_e32 v28, 0x3fc90fdb, v19
.LBB44_576:                             ;   in Loop: Header=BB44_401 Depth=1
	s_or_b64 exec, exec, s[16:17]
                                        ; implicit-def: $vgpr31
.LBB44_577:                             ;   in Loop: Header=BB44_401 Depth=1
	s_andn2_saveexec_b64 s[16:17], s[46:47]
; %bb.578:                              ;   in Loop: Header=BB44_401 Depth=1
	v_xor_b32_e32 v29, 0x80000000, v31
	v_mov_b32_e32 v28, 0
; %bb.579:                              ;   in Loop: Header=BB44_401 Depth=1
	s_or_b64 exec, exec, s[16:17]
                                        ; implicit-def: $vgpr30
                                        ; implicit-def: $vgpr32
                                        ; implicit-def: $vgpr19
                                        ; implicit-def: $vgpr21
.LBB44_580:                             ;   in Loop: Header=BB44_401 Depth=1
	s_andn2_saveexec_b64 s[44:45], s[44:45]
	s_cbranch_execz .LBB44_590
; %bb.581:                              ;   in Loop: Header=BB44_401 Depth=1
	v_cmp_lt_f32_e64 s[16:17], |v30|, |v31|
	v_cndmask_b32_e64 v33, |v30|, |v31|, s[16:17]
	v_cmp_nlt_f32_e32 vcc, s88, v33
                                        ; implicit-def: $vgpr29
                                        ; implicit-def: $vgpr28
	s_and_saveexec_b64 s[18:19], vcc
	s_xor_b64 s[46:47], exec, s[18:19]
	s_cbranch_execz .LBB44_587
; %bb.582:                              ;   in Loop: Header=BB44_401 Depth=1
	v_cndmask_b32_e64 v34, |v31|, |v30|, s[16:17]
	v_cmp_nlt_f32_e32 vcc, s89, v33
	v_cmp_ngt_f32_e64 s[18:19], s90, v34
	s_and_b64 s[18:19], vcc, s[18:19]
                                        ; implicit-def: $vgpr29
                                        ; implicit-def: $vgpr28
	s_and_saveexec_b64 s[48:49], s[18:19]
	s_xor_b64 s[18:19], exec, s[48:49]
	s_cbranch_execz .LBB44_584
; %bb.583:                              ;   in Loop: Header=BB44_401 Depth=1
	v_mul_f32_e32 v28, v34, v34
	v_fmac_f32_e32 v28, v33, v33
	v_cmp_gt_f32_e32 vcc, s77, v28
	v_cndmask_b32_e32 v29, 1.0, v53, vcc
	v_mul_f32_e32 v28, v28, v29
	v_log_f32_e32 v28, v28
	v_cndmask_b32_e32 v29, 0, v54, vcc
	v_min_f32_e32 v19, v32, v19
	v_frexp_exp_i32_f32_e32 v32, v19
	v_mul_f32_e32 v33, 0x3f317217, v28
	v_fma_f32 v34, v28, s78, -v33
	v_fmac_f32_e32 v34, 0x3377d1cf, v28
	v_add_f32_e32 v33, v33, v34
	v_cmp_lt_f32_e64 vcc, |v28|, s73
	v_cndmask_b32_e32 v28, v28, v33, vcc
	v_sub_f32_e32 v28, v28, v29
	v_mul_f32_e32 v29, 0.5, v28
	s_waitcnt vmcnt(0) lgkmcnt(0)
	v_frexp_mant_f32_e32 v28, v21
	v_rcp_f32_e32 v28, v28
	v_frexp_exp_i32_f32_e32 v21, v21
	v_frexp_mant_f32_e32 v19, v19
	v_sub_u32_e32 v21, v32, v21
	v_mul_f32_e32 v19, v19, v28
	v_ldexp_f32 v28, v19, v21
	v_mul_f32_e32 v19, v28, v28
	v_mov_b32_e32 v21, 0xbc7a590c
	v_fmac_f32_e32 v21, 0x3b2d2a58, v19
	v_fma_f32 v21, v19, v21, v46
	v_fma_f32 v21, v19, v21, v47
	;; [unrolled: 1-line block ×6, first 2 shown]
	v_mul_f32_e32 v19, v19, v21
	v_fmac_f32_e32 v28, v28, v19
                                        ; implicit-def: $vgpr21
                                        ; implicit-def: $vgpr32
                                        ; implicit-def: $vgpr19
.LBB44_584:                             ;   in Loop: Header=BB44_401 Depth=1
	s_andn2_saveexec_b64 s[18:19], s[18:19]
	s_cbranch_execz .LBB44_586
; %bb.585:                              ;   in Loop: Header=BB44_401 Depth=1
	s_waitcnt vmcnt(0) lgkmcnt(0)
	v_cvt_f64_f32_e32 v[28:29], v21
	v_frexp_exp_i32_f64_e32 v28, v[28:29]
	v_sub_u32_e32 v29, 0, v28
	v_ldexp_f32 v33, |v30|, v29
	v_ldexp_f32 v29, |v31|, v29
	v_mul_f32_e32 v29, v29, v29
	v_fmac_f32_e32 v29, v33, v33
	v_sqrt_f32_e32 v29, v29
	v_cmp_neq_f32_e32 vcc, s73, v21
	v_min_f32_e32 v19, v32, v19
	v_ldexp_f32 v28, v29, v28
	v_cndmask_b32_e32 v28, v52, v28, vcc
	v_cmp_gt_f32_e32 vcc, s77, v28
	v_cndmask_b32_e32 v29, 1.0, v53, vcc
	v_mul_f32_e32 v28, v28, v29
	v_log_f32_e32 v28, v28
	v_cndmask_b32_e32 v29, 0, v54, vcc
	v_mul_f32_e32 v32, 0x3f317217, v28
	v_fma_f32 v33, v28, s78, -v32
	v_fmac_f32_e32 v33, 0x3377d1cf, v28
	v_add_f32_e32 v32, v32, v33
	v_cmp_lt_f32_e64 vcc, |v28|, s73
	v_cndmask_b32_e32 v28, v28, v32, vcc
	v_sub_f32_e32 v29, v28, v29
	v_frexp_mant_f32_e32 v28, v21
	v_rcp_f32_e32 v28, v28
	v_frexp_exp_i32_f32_e32 v21, v21
	v_frexp_exp_i32_f32_e32 v32, v19
	v_frexp_mant_f32_e32 v19, v19
	v_mul_f32_e32 v19, v19, v28
	v_sub_u32_e32 v21, v32, v21
	v_ldexp_f32 v28, v19, v21
	v_mul_f32_e32 v19, v28, v28
	v_mov_b32_e32 v21, 0xbc7a590c
	v_fmac_f32_e32 v21, 0x3b2d2a58, v19
	v_fma_f32 v21, v19, v21, v46
	v_fma_f32 v21, v19, v21, v47
	;; [unrolled: 1-line block ×6, first 2 shown]
	v_mul_f32_e32 v19, v19, v21
	v_fmac_f32_e32 v28, v28, v19
.LBB44_586:                             ;   in Loop: Header=BB44_401 Depth=1
	s_or_b64 exec, exec, s[18:19]
                                        ; implicit-def: $vgpr32
                                        ; implicit-def: $vgpr19
                                        ; implicit-def: $vgpr21
.LBB44_587:                             ;   in Loop: Header=BB44_401 Depth=1
	s_andn2_saveexec_b64 s[46:47], s[46:47]
	s_cbranch_execz .LBB44_589
; %bb.588:                              ;   in Loop: Header=BB44_401 Depth=1
	v_div_scale_f32 v28, s[18:19], s91, s91, v30
	v_rcp_f32_e32 v29, v28
	v_div_scale_f32 v33, vcc, v30, s91, v30
	v_min_f32_e32 v19, v32, v19
	v_fma_f32 v34, -v28, v29, 1.0
	v_fmac_f32_e32 v29, v34, v29
	v_mul_f32_e32 v34, v33, v29
	v_fma_f32 v35, -v28, v34, v33
	v_fmac_f32_e32 v34, v35, v29
	v_fma_f32 v28, -v28, v34, v33
	v_div_scale_f32 v33, s[18:19], s91, s91, v31
	v_rcp_f32_e32 v35, v33
	v_div_fmas_f32 v28, v28, v29, v34
	v_div_fixup_f32 v34, v28, s91, v30
	v_frexp_exp_i32_f32_e32 v32, v19
	v_fma_f32 v28, -v33, v35, 1.0
	v_fmac_f32_e32 v35, v28, v35
	v_div_scale_f32 v28, vcc, v31, s91, v31
	v_mul_f32_e32 v29, v28, v35
	v_fma_f32 v36, -v33, v29, v28
	v_fmac_f32_e32 v29, v36, v35
	v_fma_f32 v28, -v33, v29, v28
	v_div_fmas_f32 v28, v28, v35, v29
	v_div_fixup_f32 v33, v28, s91, v31
	v_max_f32_e64 v35, |v34|, |v33|
	v_cvt_f64_f32_e32 v[28:29], v35
	v_frexp_exp_i32_f64_e32 v28, v[28:29]
	v_sub_u32_e32 v29, 0, v28
	v_ldexp_f32 v34, |v34|, v29
	v_ldexp_f32 v29, |v33|, v29
	v_mul_f32_e32 v29, v29, v29
	v_fmac_f32_e32 v29, v34, v34
	v_sqrt_f32_e32 v29, v29
	v_cmp_neq_f32_e32 vcc, s73, v35
	v_frexp_mant_f32_e32 v19, v19
	v_ldexp_f32 v28, v29, v28
	v_cndmask_b32_e32 v28, v52, v28, vcc
	v_cmp_gt_f32_e32 vcc, s77, v28
	v_cndmask_b32_e32 v29, 1.0, v53, vcc
	v_mul_f32_e32 v28, v28, v29
	v_log_f32_e32 v28, v28
	v_mul_f32_e32 v29, 0x3f317217, v28
	v_fma_f32 v33, v28, s78, -v29
	v_fmac_f32_e32 v33, 0x3377d1cf, v28
	v_add_f32_e32 v29, v29, v33
	v_cmp_lt_f32_e64 s[18:19], |v28|, s73
	v_cndmask_b32_e64 v28, v28, v29, s[18:19]
	v_cndmask_b32_e32 v29, 0, v54, vcc
	v_sub_f32_e32 v28, v28, v29
	v_add_f32_e32 v29, 1.0, v28
	s_waitcnt vmcnt(0) lgkmcnt(0)
	v_frexp_mant_f32_e32 v28, v21
	v_rcp_f32_e32 v28, v28
	v_frexp_exp_i32_f32_e32 v21, v21
	v_sub_u32_e32 v21, v32, v21
	v_mul_f32_e32 v19, v19, v28
	v_ldexp_f32 v28, v19, v21
	v_mul_f32_e32 v19, v28, v28
	v_mov_b32_e32 v21, 0xbc7a590c
	v_fmac_f32_e32 v21, 0x3b2d2a58, v19
	v_fma_f32 v21, v19, v21, v46
	v_fma_f32 v21, v19, v21, v47
	;; [unrolled: 1-line block ×6, first 2 shown]
	v_mul_f32_e32 v19, v19, v21
	v_fmac_f32_e32 v28, v28, v19
.LBB44_589:                             ;   in Loop: Header=BB44_401 Depth=1
	s_or_b64 exec, exec, s[46:47]
	v_sub_f32_e32 v19, 0x3fc90fdb, v28
	v_cndmask_b32_e64 v19, v28, v19, s[16:17]
	s_waitcnt vmcnt(0) lgkmcnt(0)
	v_sub_f32_e32 v21, 0x40490fdb, v19
	v_cmp_gt_f32_e32 vcc, 0, v30
	v_cndmask_b32_e32 v19, v19, v21, vcc
	v_cndmask_b32_e64 v21, 0, v58, s[14:15]
	v_cmp_eq_f32_e64 s[14:15], 0, v31
	v_cndmask_b32_e64 v19, v19, v21, s[14:15]
	v_cmp_class_f32_e64 s[14:15], v30, s87
	v_cmp_class_f32_e64 s[16:17], v31, s87
	v_cndmask_b32_e32 v21, v57, v59, vcc
	s_and_b64 vcc, s[16:17], s[14:15]
	v_cndmask_b32_e32 v19, v19, v21, vcc
	v_cmp_o_f32_e32 vcc, v30, v31
	v_cndmask_b32_e64 v28, v55, |v19|, vcc
	v_add_f32_e32 v19, 0x3f317218, v29
	v_cndmask_b32_e64 v29, -v19, v19, s[12:13]
.LBB44_590:                             ;   in Loop: Header=BB44_401 Depth=1
	s_or_b64 exec, exec, s[44:45]
                                        ; implicit-def: $vgpr31
.LBB44_591:                             ;   in Loop: Header=BB44_401 Depth=1
	s_andn2_saveexec_b64 s[12:13], s[42:43]
	s_cbranch_execz .LBB44_605
; %bb.592:                              ;   in Loop: Header=BB44_401 Depth=1
	v_cmp_neq_f32_e64 s[14:15], |v30|, s73
                                        ; implicit-def: $vgpr29
	s_and_saveexec_b64 s[16:17], s[14:15]
	s_xor_b64 s[14:15], exec, s[16:17]
	s_cbranch_execz .LBB44_602
; %bb.593:                              ;   in Loop: Header=BB44_401 Depth=1
	v_cmp_neq_f32_e64 s[16:17], |v31|, s73
                                        ; implicit-def: $vgpr29
	s_and_saveexec_b64 s[18:19], s[16:17]
	s_xor_b64 s[16:17], exec, s[18:19]
	s_cbranch_execz .LBB44_599
; %bb.594:                              ;   in Loop: Header=BB44_401 Depth=1
	v_cmp_neq_f32_e32 vcc, 0, v30
                                        ; implicit-def: $vgpr29
	s_and_saveexec_b64 s[18:19], vcc
	s_xor_b64 s[18:19], exec, s[18:19]
; %bb.595:                              ;   in Loop: Header=BB44_401 Depth=1
	v_add_f32_e32 v19, 0, v31
	v_add_f32_e32 v29, v19, v30
                                        ; implicit-def: $vgpr31
; %bb.596:                              ;   in Loop: Header=BB44_401 Depth=1
	s_or_saveexec_b64 s[18:19], s[18:19]
	v_mov_b32_e32 v28, v29
	s_xor_b64 exec, exec, s[18:19]
	s_cbranch_execz .LBB44_598
; %bb.597:                              ;   in Loop: Header=BB44_401 Depth=1
	v_pk_mov_b32 v[28:29], s[28:29], s[28:29] op_sel:[0,1]
	flat_load_dword v19, v[28:29] glc
	s_waitcnt vmcnt(0)
	v_add_f32_e32 v29, v31, v31
	s_waitcnt lgkmcnt(0)
	v_add_f32_e32 v28, 0x3fc90fdb, v19
.LBB44_598:                             ;   in Loop: Header=BB44_401 Depth=1
	s_or_b64 exec, exec, s[18:19]
                                        ; implicit-def: $vgpr30
.LBB44_599:                             ;   in Loop: Header=BB44_401 Depth=1
	s_andn2_saveexec_b64 s[16:17], s[16:17]
; %bb.600:                              ;   in Loop: Header=BB44_401 Depth=1
	v_add_f32_e32 v28, v30, v30
	v_xor_b32_e32 v29, 0x80000000, v31
; %bb.601:                              ;   in Loop: Header=BB44_401 Depth=1
	s_or_b64 exec, exec, s[16:17]
                                        ; implicit-def: $vgpr31
.LBB44_602:                             ;   in Loop: Header=BB44_401 Depth=1
	s_andn2_saveexec_b64 s[14:15], s[14:15]
; %bb.603:                              ;   in Loop: Header=BB44_401 Depth=1
	v_add_f32_e32 v28, v31, v31
	v_mov_b32_e32 v29, 0xff800000
; %bb.604:                              ;   in Loop: Header=BB44_401 Depth=1
	s_or_b64 exec, exec, s[14:15]
.LBB44_605:                             ;   in Loop: Header=BB44_401 Depth=1
	s_or_b64 exec, exec, s[12:13]
	v_cmp_o_f32_e32 vcc, v26, v26
	v_cmp_o_f32_e64 s[12:13], v27, v27
	v_pk_mov_b32 v[30:31], s[28:29], s[28:29] op_sel:[0,1]
	s_and_b64 s[12:13], vcc, s[12:13]
	flat_store_dword v[30:31], v38
	s_waitcnt vmcnt(0)
                                        ; implicit-def: $vgpr31
	s_and_saveexec_b64 s[14:15], s[12:13]
	s_xor_b64 s[42:43], exec, s[14:15]
	s_cbranch_execz .LBB44_689
; %bb.606:                              ;   in Loop: Header=BB44_401 Depth=1
	v_max_f32_e64 v32, |v26|, |v26|
	v_max_f32_e64 v19, |v27|, |v27|
	s_waitcnt vmcnt(0) lgkmcnt(0)
	v_max_f32_e32 v21, v19, v32
	v_cmp_gt_i32_e64 s[14:15], 0, v26
	v_cmp_lt_i32_e64 s[16:17], -1, v26
	v_cmp_gt_i32_e64 s[12:13], 0, v27
	v_cmp_nlt_f32_e32 vcc, s70, v21
                                        ; implicit-def: $vgpr31
	s_and_saveexec_b64 s[18:19], vcc
	s_xor_b64 s[44:45], exec, s[18:19]
	s_cbranch_execz .LBB44_678
; %bb.607:                              ;   in Loop: Header=BB44_401 Depth=1
	v_cmp_neq_f32_e32 vcc, 1.0, v26
	v_cmp_neq_f32_e64 s[18:19], 0, v27
	s_or_b64 s[18:19], s[18:19], vcc
                                        ; implicit-def: $vgpr31
	s_and_saveexec_b64 s[46:47], s[18:19]
	s_xor_b64 s[46:47], exec, s[46:47]
	s_cbranch_execz .LBB44_675
; %bb.608:                              ;   in Loop: Header=BB44_401 Depth=1
	v_pk_mov_b32 v[30:31], s[30:31], s[30:31] op_sel:[0,1]
	flat_store_dword v[30:31], v39
	s_waitcnt vmcnt(0)
	flat_load_dword v21, v[30:31] glc
	s_waitcnt vmcnt(0)
	v_pk_mov_b32 v[30:31], s[34:35], s[34:35] op_sel:[0,1]
	v_cmp_nlt_f32_e64 s[18:19], |v26|, s71
	v_cmp_nlt_f32_e64 s[48:49], |v27|, s71
	s_or_b64 s[18:19], s[48:49], s[18:19]
	s_waitcnt lgkmcnt(0)
	v_add_f32_e32 v21, 1.0, v21
	flat_store_dword v[30:31], v21
	s_waitcnt vmcnt(0)
	flat_load_dword v21, v[30:31] glc
	s_waitcnt vmcnt(0)
                                        ; implicit-def: $vgpr31
	s_and_saveexec_b64 s[48:49], s[18:19]
	s_xor_b64 s[48:49], exec, s[48:49]
	s_cbranch_execz .LBB44_672
; %bb.609:                              ;   in Loop: Header=BB44_401 Depth=1
	v_and_b32_e32 v32, 0x7fffffff, v26
	v_pk_add_f32 v[34:35], v[32:33], s[36:37] op_sel_hi:[0,1]
	s_waitcnt vmcnt(0) lgkmcnt(0)
	v_max_f32_e64 v21, v19, |v35|
	v_max_f32_e64 v19, v19, |v34|
	v_cvt_f64_f32_e32 v[30:31], v19
	v_frexp_exp_i32_f64_e32 v33, v[30:31]
	v_sub_u32_e32 v30, 0, v33
	v_ldexp_f32 v31, |v27|, v30
	v_ldexp_f32 v30, |v34|, v30
	v_mul_f32_e32 v30, v30, v30
	v_fmac_f32_e32 v30, v31, v31
	v_sqrt_f32_e32 v36, v30
	v_cvt_f64_f32_e32 v[30:31], v21
	v_frexp_exp_i32_f64_e32 v30, v[30:31]
	v_sub_u32_e32 v31, 0, v30
	v_ldexp_f32 v37, |v27|, v31
	v_ldexp_f32 v31, |v35|, v31
	v_mul_f32_e32 v31, v31, v31
	v_fmac_f32_e32 v31, v37, v37
	v_sqrt_f32_e32 v31, v31
	v_cmp_neq_f32_e32 vcc, s73, v21
	v_ldexp_f32 v36, v36, v33
	v_ldexp_f32 v30, v31, v30
	v_cndmask_b32_e32 v33, v52, v30, vcc
	v_cmp_neq_f32_e32 vcc, s73, v19
	v_cndmask_b32_e32 v60, v52, v36, vcc
	v_add_f32_e32 v19, v60, v33
	v_mul_f32_e32 v19, 0.5, v19
	v_cmp_ngt_f32_e32 vcc, 1.0, v19
	v_cndmask_b32_e32 v30, 1.0, v19, vcc
	v_cmp_ngt_f32_e32 vcc, s74, v30
                                        ; implicit-def: $vgpr19
	s_and_saveexec_b64 s[18:19], vcc
	s_xor_b64 s[50:51], exec, s[18:19]
	s_cbranch_execz .LBB44_611
; %bb.610:                              ;   in Loop: Header=BB44_401 Depth=1
	v_fma_f32 v19, v30, v30, -1.0
	v_mul_f32_e32 v21, 0x4f800000, v19
	v_cmp_gt_f32_e32 vcc, s75, v19
	v_cndmask_b32_e32 v19, v19, v21, vcc
	v_sqrt_f32_e32 v21, v19
	v_add_u32_e32 v31, -1, v21
	v_fma_f32 v37, -v31, v21, v19
	v_add_u32_e32 v36, 1, v21
	v_cmp_ge_f32_e64 s[18:19], 0, v37
	v_cndmask_b32_e64 v31, v21, v31, s[18:19]
	v_fma_f32 v21, -v36, v21, v19
	v_cmp_lt_f32_e64 s[18:19], 0, v21
	v_cndmask_b32_e64 v21, v31, v36, s[18:19]
	v_mul_f32_e32 v31, 0x37800000, v21
	v_cndmask_b32_e32 v21, v21, v31, vcc
	v_cmp_class_f32_e32 vcc, v19, v40
	v_cndmask_b32_e32 v19, v21, v19, vcc
	v_add_f32_e32 v19, v30, v19
	v_cmp_gt_f32_e32 vcc, s77, v19
	v_cndmask_b32_e32 v21, 1.0, v53, vcc
	v_mul_f32_e32 v19, v19, v21
	v_log_f32_e32 v19, v19
	v_mul_f32_e32 v21, 0x3f317217, v19
	v_fma_f32 v31, v19, s78, -v21
	v_fmac_f32_e32 v31, 0x3377d1cf, v19
	v_add_f32_e32 v21, v21, v31
	v_cmp_lt_f32_e64 s[18:19], |v19|, s73
	v_cndmask_b32_e64 v19, v19, v21, s[18:19]
	v_cndmask_b32_e32 v21, 0, v54, vcc
	v_sub_f32_e32 v19, v19, v21
.LBB44_611:                             ;   in Loop: Header=BB44_401 Depth=1
	s_or_saveexec_b64 s[50:51], s[50:51]
	v_and_b32_e32 v37, 0x7fffffff, v27
	v_and_b32_e32 v61, 0x7fffffff, v35
	s_xor_b64 exec, exec, s[50:51]
	s_cbranch_execz .LBB44_633
; %bb.612:                              ;   in Loop: Header=BB44_401 Depth=1
	v_cmp_neq_f32_e64 s[18:19], |v26|, 1.0
	v_cmp_nlt_f32_e64 s[52:53], |v27|, s79
	s_or_b64 s[18:19], s[52:53], s[18:19]
                                        ; implicit-def: $vgpr19
	s_and_saveexec_b64 s[52:53], s[18:19]
	s_xor_b64 s[52:53], exec, s[52:53]
	s_cbranch_execz .LBB44_630
; %bb.613:                              ;   in Loop: Header=BB44_401 Depth=1
	v_mul_f32_e32 v19, 0x34000000, v61
	v_cmp_le_f32_e64 s[18:19], v19, |v27|
                                        ; implicit-def: $vgpr19
	s_and_saveexec_b64 s[54:55], s[18:19]
	s_xor_b64 s[54:55], exec, s[54:55]
	s_cbranch_execz .LBB44_623
; %bb.614:                              ;   in Loop: Header=BB44_401 Depth=1
	v_cmp_neq_f32_e32 vcc, 0, v34
	v_mov_b32_e32 v19, v37
	s_and_saveexec_b64 s[18:19], vcc
	s_cbranch_execz .LBB44_616
; %bb.615:                              ;   in Loop: Header=BB44_401 Depth=1
	v_mul_f32_e32 v19, v27, v27
	v_add_f32_e32 v21, v34, v60
	v_div_scale_f32 v31, s[56:57], v21, v21, v19
	v_rcp_f32_e32 v36, v31
	v_fma_f32 v62, -v31, v36, 1.0
	v_fmac_f32_e32 v36, v62, v36
	v_div_scale_f32 v62, vcc, v19, v21, v19
	v_mul_f32_e32 v63, v62, v36
	v_fma_f32 v64, -v31, v63, v62
	v_fmac_f32_e32 v63, v64, v36
	v_fma_f32 v31, -v31, v63, v62
	v_div_fmas_f32 v31, v31, v36, v63
	v_div_fixup_f32 v19, v31, v21, v19
.LBB44_616:                             ;   in Loop: Header=BB44_401 Depth=1
	s_or_b64 exec, exec, s[18:19]
	v_sub_f32_e64 v31, 1.0, |v26|
	v_cmp_ngt_f32_e32 vcc, 0, v31
                                        ; implicit-def: $vgpr21
	s_and_saveexec_b64 s[18:19], vcc
	s_xor_b64 s[18:19], exec, s[18:19]
	s_cbranch_execz .LBB44_620
; %bb.617:                              ;   in Loop: Header=BB44_401 Depth=1
	v_cmp_neq_f32_e32 vcc, 0, v31
	v_mov_b32_e32 v21, v37
	s_and_saveexec_b64 s[56:57], vcc
	s_cbranch_execz .LBB44_619
; %bb.618:                              ;   in Loop: Header=BB44_401 Depth=1
	v_mul_f32_e32 v21, v27, v27
	v_add_f32_e32 v31, v31, v33
	v_div_scale_f32 v36, s[58:59], v31, v31, v21
	v_rcp_f32_e32 v62, v36
	v_fma_f32 v63, -v36, v62, 1.0
	v_fmac_f32_e32 v62, v63, v62
	v_div_scale_f32 v63, vcc, v21, v31, v21
	v_mul_f32_e32 v64, v63, v62
	v_fma_f32 v65, -v36, v64, v63
	v_fmac_f32_e32 v64, v65, v62
	v_fma_f32 v36, -v36, v64, v63
	v_div_fmas_f32 v36, v36, v62, v64
	v_div_fixup_f32 v21, v36, v31, v21
.LBB44_619:                             ;   in Loop: Header=BB44_401 Depth=1
	s_or_b64 exec, exec, s[56:57]
                                        ; implicit-def: $vgpr31
.LBB44_620:                             ;   in Loop: Header=BB44_401 Depth=1
	s_andn2_saveexec_b64 s[18:19], s[18:19]
; %bb.621:                              ;   in Loop: Header=BB44_401 Depth=1
	v_sub_f32_e32 v21, v33, v31
; %bb.622:                              ;   in Loop: Header=BB44_401 Depth=1
	s_or_b64 exec, exec, s[18:19]
	v_mul_f32_e32 v31, 0.5, v19
	v_mul_f32_e32 v19, 0.5, v21
	v_pk_add_f32 v[62:63], v[30:31], v[18:19]
	v_mul_f32_e32 v19, v62, v63
	v_mul_f32_e32 v21, 0x4f800000, v19
	v_cmp_gt_f32_e32 vcc, s75, v19
	v_cndmask_b32_e32 v19, v19, v21, vcc
	v_sqrt_f32_e32 v21, v19
	v_add_u32_e32 v31, -1, v21
	v_fma_f32 v36, -v31, v21, v19
	v_cmp_ge_f32_e64 s[18:19], 0, v36
	v_add_u32_e32 v36, 1, v21
	v_cndmask_b32_e64 v31, v21, v31, s[18:19]
	v_fma_f32 v21, -v36, v21, v19
	v_cmp_lt_f32_e64 s[18:19], 0, v21
	v_cndmask_b32_e64 v21, v31, v36, s[18:19]
	v_mul_f32_e32 v31, 0x37800000, v21
	v_cndmask_b32_e32 v21, v21, v31, vcc
	v_cmp_class_f32_e32 vcc, v19, v40
	v_cndmask_b32_e32 v19, v21, v19, vcc
	v_add_f32_e32 v62, v63, v19
	v_add_f32_e32 v65, 1.0, v62
	v_add_f32_e32 v63, -1.0, v65
	v_mov_b32_e32 v64, v63
	v_pk_add_f32 v[66:67], v[62:63], v[64:65] neg_lo:[0,1] neg_hi:[0,1]
	v_add_f32_e32 v19, 1.0, v67
	v_add_f32_e32 v19, v66, v19
	v_frexp_mant_f32_e32 v21, v65
	v_cvt_f64_f32_e32 v[66:67], v65
	v_frexp_exp_i32_f64_e32 v31, v[66:67]
	v_cmp_gt_f32_e32 vcc, s80, v21
	v_subbrev_co_u32_e32 v31, vcc, 0, v31, vcc
	v_sub_u32_e32 v21, 0, v31
	v_ldexp_f32 v36, v65, v21
	v_ldexp_f32 v19, v19, v21
	v_add_f32_e32 v21, -1.0, v36
	v_add_f32_e32 v64, 1.0, v36
	v_add_f32_e32 v63, 1.0, v21
	v_add_f32_e32 v65, -1.0, v64
	v_sub_f32_e32 v63, v36, v63
	v_sub_f32_e32 v36, v36, v65
	v_add_f32_e32 v63, v19, v63
	v_add_f32_e32 v19, v19, v36
	;; [unrolled: 1-line block ×3, first 2 shown]
	v_rcp_f32_e32 v72, v36
	v_add_f32_e32 v65, v21, v63
	v_sub_f32_e32 v21, v65, v21
	v_sub_f32_e32 v21, v63, v21
	v_mul_f32_e32 v63, v65, v72
	v_sub_f32_e32 v64, v36, v64
	v_mul_f32_e32 v66, v36, v63
	v_sub_f32_e32 v19, v19, v64
	v_fma_f32 v68, v63, v36, -v66
	v_fmac_f32_e32 v68, v63, v19
	v_add_f32_e32 v64, v66, v68
	v_sub_f32_e32 v67, v65, v64
	v_pk_add_f32 v[70:71], v[64:65], v[66:67] neg_lo:[0,1] neg_hi:[0,1]
	v_mov_b32_e32 v69, v64
	v_pk_add_f32 v[64:65], v[70:71], v[68:69] neg_lo:[0,1] neg_hi:[0,1]
	v_add_f32_e32 v21, v21, v65
	v_add_f32_e32 v21, v64, v21
	v_add_f32_e32 v65, v67, v21
	v_mul_f32_e32 v73, v72, v65
	v_mul_f32_e32 v66, v36, v73
	v_fma_f32 v68, v73, v36, -v66
	v_fmac_f32_e32 v68, v73, v19
	v_add_f32_e32 v64, v66, v68
	v_sub_f32_e32 v19, v67, v65
	v_sub_f32_e32 v67, v65, v64
	v_pk_add_f32 v[70:71], v[64:65], v[66:67] neg_lo:[0,1] neg_hi:[0,1]
	v_mov_b32_e32 v69, v64
	v_add_f32_e32 v19, v21, v19
	v_pk_add_f32 v[64:65], v[70:71], v[68:69] neg_lo:[0,1] neg_hi:[0,1]
	v_add_f32_e32 v19, v19, v65
	v_add_f32_e32 v19, v64, v19
	;; [unrolled: 1-line block ×4, first 2 shown]
	v_sub_f32_e32 v21, v36, v63
	v_mul_f32_e32 v19, v72, v19
	v_sub_f32_e32 v21, v73, v21
	v_add_f32_e32 v19, v21, v19
	v_add_f32_e32 v63, v36, v19
	v_cvt_f32_i32_e32 v64, v31
	v_mul_f32_e32 v65, v63, v63
	v_mov_b32_e32 v21, 0x3ecc95a3
	v_fmac_f32_e32 v21, 0x3e9b6dac, v65
	v_fma_f32 v21, v65, v21, v41
	v_mul_f32_e32 v65, v63, v65
	v_pk_mul_f32 v[68:69], v[64:65], v[20:21]
	v_fma_f32 v66, v64, s81, -v68
	v_ldexp_f32 v67, v63, 1
	v_fmac_f32_e32 v66, 0xb102e308, v64
	v_sub_f32_e32 v31, v63, v36
	v_pk_add_f32 v[64:65], v[68:69], v[66:67]
	v_sub_f32_e32 v19, v19, v31
	v_sub_f32_e32 v21, v65, v67
	v_ldexp_f32 v19, v19, 1
	v_sub_f32_e32 v21, v69, v21
	v_add_f32_e32 v71, v19, v21
	v_mov_b32_e32 v70, v68
	v_pk_add_f32 v[68:69], v[64:65], v[68:69] neg_lo:[0,1] neg_hi:[0,1]
	v_pk_add_f32 v[72:73], v[64:65], v[70:71]
	v_mov_b32_e32 v69, v73
	v_mov_b32_e32 v67, v64
	v_pk_add_f32 v[74:75], v[66:67], v[68:69] neg_lo:[0,1] neg_hi:[0,1]
	v_pk_add_f32 v[66:67], v[66:67], v[68:69]
	v_mov_b32_e32 v36, v67
	v_pk_add_f32 v[68:69], v[36:37], v[64:65] neg_lo:[0,1] neg_hi:[0,1]
	v_mov_b32_e32 v19, v68
	v_pk_add_f32 v[76:77], v[72:73], v[18:19] neg_lo:[0,1] neg_hi:[0,1]
	v_mov_b32_e32 v66, v73
	v_mov_b32_e32 v72, v65
	;; [unrolled: 1-line block ×4, first 2 shown]
	v_pk_add_f32 v[66:67], v[66:67], v[72:73] neg_lo:[0,1] neg_hi:[0,1]
	v_mov_b32_e32 v68, v71
	v_mov_b32_e32 v69, v64
	v_pk_add_f32 v[64:65], v[68:69], v[66:67] neg_lo:[0,1] neg_hi:[0,1]
	v_mov_b32_e32 v76, v74
	v_pk_add_f32 v[66:67], v[76:77], v[64:65]
	v_mov_b32_e32 v68, v67
	v_pk_add_f32 v[68:69], v[66:67], v[68:69]
	v_pk_add_f32 v[70:71], v[36:37], v[68:69]
	v_mov_b32_e32 v67, v70
	v_pk_add_f32 v[72:73], v[66:67], v[74:75] neg_lo:[0,1] neg_hi:[0,1]
	v_mov_b32_e32 v65, v68
	v_sub_f32_e32 v19, v66, v72
	v_pk_add_f32 v[64:65], v[64:65], v[72:73] neg_lo:[0,1] neg_hi:[0,1]
	v_sub_f32_e32 v19, v74, v19
	v_add_f32_e32 v19, v64, v19
	v_add_f32_e32 v19, v19, v65
	;; [unrolled: 1-line block ×3, first 2 shown]
	v_cmp_eq_f32_e32 vcc, s73, v62
	v_cndmask_b32_e32 v19, v19, v62, vcc
	v_cmp_ngt_f32_e32 vcc, -1.0, v62
	v_cndmask_b32_e32 v19, v55, v19, vcc
	v_cmp_neq_f32_e32 vcc, -1.0, v62
	v_cndmask_b32_e32 v19, v56, v19, vcc
	v_cmp_lt_f32_e64 vcc, |v62|, s82
	v_cndmask_b32_e32 v19, v19, v62, vcc
.LBB44_623:                             ;   in Loop: Header=BB44_401 Depth=1
	s_andn2_saveexec_b64 s[54:55], s[54:55]
	s_cbranch_execz .LBB44_629
; %bb.624:                              ;   in Loop: Header=BB44_401 Depth=1
	v_cmp_nlt_f32_e64 s[18:19], |v26|, 1.0
                                        ; implicit-def: $vgpr19
	s_and_saveexec_b64 s[56:57], s[18:19]
	s_xor_b64 s[56:57], exec, s[56:57]
	s_cbranch_execz .LBB44_626
; %bb.625:                              ;   in Loop: Header=BB44_401 Depth=1
	v_mul_f32_e32 v19, v35, v34
	v_mul_f32_e32 v21, 0x4f800000, v19
	v_cmp_gt_f32_e32 vcc, s75, v19
	v_cndmask_b32_e32 v19, v19, v21, vcc
	v_sqrt_f32_e32 v21, v19
	v_add_u32_e32 v31, -1, v21
	v_fma_f32 v62, -v31, v21, v19
	v_add_u32_e32 v36, 1, v21
	v_cmp_ge_f32_e64 s[18:19], 0, v62
	v_cndmask_b32_e64 v31, v21, v31, s[18:19]
	v_fma_f32 v21, -v36, v21, v19
	v_cmp_lt_f32_e64 s[18:19], 0, v21
	v_cndmask_b32_e64 v21, v31, v36, s[18:19]
	v_mul_f32_e32 v31, 0x37800000, v21
	v_cndmask_b32_e32 v21, v21, v31, vcc
	v_cmp_class_f32_e32 vcc, v19, v40
	v_cndmask_b32_e32 v19, v21, v19, vcc
	v_add_f32_e32 v62, v35, v19
	v_add_f32_e32 v65, 1.0, v62
	v_add_f32_e32 v63, -1.0, v65
	v_mov_b32_e32 v64, v63
	v_pk_add_f32 v[66:67], v[62:63], v[64:65] neg_lo:[0,1] neg_hi:[0,1]
	v_add_f32_e32 v19, 1.0, v67
	v_add_f32_e32 v19, v66, v19
	v_frexp_mant_f32_e32 v21, v65
	v_cvt_f64_f32_e32 v[66:67], v65
	v_frexp_exp_i32_f64_e32 v31, v[66:67]
	v_cmp_gt_f32_e32 vcc, s80, v21
	v_subbrev_co_u32_e32 v31, vcc, 0, v31, vcc
	v_sub_u32_e32 v21, 0, v31
	v_ldexp_f32 v36, v65, v21
	v_ldexp_f32 v19, v19, v21
	v_add_f32_e32 v21, -1.0, v36
	v_add_f32_e32 v64, 1.0, v36
	v_add_f32_e32 v63, 1.0, v21
	v_add_f32_e32 v65, -1.0, v64
	v_sub_f32_e32 v63, v36, v63
	v_sub_f32_e32 v36, v36, v65
	v_add_f32_e32 v63, v19, v63
	v_add_f32_e32 v19, v19, v36
	;; [unrolled: 1-line block ×3, first 2 shown]
	v_rcp_f32_e32 v72, v36
	v_add_f32_e32 v65, v21, v63
	v_sub_f32_e32 v21, v65, v21
	v_sub_f32_e32 v21, v63, v21
	v_mul_f32_e32 v63, v65, v72
	v_sub_f32_e32 v64, v36, v64
	v_mul_f32_e32 v66, v36, v63
	v_sub_f32_e32 v19, v19, v64
	v_fma_f32 v68, v63, v36, -v66
	v_fmac_f32_e32 v68, v63, v19
	v_add_f32_e32 v64, v66, v68
	v_sub_f32_e32 v67, v65, v64
	v_pk_add_f32 v[70:71], v[64:65], v[66:67] neg_lo:[0,1] neg_hi:[0,1]
	v_mov_b32_e32 v69, v64
	v_pk_add_f32 v[64:65], v[70:71], v[68:69] neg_lo:[0,1] neg_hi:[0,1]
	v_add_f32_e32 v21, v21, v65
	v_add_f32_e32 v21, v64, v21
	;; [unrolled: 1-line block ×3, first 2 shown]
	v_mul_f32_e32 v73, v72, v65
	v_mul_f32_e32 v66, v36, v73
	v_fma_f32 v68, v73, v36, -v66
	v_fmac_f32_e32 v68, v73, v19
	v_add_f32_e32 v64, v66, v68
	v_sub_f32_e32 v19, v67, v65
	v_sub_f32_e32 v67, v65, v64
	v_pk_add_f32 v[70:71], v[64:65], v[66:67] neg_lo:[0,1] neg_hi:[0,1]
	v_mov_b32_e32 v69, v64
	v_add_f32_e32 v19, v21, v19
	v_pk_add_f32 v[64:65], v[70:71], v[68:69] neg_lo:[0,1] neg_hi:[0,1]
	v_add_f32_e32 v19, v19, v65
	v_add_f32_e32 v19, v64, v19
	;; [unrolled: 1-line block ×4, first 2 shown]
	v_sub_f32_e32 v21, v36, v63
	v_mul_f32_e32 v19, v72, v19
	v_sub_f32_e32 v21, v73, v21
	v_add_f32_e32 v19, v21, v19
	v_add_f32_e32 v63, v36, v19
	v_cvt_f32_i32_e32 v64, v31
	v_mul_f32_e32 v65, v63, v63
	v_mov_b32_e32 v21, 0x3ecc95a3
	v_fmac_f32_e32 v21, 0x3e9b6dac, v65
	v_fma_f32 v21, v65, v21, v41
	v_mul_f32_e32 v65, v63, v65
	v_pk_mul_f32 v[68:69], v[64:65], v[20:21]
	v_fma_f32 v66, v64, s81, -v68
	v_ldexp_f32 v67, v63, 1
	v_fmac_f32_e32 v66, 0xb102e308, v64
	v_sub_f32_e32 v31, v63, v36
	v_pk_add_f32 v[64:65], v[68:69], v[66:67]
	v_sub_f32_e32 v19, v19, v31
	v_sub_f32_e32 v21, v65, v67
	v_ldexp_f32 v19, v19, 1
	v_sub_f32_e32 v21, v69, v21
	v_add_f32_e32 v71, v19, v21
	v_mov_b32_e32 v70, v68
	v_pk_add_f32 v[68:69], v[64:65], v[68:69] neg_lo:[0,1] neg_hi:[0,1]
	v_pk_add_f32 v[72:73], v[64:65], v[70:71]
	v_mov_b32_e32 v69, v73
	v_mov_b32_e32 v67, v64
	v_pk_add_f32 v[74:75], v[66:67], v[68:69] neg_lo:[0,1] neg_hi:[0,1]
	v_pk_add_f32 v[66:67], v[66:67], v[68:69]
	v_mov_b32_e32 v36, v67
	v_pk_add_f32 v[68:69], v[36:37], v[64:65] neg_lo:[0,1] neg_hi:[0,1]
	v_mov_b32_e32 v19, v68
	v_pk_add_f32 v[76:77], v[72:73], v[18:19] neg_lo:[0,1] neg_hi:[0,1]
	v_mov_b32_e32 v66, v73
	v_mov_b32_e32 v72, v65
	;; [unrolled: 1-line block ×4, first 2 shown]
	v_pk_add_f32 v[66:67], v[66:67], v[72:73] neg_lo:[0,1] neg_hi:[0,1]
	v_mov_b32_e32 v68, v71
	v_mov_b32_e32 v69, v64
	v_pk_add_f32 v[64:65], v[68:69], v[66:67] neg_lo:[0,1] neg_hi:[0,1]
	v_mov_b32_e32 v76, v74
	v_pk_add_f32 v[66:67], v[76:77], v[64:65]
	v_mov_b32_e32 v68, v67
	v_pk_add_f32 v[68:69], v[66:67], v[68:69]
	v_pk_add_f32 v[70:71], v[36:37], v[68:69]
	v_mov_b32_e32 v67, v70
	v_pk_add_f32 v[72:73], v[66:67], v[74:75] neg_lo:[0,1] neg_hi:[0,1]
	v_mov_b32_e32 v65, v68
	v_sub_f32_e32 v19, v66, v72
	v_pk_add_f32 v[64:65], v[64:65], v[72:73] neg_lo:[0,1] neg_hi:[0,1]
	v_sub_f32_e32 v19, v74, v19
	v_add_f32_e32 v19, v64, v19
	v_add_f32_e32 v19, v19, v65
	;; [unrolled: 1-line block ×3, first 2 shown]
	v_cmp_eq_f32_e32 vcc, s73, v62
	v_cndmask_b32_e32 v19, v19, v62, vcc
	v_cmp_ngt_f32_e32 vcc, -1.0, v62
	v_cndmask_b32_e32 v19, v55, v19, vcc
	v_cmp_neq_f32_e32 vcc, -1.0, v62
	v_cndmask_b32_e32 v19, v56, v19, vcc
	v_cmp_lt_f32_e64 vcc, |v62|, s82
	v_cndmask_b32_e32 v19, v19, v62, vcc
.LBB44_626:                             ;   in Loop: Header=BB44_401 Depth=1
	s_andn2_saveexec_b64 s[56:57], s[56:57]
	s_cbranch_execz .LBB44_628
; %bb.627:                              ;   in Loop: Header=BB44_401 Depth=1
	v_sub_f32_e64 v19, 1.0, |v26|
	v_mul_f32_e32 v19, v19, v34
	v_mul_f32_e32 v21, 0x4f800000, v19
	v_cmp_gt_f32_e32 vcc, s75, v19
	v_cndmask_b32_e32 v19, v19, v21, vcc
	v_sqrt_f32_e32 v21, v19
	v_add_u32_e32 v31, -1, v21
	v_fma_f32 v62, -v31, v21, v19
	v_add_u32_e32 v36, 1, v21
	v_cmp_ge_f32_e64 s[18:19], 0, v62
	v_cndmask_b32_e64 v31, v21, v31, s[18:19]
	v_fma_f32 v21, -v36, v21, v19
	v_cmp_lt_f32_e64 s[18:19], 0, v21
	v_cndmask_b32_e64 v21, v31, v36, s[18:19]
	v_mul_f32_e32 v31, 0x37800000, v21
	v_cndmask_b32_e32 v21, v21, v31, vcc
	v_cmp_class_f32_e32 vcc, v19, v40
	v_cndmask_b32_e32 v19, v21, v19, vcc
	v_and_b32_e32 v21, 0x7fffffff, v27
	v_div_scale_f32 v31, s[18:19], v19, v19, v21
	v_rcp_f32_e32 v36, v31
	v_div_scale_f32 v21, vcc, v21, v19, v21
	v_fma_f32 v62, -v31, v36, 1.0
	v_fmac_f32_e32 v36, v62, v36
	v_mul_f32_e32 v62, v21, v36
	v_fma_f32 v63, -v31, v62, v21
	v_fmac_f32_e32 v62, v63, v36
	v_fma_f32 v21, -v31, v62, v21
	v_div_fmas_f32 v21, v21, v36, v62
	v_div_fixup_f32 v19, v21, v19, |v27|
.LBB44_628:                             ;   in Loop: Header=BB44_401 Depth=1
	s_or_b64 exec, exec, s[56:57]
.LBB44_629:                             ;   in Loop: Header=BB44_401 Depth=1
	s_or_b64 exec, exec, s[54:55]
.LBB44_630:                             ;   in Loop: Header=BB44_401 Depth=1
	s_andn2_saveexec_b64 s[52:53], s[52:53]
	s_cbranch_execz .LBB44_632
; %bb.631:                              ;   in Loop: Header=BB44_401 Depth=1
	v_mul_f32_e64 v19, |v27|, s76
	v_cmp_lt_f32_e64 vcc, |v27|, s75
	v_cndmask_b32_e64 v19, |v27|, v19, vcc
	v_sqrt_f32_e32 v21, v19
	v_add_u32_e32 v31, -1, v21
	v_fma_f32 v62, -v31, v21, v19
	v_add_u32_e32 v36, 1, v21
	v_cmp_ge_f32_e64 s[18:19], 0, v62
	v_cndmask_b32_e64 v31, v21, v31, s[18:19]
	v_fma_f32 v21, -v36, v21, v19
	v_cmp_lt_f32_e64 s[18:19], 0, v21
	v_cndmask_b32_e64 v21, v31, v36, s[18:19]
	v_mul_f32_e32 v31, 0x37800000, v21
	v_cndmask_b32_e32 v21, v21, v31, vcc
	v_cmp_class_f32_e32 vcc, v19, v40
	v_cndmask_b32_e32 v19, v21, v19, vcc
.LBB44_632:                             ;   in Loop: Header=BB44_401 Depth=1
	s_or_b64 exec, exec, s[52:53]
.LBB44_633:                             ;   in Loop: Header=BB44_401 Depth=1
	s_or_b64 exec, exec, s[50:51]
	v_cmp_nlt_f32_e64 s[50:51], |v26|, s83
                                        ; implicit-def: $sgpr18_sgpr19
                                        ; implicit-def: $vgpr36
                                        ; implicit-def: $vgpr21
	s_and_saveexec_b64 s[52:53], s[50:51]
	s_xor_b64 s[50:51], exec, s[52:53]
	s_cbranch_execz .LBB44_657
; %bb.634:                              ;   in Loop: Header=BB44_401 Depth=1
	v_div_scale_f32 v21, s[18:19], v30, v30, v32
	v_rcp_f32_e32 v31, v21
	v_div_scale_f32 v36, vcc, v32, v30, v32
	s_mov_b64 s[18:19], 0
	v_fma_f32 v62, -v21, v31, 1.0
	v_fmac_f32_e32 v31, v62, v31
	v_mul_f32_e32 v62, v36, v31
	v_fma_f32 v63, -v21, v62, v36
	v_fmac_f32_e32 v62, v63, v31
	v_fma_f32 v21, -v21, v62, v36
	v_div_fmas_f32 v21, v21, v31, v62
	v_div_fixup_f32 v21, v21, v30, |v26|
	v_cmp_lt_f32_e32 vcc, s84, v21
                                        ; implicit-def: $vgpr36
	s_and_saveexec_b64 s[52:53], vcc
	s_cbranch_execz .LBB44_656
; %bb.635:                              ;   in Loop: Header=BB44_401 Depth=1
	v_cmp_neq_f32_e64 s[18:19], |v26|, 1.0
	v_cmp_nlt_f32_e64 s[54:55], |v27|, s85
	s_or_b64 s[18:19], s[54:55], s[18:19]
                                        ; implicit-def: $sgpr56_sgpr57
                                        ; implicit-def: $vgpr36
	s_and_saveexec_b64 s[54:55], s[18:19]
	s_xor_b64 s[54:55], exec, s[54:55]
	s_cbranch_execz .LBB44_653
; %bb.636:                              ;   in Loop: Header=BB44_401 Depth=1
	v_mul_f32_e32 v31, 0x34000000, v61
	v_cmp_le_f32_e64 s[18:19], v31, |v27|
                                        ; implicit-def: $vgpr36
                                        ; implicit-def: $sgpr56_sgpr57
	s_and_saveexec_b64 s[58:59], s[18:19]
	s_xor_b64 s[58:59], exec, s[58:59]
	s_cbranch_execz .LBB44_646
; %bb.637:                              ;   in Loop: Header=BB44_401 Depth=1
	v_cmp_neq_f32_e32 vcc, 0, v34
	v_mov_b32_e32 v26, v37
	s_and_saveexec_b64 s[18:19], vcc
	s_cbranch_execz .LBB44_639
; %bb.638:                              ;   in Loop: Header=BB44_401 Depth=1
	v_mul_f32_e32 v26, v27, v27
	v_add_f32_e32 v31, v34, v60
	v_div_scale_f32 v34, s[56:57], v31, v31, v26
	v_rcp_f32_e32 v36, v34
	v_fma_f32 v60, -v34, v36, 1.0
	v_fmac_f32_e32 v36, v60, v36
	v_div_scale_f32 v60, vcc, v26, v31, v26
	v_mul_f32_e32 v61, v60, v36
	v_fma_f32 v62, -v34, v61, v60
	v_fmac_f32_e32 v61, v62, v36
	v_fma_f32 v34, -v34, v61, v60
	v_div_fmas_f32 v34, v34, v36, v61
	v_div_fixup_f32 v26, v34, v31, v26
.LBB44_639:                             ;   in Loop: Header=BB44_401 Depth=1
	s_or_b64 exec, exec, s[18:19]
	v_cmp_ngt_f32_e32 vcc, 0, v35
	s_and_saveexec_b64 s[18:19], vcc
	s_xor_b64 s[18:19], exec, s[18:19]
	s_cbranch_execz .LBB44_643
; %bb.640:                              ;   in Loop: Header=BB44_401 Depth=1
	v_cmp_neq_f32_e32 vcc, 0, v35
	s_and_saveexec_b64 s[56:57], vcc
	s_cbranch_execz .LBB44_642
; %bb.641:                              ;   in Loop: Header=BB44_401 Depth=1
	v_mul_f32_e32 v27, v27, v27
	v_add_f32_e32 v31, v35, v33
	v_div_scale_f32 v33, s[60:61], v31, v31, v27
	v_rcp_f32_e32 v34, v33
	v_fma_f32 v35, -v33, v34, 1.0
	v_fmac_f32_e32 v34, v35, v34
	v_div_scale_f32 v35, vcc, v27, v31, v27
	v_mul_f32_e32 v36, v35, v34
	v_fma_f32 v37, -v33, v36, v35
	v_fmac_f32_e32 v36, v37, v34
	v_fma_f32 v33, -v33, v36, v35
	v_div_fmas_f32 v33, v33, v34, v36
	v_div_fixup_f32 v37, v33, v31, v27
.LBB44_642:                             ;   in Loop: Header=BB44_401 Depth=1
	s_or_b64 exec, exec, s[56:57]
                                        ; implicit-def: $vgpr33
                                        ; implicit-def: $vgpr34_vgpr35
.LBB44_643:                             ;   in Loop: Header=BB44_401 Depth=1
	s_andn2_saveexec_b64 s[18:19], s[18:19]
; %bb.644:                              ;   in Loop: Header=BB44_401 Depth=1
	v_sub_f32_e32 v37, v33, v35
; %bb.645:                              ;   in Loop: Header=BB44_401 Depth=1
	s_or_b64 exec, exec, s[18:19]
	v_mul_f32_e32 v33, 0.5, v26
	v_mul_f32_e32 v31, 0.5, v37
	v_pk_add_f32 v[26:27], v[32:33], v[30:31]
	v_mul_f32_e32 v26, v26, v27
	v_mul_f32_e32 v27, 0x4f800000, v26
	v_cmp_gt_f32_e32 vcc, s75, v26
	v_cndmask_b32_e32 v26, v26, v27, vcc
	v_sqrt_f32_e32 v27, v26
	s_mov_b64 s[56:57], -1
                                        ; implicit-def: $vgpr34_vgpr35
	v_add_u32_e32 v30, -1, v27
	v_fma_f32 v31, -v30, v27, v26
	v_cmp_ge_f32_e64 s[18:19], 0, v31
	v_add_u32_e32 v31, 1, v27
	v_cndmask_b32_e64 v30, v27, v30, s[18:19]
	v_fma_f32 v27, -v31, v27, v26
	v_cmp_lt_f32_e64 s[18:19], 0, v27
	v_cndmask_b32_e64 v27, v30, v31, s[18:19]
	v_mul_f32_e32 v30, 0x37800000, v27
	v_cndmask_b32_e32 v27, v27, v30, vcc
	v_cmp_class_f32_e32 vcc, v26, v40
	v_cndmask_b32_e32 v36, v27, v26, vcc
                                        ; implicit-def: $vgpr27
.LBB44_646:                             ;   in Loop: Header=BB44_401 Depth=1
	s_andn2_saveexec_b64 s[58:59], s[58:59]
	s_cbranch_execz .LBB44_652
; %bb.647:                              ;   in Loop: Header=BB44_401 Depth=1
	v_cmp_ngt_f32_e64 s[18:19], |v26|, 1.0
                                        ; implicit-def: $vgpr36
                                        ; implicit-def: $sgpr60_sgpr61
	s_and_saveexec_b64 s[62:63], s[18:19]
	s_xor_b64 s[62:63], exec, s[62:63]
	s_cbranch_execz .LBB44_649
; %bb.648:                              ;   in Loop: Header=BB44_401 Depth=1
	v_sub_f32_e64 v26, 1.0, |v26|
	v_mul_f32_e32 v26, v26, v34
	v_mul_f32_e32 v27, 0x4f800000, v26
	v_cmp_gt_f32_e32 vcc, s75, v26
	v_cndmask_b32_e32 v26, v26, v27, vcc
	v_sqrt_f32_e32 v27, v26
	s_mov_b64 s[60:61], -1
                                        ; implicit-def: $vgpr34_vgpr35
	v_add_u32_e32 v30, -1, v27
	v_fma_f32 v33, -v30, v27, v26
	v_add_u32_e32 v31, 1, v27
	v_cmp_ge_f32_e64 s[18:19], 0, v33
	v_cndmask_b32_e64 v30, v27, v30, s[18:19]
	v_fma_f32 v27, -v31, v27, v26
	v_cmp_lt_f32_e64 s[18:19], 0, v27
	v_cndmask_b32_e64 v27, v30, v31, s[18:19]
	v_mul_f32_e32 v30, 0x37800000, v27
	v_cndmask_b32_e32 v27, v27, v30, vcc
	v_cmp_class_f32_e32 vcc, v26, v40
	v_cndmask_b32_e32 v36, v27, v26, vcc
                                        ; implicit-def: $vgpr27
.LBB44_649:                             ;   in Loop: Header=BB44_401 Depth=1
	s_andn2_saveexec_b64 s[62:63], s[62:63]
	s_cbranch_execz .LBB44_651
; %bb.650:                              ;   in Loop: Header=BB44_401 Depth=1
	v_mul_f32_e32 v30, v34, v35
	v_mul_f32_e32 v31, 0x4f800000, v30
	v_cmp_gt_f32_e32 vcc, s75, v30
	v_cndmask_b32_e32 v30, v30, v31, vcc
	v_sqrt_f32_e32 v31, v30
	v_mul_f32_e64 v27, |v27|, s86
	v_mul_f32_e64 v27, |v26|, v27
	s_or_b64 s[60:61], s[60:61], exec
	v_add_u32_e32 v32, -1, v31
	v_fma_f32 v33, -v32, v31, v30
	v_cmp_ge_f32_e64 s[18:19], 0, v33
	v_add_u32_e32 v33, 1, v31
	v_cndmask_b32_e64 v32, v31, v32, s[18:19]
	v_fma_f32 v31, -v33, v31, v30
	v_cmp_lt_f32_e64 s[18:19], 0, v31
	v_cndmask_b32_e64 v31, v32, v33, s[18:19]
	v_mul_f32_e32 v32, 0x37800000, v31
	v_cndmask_b32_e32 v31, v31, v32, vcc
	v_cmp_class_f32_e32 vcc, v30, v40
	v_cndmask_b32_e32 v30, v31, v30, vcc
	v_div_scale_f32 v31, s[18:19], v30, v30, v27
	v_rcp_f32_e32 v32, v31
	v_fma_f32 v33, -v31, v32, 1.0
	v_fmac_f32_e32 v32, v33, v32
	v_div_scale_f32 v33, vcc, v27, v30, v27
	v_mul_f32_e32 v34, v33, v32
	v_fma_f32 v35, -v31, v34, v33
	v_fmac_f32_e32 v34, v35, v32
	v_fma_f32 v31, -v31, v34, v33
	v_div_fmas_f32 v31, v31, v32, v34
	v_div_fixup_f32 v36, v31, v30, v27
	v_mul_f32_e64 v32, |v26|, s86
.LBB44_651:                             ;   in Loop: Header=BB44_401 Depth=1
	s_or_b64 exec, exec, s[62:63]
	s_andn2_b64 s[18:19], s[56:57], exec
	s_and_b64 s[56:57], s[60:61], exec
	s_or_b64 s[56:57], s[18:19], s[56:57]
.LBB44_652:                             ;   in Loop: Header=BB44_401 Depth=1
	s_or_b64 exec, exec, s[58:59]
	s_and_b64 s[56:57], s[56:57], exec
                                        ; implicit-def: $vgpr27
                                        ; implicit-def: $vgpr30
.LBB44_653:                             ;   in Loop: Header=BB44_401 Depth=1
	s_andn2_saveexec_b64 s[54:55], s[54:55]
	s_cbranch_execz .LBB44_655
; %bb.654:                              ;   in Loop: Header=BB44_401 Depth=1
	v_mul_f32_e64 v26, |v27|, s76
	v_cmp_lt_f32_e64 vcc, |v27|, s75
	v_cndmask_b32_e64 v26, |v27|, v26, vcc
	v_sqrt_f32_e32 v27, v26
	v_add_f32_e32 v30, 1.0, v30
	v_mul_f32_e32 v30, 0.5, v30
	s_or_b64 s[56:57], s[56:57], exec
	v_add_u32_e32 v31, -1, v27
	v_fma_f32 v33, -v31, v27, v26
	v_add_u32_e32 v32, 1, v27
	v_cmp_ge_f32_e64 s[18:19], 0, v33
	v_cndmask_b32_e64 v31, v27, v31, s[18:19]
	v_fma_f32 v27, -v32, v27, v26
	v_cmp_lt_f32_e64 s[18:19], 0, v27
	v_cndmask_b32_e64 v27, v31, v32, s[18:19]
	v_mul_f32_e32 v32, 0x4f800000, v30
	v_cmp_gt_f32_e64 s[18:19], s75, v30
	v_cndmask_b32_e64 v30, v30, v32, s[18:19]
	v_sqrt_f32_e32 v32, v30
	v_mul_f32_e32 v31, 0x37800000, v27
	v_cndmask_b32_e32 v27, v27, v31, vcc
	v_cmp_class_f32_e32 vcc, v26, v40
	v_cndmask_b32_e32 v26, v27, v26, vcc
	v_add_u32_e32 v27, -1, v32
	v_fma_f32 v31, -v27, v32, v30
	v_cmp_ge_f32_e32 vcc, 0, v31
	v_add_u32_e32 v31, 1, v32
	v_cndmask_b32_e32 v27, v32, v27, vcc
	v_fma_f32 v32, -v31, v32, v30
	v_cmp_lt_f32_e32 vcc, 0, v32
	v_cndmask_b32_e32 v27, v27, v31, vcc
	v_mul_f32_e32 v31, 0x37800000, v27
	v_cndmask_b32_e64 v27, v27, v31, s[18:19]
	v_cmp_class_f32_e32 vcc, v30, v40
	v_cndmask_b32_e32 v27, v27, v30, vcc
	v_mul_f32_e32 v36, v26, v27
	v_mov_b32_e32 v32, 1.0
.LBB44_655:                             ;   in Loop: Header=BB44_401 Depth=1
	s_or_b64 exec, exec, s[54:55]
	s_and_b64 s[18:19], s[56:57], exec
.LBB44_656:                             ;   in Loop: Header=BB44_401 Depth=1
	s_or_b64 exec, exec, s[52:53]
	s_and_b64 s[18:19], s[18:19], exec
                                        ; implicit-def: $vgpr30
.LBB44_657:                             ;   in Loop: Header=BB44_401 Depth=1
	s_andn2_saveexec_b64 s[50:51], s[50:51]
; %bb.658:                              ;   in Loop: Header=BB44_401 Depth=1
	v_mov_b32_e32 v31, v32
	v_pk_mul_f32 v[36:37], v[30:31], s[38:39] op_sel_hi:[1,0]
	s_or_b64 s[18:19], s[18:19], exec
	v_mov_b32_e32 v32, v37
                                        ; implicit-def: $vgpr21
; %bb.659:                              ;   in Loop: Header=BB44_401 Depth=1
	s_or_b64 exec, exec, s[50:51]
	s_xor_b64 s[18:19], s[18:19], -1
                                        ; implicit-def: $vgpr30
	s_and_saveexec_b64 s[50:51], s[18:19]
	s_xor_b64 s[50:51], exec, s[50:51]
	s_cbranch_execz .LBB44_665
; %bb.660:                              ;   in Loop: Header=BB44_401 Depth=1
                                        ; implicit-def: $vgpr30
	s_and_saveexec_b64 s[18:19], s[16:17]
	s_xor_b64 s[18:19], exec, s[18:19]
	s_cbranch_execz .LBB44_662
; %bb.661:                              ;   in Loop: Header=BB44_401 Depth=1
	v_fma_f32 v26, |v21|, -0.5, 0.5
	v_mul_f32_e32 v27, v21, v21
	v_cmp_gt_f32_e64 vcc, |v21|, 0.5
	v_cndmask_b32_e32 v26, v27, v26, vcc
	v_mov_b32_e32 v27, 0x3c5fc5da
	v_fmac_f32_e32 v27, 0x3d1c21a7, v26
	v_fma_f32 v27, v26, v27, v42
	v_fma_f32 v27, v26, v27, v43
	v_sqrt_f32_e32 v30, v26
	v_fma_f32 v27, v26, v27, v44
	v_fma_f32 v27, v26, v27, v45
	v_mul_f32_e32 v26, v26, v27
	v_fmac_f32_e32 v30, v30, v26
	v_fmac_f32_e32 v21, v21, v26
	v_add_f32_e32 v27, v30, v30
	v_sub_f32_e32 v21, 0x3fc90fdb, v21
	v_cndmask_b32_e32 v30, v21, v27, vcc
                                        ; implicit-def: $vgpr21
.LBB44_662:                             ;   in Loop: Header=BB44_401 Depth=1
	s_andn2_saveexec_b64 s[52:53], s[18:19]
	s_cbranch_execz .LBB44_664
; %bb.663:                              ;   in Loop: Header=BB44_401 Depth=1
	v_fma_f32 v26, |v21|, -0.5, 0.5
	v_mul_f32_e32 v27, v21, v21
	v_cmp_gt_f32_e64 vcc, |v21|, 0.5
	v_cndmask_b32_e32 v26, v27, v26, vcc
	v_mov_b32_e32 v27, 0x3c5fc5da
	v_fmac_f32_e32 v27, 0x3d1c21a7, v26
	v_fma_f32 v27, v26, v27, v42
	v_fma_f32 v27, v26, v27, v43
	v_sqrt_f32_e32 v30, v26
	v_fma_f32 v27, v26, v27, v44
	v_fma_f32 v27, v26, v27, v45
	v_mul_f32_e32 v26, v26, v27
	v_fmac_f32_e32 v30, v30, v26
	v_add_f32_e32 v27, v30, v30
	v_sub_f32_e32 v30, 0x40490fdb, v27
	v_cmp_lt_f32_e64 s[18:19], 0, v21
	v_fma_f32 v21, -v21, v26, -v21
	v_cndmask_b32_e64 v27, v27, v30, s[18:19]
	v_sub_f32_e32 v21, 0x3fc90fdb, v21
	v_cndmask_b32_e32 v30, v21, v27, vcc
.LBB44_664:                             ;   in Loop: Header=BB44_401 Depth=1
	s_or_b64 exec, exec, s[52:53]
                                        ; implicit-def: $vgpr36
                                        ; implicit-def: $vgpr32
.LBB44_665:                             ;   in Loop: Header=BB44_401 Depth=1
	s_andn2_saveexec_b64 s[18:19], s[50:51]
	s_cbranch_execz .LBB44_671
; %bb.666:                              ;   in Loop: Header=BB44_401 Depth=1
                                        ; implicit-def: $vgpr30
	s_and_saveexec_b64 s[50:51], s[16:17]
	s_xor_b64 s[16:17], exec, s[50:51]
	s_cbranch_execz .LBB44_668
; %bb.667:                              ;   in Loop: Header=BB44_401 Depth=1
	v_max_f32_e64 v21, |v36|, |v36|
	v_max_f32_e32 v26, v32, v32
	v_min_f32_e32 v27, v26, v21
	v_max_f32_e32 v21, v26, v21
	v_frexp_mant_f32_e32 v26, v21
	v_rcp_f32_e32 v26, v26
	v_frexp_exp_i32_f32_e32 v21, v21
	v_frexp_exp_i32_f32_e32 v30, v27
	v_frexp_mant_f32_e32 v27, v27
	v_mul_f32_e32 v26, v27, v26
	v_sub_u32_e32 v21, v30, v21
	v_ldexp_f32 v21, v26, v21
	v_mul_f32_e32 v26, v21, v21
	v_mov_b32_e32 v27, 0xbc7a590c
	v_fmac_f32_e32 v27, 0x3b2d2a58, v26
	v_fma_f32 v27, v26, v27, v46
	v_fma_f32 v27, v26, v27, v47
	;; [unrolled: 1-line block ×6, first 2 shown]
	v_mul_f32_e32 v26, v26, v27
	v_fmac_f32_e32 v21, v21, v26
	v_sub_f32_e32 v26, 0x3fc90fdb, v21
	v_cmp_gt_f32_e64 vcc, |v36|, v32
	v_cndmask_b32_e32 v21, v21, v26, vcc
	v_cmp_neq_f32_e32 vcc, 0, v36
	v_cndmask_b32_e32 v21, 0, v21, vcc
	v_cmp_eq_f32_e32 vcc, s73, v32
	v_cmp_class_f32_e64 s[50:51], v36, s87
	s_and_b64 vcc, vcc, s[50:51]
	v_cndmask_b32_e32 v21, v21, v57, vcc
	v_cmp_o_f32_e32 vcc, v32, v36
	v_cndmask_b32_e32 v21, v55, v21, vcc
	v_bfi_b32 v30, s72, v21, v36
                                        ; implicit-def: $vgpr36
                                        ; implicit-def: $vgpr32
.LBB44_668:                             ;   in Loop: Header=BB44_401 Depth=1
	s_andn2_saveexec_b64 s[50:51], s[16:17]
	s_cbranch_execz .LBB44_670
; %bb.669:                              ;   in Loop: Header=BB44_401 Depth=1
	v_max_f32_e64 v21, |v36|, |v36|
	v_max_f32_e32 v26, v32, v32
	v_min_f32_e32 v27, v26, v21
	v_max_f32_e32 v21, v26, v21
	v_frexp_mant_f32_e32 v26, v21
	v_rcp_f32_e32 v26, v26
	v_frexp_exp_i32_f32_e32 v21, v21
	v_frexp_exp_i32_f32_e32 v30, v27
	v_frexp_mant_f32_e32 v27, v27
	v_mul_f32_e32 v26, v27, v26
	v_sub_u32_e32 v21, v30, v21
	v_ldexp_f32 v21, v26, v21
	v_mul_f32_e32 v26, v21, v21
	v_mov_b32_e32 v27, 0xbc7a590c
	v_fmac_f32_e32 v27, 0x3b2d2a58, v26
	v_fma_f32 v27, v26, v27, v46
	v_fma_f32 v27, v26, v27, v47
	;; [unrolled: 1-line block ×6, first 2 shown]
	v_mul_f32_e32 v26, v26, v27
	v_fmac_f32_e32 v21, v21, v26
	v_sub_f32_e32 v26, 0x3fc90fdb, v21
	v_cmp_gt_f32_e64 vcc, |v36|, v32
	v_cndmask_b32_e32 v21, v21, v26, vcc
	v_sub_f32_e32 v26, 0x40490fdb, v21
	v_cmp_lt_f32_e32 vcc, 0, v32
	v_cndmask_b32_e32 v21, v21, v26, vcc
	v_cmp_neq_f32_e64 s[16:17], 0, v36
	v_cndmask_b32_e64 v21, v58, v21, s[16:17]
	v_cndmask_b32_e32 v26, v57, v59, vcc
	v_cmp_eq_f32_e32 vcc, s73, v32
	v_cmp_class_f32_e64 s[16:17], v36, s87
	s_and_b64 vcc, vcc, s[16:17]
	v_cndmask_b32_e32 v21, v21, v26, vcc
	v_cmp_o_f32_e64 vcc, v36, -v32
	v_cndmask_b32_e32 v21, v55, v21, vcc
	v_bfi_b32 v30, s72, v21, v36
.LBB44_670:                             ;   in Loop: Header=BB44_401 Depth=1
	s_or_b64 exec, exec, s[50:51]
.LBB44_671:                             ;   in Loop: Header=BB44_401 Depth=1
	s_or_b64 exec, exec, s[18:19]
	v_cndmask_b32_e64 v31, -v19, v19, s[12:13]
                                        ; implicit-def: $vgpr26
.LBB44_672:                             ;   in Loop: Header=BB44_401 Depth=1
	s_andn2_saveexec_b64 s[16:17], s[48:49]
	s_cbranch_execz .LBB44_674
; %bb.673:                              ;   in Loop: Header=BB44_401 Depth=1
	v_pk_mov_b32 v[30:31], s[28:29], s[28:29] op_sel:[0,1]
	flat_load_dword v19, v[30:31] glc
	s_waitcnt vmcnt(0)
	v_xor_b32_e32 v31, 0x80000000, v27
	s_waitcnt lgkmcnt(0)
	v_sub_f32_e32 v19, v19, v26
	v_add_f32_e32 v30, 0x3fc90fdb, v19
.LBB44_674:                             ;   in Loop: Header=BB44_401 Depth=1
	s_or_b64 exec, exec, s[16:17]
                                        ; implicit-def: $vgpr27
.LBB44_675:                             ;   in Loop: Header=BB44_401 Depth=1
	s_andn2_saveexec_b64 s[16:17], s[46:47]
; %bb.676:                              ;   in Loop: Header=BB44_401 Depth=1
	v_xor_b32_e32 v31, 0x80000000, v27
	v_mov_b32_e32 v30, 0
; %bb.677:                              ;   in Loop: Header=BB44_401 Depth=1
	s_or_b64 exec, exec, s[16:17]
                                        ; implicit-def: $vgpr26
                                        ; implicit-def: $vgpr32
                                        ; implicit-def: $vgpr19
                                        ; implicit-def: $vgpr21
.LBB44_678:                             ;   in Loop: Header=BB44_401 Depth=1
	s_andn2_saveexec_b64 s[44:45], s[44:45]
	s_cbranch_execz .LBB44_688
; %bb.679:                              ;   in Loop: Header=BB44_401 Depth=1
	v_cmp_lt_f32_e64 s[16:17], |v26|, |v27|
	v_cndmask_b32_e64 v33, |v26|, |v27|, s[16:17]
	v_cmp_nlt_f32_e32 vcc, s88, v33
                                        ; implicit-def: $vgpr31
                                        ; implicit-def: $vgpr30
	s_and_saveexec_b64 s[18:19], vcc
	s_xor_b64 s[46:47], exec, s[18:19]
	s_cbranch_execz .LBB44_685
; %bb.680:                              ;   in Loop: Header=BB44_401 Depth=1
	v_cndmask_b32_e64 v34, |v27|, |v26|, s[16:17]
	v_cmp_nlt_f32_e32 vcc, s89, v33
	v_cmp_ngt_f32_e64 s[18:19], s90, v34
	s_and_b64 s[18:19], vcc, s[18:19]
                                        ; implicit-def: $vgpr31
                                        ; implicit-def: $vgpr30
	s_and_saveexec_b64 s[48:49], s[18:19]
	s_xor_b64 s[18:19], exec, s[48:49]
	s_cbranch_execz .LBB44_682
; %bb.681:                              ;   in Loop: Header=BB44_401 Depth=1
	v_mul_f32_e32 v30, v34, v34
	v_fmac_f32_e32 v30, v33, v33
	v_cmp_gt_f32_e32 vcc, s77, v30
	v_cndmask_b32_e32 v31, 1.0, v53, vcc
	v_mul_f32_e32 v30, v30, v31
	v_log_f32_e32 v30, v30
	v_cndmask_b32_e32 v31, 0, v54, vcc
	v_min_f32_e32 v19, v32, v19
	v_frexp_exp_i32_f32_e32 v32, v19
	v_mul_f32_e32 v33, 0x3f317217, v30
	v_fma_f32 v34, v30, s78, -v33
	v_fmac_f32_e32 v34, 0x3377d1cf, v30
	v_add_f32_e32 v33, v33, v34
	v_cmp_lt_f32_e64 vcc, |v30|, s73
	v_cndmask_b32_e32 v30, v30, v33, vcc
	v_sub_f32_e32 v30, v30, v31
	v_mul_f32_e32 v31, 0.5, v30
	s_waitcnt vmcnt(0) lgkmcnt(0)
	v_frexp_mant_f32_e32 v30, v21
	v_rcp_f32_e32 v30, v30
	v_frexp_exp_i32_f32_e32 v21, v21
	v_frexp_mant_f32_e32 v19, v19
	v_sub_u32_e32 v21, v32, v21
	v_mul_f32_e32 v19, v19, v30
	v_ldexp_f32 v30, v19, v21
	v_mul_f32_e32 v19, v30, v30
	v_mov_b32_e32 v21, 0xbc7a590c
	v_fmac_f32_e32 v21, 0x3b2d2a58, v19
	v_fma_f32 v21, v19, v21, v46
	v_fma_f32 v21, v19, v21, v47
	;; [unrolled: 1-line block ×6, first 2 shown]
	v_mul_f32_e32 v19, v19, v21
	v_fmac_f32_e32 v30, v30, v19
                                        ; implicit-def: $vgpr21
                                        ; implicit-def: $vgpr32
                                        ; implicit-def: $vgpr19
.LBB44_682:                             ;   in Loop: Header=BB44_401 Depth=1
	s_andn2_saveexec_b64 s[18:19], s[18:19]
	s_cbranch_execz .LBB44_684
; %bb.683:                              ;   in Loop: Header=BB44_401 Depth=1
	s_waitcnt vmcnt(0) lgkmcnt(0)
	v_cvt_f64_f32_e32 v[30:31], v21
	v_frexp_exp_i32_f64_e32 v30, v[30:31]
	v_sub_u32_e32 v31, 0, v30
	v_ldexp_f32 v33, |v26|, v31
	v_ldexp_f32 v31, |v27|, v31
	v_mul_f32_e32 v31, v31, v31
	v_fmac_f32_e32 v31, v33, v33
	v_sqrt_f32_e32 v31, v31
	v_cmp_neq_f32_e32 vcc, s73, v21
	v_min_f32_e32 v19, v32, v19
	v_ldexp_f32 v30, v31, v30
	v_cndmask_b32_e32 v30, v52, v30, vcc
	v_cmp_gt_f32_e32 vcc, s77, v30
	v_cndmask_b32_e32 v31, 1.0, v53, vcc
	v_mul_f32_e32 v30, v30, v31
	v_log_f32_e32 v30, v30
	v_cndmask_b32_e32 v31, 0, v54, vcc
	v_mul_f32_e32 v32, 0x3f317217, v30
	v_fma_f32 v33, v30, s78, -v32
	v_fmac_f32_e32 v33, 0x3377d1cf, v30
	v_add_f32_e32 v32, v32, v33
	v_cmp_lt_f32_e64 vcc, |v30|, s73
	v_cndmask_b32_e32 v30, v30, v32, vcc
	v_sub_f32_e32 v31, v30, v31
	v_frexp_mant_f32_e32 v30, v21
	v_rcp_f32_e32 v30, v30
	v_frexp_exp_i32_f32_e32 v21, v21
	v_frexp_exp_i32_f32_e32 v32, v19
	v_frexp_mant_f32_e32 v19, v19
	v_mul_f32_e32 v19, v19, v30
	v_sub_u32_e32 v21, v32, v21
	v_ldexp_f32 v30, v19, v21
	v_mul_f32_e32 v19, v30, v30
	v_mov_b32_e32 v21, 0xbc7a590c
	v_fmac_f32_e32 v21, 0x3b2d2a58, v19
	v_fma_f32 v21, v19, v21, v46
	v_fma_f32 v21, v19, v21, v47
	;; [unrolled: 1-line block ×6, first 2 shown]
	v_mul_f32_e32 v19, v19, v21
	v_fmac_f32_e32 v30, v30, v19
.LBB44_684:                             ;   in Loop: Header=BB44_401 Depth=1
	s_or_b64 exec, exec, s[18:19]
                                        ; implicit-def: $vgpr32
                                        ; implicit-def: $vgpr19
                                        ; implicit-def: $vgpr21
.LBB44_685:                             ;   in Loop: Header=BB44_401 Depth=1
	s_andn2_saveexec_b64 s[46:47], s[46:47]
	s_cbranch_execz .LBB44_687
; %bb.686:                              ;   in Loop: Header=BB44_401 Depth=1
	v_div_scale_f32 v30, s[18:19], s91, s91, v26
	v_rcp_f32_e32 v31, v30
	v_div_scale_f32 v33, vcc, v26, s91, v26
	v_min_f32_e32 v19, v32, v19
	v_fma_f32 v34, -v30, v31, 1.0
	v_fmac_f32_e32 v31, v34, v31
	v_mul_f32_e32 v34, v33, v31
	v_fma_f32 v35, -v30, v34, v33
	v_fmac_f32_e32 v34, v35, v31
	v_fma_f32 v30, -v30, v34, v33
	v_div_scale_f32 v33, s[18:19], s91, s91, v27
	v_rcp_f32_e32 v35, v33
	v_div_fmas_f32 v30, v30, v31, v34
	v_div_fixup_f32 v34, v30, s91, v26
	v_frexp_exp_i32_f32_e32 v32, v19
	v_fma_f32 v30, -v33, v35, 1.0
	v_fmac_f32_e32 v35, v30, v35
	v_div_scale_f32 v30, vcc, v27, s91, v27
	v_mul_f32_e32 v31, v30, v35
	v_fma_f32 v36, -v33, v31, v30
	v_fmac_f32_e32 v31, v36, v35
	v_fma_f32 v30, -v33, v31, v30
	v_div_fmas_f32 v30, v30, v35, v31
	v_div_fixup_f32 v33, v30, s91, v27
	v_max_f32_e64 v35, |v34|, |v33|
	v_cvt_f64_f32_e32 v[30:31], v35
	v_frexp_exp_i32_f64_e32 v30, v[30:31]
	v_sub_u32_e32 v31, 0, v30
	v_ldexp_f32 v34, |v34|, v31
	v_ldexp_f32 v31, |v33|, v31
	v_mul_f32_e32 v31, v31, v31
	v_fmac_f32_e32 v31, v34, v34
	v_sqrt_f32_e32 v31, v31
	v_cmp_neq_f32_e32 vcc, s73, v35
	v_frexp_mant_f32_e32 v19, v19
	v_ldexp_f32 v30, v31, v30
	v_cndmask_b32_e32 v30, v52, v30, vcc
	v_cmp_gt_f32_e32 vcc, s77, v30
	v_cndmask_b32_e32 v31, 1.0, v53, vcc
	v_mul_f32_e32 v30, v30, v31
	v_log_f32_e32 v30, v30
	v_mul_f32_e32 v31, 0x3f317217, v30
	v_fma_f32 v33, v30, s78, -v31
	v_fmac_f32_e32 v33, 0x3377d1cf, v30
	v_add_f32_e32 v31, v31, v33
	v_cmp_lt_f32_e64 s[18:19], |v30|, s73
	v_cndmask_b32_e64 v30, v30, v31, s[18:19]
	v_cndmask_b32_e32 v31, 0, v54, vcc
	v_sub_f32_e32 v30, v30, v31
	v_add_f32_e32 v31, 1.0, v30
	s_waitcnt vmcnt(0) lgkmcnt(0)
	v_frexp_mant_f32_e32 v30, v21
	v_rcp_f32_e32 v30, v30
	v_frexp_exp_i32_f32_e32 v21, v21
	v_sub_u32_e32 v21, v32, v21
	v_mul_f32_e32 v19, v19, v30
	v_ldexp_f32 v30, v19, v21
	v_mul_f32_e32 v19, v30, v30
	v_mov_b32_e32 v21, 0xbc7a590c
	v_fmac_f32_e32 v21, 0x3b2d2a58, v19
	v_fma_f32 v21, v19, v21, v46
	v_fma_f32 v21, v19, v21, v47
	v_fma_f32 v21, v19, v21, v48
	v_fma_f32 v21, v19, v21, v49
	v_fma_f32 v21, v19, v21, v50
	v_fma_f32 v21, v19, v21, v51
	v_mul_f32_e32 v19, v19, v21
	v_fmac_f32_e32 v30, v30, v19
.LBB44_687:                             ;   in Loop: Header=BB44_401 Depth=1
	s_or_b64 exec, exec, s[46:47]
	v_sub_f32_e32 v19, 0x3fc90fdb, v30
	v_cndmask_b32_e64 v19, v30, v19, s[16:17]
	s_waitcnt vmcnt(0) lgkmcnt(0)
	v_sub_f32_e32 v21, 0x40490fdb, v19
	v_cmp_gt_f32_e32 vcc, 0, v26
	v_cndmask_b32_e32 v19, v19, v21, vcc
	v_cndmask_b32_e64 v21, 0, v58, s[14:15]
	v_cmp_eq_f32_e64 s[14:15], 0, v27
	v_cndmask_b32_e64 v19, v19, v21, s[14:15]
	v_cmp_class_f32_e64 s[14:15], v26, s87
	v_cmp_class_f32_e64 s[16:17], v27, s87
	v_cndmask_b32_e32 v21, v57, v59, vcc
	s_and_b64 vcc, s[16:17], s[14:15]
	v_cndmask_b32_e32 v19, v19, v21, vcc
	v_cmp_o_f32_e32 vcc, v26, v27
	v_cndmask_b32_e64 v30, v55, |v19|, vcc
	v_add_f32_e32 v19, 0x3f317218, v31
	v_cndmask_b32_e64 v31, -v19, v19, s[12:13]
.LBB44_688:                             ;   in Loop: Header=BB44_401 Depth=1
	s_or_b64 exec, exec, s[44:45]
                                        ; implicit-def: $vgpr27
.LBB44_689:                             ;   in Loop: Header=BB44_401 Depth=1
	s_andn2_saveexec_b64 s[12:13], s[42:43]
	s_cbranch_execz .LBB44_703
; %bb.690:                              ;   in Loop: Header=BB44_401 Depth=1
	v_cmp_neq_f32_e64 s[14:15], |v26|, s73
                                        ; implicit-def: $vgpr31
	s_and_saveexec_b64 s[16:17], s[14:15]
	s_xor_b64 s[14:15], exec, s[16:17]
	s_cbranch_execz .LBB44_700
; %bb.691:                              ;   in Loop: Header=BB44_401 Depth=1
	v_cmp_neq_f32_e64 s[16:17], |v27|, s73
                                        ; implicit-def: $vgpr31
	s_and_saveexec_b64 s[18:19], s[16:17]
	s_xor_b64 s[16:17], exec, s[18:19]
	s_cbranch_execz .LBB44_697
; %bb.692:                              ;   in Loop: Header=BB44_401 Depth=1
	v_cmp_neq_f32_e32 vcc, 0, v26
                                        ; implicit-def: $vgpr31
	s_and_saveexec_b64 s[18:19], vcc
	s_xor_b64 s[18:19], exec, s[18:19]
; %bb.693:                              ;   in Loop: Header=BB44_401 Depth=1
	v_add_f32_e32 v19, 0, v27
	v_add_f32_e32 v31, v19, v26
                                        ; implicit-def: $vgpr27
; %bb.694:                              ;   in Loop: Header=BB44_401 Depth=1
	s_or_saveexec_b64 s[18:19], s[18:19]
	v_mov_b32_e32 v30, v31
	s_xor_b64 exec, exec, s[18:19]
	s_cbranch_execz .LBB44_696
; %bb.695:                              ;   in Loop: Header=BB44_401 Depth=1
	v_pk_mov_b32 v[30:31], s[28:29], s[28:29] op_sel:[0,1]
	flat_load_dword v19, v[30:31] glc
	s_waitcnt vmcnt(0)
	v_add_f32_e32 v31, v27, v27
	s_waitcnt lgkmcnt(0)
	v_add_f32_e32 v30, 0x3fc90fdb, v19
.LBB44_696:                             ;   in Loop: Header=BB44_401 Depth=1
	s_or_b64 exec, exec, s[18:19]
                                        ; implicit-def: $vgpr26
.LBB44_697:                             ;   in Loop: Header=BB44_401 Depth=1
	s_andn2_saveexec_b64 s[16:17], s[16:17]
; %bb.698:                              ;   in Loop: Header=BB44_401 Depth=1
	v_add_f32_e32 v30, v26, v26
	v_xor_b32_e32 v31, 0x80000000, v27
; %bb.699:                              ;   in Loop: Header=BB44_401 Depth=1
	s_or_b64 exec, exec, s[16:17]
                                        ; implicit-def: $vgpr27
.LBB44_700:                             ;   in Loop: Header=BB44_401 Depth=1
	s_andn2_saveexec_b64 s[14:15], s[14:15]
; %bb.701:                              ;   in Loop: Header=BB44_401 Depth=1
	v_add_f32_e32 v30, v27, v27
	v_mov_b32_e32 v31, 0xff800000
; %bb.702:                              ;   in Loop: Header=BB44_401 Depth=1
	s_or_b64 exec, exec, s[14:15]
.LBB44_703:                             ;   in Loop: Header=BB44_401 Depth=1
	s_or_b64 exec, exec, s[12:13]
	v_cmp_o_f32_e32 vcc, v22, v22
	v_cmp_o_f32_e64 s[12:13], v23, v23
	v_pk_mov_b32 v[26:27], s[28:29], s[28:29] op_sel:[0,1]
	s_and_b64 s[12:13], vcc, s[12:13]
	flat_store_dword v[26:27], v38
	s_waitcnt vmcnt(0)
                                        ; implicit-def: $vgpr33
	s_and_saveexec_b64 s[14:15], s[12:13]
	s_xor_b64 s[42:43], exec, s[14:15]
	s_cbranch_execnz .LBB44_709
; %bb.704:                              ;   in Loop: Header=BB44_401 Depth=1
	s_andn2_saveexec_b64 s[12:13], s[42:43]
	s_cbranch_execnz .LBB44_792
.LBB44_705:                             ;   in Loop: Header=BB44_401 Depth=1
	s_or_b64 exec, exec, s[12:13]
	s_and_saveexec_b64 s[12:13], s[4:5]
	s_xor_b64 s[4:5], exec, s[12:13]
	s_cbranch_execnz .LBB44_805
.LBB44_706:                             ;   in Loop: Header=BB44_401 Depth=1
	s_or_b64 exec, exec, s[4:5]
	s_and_saveexec_b64 s[4:5], s[6:7]
	s_cbranch_execnz .LBB44_806
.LBB44_707:                             ;   in Loop: Header=BB44_401 Depth=1
	s_or_b64 exec, exec, s[4:5]
	s_and_saveexec_b64 s[4:5], s[8:9]
	s_cbranch_execnz .LBB44_807
.LBB44_708:                             ;   in Loop: Header=BB44_401 Depth=1
	s_or_b64 exec, exec, s[4:5]
	s_and_saveexec_b64 s[4:5], s[10:11]
	s_cbranch_execz .LBB44_400
	s_branch .LBB44_808
.LBB44_709:                             ;   in Loop: Header=BB44_401 Depth=1
	v_max_f32_e64 v26, |v22|, |v22|
	v_max_f32_e64 v19, |v23|, |v23|
	s_waitcnt vmcnt(0) lgkmcnt(0)
	v_max_f32_e32 v21, v19, v26
	v_cmp_gt_i32_e64 s[14:15], 0, v22
	v_cmp_lt_i32_e64 s[16:17], -1, v22
	v_cmp_gt_i32_e64 s[12:13], 0, v23
	v_cmp_nlt_f32_e32 vcc, s70, v21
                                        ; implicit-def: $vgpr33
	s_and_saveexec_b64 s[18:19], vcc
	s_xor_b64 s[44:45], exec, s[18:19]
	s_cbranch_execz .LBB44_781
; %bb.710:                              ;   in Loop: Header=BB44_401 Depth=1
	v_cmp_neq_f32_e32 vcc, 1.0, v22
	v_cmp_neq_f32_e64 s[18:19], 0, v23
	s_or_b64 s[18:19], s[18:19], vcc
                                        ; implicit-def: $vgpr33
	s_and_saveexec_b64 s[46:47], s[18:19]
	s_xor_b64 s[46:47], exec, s[46:47]
	s_cbranch_execz .LBB44_778
; %bb.711:                              ;   in Loop: Header=BB44_401 Depth=1
	v_pk_mov_b32 v[26:27], s[30:31], s[30:31] op_sel:[0,1]
	flat_store_dword v[26:27], v39
	s_waitcnt vmcnt(0)
	flat_load_dword v21, v[26:27] glc
	s_waitcnt vmcnt(0)
	v_pk_mov_b32 v[26:27], s[34:35], s[34:35] op_sel:[0,1]
	v_cmp_nlt_f32_e64 s[18:19], |v22|, s71
	v_cmp_nlt_f32_e64 s[48:49], |v23|, s71
	s_or_b64 s[18:19], s[48:49], s[18:19]
                                        ; implicit-def: $vgpr33
	s_waitcnt lgkmcnt(0)
	v_add_f32_e32 v21, 1.0, v21
	flat_store_dword v[26:27], v21
	s_waitcnt vmcnt(0)
	flat_load_dword v21, v[26:27] glc
	s_waitcnt vmcnt(0)
	s_and_saveexec_b64 s[48:49], s[18:19]
	s_xor_b64 s[48:49], exec, s[48:49]
	s_cbranch_execz .LBB44_775
; %bb.712:                              ;   in Loop: Header=BB44_401 Depth=1
	v_and_b32_e32 v26, 0x7fffffff, v22
	v_pk_add_f32 v[34:35], v[26:27], s[36:37] op_sel_hi:[0,1]
	s_waitcnt lgkmcnt(0)
	v_max_f32_e64 v21, v19, |v35|
	v_max_f32_e64 v19, v19, |v34|
	v_cvt_f64_f32_e32 v[32:33], v19
	v_frexp_exp_i32_f64_e32 v27, v[32:33]
	v_sub_u32_e32 v32, 0, v27
	v_ldexp_f32 v33, |v23|, v32
	v_ldexp_f32 v32, |v34|, v32
	v_mul_f32_e32 v32, v32, v32
	v_fmac_f32_e32 v32, v33, v33
	v_sqrt_f32_e32 v36, v32
	v_cvt_f64_f32_e32 v[32:33], v21
	v_frexp_exp_i32_f64_e32 v32, v[32:33]
	v_sub_u32_e32 v33, 0, v32
	v_ldexp_f32 v37, |v23|, v33
	v_ldexp_f32 v33, |v35|, v33
	v_mul_f32_e32 v33, v33, v33
	v_fmac_f32_e32 v33, v37, v37
	v_sqrt_f32_e32 v33, v33
	v_ldexp_f32 v36, v36, v27
	v_cmp_neq_f32_e32 vcc, s73, v21
	v_ldexp_f32 v27, v33, v32
	v_cndmask_b32_e32 v27, v52, v27, vcc
	v_cmp_neq_f32_e32 vcc, s73, v19
	v_cndmask_b32_e32 v60, v52, v36, vcc
	v_add_f32_e32 v19, v60, v27
	v_mul_f32_e32 v19, 0.5, v19
	v_cmp_ngt_f32_e32 vcc, 1.0, v19
	v_cndmask_b32_e32 v32, 1.0, v19, vcc
	v_cmp_ngt_f32_e32 vcc, s74, v32
                                        ; implicit-def: $vgpr19
	s_and_saveexec_b64 s[18:19], vcc
	s_xor_b64 s[50:51], exec, s[18:19]
	s_cbranch_execz .LBB44_714
; %bb.713:                              ;   in Loop: Header=BB44_401 Depth=1
	v_fma_f32 v19, v32, v32, -1.0
	v_mul_f32_e32 v21, 0x4f800000, v19
	v_cmp_gt_f32_e32 vcc, s75, v19
	v_cndmask_b32_e32 v19, v19, v21, vcc
	v_sqrt_f32_e32 v21, v19
	v_add_u32_e32 v33, -1, v21
	v_fma_f32 v37, -v33, v21, v19
	v_add_u32_e32 v36, 1, v21
	v_cmp_ge_f32_e64 s[18:19], 0, v37
	v_cndmask_b32_e64 v33, v21, v33, s[18:19]
	v_fma_f32 v21, -v36, v21, v19
	v_cmp_lt_f32_e64 s[18:19], 0, v21
	v_cndmask_b32_e64 v21, v33, v36, s[18:19]
	v_mul_f32_e32 v33, 0x37800000, v21
	v_cndmask_b32_e32 v21, v21, v33, vcc
	v_cmp_class_f32_e32 vcc, v19, v40
	v_cndmask_b32_e32 v19, v21, v19, vcc
	v_add_f32_e32 v19, v32, v19
	v_cmp_gt_f32_e32 vcc, s77, v19
	v_cndmask_b32_e32 v21, 1.0, v53, vcc
	v_mul_f32_e32 v19, v19, v21
	v_log_f32_e32 v19, v19
	v_mul_f32_e32 v21, 0x3f317217, v19
	v_fma_f32 v33, v19, s78, -v21
	v_fmac_f32_e32 v33, 0x3377d1cf, v19
	v_add_f32_e32 v21, v21, v33
	v_cmp_lt_f32_e64 s[18:19], |v19|, s73
	v_cndmask_b32_e64 v19, v19, v21, s[18:19]
	v_cndmask_b32_e32 v21, 0, v54, vcc
	v_sub_f32_e32 v19, v19, v21
.LBB44_714:                             ;   in Loop: Header=BB44_401 Depth=1
	s_or_saveexec_b64 s[50:51], s[50:51]
	v_and_b32_e32 v37, 0x7fffffff, v23
	v_and_b32_e32 v61, 0x7fffffff, v35
	s_xor_b64 exec, exec, s[50:51]
	s_cbranch_execz .LBB44_736
; %bb.715:                              ;   in Loop: Header=BB44_401 Depth=1
	v_cmp_neq_f32_e64 s[18:19], |v22|, 1.0
	v_cmp_nlt_f32_e64 s[52:53], |v23|, s79
	s_or_b64 s[18:19], s[52:53], s[18:19]
                                        ; implicit-def: $vgpr19
	s_and_saveexec_b64 s[52:53], s[18:19]
	s_xor_b64 s[52:53], exec, s[52:53]
	s_cbranch_execz .LBB44_733
; %bb.716:                              ;   in Loop: Header=BB44_401 Depth=1
	v_mul_f32_e32 v19, 0x34000000, v61
	v_cmp_le_f32_e64 s[18:19], v19, |v23|
                                        ; implicit-def: $vgpr19
	s_and_saveexec_b64 s[54:55], s[18:19]
	s_xor_b64 s[54:55], exec, s[54:55]
	s_cbranch_execz .LBB44_726
; %bb.717:                              ;   in Loop: Header=BB44_401 Depth=1
	v_cmp_neq_f32_e32 vcc, 0, v34
	v_mov_b32_e32 v19, v37
	s_and_saveexec_b64 s[18:19], vcc
	s_cbranch_execz .LBB44_719
; %bb.718:                              ;   in Loop: Header=BB44_401 Depth=1
	v_mul_f32_e32 v19, v23, v23
	v_add_f32_e32 v21, v34, v60
	v_div_scale_f32 v33, s[56:57], v21, v21, v19
	v_rcp_f32_e32 v36, v33
	v_fma_f32 v62, -v33, v36, 1.0
	v_fmac_f32_e32 v36, v62, v36
	v_div_scale_f32 v62, vcc, v19, v21, v19
	v_mul_f32_e32 v63, v62, v36
	v_fma_f32 v64, -v33, v63, v62
	v_fmac_f32_e32 v63, v64, v36
	v_fma_f32 v33, -v33, v63, v62
	v_div_fmas_f32 v33, v33, v36, v63
	v_div_fixup_f32 v19, v33, v21, v19
.LBB44_719:                             ;   in Loop: Header=BB44_401 Depth=1
	s_or_b64 exec, exec, s[18:19]
	v_sub_f32_e64 v33, 1.0, |v22|
	v_cmp_ngt_f32_e32 vcc, 0, v33
                                        ; implicit-def: $vgpr21
	s_and_saveexec_b64 s[18:19], vcc
	s_xor_b64 s[18:19], exec, s[18:19]
	s_cbranch_execz .LBB44_723
; %bb.720:                              ;   in Loop: Header=BB44_401 Depth=1
	v_cmp_neq_f32_e32 vcc, 0, v33
	v_mov_b32_e32 v21, v37
	s_and_saveexec_b64 s[56:57], vcc
	s_cbranch_execz .LBB44_722
; %bb.721:                              ;   in Loop: Header=BB44_401 Depth=1
	v_mul_f32_e32 v21, v23, v23
	v_add_f32_e32 v33, v33, v27
	v_div_scale_f32 v36, s[58:59], v33, v33, v21
	v_rcp_f32_e32 v62, v36
	v_fma_f32 v63, -v36, v62, 1.0
	v_fmac_f32_e32 v62, v63, v62
	v_div_scale_f32 v63, vcc, v21, v33, v21
	v_mul_f32_e32 v64, v63, v62
	v_fma_f32 v65, -v36, v64, v63
	v_fmac_f32_e32 v64, v65, v62
	v_fma_f32 v36, -v36, v64, v63
	v_div_fmas_f32 v36, v36, v62, v64
	v_div_fixup_f32 v21, v36, v33, v21
.LBB44_722:                             ;   in Loop: Header=BB44_401 Depth=1
	s_or_b64 exec, exec, s[56:57]
                                        ; implicit-def: $vgpr33
.LBB44_723:                             ;   in Loop: Header=BB44_401 Depth=1
	s_andn2_saveexec_b64 s[18:19], s[18:19]
; %bb.724:                              ;   in Loop: Header=BB44_401 Depth=1
	v_sub_f32_e32 v21, v27, v33
; %bb.725:                              ;   in Loop: Header=BB44_401 Depth=1
	s_or_b64 exec, exec, s[18:19]
	v_mul_f32_e32 v33, 0.5, v19
	v_mul_f32_e32 v19, 0.5, v21
	v_pk_add_f32 v[62:63], v[32:33], v[18:19]
	v_mul_f32_e32 v19, v62, v63
	v_mul_f32_e32 v21, 0x4f800000, v19
	v_cmp_gt_f32_e32 vcc, s75, v19
	v_cndmask_b32_e32 v19, v19, v21, vcc
	v_sqrt_f32_e32 v21, v19
	v_add_u32_e32 v33, -1, v21
	v_fma_f32 v36, -v33, v21, v19
	v_cmp_ge_f32_e64 s[18:19], 0, v36
	v_add_u32_e32 v36, 1, v21
	v_cndmask_b32_e64 v33, v21, v33, s[18:19]
	v_fma_f32 v21, -v36, v21, v19
	v_cmp_lt_f32_e64 s[18:19], 0, v21
	v_cndmask_b32_e64 v21, v33, v36, s[18:19]
	v_mul_f32_e32 v33, 0x37800000, v21
	v_cndmask_b32_e32 v21, v21, v33, vcc
	v_cmp_class_f32_e32 vcc, v19, v40
	v_cndmask_b32_e32 v19, v21, v19, vcc
	v_add_f32_e32 v62, v63, v19
	v_add_f32_e32 v65, 1.0, v62
	v_add_f32_e32 v63, -1.0, v65
	v_mov_b32_e32 v64, v63
	v_pk_add_f32 v[66:67], v[62:63], v[64:65] neg_lo:[0,1] neg_hi:[0,1]
	v_add_f32_e32 v19, 1.0, v67
	v_add_f32_e32 v19, v66, v19
	v_frexp_mant_f32_e32 v21, v65
	v_cvt_f64_f32_e32 v[66:67], v65
	v_frexp_exp_i32_f64_e32 v33, v[66:67]
	v_cmp_gt_f32_e32 vcc, s80, v21
	v_subbrev_co_u32_e32 v33, vcc, 0, v33, vcc
	v_sub_u32_e32 v21, 0, v33
	v_ldexp_f32 v36, v65, v21
	v_ldexp_f32 v19, v19, v21
	v_add_f32_e32 v21, -1.0, v36
	v_add_f32_e32 v64, 1.0, v36
	v_add_f32_e32 v63, 1.0, v21
	v_add_f32_e32 v65, -1.0, v64
	v_sub_f32_e32 v63, v36, v63
	v_sub_f32_e32 v36, v36, v65
	v_add_f32_e32 v63, v19, v63
	v_add_f32_e32 v19, v19, v36
	;; [unrolled: 1-line block ×3, first 2 shown]
	v_rcp_f32_e32 v72, v36
	v_add_f32_e32 v65, v21, v63
	v_sub_f32_e32 v21, v65, v21
	v_sub_f32_e32 v21, v63, v21
	v_mul_f32_e32 v63, v65, v72
	v_sub_f32_e32 v64, v36, v64
	v_mul_f32_e32 v66, v36, v63
	v_sub_f32_e32 v19, v19, v64
	v_fma_f32 v68, v63, v36, -v66
	v_fmac_f32_e32 v68, v63, v19
	v_add_f32_e32 v64, v66, v68
	v_sub_f32_e32 v67, v65, v64
	v_pk_add_f32 v[70:71], v[64:65], v[66:67] neg_lo:[0,1] neg_hi:[0,1]
	v_mov_b32_e32 v69, v64
	v_pk_add_f32 v[64:65], v[70:71], v[68:69] neg_lo:[0,1] neg_hi:[0,1]
	v_add_f32_e32 v21, v21, v65
	v_add_f32_e32 v21, v64, v21
	;; [unrolled: 1-line block ×3, first 2 shown]
	v_mul_f32_e32 v73, v72, v65
	v_mul_f32_e32 v66, v36, v73
	v_fma_f32 v68, v73, v36, -v66
	v_fmac_f32_e32 v68, v73, v19
	v_add_f32_e32 v64, v66, v68
	v_sub_f32_e32 v19, v67, v65
	v_sub_f32_e32 v67, v65, v64
	v_pk_add_f32 v[70:71], v[64:65], v[66:67] neg_lo:[0,1] neg_hi:[0,1]
	v_mov_b32_e32 v69, v64
	v_add_f32_e32 v19, v21, v19
	v_pk_add_f32 v[64:65], v[70:71], v[68:69] neg_lo:[0,1] neg_hi:[0,1]
	v_add_f32_e32 v19, v19, v65
	v_add_f32_e32 v19, v64, v19
	;; [unrolled: 1-line block ×4, first 2 shown]
	v_sub_f32_e32 v21, v36, v63
	v_mul_f32_e32 v19, v72, v19
	v_sub_f32_e32 v21, v73, v21
	v_add_f32_e32 v19, v21, v19
	v_add_f32_e32 v63, v36, v19
	v_cvt_f32_i32_e32 v64, v33
	v_mul_f32_e32 v65, v63, v63
	v_mov_b32_e32 v21, 0x3ecc95a3
	v_fmac_f32_e32 v21, 0x3e9b6dac, v65
	v_fma_f32 v21, v65, v21, v41
	v_mul_f32_e32 v65, v63, v65
	v_pk_mul_f32 v[68:69], v[64:65], v[20:21]
	v_fma_f32 v66, v64, s81, -v68
	v_ldexp_f32 v67, v63, 1
	v_fmac_f32_e32 v66, 0xb102e308, v64
	v_sub_f32_e32 v33, v63, v36
	v_pk_add_f32 v[64:65], v[68:69], v[66:67]
	v_sub_f32_e32 v19, v19, v33
	v_sub_f32_e32 v21, v65, v67
	v_ldexp_f32 v19, v19, 1
	v_sub_f32_e32 v21, v69, v21
	v_add_f32_e32 v71, v19, v21
	v_mov_b32_e32 v70, v68
	v_pk_add_f32 v[68:69], v[64:65], v[68:69] neg_lo:[0,1] neg_hi:[0,1]
	v_pk_add_f32 v[72:73], v[64:65], v[70:71]
	v_mov_b32_e32 v69, v73
	v_mov_b32_e32 v67, v64
	v_pk_add_f32 v[74:75], v[66:67], v[68:69] neg_lo:[0,1] neg_hi:[0,1]
	v_pk_add_f32 v[66:67], v[66:67], v[68:69]
	v_mov_b32_e32 v36, v67
	v_pk_add_f32 v[68:69], v[36:37], v[64:65] neg_lo:[0,1] neg_hi:[0,1]
	v_mov_b32_e32 v19, v68
	v_pk_add_f32 v[76:77], v[72:73], v[18:19] neg_lo:[0,1] neg_hi:[0,1]
	v_mov_b32_e32 v66, v73
	v_mov_b32_e32 v72, v65
	;; [unrolled: 1-line block ×4, first 2 shown]
	v_pk_add_f32 v[66:67], v[66:67], v[72:73] neg_lo:[0,1] neg_hi:[0,1]
	v_mov_b32_e32 v68, v71
	v_mov_b32_e32 v69, v64
	v_pk_add_f32 v[64:65], v[68:69], v[66:67] neg_lo:[0,1] neg_hi:[0,1]
	v_mov_b32_e32 v76, v74
	v_pk_add_f32 v[66:67], v[76:77], v[64:65]
	v_mov_b32_e32 v68, v67
	v_pk_add_f32 v[68:69], v[66:67], v[68:69]
	v_pk_add_f32 v[70:71], v[36:37], v[68:69]
	v_mov_b32_e32 v67, v70
	v_pk_add_f32 v[72:73], v[66:67], v[74:75] neg_lo:[0,1] neg_hi:[0,1]
	v_mov_b32_e32 v65, v68
	v_sub_f32_e32 v19, v66, v72
	v_pk_add_f32 v[64:65], v[64:65], v[72:73] neg_lo:[0,1] neg_hi:[0,1]
	v_sub_f32_e32 v19, v74, v19
	v_add_f32_e32 v19, v64, v19
	v_add_f32_e32 v19, v19, v65
	;; [unrolled: 1-line block ×3, first 2 shown]
	v_cmp_eq_f32_e32 vcc, s73, v62
	v_cndmask_b32_e32 v19, v19, v62, vcc
	v_cmp_ngt_f32_e32 vcc, -1.0, v62
	v_cndmask_b32_e32 v19, v55, v19, vcc
	v_cmp_neq_f32_e32 vcc, -1.0, v62
	v_cndmask_b32_e32 v19, v56, v19, vcc
	v_cmp_lt_f32_e64 vcc, |v62|, s82
	v_cndmask_b32_e32 v19, v19, v62, vcc
.LBB44_726:                             ;   in Loop: Header=BB44_401 Depth=1
	s_andn2_saveexec_b64 s[54:55], s[54:55]
	s_cbranch_execz .LBB44_732
; %bb.727:                              ;   in Loop: Header=BB44_401 Depth=1
	v_cmp_nlt_f32_e64 s[18:19], |v22|, 1.0
                                        ; implicit-def: $vgpr19
	s_and_saveexec_b64 s[56:57], s[18:19]
	s_xor_b64 s[56:57], exec, s[56:57]
	s_cbranch_execz .LBB44_729
; %bb.728:                              ;   in Loop: Header=BB44_401 Depth=1
	v_mul_f32_e32 v19, v35, v34
	v_mul_f32_e32 v21, 0x4f800000, v19
	v_cmp_gt_f32_e32 vcc, s75, v19
	v_cndmask_b32_e32 v19, v19, v21, vcc
	v_sqrt_f32_e32 v21, v19
	v_add_u32_e32 v33, -1, v21
	v_fma_f32 v62, -v33, v21, v19
	v_add_u32_e32 v36, 1, v21
	v_cmp_ge_f32_e64 s[18:19], 0, v62
	v_cndmask_b32_e64 v33, v21, v33, s[18:19]
	v_fma_f32 v21, -v36, v21, v19
	v_cmp_lt_f32_e64 s[18:19], 0, v21
	v_cndmask_b32_e64 v21, v33, v36, s[18:19]
	v_mul_f32_e32 v33, 0x37800000, v21
	v_cndmask_b32_e32 v21, v21, v33, vcc
	v_cmp_class_f32_e32 vcc, v19, v40
	v_cndmask_b32_e32 v19, v21, v19, vcc
	v_add_f32_e32 v62, v35, v19
	v_add_f32_e32 v65, 1.0, v62
	v_add_f32_e32 v63, -1.0, v65
	v_mov_b32_e32 v64, v63
	v_pk_add_f32 v[66:67], v[62:63], v[64:65] neg_lo:[0,1] neg_hi:[0,1]
	v_add_f32_e32 v19, 1.0, v67
	v_add_f32_e32 v19, v66, v19
	v_frexp_mant_f32_e32 v21, v65
	v_cvt_f64_f32_e32 v[66:67], v65
	v_frexp_exp_i32_f64_e32 v33, v[66:67]
	v_cmp_gt_f32_e32 vcc, s80, v21
	v_subbrev_co_u32_e32 v33, vcc, 0, v33, vcc
	v_sub_u32_e32 v21, 0, v33
	v_ldexp_f32 v36, v65, v21
	v_ldexp_f32 v19, v19, v21
	v_add_f32_e32 v21, -1.0, v36
	v_add_f32_e32 v64, 1.0, v36
	v_add_f32_e32 v63, 1.0, v21
	v_add_f32_e32 v65, -1.0, v64
	v_sub_f32_e32 v63, v36, v63
	v_sub_f32_e32 v36, v36, v65
	v_add_f32_e32 v63, v19, v63
	v_add_f32_e32 v19, v19, v36
	;; [unrolled: 1-line block ×3, first 2 shown]
	v_rcp_f32_e32 v72, v36
	v_add_f32_e32 v65, v21, v63
	v_sub_f32_e32 v21, v65, v21
	v_sub_f32_e32 v21, v63, v21
	v_mul_f32_e32 v63, v65, v72
	v_sub_f32_e32 v64, v36, v64
	v_mul_f32_e32 v66, v36, v63
	v_sub_f32_e32 v19, v19, v64
	v_fma_f32 v68, v63, v36, -v66
	v_fmac_f32_e32 v68, v63, v19
	v_add_f32_e32 v64, v66, v68
	v_sub_f32_e32 v67, v65, v64
	v_pk_add_f32 v[70:71], v[64:65], v[66:67] neg_lo:[0,1] neg_hi:[0,1]
	v_mov_b32_e32 v69, v64
	v_pk_add_f32 v[64:65], v[70:71], v[68:69] neg_lo:[0,1] neg_hi:[0,1]
	v_add_f32_e32 v21, v21, v65
	v_add_f32_e32 v21, v64, v21
	;; [unrolled: 1-line block ×3, first 2 shown]
	v_mul_f32_e32 v73, v72, v65
	v_mul_f32_e32 v66, v36, v73
	v_fma_f32 v68, v73, v36, -v66
	v_fmac_f32_e32 v68, v73, v19
	v_add_f32_e32 v64, v66, v68
	v_sub_f32_e32 v19, v67, v65
	v_sub_f32_e32 v67, v65, v64
	v_pk_add_f32 v[70:71], v[64:65], v[66:67] neg_lo:[0,1] neg_hi:[0,1]
	v_mov_b32_e32 v69, v64
	v_add_f32_e32 v19, v21, v19
	v_pk_add_f32 v[64:65], v[70:71], v[68:69] neg_lo:[0,1] neg_hi:[0,1]
	v_add_f32_e32 v19, v19, v65
	v_add_f32_e32 v19, v64, v19
	v_add_f32_e32 v36, v63, v73
	v_add_f32_e32 v19, v67, v19
	v_sub_f32_e32 v21, v36, v63
	v_mul_f32_e32 v19, v72, v19
	v_sub_f32_e32 v21, v73, v21
	v_add_f32_e32 v19, v21, v19
	v_add_f32_e32 v63, v36, v19
	v_cvt_f32_i32_e32 v64, v33
	v_mul_f32_e32 v65, v63, v63
	v_mov_b32_e32 v21, 0x3ecc95a3
	v_fmac_f32_e32 v21, 0x3e9b6dac, v65
	v_fma_f32 v21, v65, v21, v41
	v_mul_f32_e32 v65, v63, v65
	v_pk_mul_f32 v[68:69], v[64:65], v[20:21]
	v_fma_f32 v66, v64, s81, -v68
	v_ldexp_f32 v67, v63, 1
	v_fmac_f32_e32 v66, 0xb102e308, v64
	v_sub_f32_e32 v33, v63, v36
	v_pk_add_f32 v[64:65], v[68:69], v[66:67]
	v_sub_f32_e32 v19, v19, v33
	v_sub_f32_e32 v21, v65, v67
	v_ldexp_f32 v19, v19, 1
	v_sub_f32_e32 v21, v69, v21
	v_add_f32_e32 v71, v19, v21
	v_mov_b32_e32 v70, v68
	v_pk_add_f32 v[68:69], v[64:65], v[68:69] neg_lo:[0,1] neg_hi:[0,1]
	v_pk_add_f32 v[72:73], v[64:65], v[70:71]
	v_mov_b32_e32 v69, v73
	v_mov_b32_e32 v67, v64
	v_pk_add_f32 v[74:75], v[66:67], v[68:69] neg_lo:[0,1] neg_hi:[0,1]
	v_pk_add_f32 v[66:67], v[66:67], v[68:69]
	v_mov_b32_e32 v36, v67
	v_pk_add_f32 v[68:69], v[36:37], v[64:65] neg_lo:[0,1] neg_hi:[0,1]
	v_mov_b32_e32 v19, v68
	v_pk_add_f32 v[76:77], v[72:73], v[18:19] neg_lo:[0,1] neg_hi:[0,1]
	v_mov_b32_e32 v66, v73
	v_mov_b32_e32 v72, v65
	;; [unrolled: 1-line block ×4, first 2 shown]
	v_pk_add_f32 v[66:67], v[66:67], v[72:73] neg_lo:[0,1] neg_hi:[0,1]
	v_mov_b32_e32 v68, v71
	v_mov_b32_e32 v69, v64
	v_pk_add_f32 v[64:65], v[68:69], v[66:67] neg_lo:[0,1] neg_hi:[0,1]
	v_mov_b32_e32 v76, v74
	v_pk_add_f32 v[66:67], v[76:77], v[64:65]
	v_mov_b32_e32 v68, v67
	v_pk_add_f32 v[68:69], v[66:67], v[68:69]
	v_pk_add_f32 v[70:71], v[36:37], v[68:69]
	v_mov_b32_e32 v67, v70
	v_pk_add_f32 v[72:73], v[66:67], v[74:75] neg_lo:[0,1] neg_hi:[0,1]
	v_mov_b32_e32 v65, v68
	v_sub_f32_e32 v19, v66, v72
	v_pk_add_f32 v[64:65], v[64:65], v[72:73] neg_lo:[0,1] neg_hi:[0,1]
	v_sub_f32_e32 v19, v74, v19
	v_add_f32_e32 v19, v64, v19
	v_add_f32_e32 v19, v19, v65
	;; [unrolled: 1-line block ×3, first 2 shown]
	v_cmp_eq_f32_e32 vcc, s73, v62
	v_cndmask_b32_e32 v19, v19, v62, vcc
	v_cmp_ngt_f32_e32 vcc, -1.0, v62
	v_cndmask_b32_e32 v19, v55, v19, vcc
	v_cmp_neq_f32_e32 vcc, -1.0, v62
	v_cndmask_b32_e32 v19, v56, v19, vcc
	v_cmp_lt_f32_e64 vcc, |v62|, s82
	v_cndmask_b32_e32 v19, v19, v62, vcc
.LBB44_729:                             ;   in Loop: Header=BB44_401 Depth=1
	s_andn2_saveexec_b64 s[56:57], s[56:57]
	s_cbranch_execz .LBB44_731
; %bb.730:                              ;   in Loop: Header=BB44_401 Depth=1
	v_sub_f32_e64 v19, 1.0, |v22|
	v_mul_f32_e32 v19, v19, v34
	v_mul_f32_e32 v21, 0x4f800000, v19
	v_cmp_gt_f32_e32 vcc, s75, v19
	v_cndmask_b32_e32 v19, v19, v21, vcc
	v_sqrt_f32_e32 v21, v19
	v_add_u32_e32 v33, -1, v21
	v_fma_f32 v62, -v33, v21, v19
	v_add_u32_e32 v36, 1, v21
	v_cmp_ge_f32_e64 s[18:19], 0, v62
	v_cndmask_b32_e64 v33, v21, v33, s[18:19]
	v_fma_f32 v21, -v36, v21, v19
	v_cmp_lt_f32_e64 s[18:19], 0, v21
	v_cndmask_b32_e64 v21, v33, v36, s[18:19]
	v_mul_f32_e32 v33, 0x37800000, v21
	v_cndmask_b32_e32 v21, v21, v33, vcc
	v_cmp_class_f32_e32 vcc, v19, v40
	v_cndmask_b32_e32 v19, v21, v19, vcc
	v_and_b32_e32 v21, 0x7fffffff, v23
	v_div_scale_f32 v33, s[18:19], v19, v19, v21
	v_rcp_f32_e32 v36, v33
	v_div_scale_f32 v21, vcc, v21, v19, v21
	v_fma_f32 v62, -v33, v36, 1.0
	v_fmac_f32_e32 v36, v62, v36
	v_mul_f32_e32 v62, v21, v36
	v_fma_f32 v63, -v33, v62, v21
	v_fmac_f32_e32 v62, v63, v36
	v_fma_f32 v21, -v33, v62, v21
	v_div_fmas_f32 v21, v21, v36, v62
	v_div_fixup_f32 v19, v21, v19, |v23|
.LBB44_731:                             ;   in Loop: Header=BB44_401 Depth=1
	s_or_b64 exec, exec, s[56:57]
.LBB44_732:                             ;   in Loop: Header=BB44_401 Depth=1
	s_or_b64 exec, exec, s[54:55]
.LBB44_733:                             ;   in Loop: Header=BB44_401 Depth=1
	s_andn2_saveexec_b64 s[52:53], s[52:53]
	s_cbranch_execz .LBB44_735
; %bb.734:                              ;   in Loop: Header=BB44_401 Depth=1
	v_mul_f32_e64 v19, |v23|, s76
	v_cmp_lt_f32_e64 vcc, |v23|, s75
	v_cndmask_b32_e64 v19, |v23|, v19, vcc
	v_sqrt_f32_e32 v21, v19
	v_add_u32_e32 v33, -1, v21
	v_fma_f32 v62, -v33, v21, v19
	v_add_u32_e32 v36, 1, v21
	v_cmp_ge_f32_e64 s[18:19], 0, v62
	v_cndmask_b32_e64 v33, v21, v33, s[18:19]
	v_fma_f32 v21, -v36, v21, v19
	v_cmp_lt_f32_e64 s[18:19], 0, v21
	v_cndmask_b32_e64 v21, v33, v36, s[18:19]
	v_mul_f32_e32 v33, 0x37800000, v21
	v_cndmask_b32_e32 v21, v21, v33, vcc
	v_cmp_class_f32_e32 vcc, v19, v40
	v_cndmask_b32_e32 v19, v21, v19, vcc
.LBB44_735:                             ;   in Loop: Header=BB44_401 Depth=1
	s_or_b64 exec, exec, s[52:53]
.LBB44_736:                             ;   in Loop: Header=BB44_401 Depth=1
	s_or_b64 exec, exec, s[50:51]
	v_cmp_nlt_f32_e64 s[50:51], |v22|, s83
                                        ; implicit-def: $sgpr18_sgpr19
                                        ; implicit-def: $vgpr36
                                        ; implicit-def: $vgpr21
	s_and_saveexec_b64 s[52:53], s[50:51]
	s_xor_b64 s[50:51], exec, s[52:53]
	s_cbranch_execz .LBB44_760
; %bb.737:                              ;   in Loop: Header=BB44_401 Depth=1
	v_div_scale_f32 v21, s[18:19], v32, v32, v26
	v_rcp_f32_e32 v33, v21
	v_div_scale_f32 v36, vcc, v26, v32, v26
	s_mov_b64 s[18:19], 0
	v_fma_f32 v62, -v21, v33, 1.0
	v_fmac_f32_e32 v33, v62, v33
	v_mul_f32_e32 v62, v36, v33
	v_fma_f32 v63, -v21, v62, v36
	v_fmac_f32_e32 v62, v63, v33
	v_fma_f32 v21, -v21, v62, v36
	v_div_fmas_f32 v21, v21, v33, v62
	v_div_fixup_f32 v21, v21, v32, |v22|
	v_cmp_lt_f32_e32 vcc, s84, v21
                                        ; implicit-def: $vgpr36
	s_and_saveexec_b64 s[52:53], vcc
	s_cbranch_execz .LBB44_759
; %bb.738:                              ;   in Loop: Header=BB44_401 Depth=1
	v_cmp_neq_f32_e64 s[18:19], |v22|, 1.0
	v_cmp_nlt_f32_e64 s[54:55], |v23|, s85
	s_or_b64 s[18:19], s[54:55], s[18:19]
                                        ; implicit-def: $sgpr56_sgpr57
                                        ; implicit-def: $vgpr36
	s_and_saveexec_b64 s[54:55], s[18:19]
	s_xor_b64 s[54:55], exec, s[54:55]
	s_cbranch_execz .LBB44_756
; %bb.739:                              ;   in Loop: Header=BB44_401 Depth=1
	v_mul_f32_e32 v33, 0x34000000, v61
	v_cmp_le_f32_e64 s[18:19], v33, |v23|
                                        ; implicit-def: $vgpr36
                                        ; implicit-def: $sgpr56_sgpr57
	s_and_saveexec_b64 s[58:59], s[18:19]
	s_xor_b64 s[58:59], exec, s[58:59]
	s_cbranch_execz .LBB44_749
; %bb.740:                              ;   in Loop: Header=BB44_401 Depth=1
	v_cmp_neq_f32_e32 vcc, 0, v34
	v_mov_b32_e32 v22, v37
	s_and_saveexec_b64 s[18:19], vcc
	s_cbranch_execz .LBB44_742
; %bb.741:                              ;   in Loop: Header=BB44_401 Depth=1
	v_mul_f32_e32 v22, v23, v23
	v_add_f32_e32 v33, v34, v60
	v_div_scale_f32 v34, s[56:57], v33, v33, v22
	v_rcp_f32_e32 v36, v34
	v_fma_f32 v60, -v34, v36, 1.0
	v_fmac_f32_e32 v36, v60, v36
	v_div_scale_f32 v60, vcc, v22, v33, v22
	v_mul_f32_e32 v61, v60, v36
	v_fma_f32 v62, -v34, v61, v60
	v_fmac_f32_e32 v61, v62, v36
	v_fma_f32 v34, -v34, v61, v60
	v_div_fmas_f32 v34, v34, v36, v61
	v_div_fixup_f32 v22, v34, v33, v22
.LBB44_742:                             ;   in Loop: Header=BB44_401 Depth=1
	s_or_b64 exec, exec, s[18:19]
	v_cmp_ngt_f32_e32 vcc, 0, v35
	s_and_saveexec_b64 s[18:19], vcc
	s_xor_b64 s[18:19], exec, s[18:19]
	s_cbranch_execz .LBB44_746
; %bb.743:                              ;   in Loop: Header=BB44_401 Depth=1
	v_cmp_neq_f32_e32 vcc, 0, v35
	s_and_saveexec_b64 s[56:57], vcc
	s_cbranch_execz .LBB44_745
; %bb.744:                              ;   in Loop: Header=BB44_401 Depth=1
	v_mul_f32_e32 v23, v23, v23
	v_add_f32_e32 v27, v35, v27
	v_div_scale_f32 v33, s[60:61], v27, v27, v23
	v_rcp_f32_e32 v34, v33
	v_fma_f32 v35, -v33, v34, 1.0
	v_fmac_f32_e32 v34, v35, v34
	v_div_scale_f32 v35, vcc, v23, v27, v23
	v_mul_f32_e32 v36, v35, v34
	v_fma_f32 v37, -v33, v36, v35
	v_fmac_f32_e32 v36, v37, v34
	v_fma_f32 v33, -v33, v36, v35
	v_div_fmas_f32 v33, v33, v34, v36
	v_div_fixup_f32 v37, v33, v27, v23
.LBB44_745:                             ;   in Loop: Header=BB44_401 Depth=1
	s_or_b64 exec, exec, s[56:57]
                                        ; implicit-def: $vgpr27
                                        ; implicit-def: $vgpr34_vgpr35
.LBB44_746:                             ;   in Loop: Header=BB44_401 Depth=1
	s_andn2_saveexec_b64 s[18:19], s[18:19]
; %bb.747:                              ;   in Loop: Header=BB44_401 Depth=1
	v_sub_f32_e32 v37, v27, v35
; %bb.748:                              ;   in Loop: Header=BB44_401 Depth=1
	s_or_b64 exec, exec, s[18:19]
	v_mul_f32_e32 v27, 0.5, v22
	v_mul_f32_e32 v33, 0.5, v37
	v_pk_add_f32 v[22:23], v[26:27], v[32:33]
	v_mul_f32_e32 v22, v22, v23
	v_mul_f32_e32 v23, 0x4f800000, v22
	v_cmp_gt_f32_e32 vcc, s75, v22
	v_cndmask_b32_e32 v22, v22, v23, vcc
	v_sqrt_f32_e32 v23, v22
	s_mov_b64 s[56:57], -1
                                        ; implicit-def: $vgpr34_vgpr35
	v_add_u32_e32 v27, -1, v23
	v_fma_f32 v32, -v27, v23, v22
	v_cmp_ge_f32_e64 s[18:19], 0, v32
	v_add_u32_e32 v32, 1, v23
	v_cndmask_b32_e64 v27, v23, v27, s[18:19]
	v_fma_f32 v23, -v32, v23, v22
	v_cmp_lt_f32_e64 s[18:19], 0, v23
	v_cndmask_b32_e64 v23, v27, v32, s[18:19]
	v_mul_f32_e32 v27, 0x37800000, v23
	v_cndmask_b32_e32 v23, v23, v27, vcc
	v_cmp_class_f32_e32 vcc, v22, v40
	v_cndmask_b32_e32 v36, v23, v22, vcc
                                        ; implicit-def: $vgpr23
.LBB44_749:                             ;   in Loop: Header=BB44_401 Depth=1
	s_andn2_saveexec_b64 s[58:59], s[58:59]
	s_cbranch_execz .LBB44_755
; %bb.750:                              ;   in Loop: Header=BB44_401 Depth=1
	v_cmp_ngt_f32_e64 s[18:19], |v22|, 1.0
                                        ; implicit-def: $vgpr36
                                        ; implicit-def: $sgpr60_sgpr61
	s_and_saveexec_b64 s[62:63], s[18:19]
	s_xor_b64 s[62:63], exec, s[62:63]
	s_cbranch_execz .LBB44_752
; %bb.751:                              ;   in Loop: Header=BB44_401 Depth=1
	v_sub_f32_e64 v22, 1.0, |v22|
	v_mul_f32_e32 v22, v22, v34
	v_mul_f32_e32 v23, 0x4f800000, v22
	v_cmp_gt_f32_e32 vcc, s75, v22
	v_cndmask_b32_e32 v22, v22, v23, vcc
	v_sqrt_f32_e32 v23, v22
	s_mov_b64 s[60:61], -1
                                        ; implicit-def: $vgpr34_vgpr35
	v_add_u32_e32 v27, -1, v23
	v_fma_f32 v33, -v27, v23, v22
	v_add_u32_e32 v32, 1, v23
	v_cmp_ge_f32_e64 s[18:19], 0, v33
	v_cndmask_b32_e64 v27, v23, v27, s[18:19]
	v_fma_f32 v23, -v32, v23, v22
	v_cmp_lt_f32_e64 s[18:19], 0, v23
	v_cndmask_b32_e64 v23, v27, v32, s[18:19]
	v_mul_f32_e32 v27, 0x37800000, v23
	v_cndmask_b32_e32 v23, v23, v27, vcc
	v_cmp_class_f32_e32 vcc, v22, v40
	v_cndmask_b32_e32 v36, v23, v22, vcc
                                        ; implicit-def: $vgpr23
.LBB44_752:                             ;   in Loop: Header=BB44_401 Depth=1
	s_andn2_saveexec_b64 s[62:63], s[62:63]
	s_cbranch_execz .LBB44_754
; %bb.753:                              ;   in Loop: Header=BB44_401 Depth=1
	v_mul_f32_e32 v26, v34, v35
	v_mul_f32_e32 v27, 0x4f800000, v26
	v_cmp_gt_f32_e32 vcc, s75, v26
	v_cndmask_b32_e32 v26, v26, v27, vcc
	v_sqrt_f32_e32 v27, v26
	v_mul_f32_e64 v23, |v23|, s86
	v_mul_f32_e64 v23, |v22|, v23
	s_or_b64 s[60:61], s[60:61], exec
	v_add_u32_e32 v32, -1, v27
	v_fma_f32 v33, -v32, v27, v26
	v_cmp_ge_f32_e64 s[18:19], 0, v33
	v_add_u32_e32 v33, 1, v27
	v_cndmask_b32_e64 v32, v27, v32, s[18:19]
	v_fma_f32 v27, -v33, v27, v26
	v_cmp_lt_f32_e64 s[18:19], 0, v27
	v_cndmask_b32_e64 v27, v32, v33, s[18:19]
	v_mul_f32_e32 v32, 0x37800000, v27
	v_cndmask_b32_e32 v27, v27, v32, vcc
	v_cmp_class_f32_e32 vcc, v26, v40
	v_cndmask_b32_e32 v26, v27, v26, vcc
	v_div_scale_f32 v27, s[18:19], v26, v26, v23
	v_rcp_f32_e32 v32, v27
	v_fma_f32 v33, -v27, v32, 1.0
	v_fmac_f32_e32 v32, v33, v32
	v_div_scale_f32 v33, vcc, v23, v26, v23
	v_mul_f32_e32 v34, v33, v32
	v_fma_f32 v35, -v27, v34, v33
	v_fmac_f32_e32 v34, v35, v32
	v_fma_f32 v27, -v27, v34, v33
	v_div_fmas_f32 v27, v27, v32, v34
	v_div_fixup_f32 v36, v27, v26, v23
	v_mul_f32_e64 v26, |v22|, s86
.LBB44_754:                             ;   in Loop: Header=BB44_401 Depth=1
	s_or_b64 exec, exec, s[62:63]
	s_andn2_b64 s[18:19], s[56:57], exec
	s_and_b64 s[56:57], s[60:61], exec
	s_or_b64 s[56:57], s[18:19], s[56:57]
.LBB44_755:                             ;   in Loop: Header=BB44_401 Depth=1
	s_or_b64 exec, exec, s[58:59]
	s_and_b64 s[56:57], s[56:57], exec
                                        ; implicit-def: $vgpr23
                                        ; implicit-def: $vgpr32
.LBB44_756:                             ;   in Loop: Header=BB44_401 Depth=1
	s_andn2_saveexec_b64 s[54:55], s[54:55]
	s_cbranch_execz .LBB44_758
; %bb.757:                              ;   in Loop: Header=BB44_401 Depth=1
	v_mul_f32_e64 v22, |v23|, s76
	v_cmp_lt_f32_e64 vcc, |v23|, s75
	v_cndmask_b32_e64 v22, |v23|, v22, vcc
	v_sqrt_f32_e32 v23, v22
	s_or_b64 s[56:57], s[56:57], exec
	v_add_u32_e32 v26, -1, v23
	v_fma_f32 v33, -v26, v23, v22
	v_add_u32_e32 v27, 1, v23
	v_cmp_ge_f32_e64 s[18:19], 0, v33
	v_cndmask_b32_e64 v26, v23, v26, s[18:19]
	v_fma_f32 v23, -v27, v23, v22
	v_cmp_lt_f32_e64 s[18:19], 0, v23
	v_cndmask_b32_e64 v23, v26, v27, s[18:19]
	v_add_f32_e32 v27, 1.0, v32
	v_mul_f32_e32 v27, 0.5, v27
	v_mul_f32_e32 v32, 0x4f800000, v27
	v_cmp_gt_f32_e64 s[18:19], s75, v27
	v_cndmask_b32_e64 v27, v27, v32, s[18:19]
	v_sqrt_f32_e32 v32, v27
	v_mul_f32_e32 v26, 0x37800000, v23
	v_cndmask_b32_e32 v23, v23, v26, vcc
	v_cmp_class_f32_e32 vcc, v22, v40
	v_cndmask_b32_e32 v22, v23, v22, vcc
	v_add_u32_e32 v23, -1, v32
	v_fma_f32 v26, -v23, v32, v27
	v_cmp_ge_f32_e32 vcc, 0, v26
	v_add_u32_e32 v26, 1, v32
	v_cndmask_b32_e32 v23, v32, v23, vcc
	v_fma_f32 v32, -v26, v32, v27
	v_cmp_lt_f32_e32 vcc, 0, v32
	v_cndmask_b32_e32 v23, v23, v26, vcc
	v_mul_f32_e32 v26, 0x37800000, v23
	v_cndmask_b32_e64 v23, v23, v26, s[18:19]
	v_cmp_class_f32_e32 vcc, v27, v40
	v_cndmask_b32_e32 v23, v23, v27, vcc
	v_mul_f32_e32 v36, v22, v23
	v_mov_b32_e32 v26, 1.0
.LBB44_758:                             ;   in Loop: Header=BB44_401 Depth=1
	s_or_b64 exec, exec, s[54:55]
	s_and_b64 s[18:19], s[56:57], exec
.LBB44_759:                             ;   in Loop: Header=BB44_401 Depth=1
	s_or_b64 exec, exec, s[52:53]
	s_and_b64 s[18:19], s[18:19], exec
                                        ; implicit-def: $vgpr32
.LBB44_760:                             ;   in Loop: Header=BB44_401 Depth=1
	s_andn2_saveexec_b64 s[50:51], s[50:51]
; %bb.761:                              ;   in Loop: Header=BB44_401 Depth=1
	v_mov_b32_e32 v33, v26
	v_pk_mul_f32 v[36:37], v[32:33], s[38:39] op_sel_hi:[1,0]
	s_or_b64 s[18:19], s[18:19], exec
	v_mov_b32_e32 v26, v37
                                        ; implicit-def: $vgpr21
; %bb.762:                              ;   in Loop: Header=BB44_401 Depth=1
	s_or_b64 exec, exec, s[50:51]
	s_xor_b64 s[18:19], s[18:19], -1
                                        ; implicit-def: $vgpr32
	s_and_saveexec_b64 s[50:51], s[18:19]
	s_xor_b64 s[50:51], exec, s[50:51]
	s_cbranch_execz .LBB44_768
; %bb.763:                              ;   in Loop: Header=BB44_401 Depth=1
                                        ; implicit-def: $vgpr32
	s_and_saveexec_b64 s[18:19], s[16:17]
	s_xor_b64 s[18:19], exec, s[18:19]
	s_cbranch_execz .LBB44_765
; %bb.764:                              ;   in Loop: Header=BB44_401 Depth=1
	v_fma_f32 v22, |v21|, -0.5, 0.5
	v_mul_f32_e32 v23, v21, v21
	v_cmp_gt_f32_e64 vcc, |v21|, 0.5
	v_cndmask_b32_e32 v22, v23, v22, vcc
	v_mov_b32_e32 v23, 0x3c5fc5da
	v_fmac_f32_e32 v23, 0x3d1c21a7, v22
	v_fma_f32 v23, v22, v23, v42
	v_fma_f32 v23, v22, v23, v43
	v_sqrt_f32_e32 v26, v22
	v_fma_f32 v23, v22, v23, v44
	v_fma_f32 v23, v22, v23, v45
	v_mul_f32_e32 v22, v22, v23
	v_fmac_f32_e32 v26, v26, v22
	v_fmac_f32_e32 v21, v21, v22
	v_add_f32_e32 v23, v26, v26
	v_sub_f32_e32 v21, 0x3fc90fdb, v21
	v_cndmask_b32_e32 v32, v21, v23, vcc
                                        ; implicit-def: $vgpr21
.LBB44_765:                             ;   in Loop: Header=BB44_401 Depth=1
	s_andn2_saveexec_b64 s[52:53], s[18:19]
	s_cbranch_execz .LBB44_767
; %bb.766:                              ;   in Loop: Header=BB44_401 Depth=1
	v_fma_f32 v22, |v21|, -0.5, 0.5
	v_mul_f32_e32 v23, v21, v21
	v_cmp_gt_f32_e64 vcc, |v21|, 0.5
	v_cndmask_b32_e32 v22, v23, v22, vcc
	v_mov_b32_e32 v23, 0x3c5fc5da
	v_fmac_f32_e32 v23, 0x3d1c21a7, v22
	v_fma_f32 v23, v22, v23, v42
	v_fma_f32 v23, v22, v23, v43
	v_sqrt_f32_e32 v26, v22
	v_fma_f32 v23, v22, v23, v44
	v_fma_f32 v23, v22, v23, v45
	v_mul_f32_e32 v22, v22, v23
	v_fmac_f32_e32 v26, v26, v22
	v_add_f32_e32 v23, v26, v26
	v_sub_f32_e32 v26, 0x40490fdb, v23
	v_cmp_lt_f32_e64 s[18:19], 0, v21
	v_fma_f32 v21, -v21, v22, -v21
	v_cndmask_b32_e64 v23, v23, v26, s[18:19]
	v_sub_f32_e32 v21, 0x3fc90fdb, v21
	v_cndmask_b32_e32 v32, v21, v23, vcc
.LBB44_767:                             ;   in Loop: Header=BB44_401 Depth=1
	s_or_b64 exec, exec, s[52:53]
                                        ; implicit-def: $vgpr36
                                        ; implicit-def: $vgpr26
.LBB44_768:                             ;   in Loop: Header=BB44_401 Depth=1
	s_andn2_saveexec_b64 s[18:19], s[50:51]
	s_cbranch_execz .LBB44_774
; %bb.769:                              ;   in Loop: Header=BB44_401 Depth=1
                                        ; implicit-def: $vgpr32
	s_and_saveexec_b64 s[50:51], s[16:17]
	s_xor_b64 s[16:17], exec, s[50:51]
	s_cbranch_execz .LBB44_771
; %bb.770:                              ;   in Loop: Header=BB44_401 Depth=1
	v_max_f32_e64 v21, |v36|, |v36|
	v_max_f32_e32 v22, v26, v26
	v_min_f32_e32 v23, v22, v21
	v_max_f32_e32 v21, v22, v21
	v_frexp_mant_f32_e32 v22, v21
	v_rcp_f32_e32 v22, v22
	v_frexp_exp_i32_f32_e32 v21, v21
	v_frexp_exp_i32_f32_e32 v27, v23
	v_frexp_mant_f32_e32 v23, v23
	v_mul_f32_e32 v22, v23, v22
	v_sub_u32_e32 v21, v27, v21
	v_ldexp_f32 v21, v22, v21
	v_mul_f32_e32 v22, v21, v21
	v_mov_b32_e32 v23, 0xbc7a590c
	v_fmac_f32_e32 v23, 0x3b2d2a58, v22
	v_fma_f32 v23, v22, v23, v46
	v_fma_f32 v23, v22, v23, v47
	;; [unrolled: 1-line block ×6, first 2 shown]
	v_mul_f32_e32 v22, v22, v23
	v_fmac_f32_e32 v21, v21, v22
	v_sub_f32_e32 v22, 0x3fc90fdb, v21
	v_cmp_gt_f32_e64 vcc, |v36|, v26
	v_cndmask_b32_e32 v21, v21, v22, vcc
	v_cmp_neq_f32_e32 vcc, 0, v36
	v_cndmask_b32_e32 v21, 0, v21, vcc
	v_cmp_eq_f32_e32 vcc, s73, v26
	v_cmp_class_f32_e64 s[50:51], v36, s87
	s_and_b64 vcc, vcc, s[50:51]
	v_cndmask_b32_e32 v21, v21, v57, vcc
	v_cmp_o_f32_e32 vcc, v26, v36
	v_cndmask_b32_e32 v21, v55, v21, vcc
	v_bfi_b32 v32, s72, v21, v36
                                        ; implicit-def: $vgpr36
                                        ; implicit-def: $vgpr26
.LBB44_771:                             ;   in Loop: Header=BB44_401 Depth=1
	s_andn2_saveexec_b64 s[50:51], s[16:17]
	s_cbranch_execz .LBB44_773
; %bb.772:                              ;   in Loop: Header=BB44_401 Depth=1
	v_max_f32_e64 v21, |v36|, |v36|
	v_max_f32_e32 v22, v26, v26
	v_min_f32_e32 v23, v22, v21
	v_max_f32_e32 v21, v22, v21
	v_frexp_mant_f32_e32 v22, v21
	v_rcp_f32_e32 v22, v22
	v_frexp_exp_i32_f32_e32 v21, v21
	v_frexp_exp_i32_f32_e32 v27, v23
	v_frexp_mant_f32_e32 v23, v23
	v_mul_f32_e32 v22, v23, v22
	v_sub_u32_e32 v21, v27, v21
	v_ldexp_f32 v21, v22, v21
	v_mul_f32_e32 v22, v21, v21
	v_mov_b32_e32 v23, 0xbc7a590c
	v_fmac_f32_e32 v23, 0x3b2d2a58, v22
	v_fma_f32 v23, v22, v23, v46
	v_fma_f32 v23, v22, v23, v47
	;; [unrolled: 1-line block ×6, first 2 shown]
	v_mul_f32_e32 v22, v22, v23
	v_fmac_f32_e32 v21, v21, v22
	v_sub_f32_e32 v22, 0x3fc90fdb, v21
	v_cmp_gt_f32_e64 vcc, |v36|, v26
	v_cndmask_b32_e32 v21, v21, v22, vcc
	v_sub_f32_e32 v22, 0x40490fdb, v21
	v_cmp_lt_f32_e32 vcc, 0, v26
	v_cndmask_b32_e32 v21, v21, v22, vcc
	v_cmp_neq_f32_e64 s[16:17], 0, v36
	v_cndmask_b32_e64 v21, v58, v21, s[16:17]
	v_cndmask_b32_e32 v22, v57, v59, vcc
	v_cmp_eq_f32_e32 vcc, s73, v26
	v_cmp_class_f32_e64 s[16:17], v36, s87
	s_and_b64 vcc, vcc, s[16:17]
	v_cndmask_b32_e32 v21, v21, v22, vcc
	v_cmp_o_f32_e64 vcc, v36, -v26
	v_cndmask_b32_e32 v21, v55, v21, vcc
	v_bfi_b32 v32, s72, v21, v36
.LBB44_773:                             ;   in Loop: Header=BB44_401 Depth=1
	s_or_b64 exec, exec, s[50:51]
.LBB44_774:                             ;   in Loop: Header=BB44_401 Depth=1
	s_or_b64 exec, exec, s[18:19]
	v_cndmask_b32_e64 v33, -v19, v19, s[12:13]
                                        ; implicit-def: $vgpr22
.LBB44_775:                             ;   in Loop: Header=BB44_401 Depth=1
	s_andn2_saveexec_b64 s[16:17], s[48:49]
	s_cbranch_execz .LBB44_777
; %bb.776:                              ;   in Loop: Header=BB44_401 Depth=1
	v_pk_mov_b32 v[26:27], s[28:29], s[28:29] op_sel:[0,1]
	flat_load_dword v19, v[26:27] glc
	s_waitcnt vmcnt(0)
	v_xor_b32_e32 v33, 0x80000000, v23
	s_waitcnt lgkmcnt(0)
	v_sub_f32_e32 v19, v19, v22
	v_add_f32_e32 v32, 0x3fc90fdb, v19
.LBB44_777:                             ;   in Loop: Header=BB44_401 Depth=1
	s_or_b64 exec, exec, s[16:17]
                                        ; implicit-def: $vgpr23
.LBB44_778:                             ;   in Loop: Header=BB44_401 Depth=1
	s_andn2_saveexec_b64 s[16:17], s[46:47]
; %bb.779:                              ;   in Loop: Header=BB44_401 Depth=1
	v_xor_b32_e32 v33, 0x80000000, v23
	v_mov_b32_e32 v32, 0
; %bb.780:                              ;   in Loop: Header=BB44_401 Depth=1
	s_or_b64 exec, exec, s[16:17]
                                        ; implicit-def: $vgpr22
                                        ; implicit-def: $vgpr26
                                        ; implicit-def: $vgpr19
                                        ; implicit-def: $vgpr21
.LBB44_781:                             ;   in Loop: Header=BB44_401 Depth=1
	s_andn2_saveexec_b64 s[44:45], s[44:45]
	s_cbranch_execz .LBB44_791
; %bb.782:                              ;   in Loop: Header=BB44_401 Depth=1
	v_cmp_lt_f32_e64 s[16:17], |v22|, |v23|
	v_cndmask_b32_e64 v33, |v22|, |v23|, s[16:17]
	v_cmp_nlt_f32_e32 vcc, s88, v33
                                        ; implicit-def: $vgpr27
                                        ; implicit-def: $vgpr32
	s_and_saveexec_b64 s[18:19], vcc
	s_xor_b64 s[46:47], exec, s[18:19]
	s_cbranch_execz .LBB44_788
; %bb.783:                              ;   in Loop: Header=BB44_401 Depth=1
	v_cndmask_b32_e64 v34, |v23|, |v22|, s[16:17]
	v_cmp_nlt_f32_e32 vcc, s89, v33
	v_cmp_ngt_f32_e64 s[18:19], s90, v34
	s_and_b64 s[18:19], vcc, s[18:19]
                                        ; implicit-def: $vgpr27
                                        ; implicit-def: $vgpr32
	s_and_saveexec_b64 s[48:49], s[18:19]
	s_xor_b64 s[18:19], exec, s[48:49]
	s_cbranch_execz .LBB44_785
; %bb.784:                              ;   in Loop: Header=BB44_401 Depth=1
	v_mul_f32_e32 v27, v34, v34
	v_fmac_f32_e32 v27, v33, v33
	v_cmp_gt_f32_e32 vcc, s77, v27
	v_cndmask_b32_e32 v32, 1.0, v53, vcc
	v_mul_f32_e32 v27, v27, v32
	v_log_f32_e32 v27, v27
	v_min_f32_e32 v19, v26, v19
	s_waitcnt lgkmcnt(0)
	v_frexp_mant_f32_e32 v26, v21
	v_rcp_f32_e32 v26, v26
	v_mul_f32_e32 v33, 0x3f317217, v27
	v_fma_f32 v34, v27, s78, -v33
	v_fmac_f32_e32 v34, 0x3377d1cf, v27
	v_cndmask_b32_e32 v32, 0, v54, vcc
	v_add_f32_e32 v33, v33, v34
	v_cmp_lt_f32_e64 vcc, |v27|, s73
	v_cndmask_b32_e32 v27, v27, v33, vcc
	v_sub_f32_e32 v27, v27, v32
	v_frexp_exp_i32_f32_e32 v21, v21
	v_frexp_exp_i32_f32_e32 v32, v19
	v_frexp_mant_f32_e32 v19, v19
	v_mul_f32_e32 v19, v19, v26
	v_sub_u32_e32 v21, v32, v21
	v_ldexp_f32 v32, v19, v21
	v_mul_f32_e32 v19, v32, v32
	v_mov_b32_e32 v21, 0xbc7a590c
	v_fmac_f32_e32 v21, 0x3b2d2a58, v19
	v_fma_f32 v21, v19, v21, v46
	v_fma_f32 v21, v19, v21, v47
	;; [unrolled: 1-line block ×6, first 2 shown]
	v_mul_f32_e32 v19, v19, v21
	v_mul_f32_e32 v27, 0.5, v27
	v_fmac_f32_e32 v32, v32, v19
                                        ; implicit-def: $vgpr21
                                        ; implicit-def: $vgpr26
                                        ; implicit-def: $vgpr19
.LBB44_785:                             ;   in Loop: Header=BB44_401 Depth=1
	s_andn2_saveexec_b64 s[18:19], s[18:19]
	s_cbranch_execz .LBB44_787
; %bb.786:                              ;   in Loop: Header=BB44_401 Depth=1
	s_waitcnt lgkmcnt(0)
	v_cvt_f64_f32_e32 v[32:33], v21
	v_frexp_exp_i32_f64_e32 v27, v[32:33]
	v_sub_u32_e32 v32, 0, v27
	v_ldexp_f32 v33, |v22|, v32
	v_ldexp_f32 v32, |v23|, v32
	v_mul_f32_e32 v32, v32, v32
	v_fmac_f32_e32 v32, v33, v33
	v_sqrt_f32_e32 v32, v32
	v_cmp_neq_f32_e32 vcc, s73, v21
	v_min_f32_e32 v19, v26, v19
	v_ldexp_f32 v27, v32, v27
	v_cndmask_b32_e32 v27, v52, v27, vcc
	v_cmp_gt_f32_e32 vcc, s77, v27
	v_cndmask_b32_e32 v32, 1.0, v53, vcc
	v_mul_f32_e32 v27, v27, v32
	v_log_f32_e32 v27, v27
	v_cndmask_b32_e32 v26, 0, v54, vcc
	v_mul_f32_e32 v32, 0x3f317217, v27
	v_fma_f32 v33, v27, s78, -v32
	v_fmac_f32_e32 v33, 0x3377d1cf, v27
	v_add_f32_e32 v32, v32, v33
	v_cmp_lt_f32_e64 vcc, |v27|, s73
	v_cndmask_b32_e32 v27, v27, v32, vcc
	v_sub_f32_e32 v27, v27, v26
	v_frexp_mant_f32_e32 v26, v21
	v_rcp_f32_e32 v26, v26
	v_frexp_exp_i32_f32_e32 v21, v21
	v_frexp_exp_i32_f32_e32 v32, v19
	v_frexp_mant_f32_e32 v19, v19
	v_mul_f32_e32 v19, v19, v26
	v_sub_u32_e32 v21, v32, v21
	v_ldexp_f32 v32, v19, v21
	v_mul_f32_e32 v19, v32, v32
	v_mov_b32_e32 v21, 0xbc7a590c
	v_fmac_f32_e32 v21, 0x3b2d2a58, v19
	v_fma_f32 v21, v19, v21, v46
	v_fma_f32 v21, v19, v21, v47
	;; [unrolled: 1-line block ×6, first 2 shown]
	v_mul_f32_e32 v19, v19, v21
	v_fmac_f32_e32 v32, v32, v19
.LBB44_787:                             ;   in Loop: Header=BB44_401 Depth=1
	s_or_b64 exec, exec, s[18:19]
                                        ; implicit-def: $vgpr26
                                        ; implicit-def: $vgpr19
                                        ; implicit-def: $vgpr21
.LBB44_788:                             ;   in Loop: Header=BB44_401 Depth=1
	s_andn2_saveexec_b64 s[46:47], s[46:47]
	s_cbranch_execz .LBB44_790
; %bb.789:                              ;   in Loop: Header=BB44_401 Depth=1
	v_div_scale_f32 v27, s[18:19], s91, s91, v22
	v_rcp_f32_e32 v32, v27
	v_div_scale_f32 v33, vcc, v22, s91, v22
	v_min_f32_e32 v19, v26, v19
	v_fma_f32 v34, -v27, v32, 1.0
	v_fmac_f32_e32 v32, v34, v32
	v_mul_f32_e32 v34, v33, v32
	v_fma_f32 v35, -v27, v34, v33
	v_fmac_f32_e32 v34, v35, v32
	v_fma_f32 v27, -v27, v34, v33
	v_div_scale_f32 v33, s[18:19], s91, s91, v23
	v_rcp_f32_e32 v35, v33
	v_div_fmas_f32 v27, v27, v32, v34
	v_div_fixup_f32 v27, v27, s91, v22
	s_waitcnt lgkmcnt(0)
	v_frexp_mant_f32_e32 v26, v21
	v_fma_f32 v32, -v33, v35, 1.0
	v_fmac_f32_e32 v35, v32, v35
	v_div_scale_f32 v32, vcc, v23, s91, v23
	v_mul_f32_e32 v34, v32, v35
	v_fma_f32 v36, -v33, v34, v32
	v_fmac_f32_e32 v34, v36, v35
	v_fma_f32 v32, -v33, v34, v32
	v_div_fmas_f32 v32, v32, v35, v34
	v_div_fixup_f32 v34, v32, s91, v23
	v_max_f32_e64 v35, |v27|, |v34|
	v_cvt_f64_f32_e32 v[32:33], v35
	v_frexp_exp_i32_f64_e32 v32, v[32:33]
	v_sub_u32_e32 v33, 0, v32
	v_ldexp_f32 v27, |v27|, v33
	v_ldexp_f32 v33, |v34|, v33
	v_mul_f32_e32 v33, v33, v33
	v_fmac_f32_e32 v33, v27, v27
	v_sqrt_f32_e32 v27, v33
	v_cmp_neq_f32_e32 vcc, s73, v35
	v_rcp_f32_e32 v26, v26
	v_frexp_exp_i32_f32_e32 v21, v21
	v_ldexp_f32 v27, v27, v32
	v_cndmask_b32_e32 v27, v52, v27, vcc
	v_cmp_gt_f32_e32 vcc, s77, v27
	v_cndmask_b32_e32 v32, 1.0, v53, vcc
	v_mul_f32_e32 v27, v27, v32
	v_log_f32_e32 v27, v27
	v_mul_f32_e32 v32, 0x3f317217, v27
	v_fma_f32 v33, v27, s78, -v32
	v_fmac_f32_e32 v33, 0x3377d1cf, v27
	v_add_f32_e32 v32, v32, v33
	v_cmp_lt_f32_e64 s[18:19], |v27|, s73
	v_cndmask_b32_e64 v27, v27, v32, s[18:19]
	v_cndmask_b32_e32 v32, 0, v54, vcc
	v_sub_f32_e32 v27, v27, v32
	v_frexp_exp_i32_f32_e32 v32, v19
	v_frexp_mant_f32_e32 v19, v19
	v_mul_f32_e32 v19, v19, v26
	v_sub_u32_e32 v21, v32, v21
	v_ldexp_f32 v32, v19, v21
	v_mul_f32_e32 v19, v32, v32
	v_mov_b32_e32 v21, 0xbc7a590c
	v_fmac_f32_e32 v21, 0x3b2d2a58, v19
	v_fma_f32 v21, v19, v21, v46
	v_fma_f32 v21, v19, v21, v47
	;; [unrolled: 1-line block ×6, first 2 shown]
	v_mul_f32_e32 v19, v19, v21
	v_add_f32_e32 v27, 1.0, v27
	v_fmac_f32_e32 v32, v32, v19
.LBB44_790:                             ;   in Loop: Header=BB44_401 Depth=1
	s_or_b64 exec, exec, s[46:47]
	v_sub_f32_e32 v19, 0x3fc90fdb, v32
	v_cndmask_b32_e64 v19, v32, v19, s[16:17]
	s_waitcnt lgkmcnt(0)
	v_sub_f32_e32 v21, 0x40490fdb, v19
	v_cmp_gt_f32_e32 vcc, 0, v22
	v_cndmask_b32_e32 v19, v19, v21, vcc
	v_cndmask_b32_e64 v21, 0, v58, s[14:15]
	v_cmp_eq_f32_e64 s[14:15], 0, v23
	v_cndmask_b32_e64 v19, v19, v21, s[14:15]
	v_cmp_class_f32_e64 s[14:15], v22, s87
	v_cmp_class_f32_e64 s[16:17], v23, s87
	v_cndmask_b32_e32 v21, v57, v59, vcc
	s_and_b64 vcc, s[16:17], s[14:15]
	v_cndmask_b32_e32 v19, v19, v21, vcc
	v_cmp_o_f32_e32 vcc, v22, v23
	v_cndmask_b32_e64 v32, v55, |v19|, vcc
	v_add_f32_e32 v19, 0x3f317218, v27
	v_cndmask_b32_e64 v33, -v19, v19, s[12:13]
.LBB44_791:                             ;   in Loop: Header=BB44_401 Depth=1
	s_or_b64 exec, exec, s[44:45]
                                        ; implicit-def: $vgpr23
	s_andn2_saveexec_b64 s[12:13], s[42:43]
	s_cbranch_execz .LBB44_705
.LBB44_792:                             ;   in Loop: Header=BB44_401 Depth=1
	v_cmp_neq_f32_e64 s[14:15], |v22|, s73
                                        ; implicit-def: $vgpr33
	s_and_saveexec_b64 s[16:17], s[14:15]
	s_xor_b64 s[14:15], exec, s[16:17]
	s_cbranch_execz .LBB44_802
; %bb.793:                              ;   in Loop: Header=BB44_401 Depth=1
	v_cmp_neq_f32_e64 s[16:17], |v23|, s73
                                        ; implicit-def: $vgpr33
	s_and_saveexec_b64 s[18:19], s[16:17]
	s_xor_b64 s[16:17], exec, s[18:19]
	s_cbranch_execz .LBB44_799
; %bb.794:                              ;   in Loop: Header=BB44_401 Depth=1
	v_cmp_neq_f32_e32 vcc, 0, v22
                                        ; implicit-def: $vgpr33
	s_and_saveexec_b64 s[18:19], vcc
	s_xor_b64 s[18:19], exec, s[18:19]
; %bb.795:                              ;   in Loop: Header=BB44_401 Depth=1
	v_add_f32_e32 v19, 0, v23
	v_add_f32_e32 v33, v19, v22
                                        ; implicit-def: $vgpr23
; %bb.796:                              ;   in Loop: Header=BB44_401 Depth=1
	s_or_saveexec_b64 s[18:19], s[18:19]
	v_mov_b32_e32 v32, v33
	s_xor_b64 exec, exec, s[18:19]
	s_cbranch_execz .LBB44_798
; %bb.797:                              ;   in Loop: Header=BB44_401 Depth=1
	v_pk_mov_b32 v[26:27], s[28:29], s[28:29] op_sel:[0,1]
	flat_load_dword v19, v[26:27] glc
	s_waitcnt vmcnt(0)
	v_add_f32_e32 v33, v23, v23
	s_waitcnt lgkmcnt(0)
	v_add_f32_e32 v32, 0x3fc90fdb, v19
.LBB44_798:                             ;   in Loop: Header=BB44_401 Depth=1
	s_or_b64 exec, exec, s[18:19]
                                        ; implicit-def: $vgpr22
.LBB44_799:                             ;   in Loop: Header=BB44_401 Depth=1
	s_andn2_saveexec_b64 s[16:17], s[16:17]
; %bb.800:                              ;   in Loop: Header=BB44_401 Depth=1
	v_add_f32_e32 v32, v22, v22
	v_xor_b32_e32 v33, 0x80000000, v23
; %bb.801:                              ;   in Loop: Header=BB44_401 Depth=1
	s_or_b64 exec, exec, s[16:17]
                                        ; implicit-def: $vgpr23
.LBB44_802:                             ;   in Loop: Header=BB44_401 Depth=1
	s_andn2_saveexec_b64 s[14:15], s[14:15]
; %bb.803:                              ;   in Loop: Header=BB44_401 Depth=1
	v_add_f32_e32 v32, v23, v23
	v_mov_b32_e32 v33, 0xff800000
; %bb.804:                              ;   in Loop: Header=BB44_401 Depth=1
	s_or_b64 exec, exec, s[14:15]
	s_or_b64 exec, exec, s[12:13]
	s_and_saveexec_b64 s[12:13], s[4:5]
	s_xor_b64 s[4:5], exec, s[12:13]
	s_cbranch_execz .LBB44_706
.LBB44_805:                             ;   in Loop: Header=BB44_401 Depth=1
	v_mov_b32_e32 v19, s21
	v_add_co_u32_e32 v22, vcc, s20, v4
	v_addc_co_u32_e32 v23, vcc, v5, v19, vcc
	global_store_dwordx2 v[22:23], v[24:25], off offset:-4
	s_or_b64 exec, exec, s[4:5]
	s_and_saveexec_b64 s[4:5], s[6:7]
	s_cbranch_execz .LBB44_707
.LBB44_806:                             ;   in Loop: Header=BB44_401 Depth=1
	v_mov_b32_e32 v19, s21
	v_add_co_u32_e32 v22, vcc, s20, v12
	v_addc_co_u32_e32 v23, vcc, v13, v19, vcc
	global_store_dwordx2 v[22:23], v[28:29], off
	s_or_b64 exec, exec, s[4:5]
	s_and_saveexec_b64 s[4:5], s[8:9]
	s_cbranch_execz .LBB44_708
.LBB44_807:                             ;   in Loop: Header=BB44_401 Depth=1
	v_mov_b32_e32 v19, s21
	v_add_co_u32_e32 v22, vcc, s20, v14
	v_addc_co_u32_e32 v23, vcc, v15, v19, vcc
	global_store_dwordx2 v[22:23], v[30:31], off offset:-4
	s_or_b64 exec, exec, s[4:5]
	s_and_saveexec_b64 s[4:5], s[10:11]
	s_cbranch_execz .LBB44_400
.LBB44_808:                             ;   in Loop: Header=BB44_401 Depth=1
	v_mov_b32_e32 v19, s21
	v_add_co_u32_e32 v22, vcc, s20, v8
	v_addc_co_u32_e32 v23, vcc, v9, v19, vcc
	global_store_dwordx2 v[22:23], v[32:33], off offset:-4
	s_branch .LBB44_400
.LBB44_809:
	s_endpgm
	.section	.rodata,"a",@progbits
	.p2align	6, 0x0
	.amdhsa_kernel _ZN2at6native12_GLOBAL__N_125multi_tensor_apply_kernelINS1_18TensorListMetadataILi2EEENS1_14UnaryOpFunctorIN3c107complexIfEELi2ELi1ELi1EEEJNS0_4AcosIS8_EEEEEvT_T0_DpT1_
		.amdhsa_group_segment_fixed_size 0
		.amdhsa_private_segment_fixed_size 16
		.amdhsa_kernarg_size 3408
		.amdhsa_user_sgpr_count 8
		.amdhsa_user_sgpr_private_segment_buffer 1
		.amdhsa_user_sgpr_dispatch_ptr 0
		.amdhsa_user_sgpr_queue_ptr 0
		.amdhsa_user_sgpr_kernarg_segment_ptr 1
		.amdhsa_user_sgpr_dispatch_id 0
		.amdhsa_user_sgpr_flat_scratch_init 1
		.amdhsa_user_sgpr_kernarg_preload_length 0
		.amdhsa_user_sgpr_kernarg_preload_offset 0
		.amdhsa_user_sgpr_private_segment_size 0
		.amdhsa_uses_dynamic_stack 0
		.amdhsa_system_sgpr_private_segment_wavefront_offset 1
		.amdhsa_system_sgpr_workgroup_id_x 1
		.amdhsa_system_sgpr_workgroup_id_y 0
		.amdhsa_system_sgpr_workgroup_id_z 0
		.amdhsa_system_sgpr_workgroup_info 0
		.amdhsa_system_vgpr_workitem_id 0
		.amdhsa_next_free_vgpr 78
		.amdhsa_next_free_sgpr 92
		.amdhsa_accum_offset 80
		.amdhsa_reserve_vcc 1
		.amdhsa_reserve_flat_scratch 1
		.amdhsa_float_round_mode_32 0
		.amdhsa_float_round_mode_16_64 0
		.amdhsa_float_denorm_mode_32 3
		.amdhsa_float_denorm_mode_16_64 3
		.amdhsa_dx10_clamp 1
		.amdhsa_ieee_mode 1
		.amdhsa_fp16_overflow 0
		.amdhsa_tg_split 0
		.amdhsa_exception_fp_ieee_invalid_op 0
		.amdhsa_exception_fp_denorm_src 0
		.amdhsa_exception_fp_ieee_div_zero 0
		.amdhsa_exception_fp_ieee_overflow 0
		.amdhsa_exception_fp_ieee_underflow 0
		.amdhsa_exception_fp_ieee_inexact 0
		.amdhsa_exception_int_div_zero 0
	.end_amdhsa_kernel
	.section	.text._ZN2at6native12_GLOBAL__N_125multi_tensor_apply_kernelINS1_18TensorListMetadataILi2EEENS1_14UnaryOpFunctorIN3c107complexIfEELi2ELi1ELi1EEEJNS0_4AcosIS8_EEEEEvT_T0_DpT1_,"axG",@progbits,_ZN2at6native12_GLOBAL__N_125multi_tensor_apply_kernelINS1_18TensorListMetadataILi2EEENS1_14UnaryOpFunctorIN3c107complexIfEELi2ELi1ELi1EEEJNS0_4AcosIS8_EEEEEvT_T0_DpT1_,comdat
.Lfunc_end44:
	.size	_ZN2at6native12_GLOBAL__N_125multi_tensor_apply_kernelINS1_18TensorListMetadataILi2EEENS1_14UnaryOpFunctorIN3c107complexIfEELi2ELi1ELi1EEEJNS0_4AcosIS8_EEEEEvT_T0_DpT1_, .Lfunc_end44-_ZN2at6native12_GLOBAL__N_125multi_tensor_apply_kernelINS1_18TensorListMetadataILi2EEENS1_14UnaryOpFunctorIN3c107complexIfEELi2ELi1ELi1EEEJNS0_4AcosIS8_EEEEEvT_T0_DpT1_
                                        ; -- End function
	.section	.AMDGPU.csdata,"",@progbits
; Kernel info:
; codeLenInByte = 49340
; NumSgprs: 98
; NumVgprs: 78
; NumAgprs: 0
; TotalNumVgprs: 78
; ScratchSize: 16
; MemoryBound: 0
; FloatMode: 240
; IeeeMode: 1
; LDSByteSize: 0 bytes/workgroup (compile time only)
; SGPRBlocks: 12
; VGPRBlocks: 9
; NumSGPRsForWavesPerEU: 98
; NumVGPRsForWavesPerEU: 78
; AccumOffset: 80
; Occupancy: 6
; WaveLimiterHint : 0
; COMPUTE_PGM_RSRC2:SCRATCH_EN: 1
; COMPUTE_PGM_RSRC2:USER_SGPR: 8
; COMPUTE_PGM_RSRC2:TRAP_HANDLER: 0
; COMPUTE_PGM_RSRC2:TGID_X_EN: 1
; COMPUTE_PGM_RSRC2:TGID_Y_EN: 0
; COMPUTE_PGM_RSRC2:TGID_Z_EN: 0
; COMPUTE_PGM_RSRC2:TIDIG_COMP_CNT: 0
; COMPUTE_PGM_RSRC3_GFX90A:ACCUM_OFFSET: 19
; COMPUTE_PGM_RSRC3_GFX90A:TG_SPLIT: 0
	.section	.text._ZN2at6native12_GLOBAL__N_125multi_tensor_apply_kernelINS1_18TensorListMetadataILi2EEENS1_14UnaryOpFunctorIN3c104HalfELi2ELi1ELi1EEEJNS0_4AcosIfEEEEEvT_T0_DpT1_,"axG",@progbits,_ZN2at6native12_GLOBAL__N_125multi_tensor_apply_kernelINS1_18TensorListMetadataILi2EEENS1_14UnaryOpFunctorIN3c104HalfELi2ELi1ELi1EEEJNS0_4AcosIfEEEEEvT_T0_DpT1_,comdat
	.globl	_ZN2at6native12_GLOBAL__N_125multi_tensor_apply_kernelINS1_18TensorListMetadataILi2EEENS1_14UnaryOpFunctorIN3c104HalfELi2ELi1ELi1EEEJNS0_4AcosIfEEEEEvT_T0_DpT1_ ; -- Begin function _ZN2at6native12_GLOBAL__N_125multi_tensor_apply_kernelINS1_18TensorListMetadataILi2EEENS1_14UnaryOpFunctorIN3c104HalfELi2ELi1ELi1EEEJNS0_4AcosIfEEEEEvT_T0_DpT1_
	.p2align	8
	.type	_ZN2at6native12_GLOBAL__N_125multi_tensor_apply_kernelINS1_18TensorListMetadataILi2EEENS1_14UnaryOpFunctorIN3c104HalfELi2ELi1ELi1EEEJNS0_4AcosIfEEEEEvT_T0_DpT1_,@function
_ZN2at6native12_GLOBAL__N_125multi_tensor_apply_kernelINS1_18TensorListMetadataILi2EEENS1_14UnaryOpFunctorIN3c104HalfELi2ELi1ELi1EEEJNS0_4AcosIfEEEEEvT_T0_DpT1_: ; @_ZN2at6native12_GLOBAL__N_125multi_tensor_apply_kernelINS1_18TensorListMetadataILi2EEENS1_14UnaryOpFunctorIN3c104HalfELi2ELi1ELi1EEEJNS0_4AcosIfEEEEEvT_T0_DpT1_
; %bb.0:
	v_mov_b32_e32 v1, s6
	global_load_ubyte v1, v1, s[4:5] offset:1536
	s_add_u32 s0, s4, s6
	s_mul_hi_u32 s2, s6, 3
	s_mul_i32 s6, s6, 3
	s_addc_u32 s7, s5, 0
	s_add_u32 s6, s0, s6
	s_addc_u32 s7, s7, s2
	s_mov_b32 s1, 0
	s_mov_b32 s3, s1
	s_waitcnt vmcnt(0)
	v_readfirstlane_b32 s0, v1
	s_lshl_b32 s0, s0, 3
	s_load_dword s8, s[6:7], 0x740
	s_load_dwordx2 s[22:23], s[4:5], s0 offset:0x0
	s_load_dwordx2 s[10:11], s[4:5], s0 offset:0x400
	;; [unrolled: 1-line block ×3, first 2 shown]
	s_mov_b32 s7, s1
	s_waitcnt lgkmcnt(0)
	s_ashr_i32 s9, s8, 31
	s_and_b32 s0, s22, 7
	s_and_b32 s6, s10, 3
	;; [unrolled: 1-line block ×3, first 2 shown]
	s_or_b64 s[6:7], s[0:1], s[6:7]
	s_lshl_b64 s[16:17], s[8:9], 17
	s_or_b64 s[2:3], s[2:3], s[6:7]
	s_lshl_b64 s[6:7], s[8:9], 16
	s_sub_u32 s18, s10, s6
	s_subb_u32 s19, s11, s7
	s_cmp_eq_u64 s[2:3], 0
	s_mov_b64 s[2:3], -1
	s_cbranch_scc0 .LBB45_5
; %bb.1:
	v_mov_b32_e32 v3, 0
	v_lshlrev_b32_e32 v2, 2, v0
	v_cmp_gt_i64_e32 vcc, s[18:19], v[2:3]
	s_and_saveexec_b64 s[24:25], vcc
	s_cbranch_execz .LBB45_4
; %bb.2:
	s_load_dword s0, s[4:5], 0xc5c
	v_lshlrev_b32_e32 v1, 3, v0
	v_mov_b32_e32 v2, s17
	v_add_co_u32_e32 v4, vcc, s16, v1
	s_waitcnt lgkmcnt(0)
	s_and_b32 s0, s0, 0xffff
	v_addc_co_u32_e32 v1, vcc, 0, v2, vcc
	s_lshl_b32 s29, s0, 3
	v_add_lshl_u32 v2, v0, s0, 2
	s_lshl_b32 s31, s0, 2
	s_mov_b32 s0, 0x3c5fc5da
	s_mov_b64 s[26:27], 0
	v_mov_b32_e32 v5, s23
	v_mov_b32_e32 v10, s21
	s_mov_b32 s28, 0x3d1c21a7
	v_pk_mov_b32 v[6:7], s[0:1], s[0:1] op_sel:[0,1]
	s_mov_b32 s30, 0x3d034c3c
	s_mov_b32 s34, 0x3d3641b1
	;; [unrolled: 1-line block ×4, first 2 shown]
	s_mov_b64 s[40:41], 0xffff
	v_mov_b32_e32 v11, s1
	v_mov_b32_e32 v12, s1
	v_pk_mov_b32 v[8:9], v[2:3], v[2:3] op_sel:[0,1]
.LBB45_3:                               ; =>This Inner Loop Header: Depth=1
	v_add_co_u32_e32 v14, vcc, s22, v4
	v_addc_co_u32_e32 v15, vcc, v5, v1, vcc
	global_load_dwordx2 v[14:15], v[14:15], off
	v_add_co_u32_e32 v16, vcc, s20, v4
	v_add_co_u32_e64 v4, s[2:3], s29, v4
	v_addc_co_u32_e32 v17, vcc, v10, v1, vcc
	v_addc_co_u32_e64 v1, s[2:3], v1, v11, s[2:3]
	v_cmp_le_i64_e32 vcc, s[18:19], v[8:9]
	v_cmp_lt_u64_e64 s[0:1], s[40:41], v[8:9]
	v_add_co_u32_e64 v8, s[2:3], s31, v8
	v_addc_co_u32_e64 v9, s[2:3], v9, v12, s[2:3]
	s_or_b64 s[42:43], vcc, s[0:1]
	s_waitcnt vmcnt(0)
	v_cvt_f32_f16_e32 v18, v15
	v_cvt_f32_f16_sdwa v19, v15 dst_sel:DWORD dst_unused:UNUSED_PAD src0_sel:WORD_1
	v_cvt_f32_f16_e32 v20, v14
	v_cvt_f32_f16_sdwa v21, v14 dst_sel:DWORD dst_unused:UNUSED_PAD src0_sel:WORD_1
	v_and_b32_e32 v22, 0x7fffffff, v18
	v_and_b32_e32 v23, 0x7fffffff, v19
	;; [unrolled: 1-line block ×4, first 2 shown]
	v_pk_mul_f32 v[26:27], v[20:21], v[20:21]
	v_pk_mul_f32 v[28:29], v[18:19], v[18:19]
	v_pk_fma_f32 v[24:25], -0.5, v[24:25], 0.5 op_sel_hi:[0,1,0]
	v_pk_fma_f32 v[22:23], -0.5, v[22:23], 0.5 op_sel_hi:[0,1,0]
	v_cmp_gt_f32_e64 vcc, |v20|, 0.5
	v_cmp_gt_f32_e64 s[0:1], |v21|, 0.5
	v_cmp_gt_f32_e64 s[2:3], |v18|, 0.5
	;; [unrolled: 1-line block ×3, first 2 shown]
	v_cndmask_b32_e64 v23, v29, v23, s[6:7]
	v_cndmask_b32_e64 v22, v28, v22, s[2:3]
	;; [unrolled: 1-line block ×3, first 2 shown]
	v_cndmask_b32_e32 v24, v26, v24, vcc
	v_pk_fma_f32 v[30:31], v[22:23], s[28:29], v[6:7] op_sel_hi:[1,0,0]
	v_pk_fma_f32 v[32:33], v[24:25], s[28:29], v[6:7] op_sel_hi:[1,0,0]
	;; [unrolled: 1-line block ×4, first 2 shown]
	v_sqrt_f32_e32 v26, v24
	v_sqrt_f32_e32 v27, v25
	;; [unrolled: 1-line block ×4, first 2 shown]
	v_pk_fma_f32 v[32:33], v[24:25], v[32:33], s[34:35] op_sel_hi:[1,1,0]
	v_pk_fma_f32 v[30:31], v[22:23], v[30:31], s[34:35] op_sel_hi:[1,1,0]
	;; [unrolled: 1-line block ×6, first 2 shown]
	v_pk_mul_f32 v[22:23], v[22:23], v[30:31]
	v_pk_mul_f32 v[24:25], v[24:25], v[32:33]
	v_pk_fma_f32 v[26:27], v[26:27], v[24:25], v[26:27]
	v_pk_fma_f32 v[28:29], v[28:29], v[22:23], v[28:29]
	;; [unrolled: 1-line block ×4, first 2 shown]
	v_pk_add_f32 v[22:23], v[28:29], v[28:29]
	v_pk_add_f32 v[24:25], v[26:27], v[26:27]
	v_sub_f32_e32 v2, 0x3fc90fdb, v19
	v_sub_f32_e32 v13, 0x3fc90fdb, v18
	;; [unrolled: 1-line block ×8, first 2 shown]
	v_cmp_gt_f16_e64 s[8:9], 0, v14
	v_cmp_lt_f16_sdwa s[10:11], v14, v3 src0_sel:WORD_1 src1_sel:DWORD
	v_cmp_gt_f16_e64 s[12:13], 0, v15
	v_cmp_lt_f16_sdwa s[14:15], v15, v3 src0_sel:WORD_1 src1_sel:DWORD
	v_cndmask_b32_e64 v14, v23, v27, s[14:15]
	v_cndmask_b32_e64 v15, v22, v26, s[12:13]
	;; [unrolled: 1-line block ×4, first 2 shown]
	v_cndmask_b32_e32 v19, v19, v20, vcc
	v_cndmask_b32_e64 v18, v18, v21, s[0:1]
	v_cndmask_b32_e64 v13, v13, v15, s[2:3]
	v_cndmask_b32_e64 v2, v2, v14, s[6:7]
	v_cvt_f16_f32_e32 v2, v2
	v_cvt_f16_f32_e32 v13, v13
	;; [unrolled: 1-line block ×4, first 2 shown]
	s_and_b64 s[0:1], exec, s[42:43]
	s_or_b64 s[26:27], s[0:1], s[26:27]
	v_pack_b32_f16 v15, v13, v2
	v_pack_b32_f16 v14, v18, v14
	global_store_dwordx2 v[16:17], v[14:15], off
	s_andn2_b64 exec, exec, s[26:27]
	s_cbranch_execnz .LBB45_3
.LBB45_4:
	s_or_b64 exec, exec, s[24:25]
	s_mov_b64 s[2:3], 0
.LBB45_5:
	s_andn2_b64 vcc, exec, s[2:3]
	s_cbranch_vccnz .LBB45_25
; %bb.6:
	v_cmp_lt_i64_e64 s[0:1], s[18:19], 1
	s_and_b64 vcc, exec, s[0:1]
	s_cbranch_vccnz .LBB45_25
; %bb.7:
	s_load_dword s0, s[4:5], 0xc5c
	v_mov_b32_e32 v2, 0x10000
	v_mov_b32_e32 v3, 0
	v_cmp_lt_u64_e32 vcc, s[18:19], v[2:3]
	v_lshlrev_b32_e32 v10, 1, v0
	s_waitcnt lgkmcnt(0)
	s_and_b32 s2, s0, 0xffff
	s_and_b64 s[0:1], vcc, exec
	v_mov_b32_e32 v13, s23
	v_add_co_u32_e32 v2, vcc, s22, v10
	v_addc_co_u32_e32 v1, vcc, 0, v13, vcc
	v_mov_b32_e32 v11, 0
	v_mov_b32_e32 v15, s21
	v_add_co_u32_e32 v4, vcc, s20, v10
	v_addc_co_u32_e32 v3, vcc, 0, v15, vcc
	v_mad_u64_u32 v[8:9], s[0:1], s2, 6, v[10:11]
	v_add_co_u32_e32 v6, vcc, s22, v8
	v_addc_co_u32_e32 v5, vcc, v13, v9, vcc
	v_add_co_u32_e32 v8, vcc, s20, v8
	s_mul_i32 s4, s2, 3
	v_addc_co_u32_e32 v7, vcc, v15, v9, vcc
	s_cselect_b32 s9, s19, 0
	s_cselect_b32 s8, s18, 0x10000
	s_lshl_b32 s15, s2, 2
	v_add_co_u32_e32 v17, vcc, s4, v0
	v_addc_co_u32_e64 v18, s[0:1], 0, 0, vcc
	v_add_co_u32_e32 v11, vcc, s15, v10
	v_addc_co_u32_e64 v14, s[0:1], 0, 0, vcc
	v_add_co_u32_e32 v10, vcc, s22, v11
	v_addc_co_u32_e32 v9, vcc, v13, v14, vcc
	v_add_co_u32_e32 v12, vcc, s20, v11
	s_lshl_b32 s3, s2, 1
	v_addc_co_u32_e32 v11, vcc, v15, v14, vcc
	v_add_co_u32_e32 v19, vcc, s3, v0
	v_addc_co_u32_e64 v20, s[0:1], 0, 0, vcc
	v_add_co_u32_e32 v21, vcc, s2, v0
	v_lshlrev_b32_e32 v16, 1, v21
	v_addc_co_u32_e64 v22, s[0:1], 0, 0, vcc
	v_add_co_u32_e32 v14, vcc, s22, v16
	v_addc_co_u32_e32 v13, vcc, 0, v13, vcc
	v_add_co_u32_e32 v16, vcc, s20, v16
	s_mov_b32 s14, 0
	s_lshl_b32 s23, s2, 3
	v_addc_co_u32_e32 v15, vcc, 0, v15, vcc
	s_mov_b64 s[10:11], 0
	s_mov_b32 s20, -0.5
	v_mov_b32_e32 v23, 0x3d034c3c
	v_mov_b32_e32 v24, 0x3d3641b1
	;; [unrolled: 1-line block ×4, first 2 shown]
	v_mov_b32_e32 v27, 0.5
	s_branch .LBB45_9
.LBB45_8:                               ;   in Loop: Header=BB45_9 Depth=1
	s_or_b64 exec, exec, s[2:3]
	s_add_u32 s10, s10, s15
	s_addc_u32 s11, s11, 0
	s_waitcnt vmcnt(0)
	v_pk_mov_b32 v[28:29], s[18:19], s[18:19] op_sel:[0,1]
	v_cmp_ge_i64_e32 vcc, s[10:11], v[28:29]
	v_mov_b32_e32 v28, 0xffff
	v_mov_b32_e32 v29, 0
	v_cmp_gt_u64_e64 s[0:1], s[10:11], v[28:29]
	s_or_b64 s[0:1], vcc, s[0:1]
	v_mov_b32_e32 v28, s14
	v_add_co_u32_e32 v2, vcc, s23, v2
	v_addc_co_u32_e32 v1, vcc, v1, v28, vcc
	v_add_co_u32_e32 v4, vcc, s23, v4
	v_addc_co_u32_e32 v3, vcc, v3, v28, vcc
	;; [unrolled: 2-line block ×8, first 2 shown]
	s_and_b64 vcc, exec, s[0:1]
	s_cbranch_vccnz .LBB45_25
.LBB45_9:                               ; =>This Inner Loop Header: Depth=1
	v_mov_b32_e32 v29, s11
	v_add_co_u32_e32 v28, vcc, s10, v0
	v_addc_co_u32_e32 v29, vcc, 0, v29, vcc
	v_cmp_gt_u64_e64 s[4:5], s[8:9], v[28:29]
	v_mov_b32_e32 v31, 0
	s_and_saveexec_b64 s[0:1], s[4:5]
	s_cbranch_execz .LBB45_11
; %bb.10:                               ;   in Loop: Header=BB45_9 Depth=1
	v_mov_b32_e32 v29, s17
	v_add_co_u32_e32 v28, vcc, s16, v2
	v_addc_co_u32_e32 v29, vcc, v1, v29, vcc
	global_load_ushort v31, v[28:29], off
.LBB45_11:                              ;   in Loop: Header=BB45_9 Depth=1
	s_or_b64 exec, exec, s[0:1]
	v_mov_b32_e32 v29, s11
	v_add_co_u32_e32 v28, vcc, s10, v21
	v_addc_co_u32_e32 v29, vcc, v22, v29, vcc
	v_cmp_gt_u64_e64 s[2:3], s[8:9], v[28:29]
	v_mov_b32_e32 v30, 0
	s_and_saveexec_b64 s[0:1], s[2:3]
	s_cbranch_execz .LBB45_13
; %bb.12:                               ;   in Loop: Header=BB45_9 Depth=1
	v_mov_b32_e32 v29, s17
	v_add_co_u32_e32 v28, vcc, s16, v14
	v_addc_co_u32_e32 v29, vcc, v13, v29, vcc
	global_load_ushort v30, v[28:29], off
.LBB45_13:                              ;   in Loop: Header=BB45_9 Depth=1
	s_or_b64 exec, exec, s[0:1]
	v_mov_b32_e32 v29, s11
	v_add_co_u32_e32 v28, vcc, s10, v19
	v_addc_co_u32_e32 v29, vcc, v20, v29, vcc
	v_cmp_gt_u64_e64 s[0:1], s[8:9], v[28:29]
	v_mov_b32_e32 v28, 0
	v_mov_b32_e32 v29, 0
	s_and_saveexec_b64 s[6:7], s[0:1]
	s_cbranch_execz .LBB45_15
; %bb.14:                               ;   in Loop: Header=BB45_9 Depth=1
	v_mov_b32_e32 v29, s17
	v_add_co_u32_e32 v32, vcc, s16, v10
	v_addc_co_u32_e32 v33, vcc, v9, v29, vcc
	global_load_ushort v29, v[32:33], off
.LBB45_15:                              ;   in Loop: Header=BB45_9 Depth=1
	s_or_b64 exec, exec, s[6:7]
	v_mov_b32_e32 v33, s11
	v_add_co_u32_e32 v32, vcc, s10, v17
	v_addc_co_u32_e32 v33, vcc, v18, v33, vcc
	v_cmp_gt_u64_e32 vcc, s[8:9], v[32:33]
	s_and_saveexec_b64 s[12:13], vcc
	s_cbranch_execnz .LBB45_20
; %bb.16:                               ;   in Loop: Header=BB45_9 Depth=1
	s_or_b64 exec, exec, s[12:13]
	s_and_saveexec_b64 s[12:13], s[4:5]
	s_cbranch_execnz .LBB45_21
.LBB45_17:                              ;   in Loop: Header=BB45_9 Depth=1
	s_or_b64 exec, exec, s[12:13]
	s_and_saveexec_b64 s[6:7], s[2:3]
	s_cbranch_execnz .LBB45_22
.LBB45_18:                              ;   in Loop: Header=BB45_9 Depth=1
	s_or_b64 exec, exec, s[6:7]
	s_and_saveexec_b64 s[4:5], s[0:1]
	s_cbranch_execnz .LBB45_23
.LBB45_19:                              ;   in Loop: Header=BB45_9 Depth=1
	s_or_b64 exec, exec, s[4:5]
	s_and_saveexec_b64 s[2:3], vcc
	s_cbranch_execz .LBB45_8
	s_branch .LBB45_24
.LBB45_20:                              ;   in Loop: Header=BB45_9 Depth=1
	v_mov_b32_e32 v28, s17
	v_add_co_u32_e64 v32, s[6:7], s16, v6
	v_addc_co_u32_e64 v33, s[6:7], v5, v28, s[6:7]
	global_load_ushort v28, v[32:33], off
	s_or_b64 exec, exec, s[12:13]
	s_and_saveexec_b64 s[12:13], s[4:5]
	s_cbranch_execz .LBB45_17
.LBB45_21:                              ;   in Loop: Header=BB45_9 Depth=1
	s_waitcnt vmcnt(0)
	v_cvt_f32_f16_e32 v32, v31
	v_fma_mix_f32 v33, |v31|, s20, v27 op_sel_hi:[1,0,0]
	v_mov_b32_e32 v34, 0x3c5fc5da
	v_cmp_gt_f16_e64 s[6:7], 0, v31
	v_mul_f32_e32 v35, v32, v32
	v_cmp_gt_f32_e64 s[4:5], |v32|, 0.5
	v_cndmask_b32_e64 v32, v35, v33, s[4:5]
	v_fmac_f32_e32 v34, 0x3d1c21a7, v32
	v_fma_f32 v34, v32, v34, v23
	v_sqrt_f32_e32 v33, v32
	v_fma_f32 v34, v32, v34, v24
	v_fma_f32 v34, v32, v34, v25
	;; [unrolled: 1-line block ×3, first 2 shown]
	v_mul_f32_e32 v32, v32, v34
	v_fmac_f32_e32 v33, v33, v32
	v_add_f32_e32 v33, v33, v33
	v_sub_f32_e32 v34, 0x40490fdb, v33
	v_fma_mix_f32 v31, v31, v32, v31 op_sel_hi:[1,0,1]
	v_cndmask_b32_e64 v33, v33, v34, s[6:7]
	v_sub_f32_e32 v31, 0x3fc90fdb, v31
	v_cndmask_b32_e64 v31, v31, v33, s[4:5]
	v_cvt_f16_f32_e32 v31, v31
	v_mov_b32_e32 v33, s17
	v_add_co_u32_e64 v32, s[4:5], s16, v4
	v_addc_co_u32_e64 v33, s[4:5], v3, v33, s[4:5]
	global_store_short v[32:33], v31, off
	s_or_b64 exec, exec, s[12:13]
	s_and_saveexec_b64 s[6:7], s[2:3]
	s_cbranch_execz .LBB45_18
.LBB45_22:                              ;   in Loop: Header=BB45_9 Depth=1
	s_waitcnt vmcnt(0)
	v_cvt_f32_f16_e32 v31, v30
	v_fma_mix_f32 v32, |v30|, s20, v27 op_sel_hi:[1,0,0]
	v_mov_b32_e32 v33, 0x3c5fc5da
	v_cmp_gt_f16_e64 s[4:5], 0, v30
	v_mul_f32_e32 v34, v31, v31
	v_cmp_gt_f32_e64 s[2:3], |v31|, 0.5
	v_cndmask_b32_e64 v31, v34, v32, s[2:3]
	v_fmac_f32_e32 v33, 0x3d1c21a7, v31
	v_fma_f32 v32, v31, v33, v23
	v_fma_f32 v32, v31, v32, v24
	v_sqrt_f32_e32 v33, v31
	v_fma_f32 v32, v31, v32, v25
	v_fma_f32 v32, v31, v32, v26
	v_mul_f32_e32 v31, v31, v32
	v_fmac_f32_e32 v33, v33, v31
	v_add_f32_e32 v32, v33, v33
	v_sub_f32_e32 v33, 0x40490fdb, v32
	v_fma_mix_f32 v30, v30, v31, v30 op_sel_hi:[1,0,1]
	v_cndmask_b32_e64 v32, v32, v33, s[4:5]
	v_sub_f32_e32 v30, 0x3fc90fdb, v30
	v_cndmask_b32_e64 v30, v30, v32, s[2:3]
	v_cvt_f16_f32_e32 v32, v30
	v_mov_b32_e32 v31, s17
	v_add_co_u32_e64 v30, s[2:3], s16, v16
	v_addc_co_u32_e64 v31, s[2:3], v15, v31, s[2:3]
	global_store_short v[30:31], v32, off
	s_or_b64 exec, exec, s[6:7]
	s_and_saveexec_b64 s[4:5], s[0:1]
	s_cbranch_execz .LBB45_19
.LBB45_23:                              ;   in Loop: Header=BB45_9 Depth=1
	s_waitcnt vmcnt(0)
	v_cvt_f32_f16_e32 v30, v29
	v_fma_mix_f32 v31, |v29|, s20, v27 op_sel_hi:[1,0,0]
	v_mov_b32_e32 v32, 0x3c5fc5da
	v_cmp_gt_f16_e64 s[2:3], 0, v29
	v_mul_f32_e32 v33, v30, v30
	v_cmp_gt_f32_e64 s[0:1], |v30|, 0.5
	v_cndmask_b32_e64 v30, v33, v31, s[0:1]
	v_fmac_f32_e32 v32, 0x3d1c21a7, v30
	v_fma_f32 v31, v30, v32, v23
	v_fma_f32 v31, v30, v31, v24
	v_sqrt_f32_e32 v32, v30
	v_fma_f32 v31, v30, v31, v25
	v_fma_f32 v31, v30, v31, v26
	v_mul_f32_e32 v30, v30, v31
	v_fmac_f32_e32 v32, v32, v30
	v_add_f32_e32 v31, v32, v32
	v_sub_f32_e32 v32, 0x40490fdb, v31
	v_fma_mix_f32 v29, v29, v30, v29 op_sel_hi:[1,0,1]
	v_cndmask_b32_e64 v31, v31, v32, s[2:3]
	v_sub_f32_e32 v29, 0x3fc90fdb, v29
	v_cndmask_b32_e64 v29, v29, v31, s[0:1]
	v_cvt_f16_f32_e32 v29, v29
	v_mov_b32_e32 v31, s17
	v_add_co_u32_e64 v30, s[0:1], s16, v12
	v_addc_co_u32_e64 v31, s[0:1], v11, v31, s[0:1]
	global_store_short v[30:31], v29, off
	s_or_b64 exec, exec, s[4:5]
	s_and_saveexec_b64 s[2:3], vcc
	s_cbranch_execz .LBB45_8
.LBB45_24:                              ;   in Loop: Header=BB45_9 Depth=1
	s_waitcnt vmcnt(0)
	v_cvt_f32_f16_e32 v29, v28
	v_fma_mix_f32 v30, |v28|, s20, v27 op_sel_hi:[1,0,0]
	v_mov_b32_e32 v31, 0x3c5fc5da
	v_cmp_gt_f16_e64 s[0:1], 0, v28
	v_mul_f32_e32 v32, v29, v29
	v_cmp_gt_f32_e64 vcc, |v29|, 0.5
	v_cndmask_b32_e32 v29, v32, v30, vcc
	v_fmac_f32_e32 v31, 0x3d1c21a7, v29
	v_fma_f32 v30, v29, v31, v23
	v_fma_f32 v30, v29, v30, v24
	v_sqrt_f32_e32 v31, v29
	v_fma_f32 v30, v29, v30, v25
	v_fma_f32 v30, v29, v30, v26
	v_mul_f32_e32 v29, v29, v30
	v_fmac_f32_e32 v31, v31, v29
	v_add_f32_e32 v30, v31, v31
	v_sub_f32_e32 v31, 0x40490fdb, v30
	v_fma_mix_f32 v28, v28, v29, v28 op_sel_hi:[1,0,1]
	v_cndmask_b32_e64 v30, v30, v31, s[0:1]
	v_sub_f32_e32 v28, 0x3fc90fdb, v28
	v_cndmask_b32_e32 v28, v28, v30, vcc
	v_cvt_f16_f32_e32 v30, v28
	v_mov_b32_e32 v29, s17
	v_add_co_u32_e32 v28, vcc, s16, v8
	v_addc_co_u32_e32 v29, vcc, v7, v29, vcc
	global_store_short v[28:29], v30, off
	s_branch .LBB45_8
.LBB45_25:
	s_endpgm
	.section	.rodata,"a",@progbits
	.p2align	6, 0x0
	.amdhsa_kernel _ZN2at6native12_GLOBAL__N_125multi_tensor_apply_kernelINS1_18TensorListMetadataILi2EEENS1_14UnaryOpFunctorIN3c104HalfELi2ELi1ELi1EEEJNS0_4AcosIfEEEEEvT_T0_DpT1_
		.amdhsa_group_segment_fixed_size 0
		.amdhsa_private_segment_fixed_size 0
		.amdhsa_kernarg_size 3408
		.amdhsa_user_sgpr_count 6
		.amdhsa_user_sgpr_private_segment_buffer 1
		.amdhsa_user_sgpr_dispatch_ptr 0
		.amdhsa_user_sgpr_queue_ptr 0
		.amdhsa_user_sgpr_kernarg_segment_ptr 1
		.amdhsa_user_sgpr_dispatch_id 0
		.amdhsa_user_sgpr_flat_scratch_init 0
		.amdhsa_user_sgpr_kernarg_preload_length 0
		.amdhsa_user_sgpr_kernarg_preload_offset 0
		.amdhsa_user_sgpr_private_segment_size 0
		.amdhsa_uses_dynamic_stack 0
		.amdhsa_system_sgpr_private_segment_wavefront_offset 0
		.amdhsa_system_sgpr_workgroup_id_x 1
		.amdhsa_system_sgpr_workgroup_id_y 0
		.amdhsa_system_sgpr_workgroup_id_z 0
		.amdhsa_system_sgpr_workgroup_info 0
		.amdhsa_system_vgpr_workitem_id 0
		.amdhsa_next_free_vgpr 36
		.amdhsa_next_free_sgpr 44
		.amdhsa_accum_offset 36
		.amdhsa_reserve_vcc 1
		.amdhsa_reserve_flat_scratch 0
		.amdhsa_float_round_mode_32 0
		.amdhsa_float_round_mode_16_64 0
		.amdhsa_float_denorm_mode_32 3
		.amdhsa_float_denorm_mode_16_64 3
		.amdhsa_dx10_clamp 1
		.amdhsa_ieee_mode 1
		.amdhsa_fp16_overflow 0
		.amdhsa_tg_split 0
		.amdhsa_exception_fp_ieee_invalid_op 0
		.amdhsa_exception_fp_denorm_src 0
		.amdhsa_exception_fp_ieee_div_zero 0
		.amdhsa_exception_fp_ieee_overflow 0
		.amdhsa_exception_fp_ieee_underflow 0
		.amdhsa_exception_fp_ieee_inexact 0
		.amdhsa_exception_int_div_zero 0
	.end_amdhsa_kernel
	.section	.text._ZN2at6native12_GLOBAL__N_125multi_tensor_apply_kernelINS1_18TensorListMetadataILi2EEENS1_14UnaryOpFunctorIN3c104HalfELi2ELi1ELi1EEEJNS0_4AcosIfEEEEEvT_T0_DpT1_,"axG",@progbits,_ZN2at6native12_GLOBAL__N_125multi_tensor_apply_kernelINS1_18TensorListMetadataILi2EEENS1_14UnaryOpFunctorIN3c104HalfELi2ELi1ELi1EEEJNS0_4AcosIfEEEEEvT_T0_DpT1_,comdat
.Lfunc_end45:
	.size	_ZN2at6native12_GLOBAL__N_125multi_tensor_apply_kernelINS1_18TensorListMetadataILi2EEENS1_14UnaryOpFunctorIN3c104HalfELi2ELi1ELi1EEEJNS0_4AcosIfEEEEEvT_T0_DpT1_, .Lfunc_end45-_ZN2at6native12_GLOBAL__N_125multi_tensor_apply_kernelINS1_18TensorListMetadataILi2EEENS1_14UnaryOpFunctorIN3c104HalfELi2ELi1ELi1EEEJNS0_4AcosIfEEEEEvT_T0_DpT1_
                                        ; -- End function
	.section	.AMDGPU.csdata,"",@progbits
; Kernel info:
; codeLenInByte = 2364
; NumSgprs: 48
; NumVgprs: 36
; NumAgprs: 0
; TotalNumVgprs: 36
; ScratchSize: 0
; MemoryBound: 0
; FloatMode: 240
; IeeeMode: 1
; LDSByteSize: 0 bytes/workgroup (compile time only)
; SGPRBlocks: 5
; VGPRBlocks: 4
; NumSGPRsForWavesPerEU: 48
; NumVGPRsForWavesPerEU: 36
; AccumOffset: 36
; Occupancy: 8
; WaveLimiterHint : 0
; COMPUTE_PGM_RSRC2:SCRATCH_EN: 0
; COMPUTE_PGM_RSRC2:USER_SGPR: 6
; COMPUTE_PGM_RSRC2:TRAP_HANDLER: 0
; COMPUTE_PGM_RSRC2:TGID_X_EN: 1
; COMPUTE_PGM_RSRC2:TGID_Y_EN: 0
; COMPUTE_PGM_RSRC2:TGID_Z_EN: 0
; COMPUTE_PGM_RSRC2:TIDIG_COMP_CNT: 0
; COMPUTE_PGM_RSRC3_GFX90A:ACCUM_OFFSET: 8
; COMPUTE_PGM_RSRC3_GFX90A:TG_SPLIT: 0
	.section	.text._ZN2at6native12_GLOBAL__N_125multi_tensor_apply_kernelINS1_18TensorListMetadataILi2EEENS1_14UnaryOpFunctorIN3c108BFloat16ELi2ELi1ELi1EEEJNS0_4AcosIfEEEEEvT_T0_DpT1_,"axG",@progbits,_ZN2at6native12_GLOBAL__N_125multi_tensor_apply_kernelINS1_18TensorListMetadataILi2EEENS1_14UnaryOpFunctorIN3c108BFloat16ELi2ELi1ELi1EEEJNS0_4AcosIfEEEEEvT_T0_DpT1_,comdat
	.globl	_ZN2at6native12_GLOBAL__N_125multi_tensor_apply_kernelINS1_18TensorListMetadataILi2EEENS1_14UnaryOpFunctorIN3c108BFloat16ELi2ELi1ELi1EEEJNS0_4AcosIfEEEEEvT_T0_DpT1_ ; -- Begin function _ZN2at6native12_GLOBAL__N_125multi_tensor_apply_kernelINS1_18TensorListMetadataILi2EEENS1_14UnaryOpFunctorIN3c108BFloat16ELi2ELi1ELi1EEEJNS0_4AcosIfEEEEEvT_T0_DpT1_
	.p2align	8
	.type	_ZN2at6native12_GLOBAL__N_125multi_tensor_apply_kernelINS1_18TensorListMetadataILi2EEENS1_14UnaryOpFunctorIN3c108BFloat16ELi2ELi1ELi1EEEJNS0_4AcosIfEEEEEvT_T0_DpT1_,@function
_ZN2at6native12_GLOBAL__N_125multi_tensor_apply_kernelINS1_18TensorListMetadataILi2EEENS1_14UnaryOpFunctorIN3c108BFloat16ELi2ELi1ELi1EEEJNS0_4AcosIfEEEEEvT_T0_DpT1_: ; @_ZN2at6native12_GLOBAL__N_125multi_tensor_apply_kernelINS1_18TensorListMetadataILi2EEENS1_14UnaryOpFunctorIN3c108BFloat16ELi2ELi1ELi1EEEJNS0_4AcosIfEEEEEvT_T0_DpT1_
; %bb.0:
	v_mov_b32_e32 v1, s6
	global_load_ubyte v1, v1, s[4:5] offset:1536
	s_add_u32 s0, s4, s6
	s_mul_hi_u32 s2, s6, 3
	s_mul_i32 s6, s6, 3
	s_addc_u32 s7, s5, 0
	s_add_u32 s6, s0, s6
	s_addc_u32 s7, s7, s2
	s_mov_b32 s1, 0
	s_mov_b32 s3, s1
	s_waitcnt vmcnt(0)
	v_readfirstlane_b32 s0, v1
	s_lshl_b32 s0, s0, 3
	s_load_dword s8, s[6:7], 0x740
	s_load_dwordx2 s[20:21], s[4:5], s0 offset:0x0
	s_load_dwordx2 s[10:11], s[4:5], s0 offset:0x400
	;; [unrolled: 1-line block ×3, first 2 shown]
	s_mov_b32 s7, s1
	s_waitcnt lgkmcnt(0)
	s_ashr_i32 s9, s8, 31
	s_and_b32 s0, s20, 7
	s_and_b32 s6, s10, 3
	;; [unrolled: 1-line block ×3, first 2 shown]
	s_or_b64 s[6:7], s[0:1], s[6:7]
	s_lshl_b64 s[14:15], s[8:9], 17
	s_or_b64 s[2:3], s[2:3], s[6:7]
	s_lshl_b64 s[6:7], s[8:9], 16
	s_sub_u32 s16, s10, s6
	s_subb_u32 s17, s11, s7
	s_cmp_eq_u64 s[2:3], 0
	s_mov_b64 s[2:3], -1
	s_cbranch_scc0 .LBB46_5
; %bb.1:
	v_mov_b32_e32 v3, 0
	v_lshlrev_b32_e32 v2, 2, v0
	v_cmp_gt_i64_e32 vcc, s[16:17], v[2:3]
	s_and_saveexec_b64 s[22:23], vcc
	s_cbranch_execz .LBB46_4
; %bb.2:
	s_load_dword s0, s[4:5], 0xc5c
	v_lshlrev_b32_e32 v1, 3, v0
	v_mov_b32_e32 v2, s15
	v_add_co_u32_e32 v4, vcc, s14, v1
	s_waitcnt lgkmcnt(0)
	s_and_b32 s0, s0, 0xffff
	v_addc_co_u32_e32 v1, vcc, 0, v2, vcc
	s_lshl_b32 s27, s0, 3
	v_add_lshl_u32 v2, v0, s0, 2
	s_lshl_b32 s29, s0, 2
	s_mov_b32 s0, 0x3c5fc5da
	s_mov_b64 s[24:25], 0
	v_mov_b32_e32 v5, s21
	v_mov_b32_e32 v8, s19
	s_mov_b32 s26, 0x3d1c21a7
	v_pk_mov_b32 v[6:7], s[0:1], s[0:1] op_sel:[0,1]
	s_mov_b32 s28, 0x3d034c3c
	s_mov_b32 s30, 0x3d3641b1
	;; [unrolled: 1-line block ×4, first 2 shown]
	s_movk_i32 s31, 0x7fff
	v_mov_b32_e32 v9, 0x7fc0
	v_mov_b32_e32 v10, 0x7fc00000
	s_mov_b64 s[38:39], 0xffff
	v_mov_b32_e32 v11, s1
	v_mov_b32_e32 v12, s1
.LBB46_3:                               ; =>This Inner Loop Header: Depth=1
	v_add_co_u32_e32 v14, vcc, s20, v4
	v_addc_co_u32_e32 v15, vcc, v5, v1, vcc
	global_load_dwordx2 v[14:15], v[14:15], off
	v_add_co_u32_e32 v16, vcc, s18, v4
	v_addc_co_u32_e32 v17, vcc, v8, v1, vcc
	v_cmp_le_i64_e32 vcc, s[16:17], v[2:3]
	v_cmp_lt_u64_e64 s[0:1], s[38:39], v[2:3]
	v_add_co_u32_e64 v4, s[2:3], s27, v4
	v_addc_co_u32_e64 v1, s[2:3], v1, v11, s[2:3]
	s_or_b64 s[0:1], vcc, s[0:1]
	v_add_co_u32_e64 v2, s[2:3], s29, v2
	s_and_b64 s[0:1], exec, s[0:1]
	v_addc_co_u32_e64 v3, s[2:3], v3, v12, s[2:3]
	s_or_b64 s[24:25], s[0:1], s[24:25]
	s_waitcnt vmcnt(0)
	v_alignbit_b32 v13, v15, v14, 16
	v_lshlrev_b32_e32 v18, 16, v14
	v_and_b32_e32 v19, 0xffff0000, v14
	v_and_b32_e32 v15, 0xffff0000, v15
	;; [unrolled: 1-line block ×6, first 2 shown]
	v_pk_mul_f32 v[24:25], v[18:19], v[18:19]
	v_and_b32_e32 v20, 0x7fffffff, v14
	v_pk_fma_f32 v[22:23], -0.5, v[22:23], 0.5 op_sel_hi:[0,1,0]
	v_cmp_gt_f32_e64 vcc, |v18|, 0.5
	v_cmp_gt_f32_e64 s[0:1], |v19|, 0.5
	v_pk_mul_f32 v[26:27], v[14:15], v[14:15]
	v_pk_fma_f32 v[20:21], -0.5, v[20:21], 0.5 op_sel_hi:[0,1,0]
	v_cmp_gt_f32_e64 s[2:3], |v15|, 0.5
	v_cndmask_b32_e64 v23, v25, v23, s[0:1]
	v_cndmask_b32_e32 v22, v24, v22, vcc
	v_cmp_gt_f32_e64 s[6:7], |v14|, 0.5
	v_cndmask_b32_e64 v20, v26, v20, s[6:7]
	v_cndmask_b32_e64 v21, v27, v21, s[2:3]
	v_pk_fma_f32 v[26:27], v[22:23], s[26:27], v[6:7] op_sel_hi:[1,0,0]
	v_pk_fma_f32 v[30:31], v[20:21], s[26:27], v[6:7] op_sel_hi:[1,0,0]
	;; [unrolled: 1-line block ×3, first 2 shown]
	v_sqrt_f32_e32 v24, v22
	v_sqrt_f32_e32 v25, v23
	v_pk_fma_f32 v[30:31], v[20:21], v[30:31], s[28:29] op_sel_hi:[1,1,0]
	v_pk_fma_f32 v[26:27], v[22:23], v[26:27], s[30:31] op_sel_hi:[1,1,0]
	v_sqrt_f32_e32 v28, v20
	v_sqrt_f32_e32 v29, v21
	v_pk_fma_f32 v[30:31], v[20:21], v[30:31], s[30:31] op_sel_hi:[1,1,0]
	v_pk_fma_f32 v[26:27], v[22:23], v[26:27], s[34:35] op_sel_hi:[1,1,0]
	;; [unrolled: 1-line block ×5, first 2 shown]
	v_pk_mul_f32 v[22:23], v[22:23], v[26:27]
	v_pk_mul_f32 v[20:21], v[20:21], v[30:31]
	v_pk_fma_f32 v[24:25], v[24:25], v[22:23], v[24:25]
	v_pk_fma_f32 v[22:23], v[18:19], v[22:23], v[18:19]
	;; [unrolled: 1-line block ×3, first 2 shown]
	v_pk_add_f32 v[24:25], v[24:25], v[24:25]
	v_pk_fma_f32 v[20:21], v[14:15], v[20:21], v[14:15]
	v_sub_f32_e32 v13, 0x3fc90fdb, v22
	v_sub_f32_e32 v28, 0x3fc90fdb, v23
	v_pk_add_f32 v[22:23], v[26:27], v[26:27]
	v_sub_f32_e32 v26, 0x40490fdb, v25
	v_sub_f32_e32 v27, 0x40490fdb, v24
	v_cmp_gt_f32_e64 s[8:9], 0, v19
	v_cmp_gt_f32_e64 s[10:11], 0, v18
	v_sub_f32_e32 v19, 0x3fc90fdb, v20
	v_sub_f32_e32 v20, 0x3fc90fdb, v21
	;; [unrolled: 1-line block ×4, first 2 shown]
	v_cmp_gt_f32_e64 s[12:13], 0, v15
	v_cndmask_b32_e64 v15, v24, v27, s[10:11]
	v_cndmask_b32_e64 v24, v25, v26, s[8:9]
	v_cmp_gt_f32_e64 s[8:9], 0, v14
	v_cndmask_b32_e64 v14, v22, v21, s[8:9]
	v_cndmask_b32_e64 v18, v23, v18, s[12:13]
	;; [unrolled: 1-line block ×3, first 2 shown]
	v_cndmask_b32_e32 v13, v13, v15, vcc
	v_cndmask_b32_e64 v15, v20, v18, s[2:3]
	v_cndmask_b32_e64 v14, v19, v14, s[6:7]
	v_bfe_u32 v18, v13, 16, 1
	v_bfe_u32 v19, v21, 16, 1
	v_add3_u32 v18, v13, v18, s31
	v_add3_u32 v19, v21, v19, s31
	v_bfe_u32 v20, v14, 16, 1
	v_bfe_u32 v22, v15, 16, 1
	v_lshrrev_b32_e32 v18, 16, v18
	v_and_b32_e32 v19, 0xffff0000, v19
	v_add3_u32 v22, v15, v22, s31
	v_add3_u32 v20, v14, v20, s31
	v_cmp_o_f32_e32 vcc, v21, v21
	v_cmp_o_f32_e64 s[0:1], v13, v13
	v_lshrrev_b32_e32 v13, 16, v20
	v_and_b32_e32 v20, 0xffff0000, v22
	v_cndmask_b32_e64 v18, v9, v18, s[0:1]
	v_cmp_o_f32_e64 s[0:1], v15, v15
	v_cndmask_b32_e32 v15, v10, v19, vcc
	v_cmp_o_f32_e32 vcc, v14, v14
	v_cndmask_b32_e32 v13, v9, v13, vcc
	v_cndmask_b32_e64 v19, v10, v20, s[0:1]
	v_or3_b32 v14, v18, 0, v15
	v_or3_b32 v15, 0, v13, v19
	global_store_dwordx2 v[16:17], v[14:15], off
	s_andn2_b64 exec, exec, s[24:25]
	s_cbranch_execnz .LBB46_3
.LBB46_4:
	s_or_b64 exec, exec, s[22:23]
	s_mov_b64 s[2:3], 0
.LBB46_5:
	s_andn2_b64 vcc, exec, s[2:3]
	s_cbranch_vccnz .LBB46_25
; %bb.6:
	v_cmp_lt_i64_e64 s[0:1], s[16:17], 1
	s_and_b64 vcc, exec, s[0:1]
	s_cbranch_vccnz .LBB46_25
; %bb.7:
	s_load_dword s0, s[4:5], 0xc5c
	v_mov_b32_e32 v2, 0x10000
	v_mov_b32_e32 v3, 0
	v_cmp_lt_u64_e32 vcc, s[16:17], v[2:3]
	v_lshlrev_b32_e32 v10, 1, v0
	s_waitcnt lgkmcnt(0)
	s_and_b32 s2, s0, 0xffff
	s_and_b64 s[0:1], vcc, exec
	v_mov_b32_e32 v13, s21
	v_add_co_u32_e32 v2, vcc, s20, v10
	v_addc_co_u32_e32 v1, vcc, 0, v13, vcc
	v_mov_b32_e32 v11, 0
	v_mov_b32_e32 v15, s19
	v_add_co_u32_e32 v4, vcc, s18, v10
	v_addc_co_u32_e32 v3, vcc, 0, v15, vcc
	v_mad_u64_u32 v[8:9], s[0:1], s2, 6, v[10:11]
	v_add_co_u32_e32 v6, vcc, s20, v8
	v_addc_co_u32_e32 v5, vcc, v13, v9, vcc
	v_add_co_u32_e32 v8, vcc, s18, v8
	s_mul_i32 s4, s2, 3
	v_addc_co_u32_e32 v7, vcc, v15, v9, vcc
	s_cselect_b32 s9, s17, 0
	s_cselect_b32 s8, s16, 0x10000
	s_lshl_b32 s23, s2, 2
	v_add_co_u32_e32 v17, vcc, s4, v0
	v_addc_co_u32_e64 v18, s[0:1], 0, 0, vcc
	v_add_co_u32_e32 v11, vcc, s23, v10
	v_addc_co_u32_e64 v14, s[0:1], 0, 0, vcc
	v_add_co_u32_e32 v10, vcc, s20, v11
	v_addc_co_u32_e32 v9, vcc, v13, v14, vcc
	v_add_co_u32_e32 v12, vcc, s18, v11
	s_lshl_b32 s3, s2, 1
	v_addc_co_u32_e32 v11, vcc, v15, v14, vcc
	v_add_co_u32_e32 v19, vcc, s3, v0
	v_addc_co_u32_e64 v20, s[0:1], 0, 0, vcc
	v_add_co_u32_e32 v21, vcc, s2, v0
	v_lshlrev_b32_e32 v16, 1, v21
	v_addc_co_u32_e64 v22, s[0:1], 0, 0, vcc
	v_add_co_u32_e32 v14, vcc, s20, v16
	v_addc_co_u32_e32 v13, vcc, 0, v13, vcc
	v_add_co_u32_e32 v16, vcc, s18, v16
	s_mov_b32 s22, 0
	s_lshl_b32 s21, s2, 3
	v_addc_co_u32_e32 v15, vcc, 0, v15, vcc
	s_mov_b64 s[10:11], 0
	v_mov_b32_e32 v23, 0x3d034c3c
	v_mov_b32_e32 v24, 0x3d3641b1
	v_mov_b32_e32 v25, 0x3d999bc8
	v_mov_b32_e32 v26, 0x3e2aaaac
	s_movk_i32 s18, 0x7fff
	v_mov_b32_e32 v27, 0x7fc0
	s_branch .LBB46_9
.LBB46_8:                               ;   in Loop: Header=BB46_9 Depth=1
	s_or_b64 exec, exec, s[2:3]
	s_add_u32 s10, s10, s23
	s_addc_u32 s11, s11, 0
	s_waitcnt vmcnt(0)
	v_pk_mov_b32 v[28:29], s[16:17], s[16:17] op_sel:[0,1]
	v_cmp_ge_i64_e32 vcc, s[10:11], v[28:29]
	v_mov_b32_e32 v28, 0xffff
	v_mov_b32_e32 v29, 0
	v_cmp_gt_u64_e64 s[0:1], s[10:11], v[28:29]
	s_or_b64 s[0:1], vcc, s[0:1]
	v_mov_b32_e32 v28, s22
	v_add_co_u32_e32 v2, vcc, s21, v2
	v_addc_co_u32_e32 v1, vcc, v1, v28, vcc
	v_add_co_u32_e32 v4, vcc, s21, v4
	v_addc_co_u32_e32 v3, vcc, v3, v28, vcc
	;; [unrolled: 2-line block ×8, first 2 shown]
	s_and_b64 vcc, exec, s[0:1]
	s_cbranch_vccnz .LBB46_25
.LBB46_9:                               ; =>This Inner Loop Header: Depth=1
	v_mov_b32_e32 v29, s11
	v_add_co_u32_e32 v28, vcc, s10, v0
	v_addc_co_u32_e32 v29, vcc, 0, v29, vcc
	v_cmp_gt_u64_e64 s[4:5], s[8:9], v[28:29]
	v_mov_b32_e32 v31, 0
	s_and_saveexec_b64 s[0:1], s[4:5]
	s_cbranch_execz .LBB46_11
; %bb.10:                               ;   in Loop: Header=BB46_9 Depth=1
	v_mov_b32_e32 v29, s15
	v_add_co_u32_e32 v28, vcc, s14, v2
	v_addc_co_u32_e32 v29, vcc, v1, v29, vcc
	global_load_ushort v31, v[28:29], off
.LBB46_11:                              ;   in Loop: Header=BB46_9 Depth=1
	s_or_b64 exec, exec, s[0:1]
	v_mov_b32_e32 v29, s11
	v_add_co_u32_e32 v28, vcc, s10, v21
	v_addc_co_u32_e32 v29, vcc, v22, v29, vcc
	v_cmp_gt_u64_e64 s[2:3], s[8:9], v[28:29]
	v_mov_b32_e32 v30, 0
	s_and_saveexec_b64 s[0:1], s[2:3]
	s_cbranch_execz .LBB46_13
; %bb.12:                               ;   in Loop: Header=BB46_9 Depth=1
	v_mov_b32_e32 v29, s15
	v_add_co_u32_e32 v28, vcc, s14, v14
	v_addc_co_u32_e32 v29, vcc, v13, v29, vcc
	global_load_ushort v30, v[28:29], off
.LBB46_13:                              ;   in Loop: Header=BB46_9 Depth=1
	s_or_b64 exec, exec, s[0:1]
	v_mov_b32_e32 v29, s11
	v_add_co_u32_e32 v28, vcc, s10, v19
	v_addc_co_u32_e32 v29, vcc, v20, v29, vcc
	v_cmp_gt_u64_e64 s[0:1], s[8:9], v[28:29]
	v_mov_b32_e32 v28, 0
	v_mov_b32_e32 v29, 0
	s_and_saveexec_b64 s[6:7], s[0:1]
	s_cbranch_execz .LBB46_15
; %bb.14:                               ;   in Loop: Header=BB46_9 Depth=1
	v_mov_b32_e32 v29, s15
	v_add_co_u32_e32 v32, vcc, s14, v10
	v_addc_co_u32_e32 v33, vcc, v9, v29, vcc
	global_load_ushort v29, v[32:33], off
.LBB46_15:                              ;   in Loop: Header=BB46_9 Depth=1
	s_or_b64 exec, exec, s[6:7]
	v_mov_b32_e32 v33, s11
	v_add_co_u32_e32 v32, vcc, s10, v17
	v_addc_co_u32_e32 v33, vcc, v18, v33, vcc
	v_cmp_gt_u64_e32 vcc, s[8:9], v[32:33]
	s_and_saveexec_b64 s[12:13], vcc
	s_cbranch_execnz .LBB46_20
; %bb.16:                               ;   in Loop: Header=BB46_9 Depth=1
	s_or_b64 exec, exec, s[12:13]
	s_and_saveexec_b64 s[12:13], s[4:5]
	s_cbranch_execnz .LBB46_21
.LBB46_17:                              ;   in Loop: Header=BB46_9 Depth=1
	s_or_b64 exec, exec, s[12:13]
	s_and_saveexec_b64 s[6:7], s[2:3]
	s_cbranch_execnz .LBB46_22
.LBB46_18:                              ;   in Loop: Header=BB46_9 Depth=1
	s_or_b64 exec, exec, s[6:7]
	s_and_saveexec_b64 s[4:5], s[0:1]
	s_cbranch_execnz .LBB46_23
.LBB46_19:                              ;   in Loop: Header=BB46_9 Depth=1
	s_or_b64 exec, exec, s[4:5]
	s_and_saveexec_b64 s[2:3], vcc
	s_cbranch_execz .LBB46_8
	s_branch .LBB46_24
.LBB46_20:                              ;   in Loop: Header=BB46_9 Depth=1
	v_mov_b32_e32 v28, s15
	v_add_co_u32_e64 v32, s[6:7], s14, v6
	v_addc_co_u32_e64 v33, s[6:7], v5, v28, s[6:7]
	global_load_ushort v28, v[32:33], off
	s_or_b64 exec, exec, s[12:13]
	s_and_saveexec_b64 s[12:13], s[4:5]
	s_cbranch_execz .LBB46_17
.LBB46_21:                              ;   in Loop: Header=BB46_9 Depth=1
	s_waitcnt vmcnt(0)
	v_lshlrev_b32_e32 v31, 16, v31
	v_fma_f32 v32, |v31|, -0.5, 0.5
	v_mul_f32_e32 v33, v31, v31
	v_cmp_gt_f32_e64 s[4:5], |v31|, 0.5
	v_cndmask_b32_e64 v32, v33, v32, s[4:5]
	v_mov_b32_e32 v34, 0x3c5fc5da
	v_fmac_f32_e32 v34, 0x3d1c21a7, v32
	v_fma_f32 v34, v32, v34, v23
	v_sqrt_f32_e32 v33, v32
	v_fma_f32 v34, v32, v34, v24
	v_fma_f32 v34, v32, v34, v25
	;; [unrolled: 1-line block ×3, first 2 shown]
	v_mul_f32_e32 v32, v32, v34
	v_fmac_f32_e32 v33, v33, v32
	v_add_f32_e32 v33, v33, v33
	v_sub_f32_e32 v34, 0x40490fdb, v33
	v_cmp_gt_f32_e64 s[6:7], 0, v31
	v_fmac_f32_e32 v31, v31, v32
	v_cndmask_b32_e64 v33, v33, v34, s[6:7]
	v_sub_f32_e32 v31, 0x3fc90fdb, v31
	v_cndmask_b32_e64 v31, v31, v33, s[4:5]
	v_bfe_u32 v32, v31, 16, 1
	v_add3_u32 v32, v31, v32, s18
	v_lshrrev_b32_e32 v32, 16, v32
	v_cmp_o_f32_e64 s[4:5], v31, v31
	v_cndmask_b32_e64 v31, v27, v32, s[4:5]
	v_mov_b32_e32 v33, s15
	v_add_co_u32_e64 v32, s[4:5], s14, v4
	v_addc_co_u32_e64 v33, s[4:5], v3, v33, s[4:5]
	global_store_short v[32:33], v31, off
	s_or_b64 exec, exec, s[12:13]
	s_and_saveexec_b64 s[6:7], s[2:3]
	s_cbranch_execz .LBB46_18
.LBB46_22:                              ;   in Loop: Header=BB46_9 Depth=1
	s_waitcnt vmcnt(0)
	v_lshlrev_b32_e32 v30, 16, v30
	v_fma_f32 v31, |v30|, -0.5, 0.5
	v_mul_f32_e32 v32, v30, v30
	v_cmp_gt_f32_e64 s[2:3], |v30|, 0.5
	v_cndmask_b32_e64 v31, v32, v31, s[2:3]
	v_mov_b32_e32 v32, 0x3c5fc5da
	v_fmac_f32_e32 v32, 0x3d1c21a7, v31
	v_fma_f32 v32, v31, v32, v23
	v_fma_f32 v32, v31, v32, v24
	v_sqrt_f32_e32 v33, v31
	v_fma_f32 v32, v31, v32, v25
	v_fma_f32 v32, v31, v32, v26
	v_mul_f32_e32 v31, v31, v32
	v_fmac_f32_e32 v33, v33, v31
	v_add_f32_e32 v32, v33, v33
	v_sub_f32_e32 v33, 0x40490fdb, v32
	v_cmp_gt_f32_e64 s[4:5], 0, v30
	v_fmac_f32_e32 v30, v30, v31
	v_cndmask_b32_e64 v32, v32, v33, s[4:5]
	v_sub_f32_e32 v30, 0x3fc90fdb, v30
	v_cndmask_b32_e64 v30, v30, v32, s[2:3]
	v_bfe_u32 v31, v30, 16, 1
	v_add3_u32 v31, v30, v31, s18
	v_lshrrev_b32_e32 v31, 16, v31
	v_cmp_o_f32_e64 s[2:3], v30, v30
	v_cndmask_b32_e64 v32, v27, v31, s[2:3]
	v_mov_b32_e32 v31, s15
	v_add_co_u32_e64 v30, s[2:3], s14, v16
	v_addc_co_u32_e64 v31, s[2:3], v15, v31, s[2:3]
	global_store_short v[30:31], v32, off
	s_or_b64 exec, exec, s[6:7]
	s_and_saveexec_b64 s[4:5], s[0:1]
	s_cbranch_execz .LBB46_19
.LBB46_23:                              ;   in Loop: Header=BB46_9 Depth=1
	s_waitcnt vmcnt(0)
	v_lshlrev_b32_e32 v29, 16, v29
	v_fma_f32 v30, |v29|, -0.5, 0.5
	v_mul_f32_e32 v31, v29, v29
	v_cmp_gt_f32_e64 s[0:1], |v29|, 0.5
	v_cndmask_b32_e64 v30, v31, v30, s[0:1]
	v_mov_b32_e32 v31, 0x3c5fc5da
	v_fmac_f32_e32 v31, 0x3d1c21a7, v30
	v_fma_f32 v31, v30, v31, v23
	v_fma_f32 v31, v30, v31, v24
	v_sqrt_f32_e32 v32, v30
	v_fma_f32 v31, v30, v31, v25
	v_fma_f32 v31, v30, v31, v26
	v_mul_f32_e32 v30, v30, v31
	v_fmac_f32_e32 v32, v32, v30
	v_add_f32_e32 v31, v32, v32
	v_sub_f32_e32 v32, 0x40490fdb, v31
	v_cmp_gt_f32_e64 s[2:3], 0, v29
	v_fmac_f32_e32 v29, v29, v30
	v_cndmask_b32_e64 v31, v31, v32, s[2:3]
	v_sub_f32_e32 v29, 0x3fc90fdb, v29
	v_cndmask_b32_e64 v29, v29, v31, s[0:1]
	v_bfe_u32 v30, v29, 16, 1
	v_add3_u32 v30, v29, v30, s18
	v_lshrrev_b32_e32 v30, 16, v30
	v_cmp_o_f32_e64 s[0:1], v29, v29
	v_cndmask_b32_e64 v29, v27, v30, s[0:1]
	v_mov_b32_e32 v31, s15
	v_add_co_u32_e64 v30, s[0:1], s14, v12
	v_addc_co_u32_e64 v31, s[0:1], v11, v31, s[0:1]
	global_store_short v[30:31], v29, off
	s_or_b64 exec, exec, s[4:5]
	s_and_saveexec_b64 s[2:3], vcc
	s_cbranch_execz .LBB46_8
.LBB46_24:                              ;   in Loop: Header=BB46_9 Depth=1
	s_waitcnt vmcnt(0)
	v_lshlrev_b32_e32 v28, 16, v28
	v_fma_f32 v29, |v28|, -0.5, 0.5
	v_mul_f32_e32 v30, v28, v28
	v_cmp_gt_f32_e64 vcc, |v28|, 0.5
	v_cndmask_b32_e32 v29, v30, v29, vcc
	v_mov_b32_e32 v30, 0x3c5fc5da
	v_fmac_f32_e32 v30, 0x3d1c21a7, v29
	v_fma_f32 v30, v29, v30, v23
	v_fma_f32 v30, v29, v30, v24
	v_sqrt_f32_e32 v31, v29
	v_fma_f32 v30, v29, v30, v25
	v_fma_f32 v30, v29, v30, v26
	v_mul_f32_e32 v29, v29, v30
	v_fmac_f32_e32 v31, v31, v29
	v_add_f32_e32 v30, v31, v31
	v_sub_f32_e32 v31, 0x40490fdb, v30
	v_cmp_gt_f32_e64 s[0:1], 0, v28
	v_fmac_f32_e32 v28, v28, v29
	v_cndmask_b32_e64 v30, v30, v31, s[0:1]
	v_sub_f32_e32 v28, 0x3fc90fdb, v28
	v_cndmask_b32_e32 v28, v28, v30, vcc
	v_bfe_u32 v29, v28, 16, 1
	v_add3_u32 v29, v28, v29, s18
	v_lshrrev_b32_e32 v29, 16, v29
	v_cmp_o_f32_e32 vcc, v28, v28
	v_cndmask_b32_e32 v30, v27, v29, vcc
	v_mov_b32_e32 v29, s15
	v_add_co_u32_e32 v28, vcc, s14, v8
	v_addc_co_u32_e32 v29, vcc, v7, v29, vcc
	global_store_short v[28:29], v30, off
	s_branch .LBB46_8
.LBB46_25:
	s_endpgm
	.section	.rodata,"a",@progbits
	.p2align	6, 0x0
	.amdhsa_kernel _ZN2at6native12_GLOBAL__N_125multi_tensor_apply_kernelINS1_18TensorListMetadataILi2EEENS1_14UnaryOpFunctorIN3c108BFloat16ELi2ELi1ELi1EEEJNS0_4AcosIfEEEEEvT_T0_DpT1_
		.amdhsa_group_segment_fixed_size 0
		.amdhsa_private_segment_fixed_size 0
		.amdhsa_kernarg_size 3408
		.amdhsa_user_sgpr_count 6
		.amdhsa_user_sgpr_private_segment_buffer 1
		.amdhsa_user_sgpr_dispatch_ptr 0
		.amdhsa_user_sgpr_queue_ptr 0
		.amdhsa_user_sgpr_kernarg_segment_ptr 1
		.amdhsa_user_sgpr_dispatch_id 0
		.amdhsa_user_sgpr_flat_scratch_init 0
		.amdhsa_user_sgpr_kernarg_preload_length 0
		.amdhsa_user_sgpr_kernarg_preload_offset 0
		.amdhsa_user_sgpr_private_segment_size 0
		.amdhsa_uses_dynamic_stack 0
		.amdhsa_system_sgpr_private_segment_wavefront_offset 0
		.amdhsa_system_sgpr_workgroup_id_x 1
		.amdhsa_system_sgpr_workgroup_id_y 0
		.amdhsa_system_sgpr_workgroup_id_z 0
		.amdhsa_system_sgpr_workgroup_info 0
		.amdhsa_system_vgpr_workitem_id 0
		.amdhsa_next_free_vgpr 35
		.amdhsa_next_free_sgpr 40
		.amdhsa_accum_offset 36
		.amdhsa_reserve_vcc 1
		.amdhsa_reserve_flat_scratch 0
		.amdhsa_float_round_mode_32 0
		.amdhsa_float_round_mode_16_64 0
		.amdhsa_float_denorm_mode_32 3
		.amdhsa_float_denorm_mode_16_64 3
		.amdhsa_dx10_clamp 1
		.amdhsa_ieee_mode 1
		.amdhsa_fp16_overflow 0
		.amdhsa_tg_split 0
		.amdhsa_exception_fp_ieee_invalid_op 0
		.amdhsa_exception_fp_denorm_src 0
		.amdhsa_exception_fp_ieee_div_zero 0
		.amdhsa_exception_fp_ieee_overflow 0
		.amdhsa_exception_fp_ieee_underflow 0
		.amdhsa_exception_fp_ieee_inexact 0
		.amdhsa_exception_int_div_zero 0
	.end_amdhsa_kernel
	.section	.text._ZN2at6native12_GLOBAL__N_125multi_tensor_apply_kernelINS1_18TensorListMetadataILi2EEENS1_14UnaryOpFunctorIN3c108BFloat16ELi2ELi1ELi1EEEJNS0_4AcosIfEEEEEvT_T0_DpT1_,"axG",@progbits,_ZN2at6native12_GLOBAL__N_125multi_tensor_apply_kernelINS1_18TensorListMetadataILi2EEENS1_14UnaryOpFunctorIN3c108BFloat16ELi2ELi1ELi1EEEJNS0_4AcosIfEEEEEvT_T0_DpT1_,comdat
.Lfunc_end46:
	.size	_ZN2at6native12_GLOBAL__N_125multi_tensor_apply_kernelINS1_18TensorListMetadataILi2EEENS1_14UnaryOpFunctorIN3c108BFloat16ELi2ELi1ELi1EEEJNS0_4AcosIfEEEEEvT_T0_DpT1_, .Lfunc_end46-_ZN2at6native12_GLOBAL__N_125multi_tensor_apply_kernelINS1_18TensorListMetadataILi2EEENS1_14UnaryOpFunctorIN3c108BFloat16ELi2ELi1ELi1EEEJNS0_4AcosIfEEEEEvT_T0_DpT1_
                                        ; -- End function
	.section	.AMDGPU.csdata,"",@progbits
; Kernel info:
; codeLenInByte = 2616
; NumSgprs: 44
; NumVgprs: 35
; NumAgprs: 0
; TotalNumVgprs: 35
; ScratchSize: 0
; MemoryBound: 0
; FloatMode: 240
; IeeeMode: 1
; LDSByteSize: 0 bytes/workgroup (compile time only)
; SGPRBlocks: 5
; VGPRBlocks: 4
; NumSGPRsForWavesPerEU: 44
; NumVGPRsForWavesPerEU: 35
; AccumOffset: 36
; Occupancy: 8
; WaveLimiterHint : 0
; COMPUTE_PGM_RSRC2:SCRATCH_EN: 0
; COMPUTE_PGM_RSRC2:USER_SGPR: 6
; COMPUTE_PGM_RSRC2:TRAP_HANDLER: 0
; COMPUTE_PGM_RSRC2:TGID_X_EN: 1
; COMPUTE_PGM_RSRC2:TGID_Y_EN: 0
; COMPUTE_PGM_RSRC2:TGID_Z_EN: 0
; COMPUTE_PGM_RSRC2:TIDIG_COMP_CNT: 0
; COMPUTE_PGM_RSRC3_GFX90A:ACCUM_OFFSET: 8
; COMPUTE_PGM_RSRC3_GFX90A:TG_SPLIT: 0
	.section	.text._ZN2at6native12_GLOBAL__N_125multi_tensor_apply_kernelINS1_18TensorListMetadataILi1EEENS1_14UnaryOpFunctorIdLi1ELi1ELi0EEEJNS0_4AcosIdEEEEEvT_T0_DpT1_,"axG",@progbits,_ZN2at6native12_GLOBAL__N_125multi_tensor_apply_kernelINS1_18TensorListMetadataILi1EEENS1_14UnaryOpFunctorIdLi1ELi1ELi0EEEJNS0_4AcosIdEEEEEvT_T0_DpT1_,comdat
	.globl	_ZN2at6native12_GLOBAL__N_125multi_tensor_apply_kernelINS1_18TensorListMetadataILi1EEENS1_14UnaryOpFunctorIdLi1ELi1ELi0EEEJNS0_4AcosIdEEEEEvT_T0_DpT1_ ; -- Begin function _ZN2at6native12_GLOBAL__N_125multi_tensor_apply_kernelINS1_18TensorListMetadataILi1EEENS1_14UnaryOpFunctorIdLi1ELi1ELi0EEEJNS0_4AcosIdEEEEEvT_T0_DpT1_
	.p2align	8
	.type	_ZN2at6native12_GLOBAL__N_125multi_tensor_apply_kernelINS1_18TensorListMetadataILi1EEENS1_14UnaryOpFunctorIdLi1ELi1ELi0EEEJNS0_4AcosIdEEEEEvT_T0_DpT1_,@function
_ZN2at6native12_GLOBAL__N_125multi_tensor_apply_kernelINS1_18TensorListMetadataILi1EEENS1_14UnaryOpFunctorIdLi1ELi1ELi0EEEJNS0_4AcosIdEEEEEvT_T0_DpT1_: ; @_ZN2at6native12_GLOBAL__N_125multi_tensor_apply_kernelINS1_18TensorListMetadataILi1EEENS1_14UnaryOpFunctorIdLi1ELi1ELi0EEEJNS0_4AcosIdEEEEEvT_T0_DpT1_
; %bb.0:
	v_mov_b32_e32 v1, s6
	global_load_ubyte v1, v1, s[4:5] offset:1760
	s_add_u32 s0, s4, s6
	s_mul_hi_u32 s1, s6, 3
	s_mul_i32 s6, s6, 3
	s_addc_u32 s2, s5, 0
	s_add_u32 s0, s0, s6
	s_addc_u32 s1, s2, s1
	s_load_dword s0, s[0:1], 0x820
	s_mov_b32 s7, 0
	s_waitcnt vmcnt(0)
	v_readfirstlane_b32 s2, v1
	s_lshl_b32 s1, s2, 3
	s_load_dwordx2 s[2:3], s[4:5], s1 offset:0x370
	s_load_dwordx2 s[12:13], s[4:5], s1 offset:0x0
	s_waitcnt lgkmcnt(0)
	s_ashr_i32 s1, s0, 31
	s_lshl_b64 s[14:15], s[0:1], 19
	s_lshl_b64 s[0:1], s[0:1], 16
	s_and_b32 s6, s12, 31
	s_sub_u32 s10, s2, s0
	s_subb_u32 s11, s3, s1
	s_and_b32 s0, s2, 3
	s_mov_b32 s1, s7
	s_or_b64 s[0:1], s[6:7], s[0:1]
	s_cmp_eq_u64 s[0:1], 0
	s_cbranch_scc1 .LBB47_29
; %bb.1:
	v_cmp_lt_i64_e64 s[0:1], s[10:11], 1
	s_and_b64 vcc, exec, s[0:1]
	s_cbranch_vccnz .LBB47_28
; %bb.2:
	s_load_dword s0, s[4:5], 0xd3c
	v_mov_b32_e32 v2, 0x10000
	v_mov_b32_e32 v3, 0
	v_cmp_lt_u64_e32 vcc, s[10:11], v[2:3]
	v_lshlrev_b32_e32 v1, 3, v0
	s_waitcnt lgkmcnt(0)
	s_and_b32 s2, s0, 0xffff
	s_and_b64 s[0:1], vcc, exec
	s_cselect_b32 s17, s11, 0
	s_cselect_b32 s16, s10, 0x10000
	s_lshl_b32 s3, s2, 1
	s_lshl_b32 s29, s2, 2
	s_add_u32 s6, s12, s14
	s_addc_u32 s7, s13, s15
	v_mov_b32_e32 v3, s7
	v_add_co_u32_e32 v2, vcc, s6, v1
	s_mul_i32 s0, s2, 3
	v_addc_co_u32_e32 v3, vcc, 0, v3, vcc
	v_add_co_u32_e32 v1, vcc, s0, v0
	v_addc_co_u32_e64 v44, s[0:1], 0, 0, vcc
	v_add_co_u32_e32 v45, vcc, s3, v0
	v_addc_co_u32_e64 v46, s[0:1], 0, 0, vcc
	v_add_co_u32_e32 v47, vcc, s2, v0
	v_lshlrev_b32_e32 v4, 3, v47
	s_mov_b32 s28, 0
	v_addc_co_u32_e64 v48, s[0:1], 0, 0, vcc
	v_mov_b32_e32 v5, s7
	v_add_co_u32_e32 v4, vcc, s6, v4
	s_mov_b32 s20, 0x9fea6a70
	s_mov_b32 s22, 0x336a0500
	s_lshl_b32 s30, s2, 5
	s_mul_i32 s31, s2, 24
	s_mov_b32 s33, s28
	s_lshl_b32 s34, s2, 4
	s_mov_b32 s35, s28
	v_addc_co_u32_e32 v5, vcc, 0, v5, vcc
	s_mov_b64 s[18:19], 0
	v_mov_b32_e32 v6, 0x78a05eaf
	v_mov_b32_e32 v7, 0xbf90a5a3
	s_mov_b32 s21, 0x3fa05985
	s_mov_b32 s23, 0x3fedd9ad
	;; [unrolled: 1-line block ×3, first 2 shown]
	v_mov_b32_e32 v8, 0x37024d6a
	v_mov_b32_e32 v9, 0x3f940521
	;; [unrolled: 1-line block ×24, first 2 shown]
	s_branch .LBB47_4
.LBB47_3:                               ;   in Loop: Header=BB47_4 Depth=1
	s_or_b64 exec, exec, s[0:1]
	s_add_u32 s18, s18, s29
	s_addc_u32 s19, s19, 0
	v_pk_mov_b32 v[30:31], s[10:11], s[10:11] op_sel:[0,1]
	v_cmp_ge_i64_e32 vcc, s[18:19], v[30:31]
	v_mov_b32_e32 v30, 0xffff
	v_mov_b32_e32 v31, 0
	v_cmp_gt_u64_e64 s[0:1], s[18:19], v[30:31]
	s_or_b64 s[0:1], vcc, s[0:1]
	v_mov_b32_e32 v30, s28
	v_add_co_u32_e32 v2, vcc, s30, v2
	v_addc_co_u32_e32 v3, vcc, v3, v30, vcc
	v_add_co_u32_e32 v4, vcc, s30, v4
	v_addc_co_u32_e32 v5, vcc, v5, v30, vcc
	s_and_b64 vcc, exec, s[0:1]
	s_cbranch_vccnz .LBB47_28
.LBB47_4:                               ; =>This Inner Loop Header: Depth=1
	v_mov_b32_e32 v31, s19
	v_add_co_u32_e32 v30, vcc, s18, v0
	v_addc_co_u32_e32 v31, vcc, 0, v31, vcc
	v_pk_mov_b32 v[36:37], 0, 0
	v_cmp_gt_u64_e32 vcc, s[16:17], v[30:31]
	v_pk_mov_b32 v[38:39], v[36:37], v[36:37] op_sel:[0,1]
	s_and_saveexec_b64 s[0:1], vcc
	s_cbranch_execz .LBB47_6
; %bb.5:                                ;   in Loop: Header=BB47_4 Depth=1
	global_load_dwordx2 v[38:39], v[2:3], off
.LBB47_6:                               ;   in Loop: Header=BB47_4 Depth=1
	s_or_b64 exec, exec, s[0:1]
	v_mov_b32_e32 v31, s19
	v_add_co_u32_e64 v30, s[0:1], s18, v47
	v_addc_co_u32_e64 v31, s[0:1], v48, v31, s[0:1]
	v_cmp_gt_u64_e64 s[0:1], s[16:17], v[30:31]
	s_and_saveexec_b64 s[2:3], s[0:1]
	s_cbranch_execz .LBB47_8
; %bb.7:                                ;   in Loop: Header=BB47_4 Depth=1
	global_load_dwordx2 v[36:37], v[4:5], off
.LBB47_8:                               ;   in Loop: Header=BB47_4 Depth=1
	s_or_b64 exec, exec, s[2:3]
	v_mov_b32_e32 v31, s19
	v_add_co_u32_e64 v30, s[2:3], s18, v45
	v_addc_co_u32_e64 v31, s[2:3], v46, v31, s[2:3]
	v_cmp_gt_u64_e64 s[2:3], s[16:17], v[30:31]
	v_pk_mov_b32 v[30:31], 0, 0
	v_pk_mov_b32 v[34:35], v[30:31], v[30:31] op_sel:[0,1]
	s_and_saveexec_b64 s[8:9], s[2:3]
	s_cbranch_execz .LBB47_10
; %bb.9:                                ;   in Loop: Header=BB47_4 Depth=1
	v_mov_b32_e32 v33, s35
	v_add_co_u32_e64 v32, s[6:7], s34, v2
	v_addc_co_u32_e64 v33, s[6:7], v3, v33, s[6:7]
	global_load_dwordx2 v[34:35], v[32:33], off
.LBB47_10:                              ;   in Loop: Header=BB47_4 Depth=1
	s_or_b64 exec, exec, s[8:9]
	v_mov_b32_e32 v33, s19
	v_add_co_u32_e64 v32, s[6:7], s18, v1
	v_addc_co_u32_e64 v33, s[6:7], v44, v33, s[6:7]
	v_cmp_gt_u64_e64 s[6:7], s[16:17], v[32:33]
	s_and_saveexec_b64 s[26:27], s[6:7]
	s_cbranch_execz .LBB47_12
; %bb.11:                               ;   in Loop: Header=BB47_4 Depth=1
	v_mov_b32_e32 v31, s33
	v_add_co_u32_e64 v30, s[8:9], s31, v2
	v_addc_co_u32_e64 v31, s[8:9], v3, v31, s[8:9]
	global_load_dwordx2 v[30:31], v[30:31], off
.LBB47_12:                              ;   in Loop: Header=BB47_4 Depth=1
	s_or_b64 exec, exec, s[26:27]
	s_waitcnt vmcnt(0)
	v_fma_f64 v[42:43], |v[38:39]|, -0.5, 0.5
	v_mul_f64 v[32:33], v[38:39], v[38:39]
	v_cmp_ge_f64_e64 s[8:9], |v[38:39]|, 0.5
	v_cndmask_b32_e64 v33, v33, v43, s[8:9]
	v_cndmask_b32_e64 v32, v32, v42, s[8:9]
	v_fma_f64 v[40:41], s[20:21], v[32:33], v[6:7]
	v_fma_f64 v[40:41], v[32:33], v[40:41], v[8:9]
	;; [unrolled: 1-line block ×11, first 2 shown]
	v_mul_f64 v[40:41], v[32:33], v[40:41]
	v_fma_f64 v[32:33], v[38:39], v[40:41], v[38:39]
	v_fma_f64 v[32:33], s[22:23], v[28:29], -v[32:33]
	s_and_saveexec_b64 s[26:27], s[8:9]
	s_cbranch_execz .LBB47_14
; %bb.13:                               ;   in Loop: Header=BB47_4 Depth=1
	v_rsq_f64_e32 v[32:33], v[42:43]
	v_cmp_eq_f64_e64 s[8:9], 0, v[42:43]
	s_mov_b32 s24, s22
	v_mul_f64 v[52:53], v[42:43], v[32:33]
	v_mul_f64 v[32:33], v[32:33], 0.5
	v_fma_f64 v[54:55], -v[32:33], v[52:53], 0.5
	v_fmac_f64_e32 v[52:53], v[52:53], v[54:55]
	v_fmac_f64_e32 v[32:33], v[32:33], v[54:55]
	v_fma_f64 v[54:55], -v[52:53], v[52:53], v[42:43]
	v_fmac_f64_e32 v[52:53], v[54:55], v[32:33]
	v_cndmask_b32_e64 v33, v53, v43, s[8:9]
	v_cndmask_b32_e64 v32, v52, v42, s[8:9]
	v_add_f64 v[58:59], v[32:33], v[32:33]
	v_rcp_f64_e32 v[60:61], v[58:59]
	v_mul_f64 v[52:53], v[32:33], v[32:33]
	v_add_f64 v[56:57], v[42:43], -v[52:53]
	v_add_f64 v[42:43], v[42:43], -v[56:57]
	v_fma_f64 v[54:55], v[32:33], v[32:33], -v[52:53]
	v_add_f64 v[42:43], v[42:43], -v[52:53]
	v_fma_f64 v[52:53], -v[58:59], v[60:61], 1.0
	v_fmac_f64_e32 v[60:61], v[52:53], v[60:61]
	v_add_f64 v[42:43], v[42:43], -v[54:55]
	v_fma_f64 v[52:53], -v[58:59], v[60:61], 1.0
	v_add_f64 v[42:43], v[56:57], v[42:43]
	v_fmac_f64_e32 v[60:61], v[52:53], v[60:61]
	v_mul_f64 v[52:53], v[42:43], v[60:61]
	v_fma_f64 v[42:43], -v[58:59], v[52:53], v[42:43]
	v_fmac_f64_e32 v[52:53], v[42:43], v[60:61]
	v_cndmask_b32_e64 v43, v53, 0, s[8:9]
	v_cndmask_b32_e64 v42, v52, 0, s[8:9]
	v_add_f64 v[52:53], v[32:33], v[42:43]
	v_add_f64 v[32:33], v[52:53], -v[32:33]
	v_add_f64 v[32:33], v[42:43], -v[32:33]
	v_fma_f64 v[42:43], v[52:53], v[40:41], v[52:53]
	v_fmac_f64_e32 v[32:33], v[52:53], v[40:41]
	v_mul_f64 v[42:43], v[42:43], -2.0
	v_add_f64 v[32:33], v[52:53], v[32:33]
	v_fmac_f64_e32 v[42:43], s[24:25], v[28:29]
	v_add_f64 v[32:33], v[32:33], v[32:33]
	v_cmp_gt_f64_e64 s[8:9], 0, v[38:39]
	v_cndmask_b32_e64 v33, v33, v43, s[8:9]
	v_cndmask_b32_e64 v32, v32, v42, s[8:9]
	v_cmp_neq_f64_e64 s[8:9], -1.0, v[38:39]
	v_cndmask_b32_e64 v32, v49, v32, s[8:9]
	v_cndmask_b32_e64 v33, v50, v33, s[8:9]
	v_cmp_neq_f64_e64 s[8:9], 1.0, v[38:39]
	v_cndmask_b32_e64 v33, 0, v33, s[8:9]
	v_cndmask_b32_e64 v32, 0, v32, s[8:9]
.LBB47_14:                              ;   in Loop: Header=BB47_4 Depth=1
	s_or_b64 exec, exec, s[26:27]
	v_fma_f64 v[40:41], |v[36:37]|, -0.5, 0.5
	v_mul_f64 v[38:39], v[36:37], v[36:37]
	v_cmp_ge_f64_e64 s[8:9], |v[36:37]|, 0.5
	v_cndmask_b32_e64 v39, v39, v41, s[8:9]
	v_cndmask_b32_e64 v38, v38, v40, s[8:9]
	v_fma_f64 v[42:43], s[20:21], v[38:39], v[6:7]
	v_fma_f64 v[42:43], v[38:39], v[42:43], v[8:9]
	;; [unrolled: 1-line block ×8, first 2 shown]
	v_pk_mov_b32 v[52:53], v[22:23], v[22:23] op_sel:[0,1]
	v_fmac_f64_e32 v[52:53], v[38:39], v[42:43]
	v_pk_mov_b32 v[42:43], v[24:25], v[24:25] op_sel:[0,1]
	v_fmac_f64_e32 v[42:43], v[38:39], v[52:53]
	;; [unrolled: 2-line block ×3, first 2 shown]
	v_mul_f64 v[42:43], v[38:39], v[52:53]
	v_fma_f64 v[38:39], v[36:37], v[42:43], v[36:37]
	v_fma_f64 v[38:39], s[22:23], v[28:29], -v[38:39]
	s_and_saveexec_b64 s[26:27], s[8:9]
	s_cbranch_execz .LBB47_16
; %bb.15:                               ;   in Loop: Header=BB47_4 Depth=1
	v_rsq_f64_e32 v[38:39], v[40:41]
	v_cmp_eq_f64_e64 s[8:9], 0, v[40:41]
	s_mov_b32 s24, s22
	v_mul_f64 v[52:53], v[40:41], v[38:39]
	v_mul_f64 v[38:39], v[38:39], 0.5
	v_fma_f64 v[54:55], -v[38:39], v[52:53], 0.5
	v_fmac_f64_e32 v[52:53], v[52:53], v[54:55]
	v_fmac_f64_e32 v[38:39], v[38:39], v[54:55]
	v_fma_f64 v[54:55], -v[52:53], v[52:53], v[40:41]
	v_fmac_f64_e32 v[52:53], v[54:55], v[38:39]
	v_cndmask_b32_e64 v39, v53, v41, s[8:9]
	v_cndmask_b32_e64 v38, v52, v40, s[8:9]
	v_add_f64 v[58:59], v[38:39], v[38:39]
	v_rcp_f64_e32 v[60:61], v[58:59]
	v_mul_f64 v[52:53], v[38:39], v[38:39]
	v_add_f64 v[56:57], v[40:41], -v[52:53]
	v_add_f64 v[40:41], v[40:41], -v[56:57]
	v_fma_f64 v[54:55], v[38:39], v[38:39], -v[52:53]
	v_add_f64 v[40:41], v[40:41], -v[52:53]
	v_fma_f64 v[52:53], -v[58:59], v[60:61], 1.0
	v_fmac_f64_e32 v[60:61], v[52:53], v[60:61]
	v_add_f64 v[40:41], v[40:41], -v[54:55]
	v_fma_f64 v[52:53], -v[58:59], v[60:61], 1.0
	v_add_f64 v[40:41], v[56:57], v[40:41]
	v_fmac_f64_e32 v[60:61], v[52:53], v[60:61]
	v_mul_f64 v[52:53], v[40:41], v[60:61]
	v_fma_f64 v[40:41], -v[58:59], v[52:53], v[40:41]
	v_fmac_f64_e32 v[52:53], v[40:41], v[60:61]
	v_cndmask_b32_e64 v41, v53, 0, s[8:9]
	v_cndmask_b32_e64 v40, v52, 0, s[8:9]
	v_add_f64 v[52:53], v[38:39], v[40:41]
	v_add_f64 v[38:39], v[52:53], -v[38:39]
	v_add_f64 v[38:39], v[40:41], -v[38:39]
	v_fma_f64 v[40:41], v[52:53], v[42:43], v[52:53]
	v_fmac_f64_e32 v[38:39], v[52:53], v[42:43]
	v_mul_f64 v[40:41], v[40:41], -2.0
	v_add_f64 v[38:39], v[52:53], v[38:39]
	v_fmac_f64_e32 v[40:41], s[24:25], v[28:29]
	v_add_f64 v[38:39], v[38:39], v[38:39]
	v_cmp_gt_f64_e64 s[8:9], 0, v[36:37]
	v_cndmask_b32_e64 v39, v39, v41, s[8:9]
	v_cndmask_b32_e64 v38, v38, v40, s[8:9]
	v_cmp_neq_f64_e64 s[8:9], -1.0, v[36:37]
	v_cndmask_b32_e64 v38, v49, v38, s[8:9]
	v_cndmask_b32_e64 v39, v50, v39, s[8:9]
	v_cmp_neq_f64_e64 s[8:9], 1.0, v[36:37]
	v_cndmask_b32_e64 v39, 0, v39, s[8:9]
	v_cndmask_b32_e64 v38, 0, v38, s[8:9]
.LBB47_16:                              ;   in Loop: Header=BB47_4 Depth=1
	s_or_b64 exec, exec, s[26:27]
	v_fma_f64 v[42:43], |v[34:35]|, -0.5, 0.5
	v_mul_f64 v[36:37], v[34:35], v[34:35]
	v_cmp_ge_f64_e64 s[8:9], |v[34:35]|, 0.5
	v_cndmask_b32_e64 v37, v37, v43, s[8:9]
	v_cndmask_b32_e64 v36, v36, v42, s[8:9]
	v_pk_mov_b32 v[40:41], v[6:7], v[6:7] op_sel:[0,1]
	v_fmac_f64_e32 v[40:41], s[20:21], v[36:37]
	v_pk_mov_b32 v[52:53], v[8:9], v[8:9] op_sel:[0,1]
	v_fmac_f64_e32 v[52:53], v[36:37], v[40:41]
	;; [unrolled: 2-line block ×8, first 2 shown]
	v_fma_f64 v[40:41], v[36:37], v[52:53], v[22:23]
	v_fma_f64 v[40:41], v[36:37], v[40:41], v[24:25]
	;; [unrolled: 1-line block ×3, first 2 shown]
	v_mul_f64 v[40:41], v[36:37], v[40:41]
	v_fma_f64 v[36:37], v[34:35], v[40:41], v[34:35]
	v_fma_f64 v[36:37], s[22:23], v[28:29], -v[36:37]
	s_and_saveexec_b64 s[26:27], s[8:9]
	s_cbranch_execz .LBB47_18
; %bb.17:                               ;   in Loop: Header=BB47_4 Depth=1
	v_rsq_f64_e32 v[36:37], v[42:43]
	v_cmp_eq_f64_e64 s[8:9], 0, v[42:43]
	s_mov_b32 s24, s22
	v_mul_f64 v[52:53], v[42:43], v[36:37]
	v_mul_f64 v[36:37], v[36:37], 0.5
	v_fma_f64 v[54:55], -v[36:37], v[52:53], 0.5
	v_fmac_f64_e32 v[52:53], v[52:53], v[54:55]
	v_fmac_f64_e32 v[36:37], v[36:37], v[54:55]
	v_fma_f64 v[54:55], -v[52:53], v[52:53], v[42:43]
	v_fmac_f64_e32 v[52:53], v[54:55], v[36:37]
	v_cndmask_b32_e64 v37, v53, v43, s[8:9]
	v_cndmask_b32_e64 v36, v52, v42, s[8:9]
	v_add_f64 v[58:59], v[36:37], v[36:37]
	v_rcp_f64_e32 v[60:61], v[58:59]
	v_mul_f64 v[52:53], v[36:37], v[36:37]
	v_add_f64 v[56:57], v[42:43], -v[52:53]
	v_add_f64 v[42:43], v[42:43], -v[56:57]
	v_fma_f64 v[54:55], v[36:37], v[36:37], -v[52:53]
	v_add_f64 v[42:43], v[42:43], -v[52:53]
	v_fma_f64 v[52:53], -v[58:59], v[60:61], 1.0
	v_fmac_f64_e32 v[60:61], v[52:53], v[60:61]
	v_add_f64 v[42:43], v[42:43], -v[54:55]
	v_fma_f64 v[52:53], -v[58:59], v[60:61], 1.0
	v_add_f64 v[42:43], v[56:57], v[42:43]
	v_fmac_f64_e32 v[60:61], v[52:53], v[60:61]
	v_mul_f64 v[52:53], v[42:43], v[60:61]
	v_fma_f64 v[42:43], -v[58:59], v[52:53], v[42:43]
	v_fmac_f64_e32 v[52:53], v[42:43], v[60:61]
	v_cndmask_b32_e64 v43, v53, 0, s[8:9]
	v_cndmask_b32_e64 v42, v52, 0, s[8:9]
	v_add_f64 v[52:53], v[36:37], v[42:43]
	v_add_f64 v[36:37], v[52:53], -v[36:37]
	v_add_f64 v[36:37], v[42:43], -v[36:37]
	v_fma_f64 v[42:43], v[52:53], v[40:41], v[52:53]
	v_fmac_f64_e32 v[36:37], v[52:53], v[40:41]
	v_mul_f64 v[42:43], v[42:43], -2.0
	v_add_f64 v[36:37], v[52:53], v[36:37]
	v_fmac_f64_e32 v[42:43], s[24:25], v[28:29]
	v_add_f64 v[36:37], v[36:37], v[36:37]
	v_cmp_gt_f64_e64 s[8:9], 0, v[34:35]
	v_cndmask_b32_e64 v37, v37, v43, s[8:9]
	v_cndmask_b32_e64 v36, v36, v42, s[8:9]
	v_cmp_neq_f64_e64 s[8:9], -1.0, v[34:35]
	v_cndmask_b32_e64 v36, v49, v36, s[8:9]
	v_cndmask_b32_e64 v37, v50, v37, s[8:9]
	v_cmp_neq_f64_e64 s[8:9], 1.0, v[34:35]
	v_cndmask_b32_e64 v37, 0, v37, s[8:9]
	v_cndmask_b32_e64 v36, 0, v36, s[8:9]
.LBB47_18:                              ;   in Loop: Header=BB47_4 Depth=1
	s_or_b64 exec, exec, s[26:27]
	v_fma_f64 v[34:35], |v[30:31]|, -0.5, 0.5
	v_mul_f64 v[40:41], v[30:31], v[30:31]
	v_cmp_ge_f64_e64 s[8:9], |v[30:31]|, 0.5
	v_cndmask_b32_e64 v41, v41, v35, s[8:9]
	v_cndmask_b32_e64 v40, v40, v34, s[8:9]
	v_pk_mov_b32 v[42:43], v[6:7], v[6:7] op_sel:[0,1]
	v_fmac_f64_e32 v[42:43], s[20:21], v[40:41]
	v_pk_mov_b32 v[52:53], v[8:9], v[8:9] op_sel:[0,1]
	v_fmac_f64_e32 v[52:53], v[40:41], v[42:43]
	;; [unrolled: 2-line block ×11, first 2 shown]
	v_mul_f64 v[40:41], v[40:41], v[42:43]
	v_fma_f64 v[42:43], v[30:31], v[40:41], v[30:31]
	v_fma_f64 v[42:43], s[22:23], v[28:29], -v[42:43]
	s_and_saveexec_b64 s[26:27], s[8:9]
	s_cbranch_execnz .LBB47_23
; %bb.19:                               ;   in Loop: Header=BB47_4 Depth=1
	s_or_b64 exec, exec, s[26:27]
	s_and_saveexec_b64 s[8:9], vcc
	s_xor_b64 s[8:9], exec, s[8:9]
	s_cbranch_execnz .LBB47_24
.LBB47_20:                              ;   in Loop: Header=BB47_4 Depth=1
	s_or_b64 exec, exec, s[8:9]
	s_and_saveexec_b64 s[8:9], s[0:1]
	s_cbranch_execnz .LBB47_25
.LBB47_21:                              ;   in Loop: Header=BB47_4 Depth=1
	s_or_b64 exec, exec, s[8:9]
	s_and_saveexec_b64 s[0:1], s[2:3]
	s_cbranch_execnz .LBB47_26
.LBB47_22:                              ;   in Loop: Header=BB47_4 Depth=1
	s_or_b64 exec, exec, s[0:1]
	s_and_saveexec_b64 s[0:1], s[6:7]
	s_cbranch_execz .LBB47_3
	s_branch .LBB47_27
.LBB47_23:                              ;   in Loop: Header=BB47_4 Depth=1
	v_rsq_f64_e32 v[42:43], v[34:35]
	v_cmp_eq_f64_e64 s[8:9], 0, v[34:35]
	s_mov_b32 s24, s22
	v_mul_f64 v[52:53], v[34:35], v[42:43]
	v_mul_f64 v[42:43], v[42:43], 0.5
	v_fma_f64 v[54:55], -v[42:43], v[52:53], 0.5
	v_fmac_f64_e32 v[52:53], v[52:53], v[54:55]
	v_fmac_f64_e32 v[42:43], v[42:43], v[54:55]
	v_fma_f64 v[54:55], -v[52:53], v[52:53], v[34:35]
	v_fmac_f64_e32 v[52:53], v[54:55], v[42:43]
	v_cndmask_b32_e64 v43, v53, v35, s[8:9]
	v_cndmask_b32_e64 v42, v52, v34, s[8:9]
	v_add_f64 v[58:59], v[42:43], v[42:43]
	v_rcp_f64_e32 v[60:61], v[58:59]
	v_mul_f64 v[52:53], v[42:43], v[42:43]
	v_add_f64 v[56:57], v[34:35], -v[52:53]
	v_add_f64 v[34:35], v[34:35], -v[56:57]
	v_fma_f64 v[54:55], v[42:43], v[42:43], -v[52:53]
	v_add_f64 v[34:35], v[34:35], -v[52:53]
	v_fma_f64 v[52:53], -v[58:59], v[60:61], 1.0
	v_fmac_f64_e32 v[60:61], v[52:53], v[60:61]
	v_add_f64 v[34:35], v[34:35], -v[54:55]
	v_fma_f64 v[52:53], -v[58:59], v[60:61], 1.0
	v_add_f64 v[34:35], v[56:57], v[34:35]
	v_fmac_f64_e32 v[60:61], v[52:53], v[60:61]
	v_mul_f64 v[52:53], v[34:35], v[60:61]
	v_fma_f64 v[34:35], -v[58:59], v[52:53], v[34:35]
	v_fmac_f64_e32 v[52:53], v[34:35], v[60:61]
	v_cndmask_b32_e64 v35, v53, 0, s[8:9]
	v_cndmask_b32_e64 v34, v52, 0, s[8:9]
	v_add_f64 v[52:53], v[42:43], v[34:35]
	v_add_f64 v[42:43], v[52:53], -v[42:43]
	v_add_f64 v[34:35], v[34:35], -v[42:43]
	v_fma_f64 v[42:43], v[52:53], v[40:41], v[52:53]
	v_fmac_f64_e32 v[34:35], v[52:53], v[40:41]
	v_mul_f64 v[42:43], v[42:43], -2.0
	v_add_f64 v[34:35], v[52:53], v[34:35]
	v_fmac_f64_e32 v[42:43], s[24:25], v[28:29]
	v_add_f64 v[34:35], v[34:35], v[34:35]
	v_cmp_gt_f64_e64 s[8:9], 0, v[30:31]
	v_cndmask_b32_e64 v35, v35, v43, s[8:9]
	v_cndmask_b32_e64 v34, v34, v42, s[8:9]
	v_cmp_neq_f64_e64 s[8:9], -1.0, v[30:31]
	v_cndmask_b32_e64 v34, v49, v34, s[8:9]
	v_cndmask_b32_e64 v35, v50, v35, s[8:9]
	v_cmp_neq_f64_e64 s[8:9], 1.0, v[30:31]
	v_cndmask_b32_e64 v43, 0, v35, s[8:9]
	v_cndmask_b32_e64 v42, 0, v34, s[8:9]
	s_or_b64 exec, exec, s[26:27]
	s_and_saveexec_b64 s[8:9], vcc
	s_xor_b64 s[8:9], exec, s[8:9]
	s_cbranch_execz .LBB47_20
.LBB47_24:                              ;   in Loop: Header=BB47_4 Depth=1
	global_store_dwordx2 v[2:3], v[32:33], off
	s_or_b64 exec, exec, s[8:9]
	s_and_saveexec_b64 s[8:9], s[0:1]
	s_cbranch_execz .LBB47_21
.LBB47_25:                              ;   in Loop: Header=BB47_4 Depth=1
	global_store_dwordx2 v[4:5], v[38:39], off
	s_or_b64 exec, exec, s[8:9]
	s_and_saveexec_b64 s[0:1], s[2:3]
	s_cbranch_execz .LBB47_22
.LBB47_26:                              ;   in Loop: Header=BB47_4 Depth=1
	v_mov_b32_e32 v31, s35
	v_add_co_u32_e32 v30, vcc, s34, v2
	v_addc_co_u32_e32 v31, vcc, v3, v31, vcc
	global_store_dwordx2 v[30:31], v[36:37], off
	s_or_b64 exec, exec, s[0:1]
	s_and_saveexec_b64 s[0:1], s[6:7]
	s_cbranch_execz .LBB47_3
.LBB47_27:                              ;   in Loop: Header=BB47_4 Depth=1
	v_mov_b32_e32 v31, s33
	v_add_co_u32_e32 v30, vcc, s31, v2
	v_addc_co_u32_e32 v31, vcc, v3, v31, vcc
	global_store_dwordx2 v[30:31], v[42:43], off
	s_branch .LBB47_3
.LBB47_28:
	s_cbranch_execz .LBB47_30
	s_branch .LBB47_41
.LBB47_29:
.LBB47_30:
	v_mov_b32_e32 v13, 0
	v_lshlrev_b32_e32 v12, 2, v0
	s_mov_b32 s16, 0
	v_cmp_gt_i64_e32 vcc, s[10:11], v[12:13]
	s_and_saveexec_b64 s[0:1], vcc
	s_cbranch_execz .LBB47_41
; %bb.31:
	s_load_dword s0, s[4:5], 0xd3c
	v_lshlrev_b32_e32 v1, 5, v0
	s_mov_b32 s4, 0x9fea6a70
	s_mov_b32 s6, 0x336a0500
	;; [unrolled: 1-line block ×3, first 2 shown]
	s_waitcnt lgkmcnt(0)
	s_and_b32 s0, s0, 0xffff
	s_lshl_b32 s17, s0, 2
	s_add_u32 s1, s12, s14
	s_addc_u32 s2, s13, s15
	v_add_lshl_u32 v12, v0, s0, 2
	v_mov_b32_e32 v0, s2
	v_add_co_u32_e32 v1, vcc, s1, v1
	v_addc_co_u32_e32 v0, vcc, 0, v0, vcc
	v_add_co_u32_e32 v14, vcc, 16, v1
	v_addc_co_u32_e32 v15, vcc, 0, v0, vcc
	s_lshl_b32 s14, s0, 5
	s_mov_b32 s15, s16
	s_mov_b64 s[2:3], 0
	v_mov_b32_e32 v16, 0x78a05eaf
	v_mov_b32_e32 v17, 0xbf90a5a3
	s_mov_b32 s5, 0x3fa05985
	v_mov_b32_e32 v18, 0x37024d6a
	v_mov_b32_e32 v19, 0x3f940521
	;; [unrolled: 1-line block ×22, first 2 shown]
	s_mov_b32 s7, 0x3fedd9ad
	s_mov_b32 s9, 0x3ffdd9ad
	s_mov_b64 s[12:13], 0xffff
	v_mov_b32_e32 v42, 0x54442d18
	v_mov_b32_e32 v43, 0x400921fb
	s_branch .LBB47_33
.LBB47_32:                              ;   in Loop: Header=BB47_33 Depth=1
	s_or_b64 exec, exec, s[0:1]
	v_cmp_le_i64_e32 vcc, s[10:11], v[12:13]
	v_cmp_lt_u64_e64 s[0:1], s[12:13], v[12:13]
	s_or_b64 s[0:1], vcc, s[0:1]
	v_mov_b32_e32 v0, s16
	v_add_co_u32_e32 v12, vcc, s17, v12
	v_addc_co_u32_e32 v13, vcc, v13, v0, vcc
	global_store_dwordx4 v[14:15], v[4:7], off offset:-16
	global_store_dwordx4 v[14:15], v[8:11], off
	v_mov_b32_e32 v0, s15
	s_and_b64 s[0:1], exec, s[0:1]
	v_add_co_u32_e32 v14, vcc, s14, v14
	s_or_b64 s[2:3], s[0:1], s[2:3]
	v_addc_co_u32_e32 v15, vcc, v15, v0, vcc
	s_andn2_b64 exec, exec, s[2:3]
	s_cbranch_execz .LBB47_41
.LBB47_33:                              ; =>This Inner Loop Header: Depth=1
	global_load_dwordx4 v[6:9], v[14:15], off offset:-16
	global_load_dwordx4 v[0:3], v[14:15], off
	s_waitcnt vmcnt(1)
	v_fma_f64 v[40:41], |v[6:7]|, -0.5, 0.5
	v_mul_f64 v[4:5], v[6:7], v[6:7]
	v_cmp_ge_f64_e64 vcc, |v[6:7]|, 0.5
	v_cndmask_b32_e32 v5, v5, v41, vcc
	v_cndmask_b32_e32 v4, v4, v40, vcc
	v_fma_f64 v[10:11], s[4:5], v[4:5], v[16:17]
	v_fma_f64 v[10:11], v[4:5], v[10:11], v[18:19]
	;; [unrolled: 1-line block ×11, first 2 shown]
	v_mul_f64 v[10:11], v[4:5], v[10:11]
	v_fma_f64 v[4:5], v[6:7], v[10:11], v[6:7]
	v_fma_f64 v[4:5], s[6:7], v[38:39], -v[4:5]
	s_and_saveexec_b64 s[0:1], vcc
	s_cbranch_execz .LBB47_35
; %bb.34:                               ;   in Loop: Header=BB47_33 Depth=1
	v_rsq_f64_e32 v[4:5], v[40:41]
	v_cmp_eq_f64_e32 vcc, 0, v[40:41]
	v_mul_f64 v[44:45], v[40:41], v[4:5]
	v_mul_f64 v[4:5], v[4:5], 0.5
	v_fma_f64 v[46:47], -v[4:5], v[44:45], 0.5
	v_fmac_f64_e32 v[44:45], v[44:45], v[46:47]
	v_fmac_f64_e32 v[4:5], v[4:5], v[46:47]
	v_fma_f64 v[46:47], -v[44:45], v[44:45], v[40:41]
	v_fmac_f64_e32 v[44:45], v[46:47], v[4:5]
	v_cndmask_b32_e32 v5, v45, v41, vcc
	v_cndmask_b32_e32 v4, v44, v40, vcc
	v_add_f64 v[50:51], v[4:5], v[4:5]
	v_rcp_f64_e32 v[52:53], v[50:51]
	v_mul_f64 v[44:45], v[4:5], v[4:5]
	v_add_f64 v[48:49], v[40:41], -v[44:45]
	v_add_f64 v[40:41], v[40:41], -v[48:49]
	v_fma_f64 v[46:47], v[4:5], v[4:5], -v[44:45]
	v_add_f64 v[40:41], v[40:41], -v[44:45]
	v_fma_f64 v[44:45], -v[50:51], v[52:53], 1.0
	v_fmac_f64_e32 v[52:53], v[44:45], v[52:53]
	v_add_f64 v[40:41], v[40:41], -v[46:47]
	v_fma_f64 v[44:45], -v[50:51], v[52:53], 1.0
	v_add_f64 v[40:41], v[48:49], v[40:41]
	v_fmac_f64_e32 v[52:53], v[44:45], v[52:53]
	v_mul_f64 v[44:45], v[40:41], v[52:53]
	v_fma_f64 v[40:41], -v[50:51], v[44:45], v[40:41]
	v_fmac_f64_e32 v[44:45], v[40:41], v[52:53]
	v_cndmask_b32_e64 v41, v45, 0, vcc
	v_cndmask_b32_e64 v40, v44, 0, vcc
	v_add_f64 v[44:45], v[4:5], v[40:41]
	v_add_f64 v[4:5], v[44:45], -v[4:5]
	v_add_f64 v[4:5], v[40:41], -v[4:5]
	v_fma_f64 v[40:41], v[44:45], v[10:11], v[44:45]
	v_fmac_f64_e32 v[4:5], v[44:45], v[10:11]
	v_mul_f64 v[40:41], v[40:41], -2.0
	v_add_f64 v[4:5], v[44:45], v[4:5]
	v_fmac_f64_e32 v[40:41], s[8:9], v[38:39]
	v_add_f64 v[4:5], v[4:5], v[4:5]
	v_cmp_gt_f64_e32 vcc, 0, v[6:7]
	v_cndmask_b32_e32 v5, v5, v41, vcc
	v_cndmask_b32_e32 v4, v4, v40, vcc
	v_cmp_neq_f64_e32 vcc, -1.0, v[6:7]
	v_cndmask_b32_e32 v4, v42, v4, vcc
	v_cndmask_b32_e32 v5, v43, v5, vcc
	v_cmp_neq_f64_e32 vcc, 1.0, v[6:7]
	v_cndmask_b32_e32 v5, 0, v5, vcc
	v_cndmask_b32_e32 v4, 0, v4, vcc
.LBB47_35:                              ;   in Loop: Header=BB47_33 Depth=1
	s_or_b64 exec, exec, s[0:1]
	v_fma_f64 v[10:11], |v[8:9]|, -0.5, 0.5
	v_mul_f64 v[6:7], v[8:9], v[8:9]
	v_cmp_ge_f64_e64 vcc, |v[8:9]|, 0.5
	v_cndmask_b32_e32 v7, v7, v11, vcc
	v_cndmask_b32_e32 v6, v6, v10, vcc
	v_fma_f64 v[40:41], s[4:5], v[6:7], v[16:17]
	v_fma_f64 v[40:41], v[6:7], v[40:41], v[18:19]
	;; [unrolled: 1-line block ×11, first 2 shown]
	v_mul_f64 v[40:41], v[6:7], v[40:41]
	v_fma_f64 v[6:7], v[8:9], v[40:41], v[8:9]
	v_fma_f64 v[6:7], s[6:7], v[38:39], -v[6:7]
	s_and_saveexec_b64 s[0:1], vcc
	s_cbranch_execz .LBB47_37
; %bb.36:                               ;   in Loop: Header=BB47_33 Depth=1
	v_rsq_f64_e32 v[6:7], v[10:11]
	v_cmp_eq_f64_e32 vcc, 0, v[10:11]
	v_mul_f64 v[44:45], v[10:11], v[6:7]
	v_mul_f64 v[6:7], v[6:7], 0.5
	v_fma_f64 v[46:47], -v[6:7], v[44:45], 0.5
	v_fmac_f64_e32 v[44:45], v[44:45], v[46:47]
	v_fmac_f64_e32 v[6:7], v[6:7], v[46:47]
	v_fma_f64 v[46:47], -v[44:45], v[44:45], v[10:11]
	v_fmac_f64_e32 v[44:45], v[46:47], v[6:7]
	v_cndmask_b32_e32 v7, v45, v11, vcc
	v_cndmask_b32_e32 v6, v44, v10, vcc
	v_add_f64 v[50:51], v[6:7], v[6:7]
	v_rcp_f64_e32 v[52:53], v[50:51]
	v_mul_f64 v[44:45], v[6:7], v[6:7]
	v_add_f64 v[48:49], v[10:11], -v[44:45]
	v_add_f64 v[10:11], v[10:11], -v[48:49]
	v_fma_f64 v[46:47], v[6:7], v[6:7], -v[44:45]
	v_add_f64 v[10:11], v[10:11], -v[44:45]
	v_fma_f64 v[44:45], -v[50:51], v[52:53], 1.0
	v_fmac_f64_e32 v[52:53], v[44:45], v[52:53]
	v_add_f64 v[10:11], v[10:11], -v[46:47]
	v_fma_f64 v[44:45], -v[50:51], v[52:53], 1.0
	v_add_f64 v[10:11], v[48:49], v[10:11]
	v_fmac_f64_e32 v[52:53], v[44:45], v[52:53]
	v_mul_f64 v[44:45], v[10:11], v[52:53]
	v_fma_f64 v[10:11], -v[50:51], v[44:45], v[10:11]
	v_fmac_f64_e32 v[44:45], v[10:11], v[52:53]
	v_cndmask_b32_e64 v11, v45, 0, vcc
	v_cndmask_b32_e64 v10, v44, 0, vcc
	v_add_f64 v[44:45], v[6:7], v[10:11]
	v_add_f64 v[6:7], v[44:45], -v[6:7]
	v_add_f64 v[6:7], v[10:11], -v[6:7]
	v_fma_f64 v[10:11], v[44:45], v[40:41], v[44:45]
	v_fmac_f64_e32 v[6:7], v[44:45], v[40:41]
	v_mul_f64 v[10:11], v[10:11], -2.0
	v_add_f64 v[6:7], v[44:45], v[6:7]
	v_fmac_f64_e32 v[10:11], s[8:9], v[38:39]
	v_add_f64 v[6:7], v[6:7], v[6:7]
	v_cmp_gt_f64_e32 vcc, 0, v[8:9]
	v_cndmask_b32_e32 v7, v7, v11, vcc
	v_cndmask_b32_e32 v6, v6, v10, vcc
	v_cmp_neq_f64_e32 vcc, -1.0, v[8:9]
	v_cndmask_b32_e32 v6, v42, v6, vcc
	v_cndmask_b32_e32 v7, v43, v7, vcc
	v_cmp_neq_f64_e32 vcc, 1.0, v[8:9]
	v_cndmask_b32_e32 v7, 0, v7, vcc
	v_cndmask_b32_e32 v6, 0, v6, vcc
.LBB47_37:                              ;   in Loop: Header=BB47_33 Depth=1
	s_or_b64 exec, exec, s[0:1]
	s_waitcnt vmcnt(0)
	v_fma_f64 v[40:41], |v[0:1]|, -0.5, 0.5
	v_mul_f64 v[8:9], v[0:1], v[0:1]
	v_cmp_ge_f64_e64 vcc, |v[0:1]|, 0.5
	v_cndmask_b32_e32 v9, v9, v41, vcc
	v_cndmask_b32_e32 v8, v8, v40, vcc
	v_pk_mov_b32 v[10:11], v[16:17], v[16:17] op_sel:[0,1]
	v_fmac_f64_e32 v[10:11], s[4:5], v[8:9]
	v_pk_mov_b32 v[44:45], v[18:19], v[18:19] op_sel:[0,1]
	v_fmac_f64_e32 v[44:45], v[8:9], v[10:11]
	;; [unrolled: 2-line block ×11, first 2 shown]
	v_mul_f64 v[10:11], v[8:9], v[10:11]
	v_fma_f64 v[8:9], v[0:1], v[10:11], v[0:1]
	v_fma_f64 v[8:9], s[6:7], v[38:39], -v[8:9]
	s_and_saveexec_b64 s[0:1], vcc
	s_cbranch_execz .LBB47_39
; %bb.38:                               ;   in Loop: Header=BB47_33 Depth=1
	v_rsq_f64_e32 v[8:9], v[40:41]
	v_cmp_eq_f64_e32 vcc, 0, v[40:41]
	v_mul_f64 v[44:45], v[40:41], v[8:9]
	v_mul_f64 v[8:9], v[8:9], 0.5
	v_fma_f64 v[46:47], -v[8:9], v[44:45], 0.5
	v_fmac_f64_e32 v[44:45], v[44:45], v[46:47]
	v_fmac_f64_e32 v[8:9], v[8:9], v[46:47]
	v_fma_f64 v[46:47], -v[44:45], v[44:45], v[40:41]
	v_fmac_f64_e32 v[44:45], v[46:47], v[8:9]
	v_cndmask_b32_e32 v9, v45, v41, vcc
	v_cndmask_b32_e32 v8, v44, v40, vcc
	v_add_f64 v[50:51], v[8:9], v[8:9]
	v_rcp_f64_e32 v[52:53], v[50:51]
	v_mul_f64 v[44:45], v[8:9], v[8:9]
	v_add_f64 v[48:49], v[40:41], -v[44:45]
	v_add_f64 v[40:41], v[40:41], -v[48:49]
	v_fma_f64 v[46:47], v[8:9], v[8:9], -v[44:45]
	v_add_f64 v[40:41], v[40:41], -v[44:45]
	v_fma_f64 v[44:45], -v[50:51], v[52:53], 1.0
	v_fmac_f64_e32 v[52:53], v[44:45], v[52:53]
	v_add_f64 v[40:41], v[40:41], -v[46:47]
	v_fma_f64 v[44:45], -v[50:51], v[52:53], 1.0
	v_add_f64 v[40:41], v[48:49], v[40:41]
	v_fmac_f64_e32 v[52:53], v[44:45], v[52:53]
	v_mul_f64 v[44:45], v[40:41], v[52:53]
	v_fma_f64 v[40:41], -v[50:51], v[44:45], v[40:41]
	v_fmac_f64_e32 v[44:45], v[40:41], v[52:53]
	v_cndmask_b32_e64 v41, v45, 0, vcc
	v_cndmask_b32_e64 v40, v44, 0, vcc
	v_add_f64 v[44:45], v[8:9], v[40:41]
	v_add_f64 v[8:9], v[44:45], -v[8:9]
	v_add_f64 v[8:9], v[40:41], -v[8:9]
	v_fma_f64 v[40:41], v[44:45], v[10:11], v[44:45]
	v_fmac_f64_e32 v[8:9], v[44:45], v[10:11]
	v_mul_f64 v[40:41], v[40:41], -2.0
	v_add_f64 v[8:9], v[44:45], v[8:9]
	v_fmac_f64_e32 v[40:41], s[8:9], v[38:39]
	v_add_f64 v[8:9], v[8:9], v[8:9]
	v_cmp_gt_f64_e32 vcc, 0, v[0:1]
	v_cndmask_b32_e32 v9, v9, v41, vcc
	v_cndmask_b32_e32 v8, v8, v40, vcc
	v_cmp_neq_f64_e32 vcc, -1.0, v[0:1]
	v_cndmask_b32_e32 v8, v42, v8, vcc
	v_cndmask_b32_e32 v9, v43, v9, vcc
	v_cmp_neq_f64_e32 vcc, 1.0, v[0:1]
	v_cndmask_b32_e32 v9, 0, v9, vcc
	v_cndmask_b32_e32 v8, 0, v8, vcc
.LBB47_39:                              ;   in Loop: Header=BB47_33 Depth=1
	s_or_b64 exec, exec, s[0:1]
	v_fma_f64 v[0:1], |v[2:3]|, -0.5, 0.5
	v_mul_f64 v[10:11], v[2:3], v[2:3]
	v_cmp_ge_f64_e64 vcc, |v[2:3]|, 0.5
	v_cndmask_b32_e32 v11, v11, v1, vcc
	v_cndmask_b32_e32 v10, v10, v0, vcc
	v_pk_mov_b32 v[40:41], v[16:17], v[16:17] op_sel:[0,1]
	v_fmac_f64_e32 v[40:41], s[4:5], v[10:11]
	v_pk_mov_b32 v[44:45], v[18:19], v[18:19] op_sel:[0,1]
	v_fmac_f64_e32 v[44:45], v[10:11], v[40:41]
	;; [unrolled: 2-line block ×11, first 2 shown]
	v_mul_f64 v[40:41], v[10:11], v[40:41]
	v_fma_f64 v[10:11], v[2:3], v[40:41], v[2:3]
	v_fma_f64 v[10:11], s[6:7], v[38:39], -v[10:11]
	s_and_saveexec_b64 s[0:1], vcc
	s_cbranch_execz .LBB47_32
; %bb.40:                               ;   in Loop: Header=BB47_33 Depth=1
	v_rsq_f64_e32 v[10:11], v[0:1]
	v_cmp_eq_f64_e32 vcc, 0, v[0:1]
	v_mul_f64 v[44:45], v[0:1], v[10:11]
	v_mul_f64 v[10:11], v[10:11], 0.5
	v_fma_f64 v[46:47], -v[10:11], v[44:45], 0.5
	v_fmac_f64_e32 v[44:45], v[44:45], v[46:47]
	v_fmac_f64_e32 v[10:11], v[10:11], v[46:47]
	v_fma_f64 v[46:47], -v[44:45], v[44:45], v[0:1]
	v_fmac_f64_e32 v[44:45], v[46:47], v[10:11]
	v_cndmask_b32_e32 v11, v45, v1, vcc
	v_cndmask_b32_e32 v10, v44, v0, vcc
	v_add_f64 v[50:51], v[10:11], v[10:11]
	v_rcp_f64_e32 v[52:53], v[50:51]
	v_mul_f64 v[44:45], v[10:11], v[10:11]
	v_add_f64 v[48:49], v[0:1], -v[44:45]
	v_add_f64 v[0:1], v[0:1], -v[48:49]
	v_fma_f64 v[46:47], v[10:11], v[10:11], -v[44:45]
	v_add_f64 v[0:1], v[0:1], -v[44:45]
	v_fma_f64 v[44:45], -v[50:51], v[52:53], 1.0
	v_fmac_f64_e32 v[52:53], v[44:45], v[52:53]
	v_add_f64 v[0:1], v[0:1], -v[46:47]
	v_fma_f64 v[44:45], -v[50:51], v[52:53], 1.0
	v_add_f64 v[0:1], v[48:49], v[0:1]
	v_fmac_f64_e32 v[52:53], v[44:45], v[52:53]
	v_mul_f64 v[44:45], v[0:1], v[52:53]
	v_fma_f64 v[0:1], -v[50:51], v[44:45], v[0:1]
	v_fmac_f64_e32 v[44:45], v[0:1], v[52:53]
	v_cndmask_b32_e64 v1, v45, 0, vcc
	v_cndmask_b32_e64 v0, v44, 0, vcc
	v_add_f64 v[44:45], v[10:11], v[0:1]
	v_add_f64 v[10:11], v[44:45], -v[10:11]
	v_add_f64 v[0:1], v[0:1], -v[10:11]
	v_fma_f64 v[10:11], v[44:45], v[40:41], v[44:45]
	v_fmac_f64_e32 v[0:1], v[44:45], v[40:41]
	v_mul_f64 v[10:11], v[10:11], -2.0
	v_add_f64 v[0:1], v[44:45], v[0:1]
	v_fmac_f64_e32 v[10:11], s[8:9], v[38:39]
	v_add_f64 v[0:1], v[0:1], v[0:1]
	v_cmp_gt_f64_e32 vcc, 0, v[2:3]
	v_cndmask_b32_e32 v1, v1, v11, vcc
	v_cndmask_b32_e32 v0, v0, v10, vcc
	v_cmp_neq_f64_e32 vcc, -1.0, v[2:3]
	v_cndmask_b32_e32 v0, v42, v0, vcc
	v_cndmask_b32_e32 v1, v43, v1, vcc
	v_cmp_neq_f64_e32 vcc, 1.0, v[2:3]
	v_cndmask_b32_e32 v11, 0, v1, vcc
	v_cndmask_b32_e32 v10, 0, v0, vcc
	s_branch .LBB47_32
.LBB47_41:
	s_endpgm
	.section	.rodata,"a",@progbits
	.p2align	6, 0x0
	.amdhsa_kernel _ZN2at6native12_GLOBAL__N_125multi_tensor_apply_kernelINS1_18TensorListMetadataILi1EEENS1_14UnaryOpFunctorIdLi1ELi1ELi0EEEJNS0_4AcosIdEEEEEvT_T0_DpT1_
		.amdhsa_group_segment_fixed_size 0
		.amdhsa_private_segment_fixed_size 0
		.amdhsa_kernarg_size 3632
		.amdhsa_user_sgpr_count 6
		.amdhsa_user_sgpr_private_segment_buffer 1
		.amdhsa_user_sgpr_dispatch_ptr 0
		.amdhsa_user_sgpr_queue_ptr 0
		.amdhsa_user_sgpr_kernarg_segment_ptr 1
		.amdhsa_user_sgpr_dispatch_id 0
		.amdhsa_user_sgpr_flat_scratch_init 0
		.amdhsa_user_sgpr_kernarg_preload_length 0
		.amdhsa_user_sgpr_kernarg_preload_offset 0
		.amdhsa_user_sgpr_private_segment_size 0
		.amdhsa_uses_dynamic_stack 0
		.amdhsa_system_sgpr_private_segment_wavefront_offset 0
		.amdhsa_system_sgpr_workgroup_id_x 1
		.amdhsa_system_sgpr_workgroup_id_y 0
		.amdhsa_system_sgpr_workgroup_id_z 0
		.amdhsa_system_sgpr_workgroup_info 0
		.amdhsa_system_vgpr_workitem_id 0
		.amdhsa_next_free_vgpr 62
		.amdhsa_next_free_sgpr 36
		.amdhsa_accum_offset 64
		.amdhsa_reserve_vcc 1
		.amdhsa_reserve_flat_scratch 0
		.amdhsa_float_round_mode_32 0
		.amdhsa_float_round_mode_16_64 0
		.amdhsa_float_denorm_mode_32 3
		.amdhsa_float_denorm_mode_16_64 3
		.amdhsa_dx10_clamp 1
		.amdhsa_ieee_mode 1
		.amdhsa_fp16_overflow 0
		.amdhsa_tg_split 0
		.amdhsa_exception_fp_ieee_invalid_op 0
		.amdhsa_exception_fp_denorm_src 0
		.amdhsa_exception_fp_ieee_div_zero 0
		.amdhsa_exception_fp_ieee_overflow 0
		.amdhsa_exception_fp_ieee_underflow 0
		.amdhsa_exception_fp_ieee_inexact 0
		.amdhsa_exception_int_div_zero 0
	.end_amdhsa_kernel
	.section	.text._ZN2at6native12_GLOBAL__N_125multi_tensor_apply_kernelINS1_18TensorListMetadataILi1EEENS1_14UnaryOpFunctorIdLi1ELi1ELi0EEEJNS0_4AcosIdEEEEEvT_T0_DpT1_,"axG",@progbits,_ZN2at6native12_GLOBAL__N_125multi_tensor_apply_kernelINS1_18TensorListMetadataILi1EEENS1_14UnaryOpFunctorIdLi1ELi1ELi0EEEJNS0_4AcosIdEEEEEvT_T0_DpT1_,comdat
.Lfunc_end47:
	.size	_ZN2at6native12_GLOBAL__N_125multi_tensor_apply_kernelINS1_18TensorListMetadataILi1EEENS1_14UnaryOpFunctorIdLi1ELi1ELi0EEEJNS0_4AcosIdEEEEEvT_T0_DpT1_, .Lfunc_end47-_ZN2at6native12_GLOBAL__N_125multi_tensor_apply_kernelINS1_18TensorListMetadataILi1EEENS1_14UnaryOpFunctorIdLi1ELi1ELi0EEEJNS0_4AcosIdEEEEEvT_T0_DpT1_
                                        ; -- End function
	.section	.AMDGPU.csdata,"",@progbits
; Kernel info:
; codeLenInByte = 5504
; NumSgprs: 40
; NumVgprs: 62
; NumAgprs: 0
; TotalNumVgprs: 62
; ScratchSize: 0
; MemoryBound: 0
; FloatMode: 240
; IeeeMode: 1
; LDSByteSize: 0 bytes/workgroup (compile time only)
; SGPRBlocks: 4
; VGPRBlocks: 7
; NumSGPRsForWavesPerEU: 40
; NumVGPRsForWavesPerEU: 62
; AccumOffset: 64
; Occupancy: 8
; WaveLimiterHint : 0
; COMPUTE_PGM_RSRC2:SCRATCH_EN: 0
; COMPUTE_PGM_RSRC2:USER_SGPR: 6
; COMPUTE_PGM_RSRC2:TRAP_HANDLER: 0
; COMPUTE_PGM_RSRC2:TGID_X_EN: 1
; COMPUTE_PGM_RSRC2:TGID_Y_EN: 0
; COMPUTE_PGM_RSRC2:TGID_Z_EN: 0
; COMPUTE_PGM_RSRC2:TIDIG_COMP_CNT: 0
; COMPUTE_PGM_RSRC3_GFX90A:ACCUM_OFFSET: 15
; COMPUTE_PGM_RSRC3_GFX90A:TG_SPLIT: 0
	.section	.text._ZN2at6native12_GLOBAL__N_125multi_tensor_apply_kernelINS1_18TensorListMetadataILi1EEENS1_14UnaryOpFunctorIfLi1ELi1ELi0EEEJNS0_4AcosIfEEEEEvT_T0_DpT1_,"axG",@progbits,_ZN2at6native12_GLOBAL__N_125multi_tensor_apply_kernelINS1_18TensorListMetadataILi1EEENS1_14UnaryOpFunctorIfLi1ELi1ELi0EEEJNS0_4AcosIfEEEEEvT_T0_DpT1_,comdat
	.globl	_ZN2at6native12_GLOBAL__N_125multi_tensor_apply_kernelINS1_18TensorListMetadataILi1EEENS1_14UnaryOpFunctorIfLi1ELi1ELi0EEEJNS0_4AcosIfEEEEEvT_T0_DpT1_ ; -- Begin function _ZN2at6native12_GLOBAL__N_125multi_tensor_apply_kernelINS1_18TensorListMetadataILi1EEENS1_14UnaryOpFunctorIfLi1ELi1ELi0EEEJNS0_4AcosIfEEEEEvT_T0_DpT1_
	.p2align	8
	.type	_ZN2at6native12_GLOBAL__N_125multi_tensor_apply_kernelINS1_18TensorListMetadataILi1EEENS1_14UnaryOpFunctorIfLi1ELi1ELi0EEEJNS0_4AcosIfEEEEEvT_T0_DpT1_,@function
_ZN2at6native12_GLOBAL__N_125multi_tensor_apply_kernelINS1_18TensorListMetadataILi1EEENS1_14UnaryOpFunctorIfLi1ELi1ELi0EEEJNS0_4AcosIfEEEEEvT_T0_DpT1_: ; @_ZN2at6native12_GLOBAL__N_125multi_tensor_apply_kernelINS1_18TensorListMetadataILi1EEENS1_14UnaryOpFunctorIfLi1ELi1ELi0EEEJNS0_4AcosIfEEEEEvT_T0_DpT1_
; %bb.0:
	v_mov_b32_e32 v1, s6
	global_load_ubyte v1, v1, s[4:5] offset:1760
	s_add_u32 s0, s4, s6
	s_mul_hi_u32 s1, s6, 3
	s_mul_i32 s6, s6, 3
	s_addc_u32 s2, s5, 0
	s_add_u32 s0, s0, s6
	s_addc_u32 s1, s2, s1
	s_load_dword s0, s[0:1], 0x820
	s_mov_b32 s7, 0
	s_waitcnt vmcnt(0)
	v_readfirstlane_b32 s2, v1
	s_lshl_b32 s1, s2, 3
	s_load_dwordx2 s[2:3], s[4:5], s1 offset:0x370
	s_load_dwordx2 s[12:13], s[4:5], s1 offset:0x0
	s_waitcnt lgkmcnt(0)
	s_ashr_i32 s1, s0, 31
	s_lshl_b64 s[14:15], s[0:1], 18
	s_lshl_b64 s[0:1], s[0:1], 16
	s_and_b32 s6, s12, 15
	s_sub_u32 s10, s2, s0
	s_subb_u32 s11, s3, s1
	s_and_b32 s0, s2, 3
	s_mov_b32 s1, s7
	s_or_b64 s[0:1], s[6:7], s[0:1]
	s_cmp_eq_u64 s[0:1], 0
	s_cbranch_scc1 .LBB48_21
; %bb.1:
	v_cmp_lt_i64_e64 s[0:1], s[10:11], 1
	s_and_b64 vcc, exec, s[0:1]
	s_cbranch_vccnz .LBB48_20
; %bb.2:
	s_load_dword s0, s[4:5], 0xd3c
	v_mov_b32_e32 v2, 0x10000
	v_mov_b32_e32 v3, 0
	v_cmp_lt_u64_e32 vcc, s[10:11], v[2:3]
	v_lshlrev_b32_e32 v1, 2, v0
	s_waitcnt lgkmcnt(0)
	s_and_b32 s3, s0, 0xffff
	s_and_b64 s[0:1], vcc, exec
	s_cselect_b32 s17, s11, 0
	s_cselect_b32 s16, s10, 0x10000
	s_lshl_b32 s6, s3, 1
	s_lshl_b32 s22, s3, 2
	s_add_u32 s7, s12, s14
	s_addc_u32 s8, s13, s15
	v_mov_b32_e32 v3, s8
	v_add_co_u32_e32 v2, vcc, s7, v1
	s_mul_i32 s0, s3, 3
	v_addc_co_u32_e32 v3, vcc, 0, v3, vcc
	v_add_co_u32_e32 v1, vcc, s0, v0
	v_addc_co_u32_e64 v8, s[0:1], 0, 0, vcc
	v_add_co_u32_e32 v9, vcc, s6, v0
	v_addc_co_u32_e64 v10, s[0:1], 0, 0, vcc
	v_add_co_u32_e32 v11, vcc, s3, v0
	v_lshlrev_b32_e32 v4, 2, v11
	s_mov_b32 s2, 0
	v_addc_co_u32_e64 v12, s[0:1], 0, 0, vcc
	v_mov_b32_e32 v5, s8
	v_add_co_u32_e32 v4, vcc, s7, v4
	s_lshl_b32 s23, s3, 4
	s_mul_i32 s24, s3, 12
	s_mov_b32 s25, s2
	s_lshl_b32 s26, s3, 3
	s_mov_b32 s27, s2
	v_addc_co_u32_e32 v5, vcc, 0, v5, vcc
	s_mov_b64 s[18:19], 0
	v_mov_b32_e32 v13, 0x3d034c3c
	v_mov_b32_e32 v14, 0x3d3641b1
	;; [unrolled: 1-line block ×4, first 2 shown]
	v_pk_mov_b32 v[6:7], s[10:11], s[10:11] op_sel:[0,1]
	v_mov_b32_e32 v17, s2
	s_branch .LBB48_4
.LBB48_3:                               ;   in Loop: Header=BB48_4 Depth=1
	s_or_b64 exec, exec, s[2:3]
	s_add_u32 s18, s18, s22
	s_waitcnt vmcnt(0)
	v_mov_b32_e32 v18, 0x10000
	s_addc_u32 s19, s19, 0
	v_mov_b32_e32 v19, 0
	v_cmp_lt_i64_e32 vcc, s[18:19], v[6:7]
	v_cmp_lt_u64_e64 s[0:1], s[18:19], v[18:19]
	s_and_b64 s[0:1], vcc, s[0:1]
	v_add_co_u32_e32 v2, vcc, s23, v2
	v_addc_co_u32_e32 v3, vcc, v3, v17, vcc
	v_add_co_u32_e32 v4, vcc, s23, v4
	v_addc_co_u32_e32 v5, vcc, v5, v17, vcc
	s_and_b64 vcc, exec, s[0:1]
	s_cbranch_vccz .LBB48_20
.LBB48_4:                               ; =>This Inner Loop Header: Depth=1
	v_mov_b32_e32 v19, s19
	v_add_co_u32_e32 v18, vcc, s18, v0
	v_addc_co_u32_e32 v19, vcc, 0, v19, vcc
	v_cmp_gt_u64_e64 s[6:7], s[16:17], v[18:19]
	v_mov_b32_e32 v21, 0
	s_and_saveexec_b64 s[0:1], s[6:7]
	s_cbranch_execz .LBB48_6
; %bb.5:                                ;   in Loop: Header=BB48_4 Depth=1
	global_load_dword v21, v[2:3], off
.LBB48_6:                               ;   in Loop: Header=BB48_4 Depth=1
	s_or_b64 exec, exec, s[0:1]
	v_mov_b32_e32 v19, s19
	v_add_co_u32_e32 v18, vcc, s18, v11
	v_addc_co_u32_e32 v19, vcc, v12, v19, vcc
	v_cmp_gt_u64_e64 s[2:3], s[16:17], v[18:19]
	v_mov_b32_e32 v20, 0
	s_and_saveexec_b64 s[0:1], s[2:3]
	s_cbranch_execz .LBB48_8
; %bb.7:                                ;   in Loop: Header=BB48_4 Depth=1
	global_load_dword v20, v[4:5], off
.LBB48_8:                               ;   in Loop: Header=BB48_4 Depth=1
	s_or_b64 exec, exec, s[0:1]
	v_mov_b32_e32 v19, s19
	v_add_co_u32_e32 v18, vcc, s18, v9
	v_addc_co_u32_e32 v19, vcc, v10, v19, vcc
	v_cmp_gt_u64_e64 s[0:1], s[16:17], v[18:19]
	v_mov_b32_e32 v18, 0
	v_mov_b32_e32 v19, 0
	s_and_saveexec_b64 s[8:9], s[0:1]
	s_cbranch_execz .LBB48_10
; %bb.9:                                ;   in Loop: Header=BB48_4 Depth=1
	v_mov_b32_e32 v19, s27
	v_add_co_u32_e32 v22, vcc, s26, v2
	v_addc_co_u32_e32 v23, vcc, v3, v19, vcc
	global_load_dword v19, v[22:23], off
.LBB48_10:                              ;   in Loop: Header=BB48_4 Depth=1
	s_or_b64 exec, exec, s[8:9]
	v_mov_b32_e32 v23, s19
	v_add_co_u32_e32 v22, vcc, s18, v1
	v_addc_co_u32_e32 v23, vcc, v8, v23, vcc
	v_cmp_gt_u64_e32 vcc, s[16:17], v[22:23]
	s_and_saveexec_b64 s[20:21], vcc
	s_cbranch_execnz .LBB48_15
; %bb.11:                               ;   in Loop: Header=BB48_4 Depth=1
	s_or_b64 exec, exec, s[20:21]
	s_and_saveexec_b64 s[20:21], s[6:7]
	s_cbranch_execnz .LBB48_16
.LBB48_12:                              ;   in Loop: Header=BB48_4 Depth=1
	s_or_b64 exec, exec, s[20:21]
	s_and_saveexec_b64 s[8:9], s[2:3]
	s_cbranch_execnz .LBB48_17
.LBB48_13:                              ;   in Loop: Header=BB48_4 Depth=1
	s_or_b64 exec, exec, s[8:9]
	s_and_saveexec_b64 s[6:7], s[0:1]
	s_cbranch_execnz .LBB48_18
.LBB48_14:                              ;   in Loop: Header=BB48_4 Depth=1
	s_or_b64 exec, exec, s[6:7]
	s_and_saveexec_b64 s[2:3], vcc
	s_cbranch_execz .LBB48_3
	s_branch .LBB48_19
.LBB48_15:                              ;   in Loop: Header=BB48_4 Depth=1
	v_mov_b32_e32 v18, s25
	v_add_co_u32_e64 v22, s[8:9], s24, v2
	v_addc_co_u32_e64 v23, s[8:9], v3, v18, s[8:9]
	global_load_dword v18, v[22:23], off
	s_or_b64 exec, exec, s[20:21]
	s_and_saveexec_b64 s[20:21], s[6:7]
	s_cbranch_execz .LBB48_12
.LBB48_16:                              ;   in Loop: Header=BB48_4 Depth=1
	s_waitcnt vmcnt(0)
	v_fma_f32 v22, |v21|, -0.5, 0.5
	v_mul_f32_e32 v23, v21, v21
	v_cmp_gt_f32_e64 s[6:7], |v21|, 0.5
	v_cndmask_b32_e64 v22, v23, v22, s[6:7]
	v_mov_b32_e32 v24, 0x3c5fc5da
	v_fmac_f32_e32 v24, 0x3d1c21a7, v22
	v_fma_f32 v24, v22, v24, v13
	v_sqrt_f32_e32 v23, v22
	v_fma_f32 v24, v22, v24, v14
	v_fma_f32 v24, v22, v24, v15
	;; [unrolled: 1-line block ×3, first 2 shown]
	v_mul_f32_e32 v22, v22, v24
	v_fmac_f32_e32 v23, v23, v22
	v_add_f32_e32 v23, v23, v23
	v_sub_f32_e32 v24, 0x40490fdb, v23
	v_cmp_gt_f32_e64 s[8:9], 0, v21
	v_fmac_f32_e32 v21, v21, v22
	v_cndmask_b32_e64 v23, v23, v24, s[8:9]
	v_sub_f32_e32 v21, 0x3fc90fdb, v21
	v_cndmask_b32_e64 v21, v21, v23, s[6:7]
	global_store_dword v[2:3], v21, off
	s_or_b64 exec, exec, s[20:21]
	s_and_saveexec_b64 s[8:9], s[2:3]
	s_cbranch_execz .LBB48_13
.LBB48_17:                              ;   in Loop: Header=BB48_4 Depth=1
	s_waitcnt vmcnt(0)
	v_fma_f32 v21, |v20|, -0.5, 0.5
	v_mul_f32_e32 v22, v20, v20
	v_cmp_gt_f32_e64 s[2:3], |v20|, 0.5
	v_cndmask_b32_e64 v21, v22, v21, s[2:3]
	v_mov_b32_e32 v22, 0x3c5fc5da
	v_fmac_f32_e32 v22, 0x3d1c21a7, v21
	v_fma_f32 v22, v21, v22, v13
	v_fma_f32 v22, v21, v22, v14
	v_sqrt_f32_e32 v23, v21
	v_fma_f32 v22, v21, v22, v15
	v_fma_f32 v22, v21, v22, v16
	v_mul_f32_e32 v21, v21, v22
	v_fmac_f32_e32 v23, v23, v21
	v_add_f32_e32 v22, v23, v23
	v_sub_f32_e32 v23, 0x40490fdb, v22
	v_cmp_gt_f32_e64 s[6:7], 0, v20
	v_fmac_f32_e32 v20, v20, v21
	v_cndmask_b32_e64 v22, v22, v23, s[6:7]
	v_sub_f32_e32 v20, 0x3fc90fdb, v20
	v_cndmask_b32_e64 v20, v20, v22, s[2:3]
	global_store_dword v[4:5], v20, off
	s_or_b64 exec, exec, s[8:9]
	s_and_saveexec_b64 s[6:7], s[0:1]
	s_cbranch_execz .LBB48_14
.LBB48_18:                              ;   in Loop: Header=BB48_4 Depth=1
	s_waitcnt vmcnt(0)
	v_fma_f32 v20, |v19|, -0.5, 0.5
	v_mul_f32_e32 v21, v19, v19
	v_cmp_gt_f32_e64 s[0:1], |v19|, 0.5
	v_cndmask_b32_e64 v20, v21, v20, s[0:1]
	v_mov_b32_e32 v21, 0x3c5fc5da
	v_fmac_f32_e32 v21, 0x3d1c21a7, v20
	v_fma_f32 v21, v20, v21, v13
	v_fma_f32 v21, v20, v21, v14
	v_sqrt_f32_e32 v22, v20
	v_fma_f32 v21, v20, v21, v15
	v_fma_f32 v21, v20, v21, v16
	v_mul_f32_e32 v20, v20, v21
	v_fmac_f32_e32 v22, v22, v20
	v_add_f32_e32 v21, v22, v22
	v_sub_f32_e32 v22, 0x40490fdb, v21
	v_cmp_gt_f32_e64 s[2:3], 0, v19
	v_fmac_f32_e32 v19, v19, v20
	v_cndmask_b32_e64 v21, v21, v22, s[2:3]
	v_sub_f32_e32 v19, 0x3fc90fdb, v19
	v_cndmask_b32_e64 v19, v19, v21, s[0:1]
	v_mov_b32_e32 v21, s27
	v_add_co_u32_e64 v20, s[0:1], s26, v2
	v_addc_co_u32_e64 v21, s[0:1], v3, v21, s[0:1]
	global_store_dword v[20:21], v19, off
	s_or_b64 exec, exec, s[6:7]
	s_and_saveexec_b64 s[2:3], vcc
	s_cbranch_execz .LBB48_3
.LBB48_19:                              ;   in Loop: Header=BB48_4 Depth=1
	s_waitcnt vmcnt(0)
	v_fma_f32 v19, |v18|, -0.5, 0.5
	v_mul_f32_e32 v20, v18, v18
	v_cmp_gt_f32_e64 vcc, |v18|, 0.5
	v_cndmask_b32_e32 v19, v20, v19, vcc
	v_mov_b32_e32 v20, 0x3c5fc5da
	v_fmac_f32_e32 v20, 0x3d1c21a7, v19
	v_fma_f32 v20, v19, v20, v13
	v_fma_f32 v20, v19, v20, v14
	v_sqrt_f32_e32 v21, v19
	v_fma_f32 v20, v19, v20, v15
	v_fma_f32 v20, v19, v20, v16
	v_mul_f32_e32 v19, v19, v20
	v_fmac_f32_e32 v21, v21, v19
	v_add_f32_e32 v20, v21, v21
	v_sub_f32_e32 v21, 0x40490fdb, v20
	v_cmp_gt_f32_e64 s[0:1], 0, v18
	v_fmac_f32_e32 v18, v18, v19
	v_cndmask_b32_e64 v20, v20, v21, s[0:1]
	v_sub_f32_e32 v18, 0x3fc90fdb, v18
	v_cndmask_b32_e32 v20, v18, v20, vcc
	v_mov_b32_e32 v19, s25
	v_add_co_u32_e32 v18, vcc, s24, v2
	v_addc_co_u32_e32 v19, vcc, v3, v19, vcc
	global_store_dword v[18:19], v20, off
	s_branch .LBB48_3
.LBB48_20:
	s_cbranch_execz .LBB48_22
	s_branch .LBB48_25
.LBB48_21:
.LBB48_22:
	v_mov_b32_e32 v3, 0
	v_lshlrev_b32_e32 v2, 2, v0
	s_mov_b32 s0, 0
	v_cmp_gt_i64_e32 vcc, s[10:11], v[2:3]
	s_and_saveexec_b64 s[2:3], vcc
	s_cbranch_execz .LBB48_25
; %bb.23:
	s_load_dword s1, s[4:5], 0xd3c
	v_lshlrev_b32_e32 v1, 4, v0
	s_mov_b64 s[8:9], 0
	s_mov_b32 s16, 0x3d3641b1
	s_mov_b32 s18, 0x3d999bc8
	s_waitcnt lgkmcnt(0)
	s_and_b32 s1, s1, 0xffff
	s_add_u32 s2, s12, s14
	s_addc_u32 s3, s13, s15
	v_mov_b32_e32 v2, s3
	v_add_co_u32_e32 v1, vcc, s2, v1
	v_addc_co_u32_e32 v2, vcc, 0, v2, vcc
	v_add_co_u32_e32 v4, vcc, 8, v1
	s_mov_b32 s2, 0x3c5fc5da
	v_addc_co_u32_e32 v5, vcc, 0, v2, vcc
	s_lshl_b32 s13, s1, 4
	v_add_lshl_u32 v2, v0, s1, 2
	s_lshl_b32 s15, s1, 2
	s_mov_b32 s12, 0x3d1c21a7
	v_pk_mov_b32 v[0:1], s[2:3], s[2:3] op_sel:[0,1]
	s_mov_b32 s14, 0x3d034c3c
	s_mov_b32 s20, 0x3e2aaaac
	;; [unrolled: 1-line block ×4, first 2 shown]
	s_mov_b64 s[26:27], 0xffff
	v_mov_b32_e32 v6, s0
	v_mov_b32_e32 v7, s0
.LBB48_24:                              ; =>This Inner Loop Header: Depth=1
	global_load_dwordx4 v[8:11], v[4:5], off offset:-8
	v_cmp_le_i64_e32 vcc, s[10:11], v[2:3]
	v_cmp_lt_u64_e64 s[0:1], s[26:27], v[2:3]
	s_or_b64 s[0:1], vcc, s[0:1]
	s_and_b64 s[0:1], exec, s[0:1]
	s_or_b64 s[8:9], s[0:1], s[8:9]
	s_waitcnt vmcnt(0)
	v_and_b32_e32 v13, 0x7fffffff, v9
	v_and_b32_e32 v12, 0x7fffffff, v8
	v_pk_mul_f32 v[14:15], v[8:9], v[8:9]
	v_and_b32_e32 v17, 0x7fffffff, v11
	v_and_b32_e32 v16, 0x7fffffff, v10
	v_pk_fma_f32 v[12:13], -0.5, v[12:13], 0.5 op_sel_hi:[0,1,0]
	v_cmp_gt_f32_e64 vcc, |v9|, 0.5
	v_cmp_gt_f32_e64 s[0:1], |v8|, 0.5
	v_pk_mul_f32 v[18:19], v[10:11], v[10:11]
	v_pk_fma_f32 v[16:17], -0.5, v[16:17], 0.5 op_sel_hi:[0,1,0]
	v_cndmask_b32_e32 v13, v15, v13, vcc
	v_cndmask_b32_e64 v12, v14, v12, s[0:1]
	v_cmp_gt_f32_e64 s[2:3], |v11|, 0.5
	v_cmp_gt_f32_e64 s[4:5], |v10|, 0.5
	v_cndmask_b32_e64 v15, v19, v17, s[2:3]
	v_cndmask_b32_e64 v14, v18, v16, s[4:5]
	v_pk_fma_f32 v[18:19], v[12:13], s[12:13], v[0:1] op_sel_hi:[1,0,0]
	v_pk_fma_f32 v[18:19], v[12:13], v[18:19], s[14:15] op_sel_hi:[1,1,0]
	v_sqrt_f32_e32 v16, v12
	v_sqrt_f32_e32 v17, v13
	v_pk_fma_f32 v[22:23], v[14:15], s[12:13], v[0:1] op_sel_hi:[1,0,0]
	v_pk_fma_f32 v[18:19], v[12:13], v[18:19], s[16:17] op_sel_hi:[1,1,0]
	;; [unrolled: 1-line block ×4, first 2 shown]
	v_sqrt_f32_e32 v20, v14
	v_sqrt_f32_e32 v21, v15
	v_pk_fma_f32 v[22:23], v[14:15], v[22:23], s[16:17] op_sel_hi:[1,1,0]
	v_pk_fma_f32 v[18:19], v[12:13], v[18:19], s[20:21] op_sel_hi:[1,1,0]
	;; [unrolled: 1-line block ×3, first 2 shown]
	v_pk_mul_f32 v[12:13], v[12:13], v[18:19]
	v_pk_fma_f32 v[22:23], v[14:15], v[22:23], s[20:21] op_sel_hi:[1,1,0]
	v_pk_fma_f32 v[16:17], v[16:17], v[12:13], v[16:17]
	v_pk_mul_f32 v[14:15], v[14:15], v[22:23]
	v_pk_add_f32 v[16:17], v[16:17], v[16:17]
	v_pk_fma_f32 v[18:19], v[20:21], v[14:15], v[20:21]
	v_pk_add_f32 v[20:21], v[16:17], s[22:23] op_sel_hi:[1,0] neg_lo:[1,0] neg_hi:[1,0]
	v_cmp_gt_f32_e64 s[6:7], 0, v8
	v_pk_fma_f32 v[12:13], v[8:9], v[12:13], v[8:9]
	v_pk_add_f32 v[18:19], v[18:19], v[18:19]
	v_cndmask_b32_e64 v8, v16, v20, s[6:7]
	v_cmp_gt_f32_e64 s[6:7], 0, v9
	v_pk_add_f32 v[22:23], v[18:19], s[22:23] op_sel_hi:[1,0] neg_lo:[1,0] neg_hi:[1,0]
	v_cndmask_b32_e64 v9, v17, v21, s[6:7]
	v_cmp_gt_f32_e64 s[6:7], 0, v10
	v_pk_fma_f32 v[14:15], v[10:11], v[14:15], v[10:11]
	v_cndmask_b32_e64 v10, v18, v22, s[6:7]
	v_cmp_gt_f32_e64 s[6:7], 0, v11
	v_pk_add_f32 v[12:13], v[12:13], s[24:25] op_sel_hi:[1,0] neg_lo:[1,0] neg_hi:[1,0]
	v_pk_add_f32 v[14:15], v[14:15], s[24:25] op_sel_hi:[1,0] neg_lo:[1,0] neg_hi:[1,0]
	v_cndmask_b32_e64 v11, v19, v23, s[6:7]
	v_cndmask_b32_e32 v9, v13, v9, vcc
	v_cndmask_b32_e64 v8, v12, v8, s[0:1]
	v_cndmask_b32_e64 v11, v15, v11, s[2:3]
	;; [unrolled: 1-line block ×3, first 2 shown]
	global_store_dwordx4 v[4:5], v[8:11], off offset:-8
	v_add_co_u32_e32 v4, vcc, s13, v4
	v_addc_co_u32_e32 v5, vcc, v5, v6, vcc
	v_add_co_u32_e32 v2, vcc, s15, v2
	v_addc_co_u32_e32 v3, vcc, v3, v7, vcc
	s_andn2_b64 exec, exec, s[8:9]
	s_cbranch_execnz .LBB48_24
.LBB48_25:
	s_endpgm
	.section	.rodata,"a",@progbits
	.p2align	6, 0x0
	.amdhsa_kernel _ZN2at6native12_GLOBAL__N_125multi_tensor_apply_kernelINS1_18TensorListMetadataILi1EEENS1_14UnaryOpFunctorIfLi1ELi1ELi0EEEJNS0_4AcosIfEEEEEvT_T0_DpT1_
		.amdhsa_group_segment_fixed_size 0
		.amdhsa_private_segment_fixed_size 0
		.amdhsa_kernarg_size 3632
		.amdhsa_user_sgpr_count 6
		.amdhsa_user_sgpr_private_segment_buffer 1
		.amdhsa_user_sgpr_dispatch_ptr 0
		.amdhsa_user_sgpr_queue_ptr 0
		.amdhsa_user_sgpr_kernarg_segment_ptr 1
		.amdhsa_user_sgpr_dispatch_id 0
		.amdhsa_user_sgpr_flat_scratch_init 0
		.amdhsa_user_sgpr_kernarg_preload_length 0
		.amdhsa_user_sgpr_kernarg_preload_offset 0
		.amdhsa_user_sgpr_private_segment_size 0
		.amdhsa_uses_dynamic_stack 0
		.amdhsa_system_sgpr_private_segment_wavefront_offset 0
		.amdhsa_system_sgpr_workgroup_id_x 1
		.amdhsa_system_sgpr_workgroup_id_y 0
		.amdhsa_system_sgpr_workgroup_id_z 0
		.amdhsa_system_sgpr_workgroup_info 0
		.amdhsa_system_vgpr_workitem_id 0
		.amdhsa_next_free_vgpr 25
		.amdhsa_next_free_sgpr 28
		.amdhsa_accum_offset 28
		.amdhsa_reserve_vcc 1
		.amdhsa_reserve_flat_scratch 0
		.amdhsa_float_round_mode_32 0
		.amdhsa_float_round_mode_16_64 0
		.amdhsa_float_denorm_mode_32 3
		.amdhsa_float_denorm_mode_16_64 3
		.amdhsa_dx10_clamp 1
		.amdhsa_ieee_mode 1
		.amdhsa_fp16_overflow 0
		.amdhsa_tg_split 0
		.amdhsa_exception_fp_ieee_invalid_op 0
		.amdhsa_exception_fp_denorm_src 0
		.amdhsa_exception_fp_ieee_div_zero 0
		.amdhsa_exception_fp_ieee_overflow 0
		.amdhsa_exception_fp_ieee_underflow 0
		.amdhsa_exception_fp_ieee_inexact 0
		.amdhsa_exception_int_div_zero 0
	.end_amdhsa_kernel
	.section	.text._ZN2at6native12_GLOBAL__N_125multi_tensor_apply_kernelINS1_18TensorListMetadataILi1EEENS1_14UnaryOpFunctorIfLi1ELi1ELi0EEEJNS0_4AcosIfEEEEEvT_T0_DpT1_,"axG",@progbits,_ZN2at6native12_GLOBAL__N_125multi_tensor_apply_kernelINS1_18TensorListMetadataILi1EEENS1_14UnaryOpFunctorIfLi1ELi1ELi0EEEJNS0_4AcosIfEEEEEvT_T0_DpT1_,comdat
.Lfunc_end48:
	.size	_ZN2at6native12_GLOBAL__N_125multi_tensor_apply_kernelINS1_18TensorListMetadataILi1EEENS1_14UnaryOpFunctorIfLi1ELi1ELi0EEEJNS0_4AcosIfEEEEEvT_T0_DpT1_, .Lfunc_end48-_ZN2at6native12_GLOBAL__N_125multi_tensor_apply_kernelINS1_18TensorListMetadataILi1EEENS1_14UnaryOpFunctorIfLi1ELi1ELi0EEEJNS0_4AcosIfEEEEEvT_T0_DpT1_
                                        ; -- End function
	.section	.AMDGPU.csdata,"",@progbits
; Kernel info:
; codeLenInByte = 2016
; NumSgprs: 32
; NumVgprs: 25
; NumAgprs: 0
; TotalNumVgprs: 25
; ScratchSize: 0
; MemoryBound: 0
; FloatMode: 240
; IeeeMode: 1
; LDSByteSize: 0 bytes/workgroup (compile time only)
; SGPRBlocks: 3
; VGPRBlocks: 3
; NumSGPRsForWavesPerEU: 32
; NumVGPRsForWavesPerEU: 25
; AccumOffset: 28
; Occupancy: 8
; WaveLimiterHint : 0
; COMPUTE_PGM_RSRC2:SCRATCH_EN: 0
; COMPUTE_PGM_RSRC2:USER_SGPR: 6
; COMPUTE_PGM_RSRC2:TRAP_HANDLER: 0
; COMPUTE_PGM_RSRC2:TGID_X_EN: 1
; COMPUTE_PGM_RSRC2:TGID_Y_EN: 0
; COMPUTE_PGM_RSRC2:TGID_Z_EN: 0
; COMPUTE_PGM_RSRC2:TIDIG_COMP_CNT: 0
; COMPUTE_PGM_RSRC3_GFX90A:ACCUM_OFFSET: 6
; COMPUTE_PGM_RSRC3_GFX90A:TG_SPLIT: 0
	.section	.text._ZN2at6native12_GLOBAL__N_125multi_tensor_apply_kernelINS1_18TensorListMetadataILi1EEENS1_14UnaryOpFunctorIN3c107complexIdEELi1ELi1ELi0EEEJNS0_4AcosIS8_EEEEEvT_T0_DpT1_,"axG",@progbits,_ZN2at6native12_GLOBAL__N_125multi_tensor_apply_kernelINS1_18TensorListMetadataILi1EEENS1_14UnaryOpFunctorIN3c107complexIdEELi1ELi1ELi0EEEJNS0_4AcosIS8_EEEEEvT_T0_DpT1_,comdat
	.globl	_ZN2at6native12_GLOBAL__N_125multi_tensor_apply_kernelINS1_18TensorListMetadataILi1EEENS1_14UnaryOpFunctorIN3c107complexIdEELi1ELi1ELi0EEEJNS0_4AcosIS8_EEEEEvT_T0_DpT1_ ; -- Begin function _ZN2at6native12_GLOBAL__N_125multi_tensor_apply_kernelINS1_18TensorListMetadataILi1EEENS1_14UnaryOpFunctorIN3c107complexIdEELi1ELi1ELi0EEEJNS0_4AcosIS8_EEEEEvT_T0_DpT1_
	.p2align	8
	.type	_ZN2at6native12_GLOBAL__N_125multi_tensor_apply_kernelINS1_18TensorListMetadataILi1EEENS1_14UnaryOpFunctorIN3c107complexIdEELi1ELi1ELi0EEEJNS0_4AcosIS8_EEEEEvT_T0_DpT1_,@function
_ZN2at6native12_GLOBAL__N_125multi_tensor_apply_kernelINS1_18TensorListMetadataILi1EEENS1_14UnaryOpFunctorIN3c107complexIdEELi1ELi1ELi0EEEJNS0_4AcosIS8_EEEEEvT_T0_DpT1_: ; @_ZN2at6native12_GLOBAL__N_125multi_tensor_apply_kernelINS1_18TensorListMetadataILi1EEENS1_14UnaryOpFunctorIN3c107complexIdEELi1ELi1ELi0EEEJNS0_4AcosIS8_EEEEEvT_T0_DpT1_
; %bb.0:
	v_mov_b32_e32 v60, v0
	v_mov_b32_e32 v0, s8
	global_load_ubyte v0, v0, s[4:5] offset:1760
	s_add_u32 flat_scratch_lo, s6, s9
	s_addc_u32 flat_scratch_hi, s7, 0
	s_add_u32 s0, s0, s9
	s_addc_u32 s1, s1, 0
	s_mov_b64 s[34:35], s[4:5]
	s_add_u32 s4, s34, s8
	s_mul_hi_u32 s5, s8, 3
	s_mul_i32 s8, s8, 3
	s_addc_u32 s6, s35, 0
	s_add_u32 s4, s4, s8
	s_addc_u32 s5, s6, s5
	s_load_dword s4, s[4:5], 0x820
	s_mov_b32 s11, 0
	s_mov_b32 s32, 0
	s_waitcnt vmcnt(0)
	v_readfirstlane_b32 s5, v0
	s_lshl_b32 s5, s5, 3
	s_load_dwordx2 s[6:7], s[34:35], s5 offset:0x0
	s_load_dwordx2 s[8:9], s[34:35], s5 offset:0x370
	s_waitcnt lgkmcnt(0)
	s_ashr_i32 s5, s4, 31
	s_lshl_b64 s[12:13], s[4:5], 20
	s_add_u32 s44, s6, s12
	s_addc_u32 s45, s7, s13
	s_lshl_b64 s[4:5], s[4:5], 16
	s_and_b32 s10, s44, 63
	s_sub_u32 s46, s8, s4
	s_subb_u32 s47, s9, s5
	s_and_b32 s4, s8, 3
	s_mov_b32 s5, s11
	s_or_b64 s[4:5], s[10:11], s[4:5]
	s_cmp_eq_u64 s[4:5], 0
	s_cbranch_scc1 .LBB49_21
; %bb.1:
	v_cmp_lt_i64_e64 s[4:5], s[46:47], 1
	s_and_b64 vcc, exec, s[4:5]
	s_cbranch_vccnz .LBB49_20
; %bb.2:
	s_load_dword s4, s[34:35], 0xd3c
	v_mov_b32_e32 v0, 0x10000
	v_mov_b32_e32 v1, 0
	v_cmp_lt_u64_e32 vcc, s[46:47], v[0:1]
	v_mov_b32_e32 v63, 0
	s_waitcnt lgkmcnt(0)
	s_and_b32 s6, s4, 0xffff
	s_and_b64 s[4:5], vcc, exec
	s_mul_i32 s8, s6, 3
	v_lshlrev_b32_e32 v62, 4, v60
	v_add_co_u32_e32 v67, vcc, s6, v60
	v_addc_co_u32_e64 v69, s[4:5], 0, 0, vcc
	v_mad_u64_u32 v[64:65], s[4:5], s6, 48, v[62:63]
	v_add_co_u32_e32 v63, vcc, s8, v60
	v_addc_co_u32_e64 v70, s[4:5], 0, 0, vcc
	s_cselect_b32 s49, s47, 0
	s_cselect_b32 s48, s46, 0x10000
	s_lshl_b32 s4, s6, 5
	s_lshl_b32 s7, s6, 1
	v_add_co_u32_e32 v0, vcc, s4, v62
	v_addc_co_u32_e64 v61, s[4:5], 0, 0, vcc
	v_add_co_u32_e32 v71, vcc, s7, v60
	s_lshl_b32 s33, s6, 2
	s_lshl_b32 s54, s6, 6
	v_or_b32_e32 v64, 8, v64
	v_lshlrev_b32_e32 v66, 4, v67
	v_or_b32_e32 v68, 8, v0
	v_addc_co_u32_e64 v72, s[4:5], 0, 0, vcc
	s_mov_b64 s[50:51], 0
	s_mov_b64 s[52:53], s[44:45]
	s_branch .LBB49_4
.LBB49_3:                               ;   in Loop: Header=BB49_4 Depth=1
	s_or_b64 exec, exec, s[4:5]
	s_add_u32 s50, s50, s33
	s_addc_u32 s51, s51, 0
	v_pk_mov_b32 v[0:1], s[46:47], s[46:47] op_sel:[0,1]
	v_cmp_lt_i64_e32 vcc, s[50:51], v[0:1]
	v_mov_b32_e32 v0, 0x10000
	v_mov_b32_e32 v1, 0
	v_cmp_lt_u64_e64 s[4:5], s[50:51], v[0:1]
	s_and_b64 s[4:5], vcc, s[4:5]
	s_add_u32 s52, s52, s54
	s_addc_u32 s53, s53, 0
	s_and_b64 vcc, exec, s[4:5]
	s_cbranch_vccz .LBB49_20
.LBB49_4:                               ; =>This Inner Loop Header: Depth=1
	v_mov_b32_e32 v1, s51
	v_add_co_u32_e32 v0, vcc, s50, v60
	v_addc_co_u32_e32 v1, vcc, 0, v1, vcc
	v_pk_mov_b32 v[42:43], 0, 0
	v_cmp_gt_u64_e64 s[36:37], s[48:49], v[0:1]
	v_pk_mov_b32 v[2:3], v[42:43], v[42:43] op_sel:[0,1]
	v_pk_mov_b32 v[0:1], v[42:43], v[42:43] op_sel:[0,1]
	s_and_saveexec_b64 s[4:5], s[36:37]
	s_cbranch_execz .LBB49_6
; %bb.5:                                ;   in Loop: Header=BB49_4 Depth=1
	v_mov_b32_e32 v1, s53
	v_add_co_u32_e32 v0, vcc, s52, v62
	v_addc_co_u32_e32 v1, vcc, 0, v1, vcc
	global_load_dwordx4 v[0:3], v[0:1], off
.LBB49_6:                               ;   in Loop: Header=BB49_4 Depth=1
	s_or_b64 exec, exec, s[4:5]
	v_mov_b32_e32 v5, s51
	v_add_co_u32_e32 v4, vcc, s50, v67
	v_addc_co_u32_e32 v5, vcc, v69, v5, vcc
	v_cmp_gt_u64_e64 s[38:39], s[48:49], v[4:5]
	v_pk_mov_b32 v[40:41], v[42:43], v[42:43] op_sel:[0,1]
	s_and_saveexec_b64 s[4:5], s[38:39]
	s_cbranch_execz .LBB49_8
; %bb.7:                                ;   in Loop: Header=BB49_4 Depth=1
	v_mov_b32_e32 v5, s53
	v_add_co_u32_e32 v4, vcc, s52, v66
	v_addc_co_u32_e32 v5, vcc, 0, v5, vcc
	global_load_dwordx4 v[40:43], v[4:5], off
.LBB49_8:                               ;   in Loop: Header=BB49_4 Depth=1
	s_or_b64 exec, exec, s[4:5]
	v_mov_b32_e32 v5, s51
	v_add_co_u32_e32 v4, vcc, s50, v71
	v_addc_co_u32_e32 v5, vcc, v72, v5, vcc
	v_pk_mov_b32 v[46:47], 0, 0
	v_cmp_gt_u64_e64 s[40:41], s[48:49], v[4:5]
	v_pk_mov_b32 v[50:51], v[46:47], v[46:47] op_sel:[0,1]
	v_pk_mov_b32 v[48:49], v[46:47], v[46:47] op_sel:[0,1]
	s_and_saveexec_b64 s[4:5], s[40:41]
	s_cbranch_execz .LBB49_10
; %bb.9:                                ;   in Loop: Header=BB49_4 Depth=1
	v_mov_b32_e32 v5, s53
	v_add_co_u32_e32 v4, vcc, s52, v68
	v_addc_co_u32_e32 v5, vcc, v5, v61, vcc
	global_load_dwordx4 v[48:51], v[4:5], off offset:-8
.LBB49_10:                              ;   in Loop: Header=BB49_4 Depth=1
	s_or_b64 exec, exec, s[4:5]
	v_mov_b32_e32 v5, s51
	v_add_co_u32_e32 v4, vcc, s50, v63
	v_addc_co_u32_e32 v5, vcc, v70, v5, vcc
	v_cmp_gt_u64_e64 s[42:43], s[48:49], v[4:5]
	v_pk_mov_b32 v[44:45], v[46:47], v[46:47] op_sel:[0,1]
	s_and_saveexec_b64 s[4:5], s[42:43]
	s_cbranch_execz .LBB49_12
; %bb.11:                               ;   in Loop: Header=BB49_4 Depth=1
	v_mov_b32_e32 v5, s53
	v_add_co_u32_e32 v4, vcc, s52, v64
	v_addc_co_u32_e32 v5, vcc, v5, v65, vcc
	global_load_dwordx4 v[44:47], v[4:5], off offset:-8
.LBB49_12:                              ;   in Loop: Header=BB49_4 Depth=1
	s_or_b64 exec, exec, s[4:5]
	s_getpc_b64 s[56:57]
	s_add_u32 s56, s56, _ZNK2at6native4AcosIN3c107complexIdEEEclES4_@rel32@lo+4
	s_addc_u32 s57, s57, _ZNK2at6native4AcosIN3c107complexIdEEEclES4_@rel32@hi+12
	s_swappc_b64 s[30:31], s[56:57]
	v_mov_b32_e32 v56, v0
	v_mov_b32_e32 v57, v1
	v_mov_b32_e32 v58, v2
	v_mov_b32_e32 v59, v3
	v_mov_b32_e32 v0, v40
	v_mov_b32_e32 v1, v41
	v_mov_b32_e32 v2, v42
	v_mov_b32_e32 v3, v43
	s_swappc_b64 s[30:31], s[56:57]
	v_mov_b32_e32 v52, v0
	v_mov_b32_e32 v53, v1
	v_mov_b32_e32 v54, v2
	v_mov_b32_e32 v55, v3
	v_mov_b32_e32 v0, v48
	v_mov_b32_e32 v1, v49
	v_mov_b32_e32 v2, v50
	v_mov_b32_e32 v3, v51
	;; [unrolled: 9-line block ×3, first 2 shown]
	s_swappc_b64 s[30:31], s[56:57]
	s_and_saveexec_b64 s[4:5], s[36:37]
	s_cbranch_execnz .LBB49_16
; %bb.13:                               ;   in Loop: Header=BB49_4 Depth=1
	s_or_b64 exec, exec, s[4:5]
	s_and_saveexec_b64 s[4:5], s[38:39]
	s_cbranch_execnz .LBB49_17
.LBB49_14:                              ;   in Loop: Header=BB49_4 Depth=1
	s_or_b64 exec, exec, s[4:5]
	s_and_saveexec_b64 s[4:5], s[40:41]
	s_cbranch_execnz .LBB49_18
.LBB49_15:                              ;   in Loop: Header=BB49_4 Depth=1
	s_or_b64 exec, exec, s[4:5]
	s_and_saveexec_b64 s[4:5], s[42:43]
	s_cbranch_execz .LBB49_3
	s_branch .LBB49_19
.LBB49_16:                              ;   in Loop: Header=BB49_4 Depth=1
	v_mov_b32_e32 v5, s53
	v_add_co_u32_e32 v4, vcc, s52, v62
	v_addc_co_u32_e32 v5, vcc, 0, v5, vcc
	global_store_dwordx4 v[4:5], v[56:59], off
	s_or_b64 exec, exec, s[4:5]
	s_and_saveexec_b64 s[4:5], s[38:39]
	s_cbranch_execz .LBB49_14
.LBB49_17:                              ;   in Loop: Header=BB49_4 Depth=1
	v_mov_b32_e32 v5, s53
	v_add_co_u32_e32 v4, vcc, s52, v66
	v_addc_co_u32_e32 v5, vcc, 0, v5, vcc
	global_store_dwordx4 v[4:5], v[52:55], off
	s_or_b64 exec, exec, s[4:5]
	s_and_saveexec_b64 s[4:5], s[40:41]
	s_cbranch_execz .LBB49_15
.LBB49_18:                              ;   in Loop: Header=BB49_4 Depth=1
	v_mov_b32_e32 v5, s53
	v_add_co_u32_e32 v4, vcc, s52, v68
	v_addc_co_u32_e32 v5, vcc, v5, v61, vcc
	global_store_dwordx4 v[4:5], v[40:43], off offset:-8
	s_or_b64 exec, exec, s[4:5]
	s_and_saveexec_b64 s[4:5], s[42:43]
	s_cbranch_execz .LBB49_3
.LBB49_19:                              ;   in Loop: Header=BB49_4 Depth=1
	v_mov_b32_e32 v5, s53
	v_add_co_u32_e32 v4, vcc, s52, v64
	v_addc_co_u32_e32 v5, vcc, v5, v65, vcc
	global_store_dwordx4 v[4:5], v[0:3], off offset:-8
	s_branch .LBB49_3
.LBB49_20:
	s_cbranch_execz .LBB49_22
	s_branch .LBB49_25
.LBB49_21:
.LBB49_22:
	v_mov_b32_e32 v1, 0
	v_lshlrev_b32_e32 v0, 2, v60
	v_cmp_gt_i64_e32 vcc, s[46:47], v[0:1]
	s_and_saveexec_b64 s[4:5], vcc
	s_cbranch_execz .LBB49_25
; %bb.23:
	s_add_u32 s34, s34, 0xd30
	v_mov_b32_e32 v61, v1
	s_addc_u32 s35, s35, 0
	s_mov_b64 s[36:37], 0
	v_mov_b32_e32 v56, s45
	s_mov_b64 s[38:39], 0xffff
.LBB49_24:                              ; =>This Inner Loop Header: Depth=1
	v_lshlrev_b64 v[0:1], 6, v[60:61]
	v_add_co_u32_e32 v58, vcc, s44, v0
	v_addc_co_u32_e32 v59, vcc, v56, v1, vcc
	global_load_dwordx4 v[0:3], v[58:59], off
	global_load_dwordx4 v[40:43], v[58:59], off offset:16
	global_load_dwordx4 v[44:47], v[58:59], off offset:48
	;; [unrolled: 1-line block ×3, first 2 shown]
	s_getpc_b64 s[40:41]
	s_add_u32 s40, s40, _ZNK2at6native4AcosIN3c107complexIdEEEclES4_@rel32@lo+4
	s_addc_u32 s41, s41, _ZNK2at6native4AcosIN3c107complexIdEEEclES4_@rel32@hi+12
	s_swappc_b64 s[30:31], s[40:41]
	v_mov_b32_e32 v52, v0
	v_mov_b32_e32 v53, v1
	v_mov_b32_e32 v54, v2
	v_mov_b32_e32 v55, v3
	v_mov_b32_e32 v0, v40
	v_mov_b32_e32 v1, v41
	v_mov_b32_e32 v2, v42
	v_mov_b32_e32 v3, v43
	s_swappc_b64 s[30:31], s[40:41]
	v_mov_b32_e32 v40, v0
	v_mov_b32_e32 v41, v1
	v_mov_b32_e32 v42, v2
	v_mov_b32_e32 v43, v3
	v_mov_b32_e32 v0, v48
	v_mov_b32_e32 v1, v49
	v_mov_b32_e32 v2, v50
	v_mov_b32_e32 v3, v51
	;; [unrolled: 9-line block ×3, first 2 shown]
	s_swappc_b64 s[30:31], s[40:41]
	global_store_dwordx4 v[58:59], v[52:55], off
	global_store_dwordx4 v[58:59], v[40:43], off offset:16
	global_store_dwordx4 v[58:59], v[48:51], off offset:32
	;; [unrolled: 1-line block ×3, first 2 shown]
	s_load_dword s4, s[34:35], 0xc
	s_waitcnt lgkmcnt(0)
	s_and_b32 s4, s4, 0xffff
	v_add_co_u32_e32 v60, vcc, s4, v60
	v_addc_co_u32_e32 v61, vcc, 0, v61, vcc
	v_lshlrev_b64 v[0:1], 2, v[60:61]
	v_cmp_le_i64_e32 vcc, s[46:47], v[0:1]
	v_cmp_lt_u64_e64 s[4:5], s[38:39], v[0:1]
	s_or_b64 s[4:5], vcc, s[4:5]
	s_and_b64 s[4:5], exec, s[4:5]
	s_or_b64 s[36:37], s[4:5], s[36:37]
	s_andn2_b64 exec, exec, s[36:37]
	s_cbranch_execnz .LBB49_24
.LBB49_25:
	s_endpgm
	.section	.rodata,"a",@progbits
	.p2align	6, 0x0
	.amdhsa_kernel _ZN2at6native12_GLOBAL__N_125multi_tensor_apply_kernelINS1_18TensorListMetadataILi1EEENS1_14UnaryOpFunctorIN3c107complexIdEELi1ELi1ELi0EEEJNS0_4AcosIS8_EEEEEvT_T0_DpT1_
		.amdhsa_group_segment_fixed_size 0
		.amdhsa_private_segment_fixed_size 24
		.amdhsa_kernarg_size 3632
		.amdhsa_user_sgpr_count 8
		.amdhsa_user_sgpr_private_segment_buffer 1
		.amdhsa_user_sgpr_dispatch_ptr 0
		.amdhsa_user_sgpr_queue_ptr 0
		.amdhsa_user_sgpr_kernarg_segment_ptr 1
		.amdhsa_user_sgpr_dispatch_id 0
		.amdhsa_user_sgpr_flat_scratch_init 1
		.amdhsa_user_sgpr_kernarg_preload_length 0
		.amdhsa_user_sgpr_kernarg_preload_offset 0
		.amdhsa_user_sgpr_private_segment_size 0
		.amdhsa_uses_dynamic_stack 0
		.amdhsa_system_sgpr_private_segment_wavefront_offset 1
		.amdhsa_system_sgpr_workgroup_id_x 1
		.amdhsa_system_sgpr_workgroup_id_y 0
		.amdhsa_system_sgpr_workgroup_id_z 0
		.amdhsa_system_sgpr_workgroup_info 0
		.amdhsa_system_vgpr_workitem_id 0
		.amdhsa_next_free_vgpr 73
		.amdhsa_next_free_sgpr 58
		.amdhsa_accum_offset 76
		.amdhsa_reserve_vcc 1
		.amdhsa_reserve_flat_scratch 1
		.amdhsa_float_round_mode_32 0
		.amdhsa_float_round_mode_16_64 0
		.amdhsa_float_denorm_mode_32 3
		.amdhsa_float_denorm_mode_16_64 3
		.amdhsa_dx10_clamp 1
		.amdhsa_ieee_mode 1
		.amdhsa_fp16_overflow 0
		.amdhsa_tg_split 0
		.amdhsa_exception_fp_ieee_invalid_op 0
		.amdhsa_exception_fp_denorm_src 0
		.amdhsa_exception_fp_ieee_div_zero 0
		.amdhsa_exception_fp_ieee_overflow 0
		.amdhsa_exception_fp_ieee_underflow 0
		.amdhsa_exception_fp_ieee_inexact 0
		.amdhsa_exception_int_div_zero 0
	.end_amdhsa_kernel
	.section	.text._ZN2at6native12_GLOBAL__N_125multi_tensor_apply_kernelINS1_18TensorListMetadataILi1EEENS1_14UnaryOpFunctorIN3c107complexIdEELi1ELi1ELi0EEEJNS0_4AcosIS8_EEEEEvT_T0_DpT1_,"axG",@progbits,_ZN2at6native12_GLOBAL__N_125multi_tensor_apply_kernelINS1_18TensorListMetadataILi1EEENS1_14UnaryOpFunctorIN3c107complexIdEELi1ELi1ELi0EEEJNS0_4AcosIS8_EEEEEvT_T0_DpT1_,comdat
.Lfunc_end49:
	.size	_ZN2at6native12_GLOBAL__N_125multi_tensor_apply_kernelINS1_18TensorListMetadataILi1EEENS1_14UnaryOpFunctorIN3c107complexIdEELi1ELi1ELi0EEEJNS0_4AcosIS8_EEEEEvT_T0_DpT1_, .Lfunc_end49-_ZN2at6native12_GLOBAL__N_125multi_tensor_apply_kernelINS1_18TensorListMetadataILi1EEENS1_14UnaryOpFunctorIN3c107complexIdEELi1ELi1ELi0EEEJNS0_4AcosIS8_EEEEEvT_T0_DpT1_
                                        ; -- End function
	.section	.AMDGPU.csdata,"",@progbits
; Kernel info:
; codeLenInByte = 1316
; NumSgprs: 64
; NumVgprs: 73
; NumAgprs: 0
; TotalNumVgprs: 73
; ScratchSize: 24
; MemoryBound: 1
; FloatMode: 240
; IeeeMode: 1
; LDSByteSize: 0 bytes/workgroup (compile time only)
; SGPRBlocks: 7
; VGPRBlocks: 9
; NumSGPRsForWavesPerEU: 64
; NumVGPRsForWavesPerEU: 73
; AccumOffset: 76
; Occupancy: 6
; WaveLimiterHint : 0
; COMPUTE_PGM_RSRC2:SCRATCH_EN: 1
; COMPUTE_PGM_RSRC2:USER_SGPR: 8
; COMPUTE_PGM_RSRC2:TRAP_HANDLER: 0
; COMPUTE_PGM_RSRC2:TGID_X_EN: 1
; COMPUTE_PGM_RSRC2:TGID_Y_EN: 0
; COMPUTE_PGM_RSRC2:TGID_Z_EN: 0
; COMPUTE_PGM_RSRC2:TIDIG_COMP_CNT: 0
; COMPUTE_PGM_RSRC3_GFX90A:ACCUM_OFFSET: 18
; COMPUTE_PGM_RSRC3_GFX90A:TG_SPLIT: 0
	.section	.text._ZN2at6native12_GLOBAL__N_125multi_tensor_apply_kernelINS1_18TensorListMetadataILi1EEENS1_14UnaryOpFunctorIN3c107complexIfEELi1ELi1ELi0EEEJNS0_4AcosIS8_EEEEEvT_T0_DpT1_,"axG",@progbits,_ZN2at6native12_GLOBAL__N_125multi_tensor_apply_kernelINS1_18TensorListMetadataILi1EEENS1_14UnaryOpFunctorIN3c107complexIfEELi1ELi1ELi0EEEJNS0_4AcosIS8_EEEEEvT_T0_DpT1_,comdat
	.globl	_ZN2at6native12_GLOBAL__N_125multi_tensor_apply_kernelINS1_18TensorListMetadataILi1EEENS1_14UnaryOpFunctorIN3c107complexIfEELi1ELi1ELi0EEEJNS0_4AcosIS8_EEEEEvT_T0_DpT1_ ; -- Begin function _ZN2at6native12_GLOBAL__N_125multi_tensor_apply_kernelINS1_18TensorListMetadataILi1EEENS1_14UnaryOpFunctorIN3c107complexIfEELi1ELi1ELi0EEEJNS0_4AcosIS8_EEEEEvT_T0_DpT1_
	.p2align	8
	.type	_ZN2at6native12_GLOBAL__N_125multi_tensor_apply_kernelINS1_18TensorListMetadataILi1EEENS1_14UnaryOpFunctorIN3c107complexIfEELi1ELi1ELi0EEEJNS0_4AcosIS8_EEEEEvT_T0_DpT1_,@function
_ZN2at6native12_GLOBAL__N_125multi_tensor_apply_kernelINS1_18TensorListMetadataILi1EEENS1_14UnaryOpFunctorIN3c107complexIfEELi1ELi1ELi0EEEJNS0_4AcosIS8_EEEEEvT_T0_DpT1_: ; @_ZN2at6native12_GLOBAL__N_125multi_tensor_apply_kernelINS1_18TensorListMetadataILi1EEENS1_14UnaryOpFunctorIN3c107complexIfEELi1ELi1ELi0EEEJNS0_4AcosIS8_EEEEEvT_T0_DpT1_
; %bb.0:
	v_mov_b32_e32 v1, s8
	global_load_ubyte v1, v1, s[4:5] offset:1760
	s_add_u32 flat_scratch_lo, s6, s9
	s_addc_u32 flat_scratch_hi, s7, 0
	s_add_u32 s0, s0, s9
	s_addc_u32 s1, s1, 0
	s_add_u32 s6, s4, s8
	s_mul_hi_u32 s7, s8, 3
	s_mul_i32 s8, s8, 3
	s_addc_u32 s9, s5, 0
	s_add_u32 s6, s6, s8
	s_addc_u32 s7, s9, s7
	s_load_dword s6, s[6:7], 0x820
	s_mov_b32 s13, 0
	s_waitcnt vmcnt(0)
	v_readfirstlane_b32 s7, v1
	s_lshl_b32 s7, s7, 3
	s_load_dwordx2 s[8:9], s[4:5], s7 offset:0x0
	s_load_dwordx2 s[10:11], s[4:5], s7 offset:0x370
	s_waitcnt lgkmcnt(0)
	s_ashr_i32 s7, s6, 31
	s_lshl_b64 s[14:15], s[6:7], 19
	s_add_u32 s22, s8, s14
	s_addc_u32 s23, s9, s15
	s_lshl_b64 s[6:7], s[6:7], 16
	s_and_b32 s12, s22, 31
	s_sub_u32 s24, s10, s6
	s_subb_u32 s25, s11, s7
	s_and_b32 s6, s10, 3
	s_mov_b32 s7, s13
	s_or_b64 s[6:7], s[12:13], s[6:7]
	s_cmp_eq_u64 s[6:7], 0
	s_cbranch_scc1 .LBB50_413
; %bb.1:
	v_cmp_lt_i64_e64 s[6:7], s[24:25], 1
	s_and_b64 vcc, exec, s[6:7]
	s_cbranch_vccnz .LBB50_412
; %bb.2:
	s_load_dword s6, s[4:5], 0xd3c
	v_mov_b32_e32 v4, 0x10000
	v_mov_b32_e32 v5, 0
	v_cmp_lt_u64_e32 vcc, s[24:25], v[4:5]
	v_mov_b32_e32 v3, 0
	s_waitcnt lgkmcnt(0)
	s_and_b32 s8, s6, 0xffff
	s_mul_i32 s10, s8, 3
	s_and_b64 s[6:7], vcc, exec
	v_lshlrev_b32_e32 v2, 3, v0
	v_add_co_u32_e32 v1, vcc, s10, v0
	v_mad_u64_u32 v[4:5], s[6:7], s8, 24, v[2:3]
	v_addc_co_u32_e64 v3, s[6:7], 0, 0, vcc
	s_cselect_b32 s27, s25, 0
	s_cselect_b32 s26, s24, 0x10000
	s_lshl_b32 s6, s8, 4
	s_lshl_b32 s9, s8, 1
	v_add_co_u32_e32 v7, vcc, s6, v2
	v_addc_co_u32_e64 v28, s[6:7], 0, 0, vcc
	v_add_co_u32_e32 v29, vcc, s9, v0
	s_mov_b64 s[28:29], src_private_base
	v_addc_co_u32_e64 v30, s[6:7], 0, 0, vcc
	v_add_co_u32_e32 v31, vcc, s8, v0
	s_mov_b32 s38, 1.0
	s_lshl_b32 s33, s8, 2
	s_mov_b32 s28, 8
	s_mov_b32 s30, 0
	;; [unrolled: 1-line block ×5, first 2 shown]
	s_lshl_b32 s41, s8, 5
	v_addc_co_u32_e64 v32, s[6:7], 0, 0, vcc
	v_lshlrev_b32_e32 v6, 3, v31
	s_mov_b64 s[36:37], 0
	v_mov_b32_e32 v33, 0x248d3132
	s_mov_b32 s66, 0x4b000000
	s_mov_b32 s39, -1.0
	v_mov_b32_e32 v34, 0xd800000
	s_mov_b32 s67, 0x395db3d7
	s_brev_b32 s68, -2
	s_mov_b32 s69, 0x7f800000
	s_mov_b32 s70, 0x41200000
	s_mov_b32 s71, 0xf800000
	s_mov_b32 s72, 0x4f800000
	v_mov_b32_e32 v35, 0x260
	s_mov_b32 s73, 0x800000
	s_mov_b32 s74, 0x3f317217
	;; [unrolled: 1-line block ×4, first 2 shown]
	v_mov_b32_e32 v36, 0x3f2aaada
	s_mov_b32 s77, 0x3f317218
	s_mov_b32 s78, 0x33800000
	s_mov_b32 s79, 0x21000000
	s_mov_b32 s80, 0x3f244674
	s_mov_b32 s81, 0x30800000
	s_mov_b32 s82, 0x57800000
	s_mov_b32 s40, 0x4b800000
	v_mov_b32_e32 v37, 0x3d034c3c
	v_mov_b32_e32 v38, 0x3d3641b1
	;; [unrolled: 1-line block ×10, first 2 shown]
	s_movk_i32 s83, 0x204
	s_mov_b32 s84, 0x7effffff
	s_mov_b32 s85, 0x5e000000
	s_brev_b32 s86, 4
	s_mov_b32 s87, 0x402df854
	v_mov_b32_e32 v47, 0x7f800000
	v_mov_b32_e32 v48, 0x4f800000
	;; [unrolled: 1-line block ×3, first 2 shown]
	v_mov_b32_e32 v8, 1.0
	v_mov_b32_e32 v10, 0x3f317218
	v_mov_b32_e32 v50, 0x7fc00000
	;; [unrolled: 1-line block ×6, first 2 shown]
	s_mov_b64 s[42:43], s[22:23]
	s_branch .LBB50_4
.LBB50_3:                               ;   in Loop: Header=BB50_4 Depth=1
	s_or_b64 exec, exec, s[6:7]
	s_add_u32 s36, s36, s33
	s_addc_u32 s37, s37, 0
	v_pk_mov_b32 v[12:13], s[24:25], s[24:25] op_sel:[0,1]
	v_cmp_ge_i64_e32 vcc, s[36:37], v[12:13]
	v_mov_b32_e32 v12, 0xffff
	v_mov_b32_e32 v13, 0
	v_cmp_gt_u64_e64 s[6:7], s[36:37], v[12:13]
	s_or_b64 s[6:7], vcc, s[6:7]
	s_add_u32 s42, s42, s41
	s_addc_u32 s43, s43, 0
	s_and_b64 vcc, exec, s[6:7]
	s_cbranch_vccnz .LBB50_412
.LBB50_4:                               ; =>This Inner Loop Header: Depth=1
	v_mov_b32_e32 v9, s37
	v_add_co_u32_e32 v12, vcc, s36, v0
	v_addc_co_u32_e32 v13, vcc, 0, v9, vcc
	v_cmp_gt_u64_e64 s[6:7], s[26:27], v[12:13]
	v_mov_b32_e32 v18, 0
	v_mov_b32_e32 v19, 0
	s_and_saveexec_b64 s[8:9], s[6:7]
	s_cbranch_execz .LBB50_6
; %bb.5:                                ;   in Loop: Header=BB50_4 Depth=1
	v_mov_b32_e32 v9, s43
	v_add_co_u32_e32 v12, vcc, s42, v2
	v_addc_co_u32_e32 v13, vcc, 0, v9, vcc
	global_load_dwordx2 v[18:19], v[12:13], off
.LBB50_6:                               ;   in Loop: Header=BB50_4 Depth=1
	s_or_b64 exec, exec, s[8:9]
	v_mov_b32_e32 v9, s37
	v_add_co_u32_e32 v12, vcc, s36, v31
	v_addc_co_u32_e32 v13, vcc, v32, v9, vcc
	v_cmp_gt_u64_e64 s[8:9], s[26:27], v[12:13]
	v_mov_b32_e32 v16, 0
	v_mov_b32_e32 v20, 0
	;; [unrolled: 1-line block ×3, first 2 shown]
	s_and_saveexec_b64 s[10:11], s[8:9]
	s_cbranch_execz .LBB50_8
; %bb.7:                                ;   in Loop: Header=BB50_4 Depth=1
	v_mov_b32_e32 v9, s43
	v_add_co_u32_e32 v12, vcc, s42, v6
	v_addc_co_u32_e32 v13, vcc, 0, v9, vcc
	global_load_dwordx2 v[20:21], v[12:13], off
.LBB50_8:                               ;   in Loop: Header=BB50_4 Depth=1
	s_or_b64 exec, exec, s[10:11]
	v_mov_b32_e32 v9, s37
	v_add_co_u32_e32 v12, vcc, s36, v29
	v_addc_co_u32_e32 v13, vcc, v30, v9, vcc
	v_cmp_gt_u64_e64 s[10:11], s[26:27], v[12:13]
	v_mov_b32_e32 v17, 0
	s_and_saveexec_b64 s[12:13], s[10:11]
	s_cbranch_execz .LBB50_10
; %bb.9:                                ;   in Loop: Header=BB50_4 Depth=1
	v_mov_b32_e32 v9, s43
	v_add_co_u32_e32 v12, vcc, s42, v7
	v_addc_co_u32_e32 v13, vcc, v9, v28, vcc
	global_load_dwordx2 v[16:17], v[12:13], off
.LBB50_10:                              ;   in Loop: Header=BB50_4 Depth=1
	s_or_b64 exec, exec, s[12:13]
	v_mov_b32_e32 v9, s37
	v_add_co_u32_e32 v12, vcc, s36, v1
	v_addc_co_u32_e32 v13, vcc, v3, v9, vcc
	v_cmp_gt_u64_e64 s[12:13], s[26:27], v[12:13]
	v_mov_b32_e32 v12, 0
	v_mov_b32_e32 v13, 0
	s_and_saveexec_b64 s[14:15], s[12:13]
	s_cbranch_execz .LBB50_12
; %bb.11:                               ;   in Loop: Header=BB50_4 Depth=1
	v_mov_b32_e32 v9, s43
	v_add_co_u32_e32 v12, vcc, s42, v4
	v_addc_co_u32_e32 v13, vcc, v9, v5, vcc
	global_load_dwordx2 v[12:13], v[12:13], off
.LBB50_12:                              ;   in Loop: Header=BB50_4 Depth=1
	s_or_b64 exec, exec, s[14:15]
	s_waitcnt vmcnt(0)
	v_cmp_o_f32_e32 vcc, v18, v18
	v_cmp_o_f32_e64 s[14:15], v19, v19
	v_pk_mov_b32 v[14:15], s[28:29], s[28:29] op_sel:[0,1]
	s_and_b64 s[14:15], vcc, s[14:15]
	flat_store_dword v[14:15], v33
	s_waitcnt vmcnt(0)
                                        ; implicit-def: $vgpr15
	s_and_saveexec_b64 s[16:17], s[14:15]
	s_xor_b64 s[44:45], exec, s[16:17]
	s_cbranch_execz .LBB50_96
; %bb.13:                               ;   in Loop: Header=BB50_4 Depth=1
	v_max_f32_e64 v22, |v18|, |v18|
	v_max_f32_e64 v9, |v19|, |v19|
	s_waitcnt lgkmcnt(0)
	v_max_f32_e32 v11, v9, v22
	v_cmp_gt_i32_e64 s[16:17], 0, v18
	v_cmp_lt_i32_e64 s[18:19], -1, v18
	v_cmp_gt_i32_e64 s[14:15], 0, v19
	v_cmp_nlt_f32_e32 vcc, s66, v11
                                        ; implicit-def: $vgpr15
	s_and_saveexec_b64 s[20:21], vcc
	s_xor_b64 s[46:47], exec, s[20:21]
	s_cbranch_execz .LBB50_85
; %bb.14:                               ;   in Loop: Header=BB50_4 Depth=1
	v_cmp_neq_f32_e32 vcc, 1.0, v18
	v_cmp_neq_f32_e64 s[20:21], 0, v19
	s_or_b64 s[20:21], s[20:21], vcc
                                        ; implicit-def: $vgpr15
	s_and_saveexec_b64 s[48:49], s[20:21]
	s_xor_b64 s[48:49], exec, s[48:49]
	s_cbranch_execz .LBB50_82
; %bb.15:                               ;   in Loop: Header=BB50_4 Depth=1
	v_pk_mov_b32 v[14:15], s[30:31], s[30:31] op_sel:[0,1]
	flat_store_dword v[14:15], v34
	s_waitcnt vmcnt(0)
	flat_load_dword v11, v[14:15] glc
	s_waitcnt vmcnt(0)
	v_pk_mov_b32 v[14:15], s[34:35], s[34:35] op_sel:[0,1]
	v_cmp_nlt_f32_e64 s[20:21], |v18|, s67
	v_cmp_nlt_f32_e64 s[50:51], |v19|, s67
	s_or_b64 s[20:21], s[50:51], s[20:21]
	s_waitcnt lgkmcnt(0)
	v_add_f32_e32 v11, 1.0, v11
	flat_store_dword v[14:15], v11
	s_waitcnt vmcnt(0)
	flat_load_dword v11, v[14:15] glc
	s_waitcnt vmcnt(0)
                                        ; implicit-def: $vgpr15
	s_and_saveexec_b64 s[50:51], s[20:21]
	s_xor_b64 s[50:51], exec, s[50:51]
	s_cbranch_execz .LBB50_79
; %bb.16:                               ;   in Loop: Header=BB50_4 Depth=1
	v_and_b32_e32 v22, 0x7fffffff, v18
	v_pk_add_f32 v[24:25], v[22:23], s[38:39] op_sel_hi:[0,1]
	s_waitcnt vmcnt(0) lgkmcnt(0)
	v_max_f32_e64 v11, v9, |v25|
	v_max_f32_e64 v9, v9, |v24|
	v_cvt_f64_f32_e32 v[14:15], v9
	v_frexp_exp_i32_f64_e32 v23, v[14:15]
	v_sub_u32_e32 v14, 0, v23
	v_ldexp_f32 v15, |v19|, v14
	v_ldexp_f32 v14, |v24|, v14
	v_mul_f32_e32 v14, v14, v14
	v_fmac_f32_e32 v14, v15, v15
	v_sqrt_f32_e32 v26, v14
	v_cvt_f64_f32_e32 v[14:15], v11
	v_frexp_exp_i32_f64_e32 v14, v[14:15]
	v_sub_u32_e32 v15, 0, v14
	v_ldexp_f32 v27, |v19|, v15
	v_ldexp_f32 v15, |v25|, v15
	v_mul_f32_e32 v15, v15, v15
	v_fmac_f32_e32 v15, v27, v27
	v_sqrt_f32_e32 v15, v15
	v_cmp_neq_f32_e32 vcc, s69, v11
	v_ldexp_f32 v26, v26, v23
	v_ldexp_f32 v14, v15, v14
	v_cndmask_b32_e32 v23, v47, v14, vcc
	v_cmp_neq_f32_e32 vcc, s69, v9
	v_cndmask_b32_e32 v55, v47, v26, vcc
	v_add_f32_e32 v9, v55, v23
	v_mul_f32_e32 v9, 0.5, v9
	v_cmp_ngt_f32_e32 vcc, 1.0, v9
	v_cndmask_b32_e32 v14, 1.0, v9, vcc
	v_cmp_ngt_f32_e32 vcc, s70, v14
                                        ; implicit-def: $vgpr9
	s_and_saveexec_b64 s[20:21], vcc
	s_xor_b64 s[52:53], exec, s[20:21]
	s_cbranch_execz .LBB50_18
; %bb.17:                               ;   in Loop: Header=BB50_4 Depth=1
	v_fma_f32 v9, v14, v14, -1.0
	v_mul_f32_e32 v11, 0x4f800000, v9
	v_cmp_gt_f32_e32 vcc, s71, v9
	v_cndmask_b32_e32 v9, v9, v11, vcc
	v_sqrt_f32_e32 v11, v9
	v_add_u32_e32 v15, -1, v11
	v_fma_f32 v27, -v15, v11, v9
	v_add_u32_e32 v26, 1, v11
	v_cmp_ge_f32_e64 s[20:21], 0, v27
	v_cndmask_b32_e64 v15, v11, v15, s[20:21]
	v_fma_f32 v11, -v26, v11, v9
	v_cmp_lt_f32_e64 s[20:21], 0, v11
	v_cndmask_b32_e64 v11, v15, v26, s[20:21]
	v_mul_f32_e32 v15, 0x37800000, v11
	v_cndmask_b32_e32 v11, v11, v15, vcc
	v_cmp_class_f32_e32 vcc, v9, v35
	v_cndmask_b32_e32 v9, v11, v9, vcc
	v_add_f32_e32 v9, v14, v9
	v_cmp_gt_f32_e32 vcc, s73, v9
	v_cndmask_b32_e32 v11, 1.0, v48, vcc
	v_mul_f32_e32 v9, v9, v11
	v_log_f32_e32 v9, v9
	v_mul_f32_e32 v11, 0x3f317217, v9
	v_fma_f32 v15, v9, s74, -v11
	v_fmac_f32_e32 v15, 0x3377d1cf, v9
	v_add_f32_e32 v11, v11, v15
	v_cmp_lt_f32_e64 s[20:21], |v9|, s69
	v_cndmask_b32_e64 v9, v9, v11, s[20:21]
	v_cndmask_b32_e32 v11, 0, v49, vcc
	v_sub_f32_e32 v9, v9, v11
.LBB50_18:                              ;   in Loop: Header=BB50_4 Depth=1
	s_or_saveexec_b64 s[52:53], s[52:53]
	v_and_b32_e32 v27, 0x7fffffff, v19
	v_and_b32_e32 v56, 0x7fffffff, v25
	s_xor_b64 exec, exec, s[52:53]
	s_cbranch_execz .LBB50_40
; %bb.19:                               ;   in Loop: Header=BB50_4 Depth=1
	v_cmp_neq_f32_e64 s[20:21], |v18|, 1.0
	v_cmp_nlt_f32_e64 s[54:55], |v19|, s75
	s_or_b64 s[20:21], s[54:55], s[20:21]
                                        ; implicit-def: $vgpr9
	s_and_saveexec_b64 s[54:55], s[20:21]
	s_xor_b64 s[54:55], exec, s[54:55]
	s_cbranch_execz .LBB50_37
; %bb.20:                               ;   in Loop: Header=BB50_4 Depth=1
	v_mul_f32_e32 v9, 0x34000000, v56
	v_cmp_le_f32_e64 s[20:21], v9, |v19|
                                        ; implicit-def: $vgpr9
	s_and_saveexec_b64 s[56:57], s[20:21]
	s_xor_b64 s[56:57], exec, s[56:57]
	s_cbranch_execz .LBB50_30
; %bb.21:                               ;   in Loop: Header=BB50_4 Depth=1
	v_cmp_neq_f32_e32 vcc, 0, v24
	v_mov_b32_e32 v9, v27
	s_and_saveexec_b64 s[20:21], vcc
	s_cbranch_execz .LBB50_23
; %bb.22:                               ;   in Loop: Header=BB50_4 Depth=1
	v_mul_f32_e32 v9, v19, v19
	v_add_f32_e32 v11, v24, v55
	v_div_scale_f32 v15, s[58:59], v11, v11, v9
	v_rcp_f32_e32 v26, v15
	v_fma_f32 v57, -v15, v26, 1.0
	v_fmac_f32_e32 v26, v57, v26
	v_div_scale_f32 v57, vcc, v9, v11, v9
	v_mul_f32_e32 v58, v57, v26
	v_fma_f32 v59, -v15, v58, v57
	v_fmac_f32_e32 v58, v59, v26
	v_fma_f32 v15, -v15, v58, v57
	v_div_fmas_f32 v15, v15, v26, v58
	v_div_fixup_f32 v9, v15, v11, v9
.LBB50_23:                              ;   in Loop: Header=BB50_4 Depth=1
	s_or_b64 exec, exec, s[20:21]
	v_sub_f32_e64 v15, 1.0, |v18|
	v_cmp_ngt_f32_e32 vcc, 0, v15
                                        ; implicit-def: $vgpr11
	s_and_saveexec_b64 s[20:21], vcc
	s_xor_b64 s[20:21], exec, s[20:21]
	s_cbranch_execz .LBB50_27
; %bb.24:                               ;   in Loop: Header=BB50_4 Depth=1
	v_cmp_neq_f32_e32 vcc, 0, v15
	v_mov_b32_e32 v11, v27
	s_and_saveexec_b64 s[58:59], vcc
	s_cbranch_execz .LBB50_26
; %bb.25:                               ;   in Loop: Header=BB50_4 Depth=1
	v_mul_f32_e32 v11, v19, v19
	v_add_f32_e32 v15, v15, v23
	v_div_scale_f32 v26, s[60:61], v15, v15, v11
	v_rcp_f32_e32 v57, v26
	v_fma_f32 v58, -v26, v57, 1.0
	v_fmac_f32_e32 v57, v58, v57
	v_div_scale_f32 v58, vcc, v11, v15, v11
	v_mul_f32_e32 v59, v58, v57
	v_fma_f32 v60, -v26, v59, v58
	v_fmac_f32_e32 v59, v60, v57
	v_fma_f32 v26, -v26, v59, v58
	v_div_fmas_f32 v26, v26, v57, v59
	v_div_fixup_f32 v11, v26, v15, v11
.LBB50_26:                              ;   in Loop: Header=BB50_4 Depth=1
	s_or_b64 exec, exec, s[58:59]
                                        ; implicit-def: $vgpr15
.LBB50_27:                              ;   in Loop: Header=BB50_4 Depth=1
	s_andn2_saveexec_b64 s[20:21], s[20:21]
; %bb.28:                               ;   in Loop: Header=BB50_4 Depth=1
	v_sub_f32_e32 v11, v23, v15
; %bb.29:                               ;   in Loop: Header=BB50_4 Depth=1
	s_or_b64 exec, exec, s[20:21]
	v_mul_f32_e32 v15, 0.5, v9
	v_mul_f32_e32 v9, 0.5, v11
	v_pk_add_f32 v[58:59], v[14:15], v[8:9]
	v_mul_f32_e32 v9, v58, v59
	v_mul_f32_e32 v11, 0x4f800000, v9
	v_cmp_gt_f32_e32 vcc, s71, v9
	v_cndmask_b32_e32 v9, v9, v11, vcc
	v_sqrt_f32_e32 v11, v9
	v_add_u32_e32 v15, -1, v11
	v_fma_f32 v26, -v15, v11, v9
	v_cmp_ge_f32_e64 s[20:21], 0, v26
	v_add_u32_e32 v26, 1, v11
	v_cndmask_b32_e64 v15, v11, v15, s[20:21]
	v_fma_f32 v11, -v26, v11, v9
	v_cmp_lt_f32_e64 s[20:21], 0, v11
	v_cndmask_b32_e64 v11, v15, v26, s[20:21]
	v_mul_f32_e32 v15, 0x37800000, v11
	v_cndmask_b32_e32 v11, v11, v15, vcc
	v_cmp_class_f32_e32 vcc, v9, v35
	v_cndmask_b32_e32 v9, v11, v9, vcc
	v_add_f32_e32 v58, v59, v9
	v_add_f32_e32 v61, 1.0, v58
	v_add_f32_e32 v59, -1.0, v61
	v_mov_b32_e32 v60, v59
	v_pk_add_f32 v[62:63], v[58:59], v[60:61] neg_lo:[0,1] neg_hi:[0,1]
	v_add_f32_e32 v9, 1.0, v63
	v_add_f32_e32 v9, v62, v9
	v_frexp_mant_f32_e32 v11, v61
	v_cvt_f64_f32_e32 v[62:63], v61
	v_frexp_exp_i32_f64_e32 v15, v[62:63]
	v_cmp_gt_f32_e32 vcc, s76, v11
	v_subbrev_co_u32_e32 v15, vcc, 0, v15, vcc
	v_sub_u32_e32 v11, 0, v15
	v_ldexp_f32 v26, v61, v11
	v_ldexp_f32 v9, v9, v11
	v_add_f32_e32 v11, -1.0, v26
	v_add_f32_e32 v59, 1.0, v26
	v_add_f32_e32 v57, 1.0, v11
	v_add_f32_e32 v60, -1.0, v59
	v_sub_f32_e32 v57, v26, v57
	v_sub_f32_e32 v26, v26, v60
	v_add_f32_e32 v57, v9, v57
	v_add_f32_e32 v9, v9, v26
	;; [unrolled: 1-line block ×3, first 2 shown]
	v_sub_f32_e32 v59, v26, v59
	v_sub_f32_e32 v9, v9, v59
	v_rcp_f32_e32 v59, v26
	v_add_f32_e32 v61, v11, v57
	v_sub_f32_e32 v11, v61, v11
	v_sub_f32_e32 v11, v57, v11
	v_mul_f32_e32 v57, v61, v59
	v_mul_f32_e32 v62, v26, v57
	v_fma_f32 v64, v57, v26, -v62
	v_fmac_f32_e32 v64, v57, v9
	v_add_f32_e32 v60, v62, v64
	v_sub_f32_e32 v63, v61, v60
	v_pk_add_f32 v[66:67], v[60:61], v[62:63] neg_lo:[0,1] neg_hi:[0,1]
	v_mov_b32_e32 v65, v60
	v_pk_add_f32 v[60:61], v[66:67], v[64:65] neg_lo:[0,1] neg_hi:[0,1]
	v_add_f32_e32 v11, v11, v61
	v_add_f32_e32 v11, v60, v11
	;; [unrolled: 1-line block ×3, first 2 shown]
	v_mul_f32_e32 v68, v59, v61
	v_mul_f32_e32 v62, v26, v68
	v_fma_f32 v64, v68, v26, -v62
	v_fmac_f32_e32 v64, v68, v9
	v_add_f32_e32 v60, v62, v64
	v_sub_f32_e32 v9, v63, v61
	v_sub_f32_e32 v63, v61, v60
	v_pk_add_f32 v[66:67], v[60:61], v[62:63] neg_lo:[0,1] neg_hi:[0,1]
	v_mov_b32_e32 v65, v60
	v_add_f32_e32 v9, v11, v9
	v_pk_add_f32 v[60:61], v[66:67], v[64:65] neg_lo:[0,1] neg_hi:[0,1]
	v_add_f32_e32 v9, v9, v61
	v_add_f32_e32 v9, v60, v9
	;; [unrolled: 1-line block ×4, first 2 shown]
	v_sub_f32_e32 v11, v26, v57
	v_mul_f32_e32 v9, v59, v9
	v_sub_f32_e32 v11, v68, v11
	v_add_f32_e32 v9, v11, v9
	v_add_f32_e32 v57, v26, v9
	v_cvt_f32_i32_e32 v60, v15
	v_mul_f32_e32 v59, v57, v57
	v_mov_b32_e32 v11, 0x3ecc95a3
	v_fmac_f32_e32 v11, 0x3e9b6dac, v59
	v_fma_f32 v11, v59, v11, v36
	v_mul_f32_e32 v61, v57, v59
	v_pk_mul_f32 v[64:65], v[60:61], v[10:11]
	v_fma_f32 v62, v60, s77, -v64
	v_ldexp_f32 v63, v57, 1
	v_fmac_f32_e32 v62, 0xb102e308, v60
	v_sub_f32_e32 v15, v57, v26
	v_pk_add_f32 v[60:61], v[64:65], v[62:63]
	v_sub_f32_e32 v9, v9, v15
	v_sub_f32_e32 v11, v61, v63
	v_ldexp_f32 v9, v9, 1
	v_sub_f32_e32 v11, v65, v11
	v_add_f32_e32 v67, v9, v11
	v_mov_b32_e32 v66, v64
	v_pk_add_f32 v[64:65], v[60:61], v[64:65] neg_lo:[0,1] neg_hi:[0,1]
	v_pk_add_f32 v[68:69], v[60:61], v[66:67]
	v_mov_b32_e32 v65, v69
	v_mov_b32_e32 v63, v60
	v_pk_add_f32 v[70:71], v[62:63], v[64:65] neg_lo:[0,1] neg_hi:[0,1]
	v_pk_add_f32 v[62:63], v[62:63], v[64:65]
	v_mov_b32_e32 v26, v63
	v_pk_add_f32 v[64:65], v[26:27], v[60:61] neg_lo:[0,1] neg_hi:[0,1]
	v_mov_b32_e32 v9, v64
	v_pk_add_f32 v[72:73], v[68:69], v[8:9] neg_lo:[0,1] neg_hi:[0,1]
	v_mov_b32_e32 v62, v69
	v_mov_b32_e32 v68, v61
	;; [unrolled: 1-line block ×4, first 2 shown]
	v_pk_add_f32 v[62:63], v[62:63], v[68:69] neg_lo:[0,1] neg_hi:[0,1]
	v_mov_b32_e32 v64, v67
	v_mov_b32_e32 v65, v60
	v_pk_add_f32 v[60:61], v[64:65], v[62:63] neg_lo:[0,1] neg_hi:[0,1]
	v_mov_b32_e32 v72, v70
	v_pk_add_f32 v[62:63], v[72:73], v[60:61]
	v_mov_b32_e32 v64, v63
	v_pk_add_f32 v[64:65], v[62:63], v[64:65]
	v_pk_add_f32 v[66:67], v[26:27], v[64:65]
	v_mov_b32_e32 v63, v66
	v_pk_add_f32 v[68:69], v[62:63], v[70:71] neg_lo:[0,1] neg_hi:[0,1]
	v_mov_b32_e32 v61, v64
	v_sub_f32_e32 v9, v62, v68
	v_pk_add_f32 v[60:61], v[60:61], v[68:69] neg_lo:[0,1] neg_hi:[0,1]
	v_sub_f32_e32 v9, v70, v9
	v_add_f32_e32 v9, v60, v9
	v_add_f32_e32 v9, v9, v61
	;; [unrolled: 1-line block ×3, first 2 shown]
	v_cmp_eq_f32_e32 vcc, s69, v58
	v_cndmask_b32_e32 v9, v9, v58, vcc
	v_cmp_ngt_f32_e32 vcc, -1.0, v58
	v_cndmask_b32_e32 v9, v50, v9, vcc
	v_cmp_neq_f32_e32 vcc, -1.0, v58
	v_cndmask_b32_e32 v9, v51, v9, vcc
	v_cmp_lt_f32_e64 vcc, |v58|, s78
	v_cndmask_b32_e32 v9, v9, v58, vcc
.LBB50_30:                              ;   in Loop: Header=BB50_4 Depth=1
	s_andn2_saveexec_b64 s[56:57], s[56:57]
	s_cbranch_execz .LBB50_36
; %bb.31:                               ;   in Loop: Header=BB50_4 Depth=1
	v_cmp_nlt_f32_e64 s[20:21], |v18|, 1.0
                                        ; implicit-def: $vgpr9
	s_and_saveexec_b64 s[58:59], s[20:21]
	s_xor_b64 s[58:59], exec, s[58:59]
	s_cbranch_execz .LBB50_33
; %bb.32:                               ;   in Loop: Header=BB50_4 Depth=1
	v_mul_f32_e32 v9, v25, v24
	v_mul_f32_e32 v11, 0x4f800000, v9
	v_cmp_gt_f32_e32 vcc, s71, v9
	v_cndmask_b32_e32 v9, v9, v11, vcc
	v_sqrt_f32_e32 v11, v9
	v_add_u32_e32 v15, -1, v11
	v_fma_f32 v57, -v15, v11, v9
	v_add_u32_e32 v26, 1, v11
	v_cmp_ge_f32_e64 s[20:21], 0, v57
	v_cndmask_b32_e64 v15, v11, v15, s[20:21]
	v_fma_f32 v11, -v26, v11, v9
	v_cmp_lt_f32_e64 s[20:21], 0, v11
	v_cndmask_b32_e64 v11, v15, v26, s[20:21]
	v_mul_f32_e32 v15, 0x37800000, v11
	v_cndmask_b32_e32 v11, v11, v15, vcc
	v_cmp_class_f32_e32 vcc, v9, v35
	v_cndmask_b32_e32 v9, v11, v9, vcc
	v_add_f32_e32 v58, v25, v9
	v_add_f32_e32 v61, 1.0, v58
	v_add_f32_e32 v59, -1.0, v61
	v_mov_b32_e32 v60, v59
	v_pk_add_f32 v[62:63], v[58:59], v[60:61] neg_lo:[0,1] neg_hi:[0,1]
	v_add_f32_e32 v9, 1.0, v63
	v_add_f32_e32 v9, v62, v9
	v_frexp_mant_f32_e32 v11, v61
	v_cvt_f64_f32_e32 v[62:63], v61
	v_frexp_exp_i32_f64_e32 v15, v[62:63]
	v_cmp_gt_f32_e32 vcc, s76, v11
	v_subbrev_co_u32_e32 v15, vcc, 0, v15, vcc
	v_sub_u32_e32 v11, 0, v15
	v_ldexp_f32 v26, v61, v11
	v_ldexp_f32 v9, v9, v11
	v_add_f32_e32 v11, -1.0, v26
	v_add_f32_e32 v59, 1.0, v26
	v_add_f32_e32 v57, 1.0, v11
	v_add_f32_e32 v60, -1.0, v59
	v_sub_f32_e32 v57, v26, v57
	v_sub_f32_e32 v26, v26, v60
	v_add_f32_e32 v57, v9, v57
	v_add_f32_e32 v9, v9, v26
	;; [unrolled: 1-line block ×3, first 2 shown]
	v_sub_f32_e32 v59, v26, v59
	v_sub_f32_e32 v9, v9, v59
	v_rcp_f32_e32 v59, v26
	v_add_f32_e32 v61, v11, v57
	v_sub_f32_e32 v11, v61, v11
	v_sub_f32_e32 v11, v57, v11
	v_mul_f32_e32 v57, v61, v59
	v_mul_f32_e32 v62, v26, v57
	v_fma_f32 v64, v57, v26, -v62
	v_fmac_f32_e32 v64, v57, v9
	v_add_f32_e32 v60, v62, v64
	v_sub_f32_e32 v63, v61, v60
	v_pk_add_f32 v[66:67], v[60:61], v[62:63] neg_lo:[0,1] neg_hi:[0,1]
	v_mov_b32_e32 v65, v60
	v_pk_add_f32 v[60:61], v[66:67], v[64:65] neg_lo:[0,1] neg_hi:[0,1]
	v_add_f32_e32 v11, v11, v61
	v_add_f32_e32 v11, v60, v11
	;; [unrolled: 1-line block ×3, first 2 shown]
	v_mul_f32_e32 v68, v59, v61
	v_mul_f32_e32 v62, v26, v68
	v_fma_f32 v64, v68, v26, -v62
	v_fmac_f32_e32 v64, v68, v9
	v_add_f32_e32 v60, v62, v64
	v_sub_f32_e32 v9, v63, v61
	v_sub_f32_e32 v63, v61, v60
	v_pk_add_f32 v[66:67], v[60:61], v[62:63] neg_lo:[0,1] neg_hi:[0,1]
	v_mov_b32_e32 v65, v60
	v_add_f32_e32 v9, v11, v9
	v_pk_add_f32 v[60:61], v[66:67], v[64:65] neg_lo:[0,1] neg_hi:[0,1]
	v_add_f32_e32 v9, v9, v61
	v_add_f32_e32 v9, v60, v9
	;; [unrolled: 1-line block ×4, first 2 shown]
	v_sub_f32_e32 v11, v26, v57
	v_mul_f32_e32 v9, v59, v9
	v_sub_f32_e32 v11, v68, v11
	v_add_f32_e32 v9, v11, v9
	v_add_f32_e32 v57, v26, v9
	v_cvt_f32_i32_e32 v60, v15
	v_mul_f32_e32 v59, v57, v57
	v_mov_b32_e32 v11, 0x3ecc95a3
	v_fmac_f32_e32 v11, 0x3e9b6dac, v59
	v_fma_f32 v11, v59, v11, v36
	v_mul_f32_e32 v61, v57, v59
	v_pk_mul_f32 v[64:65], v[60:61], v[10:11]
	v_fma_f32 v62, v60, s77, -v64
	v_ldexp_f32 v63, v57, 1
	v_fmac_f32_e32 v62, 0xb102e308, v60
	v_sub_f32_e32 v15, v57, v26
	v_pk_add_f32 v[60:61], v[64:65], v[62:63]
	v_sub_f32_e32 v9, v9, v15
	v_sub_f32_e32 v11, v61, v63
	v_ldexp_f32 v9, v9, 1
	v_sub_f32_e32 v11, v65, v11
	v_add_f32_e32 v67, v9, v11
	v_mov_b32_e32 v66, v64
	v_pk_add_f32 v[64:65], v[60:61], v[64:65] neg_lo:[0,1] neg_hi:[0,1]
	v_pk_add_f32 v[68:69], v[60:61], v[66:67]
	v_mov_b32_e32 v65, v69
	v_mov_b32_e32 v63, v60
	v_pk_add_f32 v[70:71], v[62:63], v[64:65] neg_lo:[0,1] neg_hi:[0,1]
	v_pk_add_f32 v[62:63], v[62:63], v[64:65]
	v_mov_b32_e32 v26, v63
	v_pk_add_f32 v[64:65], v[26:27], v[60:61] neg_lo:[0,1] neg_hi:[0,1]
	v_mov_b32_e32 v9, v64
	v_pk_add_f32 v[72:73], v[68:69], v[8:9] neg_lo:[0,1] neg_hi:[0,1]
	v_mov_b32_e32 v62, v69
	v_mov_b32_e32 v68, v61
	;; [unrolled: 1-line block ×4, first 2 shown]
	v_pk_add_f32 v[62:63], v[62:63], v[68:69] neg_lo:[0,1] neg_hi:[0,1]
	v_mov_b32_e32 v64, v67
	v_mov_b32_e32 v65, v60
	v_pk_add_f32 v[60:61], v[64:65], v[62:63] neg_lo:[0,1] neg_hi:[0,1]
	v_mov_b32_e32 v72, v70
	v_pk_add_f32 v[62:63], v[72:73], v[60:61]
	v_mov_b32_e32 v64, v63
	v_pk_add_f32 v[64:65], v[62:63], v[64:65]
	v_pk_add_f32 v[66:67], v[26:27], v[64:65]
	v_mov_b32_e32 v63, v66
	v_pk_add_f32 v[68:69], v[62:63], v[70:71] neg_lo:[0,1] neg_hi:[0,1]
	v_mov_b32_e32 v61, v64
	v_sub_f32_e32 v9, v62, v68
	v_pk_add_f32 v[60:61], v[60:61], v[68:69] neg_lo:[0,1] neg_hi:[0,1]
	v_sub_f32_e32 v9, v70, v9
	v_add_f32_e32 v9, v60, v9
	v_add_f32_e32 v9, v9, v61
	;; [unrolled: 1-line block ×3, first 2 shown]
	v_cmp_eq_f32_e32 vcc, s69, v58
	v_cndmask_b32_e32 v9, v9, v58, vcc
	v_cmp_ngt_f32_e32 vcc, -1.0, v58
	v_cndmask_b32_e32 v9, v50, v9, vcc
	v_cmp_neq_f32_e32 vcc, -1.0, v58
	v_cndmask_b32_e32 v9, v51, v9, vcc
	v_cmp_lt_f32_e64 vcc, |v58|, s78
	v_cndmask_b32_e32 v9, v9, v58, vcc
.LBB50_33:                              ;   in Loop: Header=BB50_4 Depth=1
	s_andn2_saveexec_b64 s[58:59], s[58:59]
	s_cbranch_execz .LBB50_35
; %bb.34:                               ;   in Loop: Header=BB50_4 Depth=1
	v_sub_f32_e64 v9, 1.0, |v18|
	v_mul_f32_e32 v9, v9, v24
	v_mul_f32_e32 v11, 0x4f800000, v9
	v_cmp_gt_f32_e32 vcc, s71, v9
	v_cndmask_b32_e32 v9, v9, v11, vcc
	v_sqrt_f32_e32 v11, v9
	v_add_u32_e32 v15, -1, v11
	v_fma_f32 v57, -v15, v11, v9
	v_add_u32_e32 v26, 1, v11
	v_cmp_ge_f32_e64 s[20:21], 0, v57
	v_cndmask_b32_e64 v15, v11, v15, s[20:21]
	v_fma_f32 v11, -v26, v11, v9
	v_cmp_lt_f32_e64 s[20:21], 0, v11
	v_cndmask_b32_e64 v11, v15, v26, s[20:21]
	v_mul_f32_e32 v15, 0x37800000, v11
	v_cndmask_b32_e32 v11, v11, v15, vcc
	v_cmp_class_f32_e32 vcc, v9, v35
	v_cndmask_b32_e32 v9, v11, v9, vcc
	v_and_b32_e32 v11, 0x7fffffff, v19
	v_div_scale_f32 v15, s[20:21], v9, v9, v11
	v_rcp_f32_e32 v26, v15
	v_div_scale_f32 v11, vcc, v11, v9, v11
	v_fma_f32 v57, -v15, v26, 1.0
	v_fmac_f32_e32 v26, v57, v26
	v_mul_f32_e32 v57, v11, v26
	v_fma_f32 v58, -v15, v57, v11
	v_fmac_f32_e32 v57, v58, v26
	v_fma_f32 v11, -v15, v57, v11
	v_div_fmas_f32 v11, v11, v26, v57
	v_div_fixup_f32 v9, v11, v9, |v19|
.LBB50_35:                              ;   in Loop: Header=BB50_4 Depth=1
	s_or_b64 exec, exec, s[58:59]
.LBB50_36:                              ;   in Loop: Header=BB50_4 Depth=1
	s_or_b64 exec, exec, s[56:57]
.LBB50_37:                              ;   in Loop: Header=BB50_4 Depth=1
	s_andn2_saveexec_b64 s[54:55], s[54:55]
	s_cbranch_execz .LBB50_39
; %bb.38:                               ;   in Loop: Header=BB50_4 Depth=1
	v_mul_f32_e64 v9, |v19|, s72
	v_cmp_lt_f32_e64 vcc, |v19|, s71
	v_cndmask_b32_e64 v9, |v19|, v9, vcc
	v_sqrt_f32_e32 v11, v9
	v_add_u32_e32 v15, -1, v11
	v_fma_f32 v57, -v15, v11, v9
	v_add_u32_e32 v26, 1, v11
	v_cmp_ge_f32_e64 s[20:21], 0, v57
	v_cndmask_b32_e64 v15, v11, v15, s[20:21]
	v_fma_f32 v11, -v26, v11, v9
	v_cmp_lt_f32_e64 s[20:21], 0, v11
	v_cndmask_b32_e64 v11, v15, v26, s[20:21]
	v_mul_f32_e32 v15, 0x37800000, v11
	v_cndmask_b32_e32 v11, v11, v15, vcc
	v_cmp_class_f32_e32 vcc, v9, v35
	v_cndmask_b32_e32 v9, v11, v9, vcc
.LBB50_39:                              ;   in Loop: Header=BB50_4 Depth=1
	s_or_b64 exec, exec, s[54:55]
.LBB50_40:                              ;   in Loop: Header=BB50_4 Depth=1
	s_or_b64 exec, exec, s[52:53]
	v_cmp_nlt_f32_e64 s[52:53], |v18|, s79
                                        ; implicit-def: $sgpr20_sgpr21
                                        ; implicit-def: $vgpr26
                                        ; implicit-def: $vgpr11
	s_and_saveexec_b64 s[54:55], s[52:53]
	s_xor_b64 s[52:53], exec, s[54:55]
	s_cbranch_execz .LBB50_64
; %bb.41:                               ;   in Loop: Header=BB50_4 Depth=1
	v_div_scale_f32 v11, s[20:21], v14, v14, v22
	v_rcp_f32_e32 v15, v11
	v_div_scale_f32 v26, vcc, v22, v14, v22
	s_mov_b64 s[20:21], 0
	v_fma_f32 v57, -v11, v15, 1.0
	v_fmac_f32_e32 v15, v57, v15
	v_mul_f32_e32 v57, v26, v15
	v_fma_f32 v58, -v11, v57, v26
	v_fmac_f32_e32 v57, v58, v15
	v_fma_f32 v11, -v11, v57, v26
	v_div_fmas_f32 v11, v11, v15, v57
	v_div_fixup_f32 v11, v11, v14, |v18|
	v_cmp_lt_f32_e32 vcc, s80, v11
                                        ; implicit-def: $vgpr26
	s_and_saveexec_b64 s[54:55], vcc
	s_cbranch_execz .LBB50_63
; %bb.42:                               ;   in Loop: Header=BB50_4 Depth=1
	v_cmp_neq_f32_e64 s[20:21], |v18|, 1.0
	v_cmp_nlt_f32_e64 s[56:57], |v19|, s81
	s_or_b64 s[20:21], s[56:57], s[20:21]
                                        ; implicit-def: $sgpr58_sgpr59
                                        ; implicit-def: $vgpr26
	s_and_saveexec_b64 s[56:57], s[20:21]
	s_xor_b64 s[56:57], exec, s[56:57]
	s_cbranch_execz .LBB50_60
; %bb.43:                               ;   in Loop: Header=BB50_4 Depth=1
	v_mul_f32_e32 v15, 0x34000000, v56
	v_cmp_le_f32_e64 s[20:21], v15, |v19|
                                        ; implicit-def: $vgpr26
                                        ; implicit-def: $sgpr58_sgpr59
	s_and_saveexec_b64 s[60:61], s[20:21]
	s_xor_b64 s[60:61], exec, s[60:61]
	s_cbranch_execz .LBB50_53
; %bb.44:                               ;   in Loop: Header=BB50_4 Depth=1
	v_cmp_neq_f32_e32 vcc, 0, v24
	v_mov_b32_e32 v15, v27
	s_and_saveexec_b64 s[20:21], vcc
	s_cbranch_execz .LBB50_46
; %bb.45:                               ;   in Loop: Header=BB50_4 Depth=1
	v_mul_f32_e32 v15, v19, v19
	v_add_f32_e32 v18, v24, v55
	v_div_scale_f32 v24, s[58:59], v18, v18, v15
	v_rcp_f32_e32 v26, v24
	v_fma_f32 v55, -v24, v26, 1.0
	v_fmac_f32_e32 v26, v55, v26
	v_div_scale_f32 v55, vcc, v15, v18, v15
	v_mul_f32_e32 v56, v55, v26
	v_fma_f32 v57, -v24, v56, v55
	v_fmac_f32_e32 v56, v57, v26
	v_fma_f32 v24, -v24, v56, v55
	v_div_fmas_f32 v24, v24, v26, v56
	v_div_fixup_f32 v15, v24, v18, v15
.LBB50_46:                              ;   in Loop: Header=BB50_4 Depth=1
	s_or_b64 exec, exec, s[20:21]
	v_cmp_ngt_f32_e32 vcc, 0, v25
	s_and_saveexec_b64 s[20:21], vcc
	s_xor_b64 s[20:21], exec, s[20:21]
	s_cbranch_execz .LBB50_50
; %bb.47:                               ;   in Loop: Header=BB50_4 Depth=1
	v_cmp_neq_f32_e32 vcc, 0, v25
	s_and_saveexec_b64 s[58:59], vcc
	s_cbranch_execz .LBB50_49
; %bb.48:                               ;   in Loop: Header=BB50_4 Depth=1
	v_mul_f32_e32 v18, v19, v19
	v_add_f32_e32 v19, v25, v23
	v_div_scale_f32 v23, s[62:63], v19, v19, v18
	v_rcp_f32_e32 v24, v23
	v_fma_f32 v25, -v23, v24, 1.0
	v_fmac_f32_e32 v24, v25, v24
	v_div_scale_f32 v25, vcc, v18, v19, v18
	v_mul_f32_e32 v26, v25, v24
	v_fma_f32 v27, -v23, v26, v25
	v_fmac_f32_e32 v26, v27, v24
	v_fma_f32 v23, -v23, v26, v25
	v_div_fmas_f32 v23, v23, v24, v26
	v_div_fixup_f32 v27, v23, v19, v18
.LBB50_49:                              ;   in Loop: Header=BB50_4 Depth=1
	s_or_b64 exec, exec, s[58:59]
                                        ; implicit-def: $vgpr23
                                        ; implicit-def: $vgpr24_vgpr25
.LBB50_50:                              ;   in Loop: Header=BB50_4 Depth=1
	s_andn2_saveexec_b64 s[20:21], s[20:21]
; %bb.51:                               ;   in Loop: Header=BB50_4 Depth=1
	v_sub_f32_e32 v27, v23, v25
; %bb.52:                               ;   in Loop: Header=BB50_4 Depth=1
	s_or_b64 exec, exec, s[20:21]
	v_mul_f32_e32 v23, 0.5, v15
	v_mul_f32_e32 v15, 0.5, v27
	v_pk_add_f32 v[14:15], v[22:23], v[14:15]
	v_mul_f32_e32 v14, v14, v15
	v_mul_f32_e32 v15, 0x4f800000, v14
	v_cmp_gt_f32_e32 vcc, s71, v14
	v_cndmask_b32_e32 v14, v14, v15, vcc
	v_sqrt_f32_e32 v15, v14
	s_mov_b64 s[58:59], -1
                                        ; implicit-def: $vgpr24_vgpr25
	v_add_u32_e32 v18, -1, v15
	v_fma_f32 v19, -v18, v15, v14
	v_cmp_ge_f32_e64 s[20:21], 0, v19
	v_add_u32_e32 v19, 1, v15
	v_cndmask_b32_e64 v18, v15, v18, s[20:21]
	v_fma_f32 v15, -v19, v15, v14
	v_cmp_lt_f32_e64 s[20:21], 0, v15
	v_cndmask_b32_e64 v15, v18, v19, s[20:21]
	v_mul_f32_e32 v18, 0x37800000, v15
	v_cndmask_b32_e32 v15, v15, v18, vcc
	v_cmp_class_f32_e32 vcc, v14, v35
	v_cndmask_b32_e32 v26, v15, v14, vcc
                                        ; implicit-def: $vgpr19
.LBB50_53:                              ;   in Loop: Header=BB50_4 Depth=1
	s_andn2_saveexec_b64 s[60:61], s[60:61]
	s_cbranch_execz .LBB50_59
; %bb.54:                               ;   in Loop: Header=BB50_4 Depth=1
	v_cmp_ngt_f32_e64 s[20:21], |v18|, 1.0
                                        ; implicit-def: $vgpr26
                                        ; implicit-def: $sgpr62_sgpr63
	s_and_saveexec_b64 s[64:65], s[20:21]
	s_xor_b64 s[64:65], exec, s[64:65]
	s_cbranch_execz .LBB50_56
; %bb.55:                               ;   in Loop: Header=BB50_4 Depth=1
	v_sub_f32_e64 v14, 1.0, |v18|
	v_mul_f32_e32 v14, v14, v24
	v_mul_f32_e32 v15, 0x4f800000, v14
	v_cmp_gt_f32_e32 vcc, s71, v14
	v_cndmask_b32_e32 v14, v14, v15, vcc
	v_sqrt_f32_e32 v15, v14
	s_mov_b64 s[62:63], -1
                                        ; implicit-def: $vgpr24_vgpr25
	v_add_u32_e32 v18, -1, v15
	v_fma_f32 v23, -v18, v15, v14
	v_add_u32_e32 v19, 1, v15
	v_cmp_ge_f32_e64 s[20:21], 0, v23
	v_cndmask_b32_e64 v18, v15, v18, s[20:21]
	v_fma_f32 v15, -v19, v15, v14
	v_cmp_lt_f32_e64 s[20:21], 0, v15
	v_cndmask_b32_e64 v15, v18, v19, s[20:21]
	v_mul_f32_e32 v18, 0x37800000, v15
	v_cndmask_b32_e32 v15, v15, v18, vcc
	v_cmp_class_f32_e32 vcc, v14, v35
	v_cndmask_b32_e32 v26, v15, v14, vcc
                                        ; implicit-def: $vgpr19
.LBB50_56:                              ;   in Loop: Header=BB50_4 Depth=1
	s_andn2_saveexec_b64 s[64:65], s[64:65]
	s_cbranch_execz .LBB50_58
; %bb.57:                               ;   in Loop: Header=BB50_4 Depth=1
	v_mul_f32_e32 v14, v24, v25
	v_mul_f32_e32 v15, 0x4f800000, v14
	v_cmp_gt_f32_e32 vcc, s71, v14
	v_cndmask_b32_e32 v14, v14, v15, vcc
	v_sqrt_f32_e32 v15, v14
	v_mul_f32_e64 v19, |v19|, s82
	v_mul_f32_e64 v19, |v18|, v19
	s_or_b64 s[62:63], s[62:63], exec
	v_add_u32_e32 v22, -1, v15
	v_fma_f32 v23, -v22, v15, v14
	v_cmp_ge_f32_e64 s[20:21], 0, v23
	v_add_u32_e32 v23, 1, v15
	v_cndmask_b32_e64 v22, v15, v22, s[20:21]
	v_fma_f32 v15, -v23, v15, v14
	v_cmp_lt_f32_e64 s[20:21], 0, v15
	v_cndmask_b32_e64 v15, v22, v23, s[20:21]
	v_mul_f32_e32 v22, 0x37800000, v15
	v_cndmask_b32_e32 v15, v15, v22, vcc
	v_cmp_class_f32_e32 vcc, v14, v35
	v_cndmask_b32_e32 v14, v15, v14, vcc
	v_div_scale_f32 v15, s[20:21], v14, v14, v19
	v_rcp_f32_e32 v22, v15
	v_fma_f32 v23, -v15, v22, 1.0
	v_fmac_f32_e32 v22, v23, v22
	v_div_scale_f32 v23, vcc, v19, v14, v19
	v_mul_f32_e32 v24, v23, v22
	v_fma_f32 v25, -v15, v24, v23
	v_fmac_f32_e32 v24, v25, v22
	v_fma_f32 v15, -v15, v24, v23
	v_div_fmas_f32 v15, v15, v22, v24
	v_div_fixup_f32 v26, v15, v14, v19
	v_mul_f32_e64 v22, |v18|, s82
.LBB50_58:                              ;   in Loop: Header=BB50_4 Depth=1
	s_or_b64 exec, exec, s[64:65]
	s_andn2_b64 s[20:21], s[58:59], exec
	s_and_b64 s[58:59], s[62:63], exec
	s_or_b64 s[58:59], s[20:21], s[58:59]
.LBB50_59:                              ;   in Loop: Header=BB50_4 Depth=1
	s_or_b64 exec, exec, s[60:61]
	s_and_b64 s[58:59], s[58:59], exec
                                        ; implicit-def: $vgpr19
                                        ; implicit-def: $vgpr14
.LBB50_60:                              ;   in Loop: Header=BB50_4 Depth=1
	s_andn2_saveexec_b64 s[56:57], s[56:57]
	s_cbranch_execz .LBB50_62
; %bb.61:                               ;   in Loop: Header=BB50_4 Depth=1
	v_mul_f32_e64 v15, |v19|, s72
	v_cmp_lt_f32_e64 vcc, |v19|, s71
	v_cndmask_b32_e64 v15, |v19|, v15, vcc
	v_sqrt_f32_e32 v18, v15
	v_add_f32_e32 v14, 1.0, v14
	v_mul_f32_e32 v14, 0.5, v14
	s_or_b64 s[58:59], s[58:59], exec
	v_add_u32_e32 v19, -1, v18
	v_fma_f32 v23, -v19, v18, v15
	v_add_u32_e32 v22, 1, v18
	v_cmp_ge_f32_e64 s[20:21], 0, v23
	v_cndmask_b32_e64 v19, v18, v19, s[20:21]
	v_fma_f32 v18, -v22, v18, v15
	v_cmp_lt_f32_e64 s[20:21], 0, v18
	v_cndmask_b32_e64 v18, v19, v22, s[20:21]
	v_mul_f32_e32 v22, 0x4f800000, v14
	v_cmp_gt_f32_e64 s[20:21], s71, v14
	v_cndmask_b32_e64 v14, v14, v22, s[20:21]
	v_sqrt_f32_e32 v22, v14
	v_mul_f32_e32 v19, 0x37800000, v18
	v_cndmask_b32_e32 v18, v18, v19, vcc
	v_cmp_class_f32_e32 vcc, v15, v35
	v_cndmask_b32_e32 v15, v18, v15, vcc
	v_add_u32_e32 v18, -1, v22
	v_fma_f32 v19, -v18, v22, v14
	v_cmp_ge_f32_e32 vcc, 0, v19
	v_add_u32_e32 v19, 1, v22
	v_cndmask_b32_e32 v18, v22, v18, vcc
	v_fma_f32 v22, -v19, v22, v14
	v_cmp_lt_f32_e32 vcc, 0, v22
	v_cndmask_b32_e32 v18, v18, v19, vcc
	v_mul_f32_e32 v19, 0x37800000, v18
	v_cndmask_b32_e64 v18, v18, v19, s[20:21]
	v_cmp_class_f32_e32 vcc, v14, v35
	v_cndmask_b32_e32 v14, v18, v14, vcc
	v_mul_f32_e32 v26, v15, v14
	v_mov_b32_e32 v22, 1.0
.LBB50_62:                              ;   in Loop: Header=BB50_4 Depth=1
	s_or_b64 exec, exec, s[56:57]
	s_and_b64 s[20:21], s[58:59], exec
.LBB50_63:                              ;   in Loop: Header=BB50_4 Depth=1
	s_or_b64 exec, exec, s[54:55]
	s_and_b64 s[20:21], s[20:21], exec
                                        ; implicit-def: $vgpr14
.LBB50_64:                              ;   in Loop: Header=BB50_4 Depth=1
	s_andn2_saveexec_b64 s[52:53], s[52:53]
; %bb.65:                               ;   in Loop: Header=BB50_4 Depth=1
	v_mov_b32_e32 v15, v22
	v_pk_mul_f32 v[26:27], v[14:15], s[40:41] op_sel_hi:[1,0]
	s_or_b64 s[20:21], s[20:21], exec
	v_mov_b32_e32 v22, v27
                                        ; implicit-def: $vgpr11
; %bb.66:                               ;   in Loop: Header=BB50_4 Depth=1
	s_or_b64 exec, exec, s[52:53]
	s_xor_b64 s[20:21], s[20:21], -1
                                        ; implicit-def: $vgpr14
	s_and_saveexec_b64 s[52:53], s[20:21]
	s_xor_b64 s[52:53], exec, s[52:53]
	s_cbranch_execz .LBB50_72
; %bb.67:                               ;   in Loop: Header=BB50_4 Depth=1
	v_mul_f32_e32 v15, v11, v11
	v_fma_f32 v18, |v11|, -0.5, 0.5
                                        ; implicit-def: $vgpr14
	s_and_saveexec_b64 s[20:21], s[18:19]
	s_xor_b64 s[20:21], exec, s[20:21]
	s_cbranch_execz .LBB50_69
; %bb.68:                               ;   in Loop: Header=BB50_4 Depth=1
	v_cmp_gt_f32_e64 vcc, |v11|, 0.5
	v_cndmask_b32_e32 v14, v15, v18, vcc
	v_mov_b32_e32 v15, 0x3c5fc5da
	v_fmac_f32_e32 v15, 0x3d1c21a7, v14
	v_fma_f32 v15, v14, v15, v37
	v_fma_f32 v15, v14, v15, v38
	v_sqrt_f32_e32 v18, v14
	v_fma_f32 v15, v14, v15, v39
	v_fma_f32 v15, v14, v15, v40
	v_mul_f32_e32 v14, v14, v15
	v_fmac_f32_e32 v18, v18, v14
	v_fmac_f32_e32 v11, v11, v14
	v_add_f32_e32 v15, v18, v18
	v_sub_f32_e32 v11, 0x3fc90fdb, v11
	v_cndmask_b32_e32 v14, v11, v15, vcc
                                        ; implicit-def: $vgpr11
                                        ; implicit-def: $vgpr15
                                        ; implicit-def: $vgpr18
.LBB50_69:                              ;   in Loop: Header=BB50_4 Depth=1
	s_andn2_saveexec_b64 s[54:55], s[20:21]
	s_cbranch_execz .LBB50_71
; %bb.70:                               ;   in Loop: Header=BB50_4 Depth=1
	v_cmp_gt_f32_e64 vcc, |v11|, 0.5
	v_cndmask_b32_e32 v14, v15, v18, vcc
	v_mov_b32_e32 v15, 0x3c5fc5da
	v_fmac_f32_e32 v15, 0x3d1c21a7, v14
	v_fma_f32 v15, v14, v15, v37
	v_fma_f32 v15, v14, v15, v38
	v_sqrt_f32_e32 v18, v14
	v_fma_f32 v15, v14, v15, v39
	v_fma_f32 v15, v14, v15, v40
	v_mul_f32_e32 v14, v14, v15
	v_fmac_f32_e32 v18, v18, v14
	v_add_f32_e32 v15, v18, v18
	v_sub_f32_e32 v18, 0x40490fdb, v15
	v_cmp_lt_f32_e64 s[20:21], 0, v11
	v_fma_f32 v11, -v11, v14, -v11
	v_cndmask_b32_e64 v15, v15, v18, s[20:21]
	v_sub_f32_e32 v11, 0x3fc90fdb, v11
	v_cndmask_b32_e32 v14, v11, v15, vcc
.LBB50_71:                              ;   in Loop: Header=BB50_4 Depth=1
	s_or_b64 exec, exec, s[54:55]
                                        ; implicit-def: $vgpr22
                                        ; implicit-def: $vgpr26
.LBB50_72:                              ;   in Loop: Header=BB50_4 Depth=1
	s_andn2_saveexec_b64 s[20:21], s[52:53]
	s_cbranch_execz .LBB50_78
; %bb.73:                               ;   in Loop: Header=BB50_4 Depth=1
	v_max_f32_e64 v14, |v26|, |v26|
	v_max_f32_e32 v15, v22, v22
	v_cmp_class_f32_e64 s[52:53], v26, s83
	v_min_f32_e32 v11, v15, v14
	v_max_f32_e32 v15, v15, v14
                                        ; implicit-def: $vgpr14
	s_and_saveexec_b64 s[54:55], s[18:19]
	s_xor_b64 s[18:19], exec, s[54:55]
	s_cbranch_execz .LBB50_75
; %bb.74:                               ;   in Loop: Header=BB50_4 Depth=1
	v_frexp_mant_f32_e32 v14, v15
	v_rcp_f32_e32 v14, v14
	v_frexp_exp_i32_f32_e32 v15, v15
	v_frexp_exp_i32_f32_e32 v18, v11
	v_frexp_mant_f32_e32 v11, v11
	v_mul_f32_e32 v11, v11, v14
	v_sub_u32_e32 v14, v18, v15
	v_ldexp_f32 v11, v11, v14
	v_mul_f32_e32 v14, v11, v11
	v_mov_b32_e32 v15, 0xbc7a590c
	v_fmac_f32_e32 v15, 0x3b2d2a58, v14
	v_fma_f32 v15, v14, v15, v41
	v_fma_f32 v15, v14, v15, v42
	;; [unrolled: 1-line block ×6, first 2 shown]
	v_mul_f32_e32 v14, v14, v15
	v_fmac_f32_e32 v11, v11, v14
	v_sub_f32_e32 v14, 0x3fc90fdb, v11
	v_cmp_gt_f32_e64 vcc, |v26|, v22
	v_cndmask_b32_e32 v11, v11, v14, vcc
	v_cmp_neq_f32_e32 vcc, 0, v26
	v_cndmask_b32_e32 v11, 0, v11, vcc
	v_cmp_eq_f32_e32 vcc, s69, v22
	s_and_b64 vcc, vcc, s[52:53]
	v_cndmask_b32_e32 v11, v11, v52, vcc
	v_cmp_o_f32_e32 vcc, v22, v26
	v_cndmask_b32_e32 v11, v50, v11, vcc
	v_bfi_b32 v14, s68, v11, v26
                                        ; implicit-def: $vgpr15
                                        ; implicit-def: $vgpr11
                                        ; implicit-def: $vgpr22
                                        ; implicit-def: $vgpr26
.LBB50_75:                              ;   in Loop: Header=BB50_4 Depth=1
	s_andn2_saveexec_b64 s[54:55], s[18:19]
	s_cbranch_execz .LBB50_77
; %bb.76:                               ;   in Loop: Header=BB50_4 Depth=1
	v_frexp_mant_f32_e32 v14, v15
	v_rcp_f32_e32 v14, v14
	v_frexp_exp_i32_f32_e32 v15, v15
	v_frexp_exp_i32_f32_e32 v18, v11
	v_frexp_mant_f32_e32 v11, v11
	v_mul_f32_e32 v11, v11, v14
	v_sub_u32_e32 v14, v18, v15
	v_ldexp_f32 v11, v11, v14
	v_mul_f32_e32 v14, v11, v11
	v_mov_b32_e32 v15, 0xbc7a590c
	v_fmac_f32_e32 v15, 0x3b2d2a58, v14
	v_fma_f32 v15, v14, v15, v41
	v_fma_f32 v15, v14, v15, v42
	;; [unrolled: 1-line block ×6, first 2 shown]
	v_mul_f32_e32 v14, v14, v15
	v_fmac_f32_e32 v11, v11, v14
	v_sub_f32_e32 v14, 0x3fc90fdb, v11
	v_cmp_gt_f32_e64 vcc, |v26|, v22
	v_cndmask_b32_e32 v11, v11, v14, vcc
	v_sub_f32_e32 v14, 0x40490fdb, v11
	v_cmp_lt_f32_e32 vcc, 0, v22
	v_cndmask_b32_e32 v11, v11, v14, vcc
	v_cmp_neq_f32_e64 s[18:19], 0, v26
	v_cndmask_b32_e32 v14, v52, v54, vcc
	v_cmp_eq_f32_e32 vcc, s69, v22
	v_cndmask_b32_e64 v11, v53, v11, s[18:19]
	s_and_b64 vcc, vcc, s[52:53]
	v_cndmask_b32_e32 v11, v11, v14, vcc
	v_cmp_o_f32_e64 vcc, v26, -v22
	v_cndmask_b32_e32 v11, v50, v11, vcc
	v_bfi_b32 v14, s68, v11, v26
.LBB50_77:                              ;   in Loop: Header=BB50_4 Depth=1
	s_or_b64 exec, exec, s[54:55]
.LBB50_78:                              ;   in Loop: Header=BB50_4 Depth=1
	s_or_b64 exec, exec, s[20:21]
	v_cndmask_b32_e64 v15, -v9, v9, s[14:15]
                                        ; implicit-def: $vgpr18
.LBB50_79:                              ;   in Loop: Header=BB50_4 Depth=1
	s_andn2_saveexec_b64 s[18:19], s[50:51]
	s_cbranch_execz .LBB50_81
; %bb.80:                               ;   in Loop: Header=BB50_4 Depth=1
	v_pk_mov_b32 v[14:15], s[28:29], s[28:29] op_sel:[0,1]
	flat_load_dword v9, v[14:15] glc
	s_waitcnt vmcnt(0)
	v_xor_b32_e32 v15, 0x80000000, v19
	s_waitcnt lgkmcnt(0)
	v_sub_f32_e32 v9, v9, v18
	v_add_f32_e32 v14, 0x3fc90fdb, v9
.LBB50_81:                              ;   in Loop: Header=BB50_4 Depth=1
	s_or_b64 exec, exec, s[18:19]
                                        ; implicit-def: $vgpr19
.LBB50_82:                              ;   in Loop: Header=BB50_4 Depth=1
	s_andn2_saveexec_b64 s[18:19], s[48:49]
; %bb.83:                               ;   in Loop: Header=BB50_4 Depth=1
	v_xor_b32_e32 v15, 0x80000000, v19
	v_mov_b32_e32 v14, 0
; %bb.84:                               ;   in Loop: Header=BB50_4 Depth=1
	s_or_b64 exec, exec, s[18:19]
                                        ; implicit-def: $vgpr18
                                        ; implicit-def: $vgpr22
                                        ; implicit-def: $vgpr9
                                        ; implicit-def: $vgpr11
.LBB50_85:                              ;   in Loop: Header=BB50_4 Depth=1
	s_andn2_saveexec_b64 s[46:47], s[46:47]
	s_cbranch_execz .LBB50_95
; %bb.86:                               ;   in Loop: Header=BB50_4 Depth=1
	v_cmp_lt_f32_e64 s[18:19], |v18|, |v19|
	v_cndmask_b32_e64 v23, |v18|, |v19|, s[18:19]
	v_cmp_nlt_f32_e32 vcc, s84, v23
                                        ; implicit-def: $vgpr15
                                        ; implicit-def: $vgpr14
	s_and_saveexec_b64 s[20:21], vcc
	s_xor_b64 s[48:49], exec, s[20:21]
	s_cbranch_execz .LBB50_92
; %bb.87:                               ;   in Loop: Header=BB50_4 Depth=1
	v_cndmask_b32_e64 v24, |v19|, |v18|, s[18:19]
	v_cmp_nlt_f32_e32 vcc, s85, v23
	v_cmp_ngt_f32_e64 s[20:21], s86, v24
	s_and_b64 s[20:21], vcc, s[20:21]
                                        ; implicit-def: $vgpr15
                                        ; implicit-def: $vgpr14
	s_and_saveexec_b64 s[50:51], s[20:21]
	s_xor_b64 s[20:21], exec, s[50:51]
	s_cbranch_execz .LBB50_89
; %bb.88:                               ;   in Loop: Header=BB50_4 Depth=1
	v_mul_f32_e32 v14, v24, v24
	v_fmac_f32_e32 v14, v23, v23
	v_cmp_gt_f32_e32 vcc, s73, v14
	v_cndmask_b32_e32 v15, 1.0, v48, vcc
	v_mul_f32_e32 v14, v14, v15
	v_log_f32_e32 v14, v14
	v_cndmask_b32_e32 v15, 0, v49, vcc
	v_min_f32_e32 v9, v22, v9
	v_frexp_exp_i32_f32_e32 v22, v9
	v_mul_f32_e32 v23, 0x3f317217, v14
	v_fma_f32 v24, v14, s74, -v23
	v_fmac_f32_e32 v24, 0x3377d1cf, v14
	v_add_f32_e32 v23, v23, v24
	v_cmp_lt_f32_e64 vcc, |v14|, s69
	v_cndmask_b32_e32 v14, v14, v23, vcc
	v_sub_f32_e32 v14, v14, v15
	v_mul_f32_e32 v15, 0.5, v14
	s_waitcnt vmcnt(0) lgkmcnt(0)
	v_frexp_mant_f32_e32 v14, v11
	v_rcp_f32_e32 v14, v14
	v_frexp_exp_i32_f32_e32 v11, v11
	v_frexp_mant_f32_e32 v9, v9
	v_sub_u32_e32 v11, v22, v11
	v_mul_f32_e32 v9, v9, v14
	v_ldexp_f32 v14, v9, v11
	v_mul_f32_e32 v9, v14, v14
	v_mov_b32_e32 v11, 0xbc7a590c
	v_fmac_f32_e32 v11, 0x3b2d2a58, v9
	v_fma_f32 v11, v9, v11, v41
	v_fma_f32 v11, v9, v11, v42
	;; [unrolled: 1-line block ×6, first 2 shown]
	v_mul_f32_e32 v9, v9, v11
	v_fmac_f32_e32 v14, v14, v9
                                        ; implicit-def: $vgpr11
                                        ; implicit-def: $vgpr22
                                        ; implicit-def: $vgpr9
.LBB50_89:                              ;   in Loop: Header=BB50_4 Depth=1
	s_andn2_saveexec_b64 s[20:21], s[20:21]
	s_cbranch_execz .LBB50_91
; %bb.90:                               ;   in Loop: Header=BB50_4 Depth=1
	s_waitcnt vmcnt(0) lgkmcnt(0)
	v_cvt_f64_f32_e32 v[14:15], v11
	v_frexp_exp_i32_f64_e32 v14, v[14:15]
	v_sub_u32_e32 v15, 0, v14
	v_ldexp_f32 v23, |v18|, v15
	v_ldexp_f32 v15, |v19|, v15
	v_mul_f32_e32 v15, v15, v15
	v_fmac_f32_e32 v15, v23, v23
	v_sqrt_f32_e32 v15, v15
	v_cmp_neq_f32_e32 vcc, s69, v11
	v_min_f32_e32 v9, v22, v9
	v_ldexp_f32 v14, v15, v14
	v_cndmask_b32_e32 v14, v47, v14, vcc
	v_cmp_gt_f32_e32 vcc, s73, v14
	v_cndmask_b32_e32 v15, 1.0, v48, vcc
	v_mul_f32_e32 v14, v14, v15
	v_log_f32_e32 v14, v14
	v_cndmask_b32_e32 v15, 0, v49, vcc
	v_mul_f32_e32 v22, 0x3f317217, v14
	v_fma_f32 v23, v14, s74, -v22
	v_fmac_f32_e32 v23, 0x3377d1cf, v14
	v_add_f32_e32 v22, v22, v23
	v_cmp_lt_f32_e64 vcc, |v14|, s69
	v_cndmask_b32_e32 v14, v14, v22, vcc
	v_sub_f32_e32 v15, v14, v15
	v_frexp_mant_f32_e32 v14, v11
	v_rcp_f32_e32 v14, v14
	v_frexp_exp_i32_f32_e32 v11, v11
	v_frexp_exp_i32_f32_e32 v22, v9
	v_frexp_mant_f32_e32 v9, v9
	v_mul_f32_e32 v9, v9, v14
	v_sub_u32_e32 v11, v22, v11
	v_ldexp_f32 v14, v9, v11
	v_mul_f32_e32 v9, v14, v14
	v_mov_b32_e32 v11, 0xbc7a590c
	v_fmac_f32_e32 v11, 0x3b2d2a58, v9
	v_fma_f32 v11, v9, v11, v41
	v_fma_f32 v11, v9, v11, v42
	;; [unrolled: 1-line block ×6, first 2 shown]
	v_mul_f32_e32 v9, v9, v11
	v_fmac_f32_e32 v14, v14, v9
.LBB50_91:                              ;   in Loop: Header=BB50_4 Depth=1
	s_or_b64 exec, exec, s[20:21]
                                        ; implicit-def: $vgpr22
                                        ; implicit-def: $vgpr9
                                        ; implicit-def: $vgpr11
.LBB50_92:                              ;   in Loop: Header=BB50_4 Depth=1
	s_andn2_saveexec_b64 s[48:49], s[48:49]
	s_cbranch_execz .LBB50_94
; %bb.93:                               ;   in Loop: Header=BB50_4 Depth=1
	v_div_scale_f32 v14, s[20:21], s87, s87, v18
	v_rcp_f32_e32 v15, v14
	v_div_scale_f32 v23, vcc, v18, s87, v18
	v_min_f32_e32 v9, v22, v9
	v_fma_f32 v24, -v14, v15, 1.0
	v_fmac_f32_e32 v15, v24, v15
	v_mul_f32_e32 v24, v23, v15
	v_fma_f32 v25, -v14, v24, v23
	v_fmac_f32_e32 v24, v25, v15
	v_fma_f32 v14, -v14, v24, v23
	v_div_scale_f32 v23, s[20:21], s87, s87, v19
	v_rcp_f32_e32 v25, v23
	v_div_fmas_f32 v14, v14, v15, v24
	v_div_fixup_f32 v24, v14, s87, v18
	v_frexp_exp_i32_f32_e32 v22, v9
	v_fma_f32 v14, -v23, v25, 1.0
	v_fmac_f32_e32 v25, v14, v25
	v_div_scale_f32 v14, vcc, v19, s87, v19
	v_mul_f32_e32 v15, v14, v25
	v_fma_f32 v26, -v23, v15, v14
	v_fmac_f32_e32 v15, v26, v25
	v_fma_f32 v14, -v23, v15, v14
	v_div_fmas_f32 v14, v14, v25, v15
	v_div_fixup_f32 v23, v14, s87, v19
	v_max_f32_e64 v25, |v24|, |v23|
	v_cvt_f64_f32_e32 v[14:15], v25
	v_frexp_exp_i32_f64_e32 v14, v[14:15]
	v_sub_u32_e32 v15, 0, v14
	v_ldexp_f32 v24, |v24|, v15
	v_ldexp_f32 v15, |v23|, v15
	v_mul_f32_e32 v15, v15, v15
	v_fmac_f32_e32 v15, v24, v24
	v_sqrt_f32_e32 v15, v15
	v_cmp_neq_f32_e32 vcc, s69, v25
	v_frexp_mant_f32_e32 v9, v9
	v_ldexp_f32 v14, v15, v14
	v_cndmask_b32_e32 v14, v47, v14, vcc
	v_cmp_gt_f32_e32 vcc, s73, v14
	v_cndmask_b32_e32 v15, 1.0, v48, vcc
	v_mul_f32_e32 v14, v14, v15
	v_log_f32_e32 v14, v14
	v_mul_f32_e32 v15, 0x3f317217, v14
	v_fma_f32 v23, v14, s74, -v15
	v_fmac_f32_e32 v23, 0x3377d1cf, v14
	v_add_f32_e32 v15, v15, v23
	v_cmp_lt_f32_e64 s[20:21], |v14|, s69
	v_cndmask_b32_e64 v14, v14, v15, s[20:21]
	v_cndmask_b32_e32 v15, 0, v49, vcc
	v_sub_f32_e32 v14, v14, v15
	v_add_f32_e32 v15, 1.0, v14
	s_waitcnt vmcnt(0) lgkmcnt(0)
	v_frexp_mant_f32_e32 v14, v11
	v_rcp_f32_e32 v14, v14
	v_frexp_exp_i32_f32_e32 v11, v11
	v_sub_u32_e32 v11, v22, v11
	v_mul_f32_e32 v9, v9, v14
	v_ldexp_f32 v14, v9, v11
	v_mul_f32_e32 v9, v14, v14
	v_mov_b32_e32 v11, 0xbc7a590c
	v_fmac_f32_e32 v11, 0x3b2d2a58, v9
	v_fma_f32 v11, v9, v11, v41
	v_fma_f32 v11, v9, v11, v42
	;; [unrolled: 1-line block ×6, first 2 shown]
	v_mul_f32_e32 v9, v9, v11
	v_fmac_f32_e32 v14, v14, v9
.LBB50_94:                              ;   in Loop: Header=BB50_4 Depth=1
	s_or_b64 exec, exec, s[48:49]
	v_sub_f32_e32 v9, 0x3fc90fdb, v14
	v_cndmask_b32_e64 v9, v14, v9, s[18:19]
	s_waitcnt vmcnt(0) lgkmcnt(0)
	v_sub_f32_e32 v11, 0x40490fdb, v9
	v_cmp_gt_f32_e32 vcc, 0, v18
	v_cndmask_b32_e32 v9, v9, v11, vcc
	v_cndmask_b32_e64 v11, 0, v53, s[16:17]
	v_cmp_eq_f32_e64 s[16:17], 0, v19
	v_cndmask_b32_e64 v9, v9, v11, s[16:17]
	v_cmp_class_f32_e64 s[16:17], v18, s83
	v_cmp_class_f32_e64 s[18:19], v19, s83
	v_cndmask_b32_e32 v11, v52, v54, vcc
	s_and_b64 vcc, s[18:19], s[16:17]
	v_cndmask_b32_e32 v9, v9, v11, vcc
	v_cmp_o_f32_e32 vcc, v18, v19
	v_cndmask_b32_e64 v14, v50, |v9|, vcc
	v_add_f32_e32 v9, 0x3f317218, v15
	v_cndmask_b32_e64 v15, -v9, v9, s[14:15]
.LBB50_95:                              ;   in Loop: Header=BB50_4 Depth=1
	s_or_b64 exec, exec, s[46:47]
                                        ; implicit-def: $vgpr19
.LBB50_96:                              ;   in Loop: Header=BB50_4 Depth=1
	s_andn2_saveexec_b64 s[14:15], s[44:45]
	s_cbranch_execz .LBB50_110
; %bb.97:                               ;   in Loop: Header=BB50_4 Depth=1
	v_cmp_neq_f32_e64 s[16:17], |v18|, s69
                                        ; implicit-def: $vgpr15
	s_and_saveexec_b64 s[18:19], s[16:17]
	s_xor_b64 s[16:17], exec, s[18:19]
	s_cbranch_execz .LBB50_107
; %bb.98:                               ;   in Loop: Header=BB50_4 Depth=1
	v_cmp_neq_f32_e64 s[18:19], |v19|, s69
                                        ; implicit-def: $vgpr15
	s_and_saveexec_b64 s[20:21], s[18:19]
	s_xor_b64 s[18:19], exec, s[20:21]
	s_cbranch_execz .LBB50_104
; %bb.99:                               ;   in Loop: Header=BB50_4 Depth=1
	v_cmp_neq_f32_e32 vcc, 0, v18
                                        ; implicit-def: $vgpr15
	s_and_saveexec_b64 s[20:21], vcc
	s_xor_b64 s[20:21], exec, s[20:21]
; %bb.100:                              ;   in Loop: Header=BB50_4 Depth=1
	v_add_f32_e32 v9, 0, v19
	v_add_f32_e32 v15, v9, v18
                                        ; implicit-def: $vgpr19
; %bb.101:                              ;   in Loop: Header=BB50_4 Depth=1
	s_or_saveexec_b64 s[20:21], s[20:21]
	v_mov_b32_e32 v14, v15
	s_xor_b64 exec, exec, s[20:21]
	s_cbranch_execz .LBB50_103
; %bb.102:                              ;   in Loop: Header=BB50_4 Depth=1
	v_pk_mov_b32 v[14:15], s[28:29], s[28:29] op_sel:[0,1]
	flat_load_dword v9, v[14:15] glc
	s_waitcnt vmcnt(0)
	v_add_f32_e32 v15, v19, v19
	s_waitcnt lgkmcnt(0)
	v_add_f32_e32 v14, 0x3fc90fdb, v9
.LBB50_103:                             ;   in Loop: Header=BB50_4 Depth=1
	s_or_b64 exec, exec, s[20:21]
                                        ; implicit-def: $vgpr18
.LBB50_104:                             ;   in Loop: Header=BB50_4 Depth=1
	s_andn2_saveexec_b64 s[18:19], s[18:19]
; %bb.105:                              ;   in Loop: Header=BB50_4 Depth=1
	v_add_f32_e32 v14, v18, v18
	v_xor_b32_e32 v15, 0x80000000, v19
; %bb.106:                              ;   in Loop: Header=BB50_4 Depth=1
	s_or_b64 exec, exec, s[18:19]
                                        ; implicit-def: $vgpr19
.LBB50_107:                             ;   in Loop: Header=BB50_4 Depth=1
	s_andn2_saveexec_b64 s[16:17], s[16:17]
; %bb.108:                              ;   in Loop: Header=BB50_4 Depth=1
	v_add_f32_e32 v14, v19, v19
	v_mov_b32_e32 v15, 0xff800000
; %bb.109:                              ;   in Loop: Header=BB50_4 Depth=1
	s_or_b64 exec, exec, s[16:17]
.LBB50_110:                             ;   in Loop: Header=BB50_4 Depth=1
	s_or_b64 exec, exec, s[14:15]
	v_cmp_o_f32_e32 vcc, v20, v20
	v_cmp_o_f32_e64 s[14:15], v21, v21
	v_pk_mov_b32 v[18:19], s[28:29], s[28:29] op_sel:[0,1]
	s_and_b64 s[14:15], vcc, s[14:15]
	flat_store_dword v[18:19], v33
	s_waitcnt vmcnt(0)
                                        ; implicit-def: $vgpr19
	s_and_saveexec_b64 s[16:17], s[14:15]
	s_xor_b64 s[44:45], exec, s[16:17]
	s_cbranch_execz .LBB50_194
; %bb.111:                              ;   in Loop: Header=BB50_4 Depth=1
	v_max_f32_e64 v22, |v20|, |v20|
	v_max_f32_e64 v9, |v21|, |v21|
	s_waitcnt vmcnt(0) lgkmcnt(0)
	v_max_f32_e32 v11, v9, v22
	v_cmp_gt_i32_e64 s[16:17], 0, v20
	v_cmp_lt_i32_e64 s[18:19], -1, v20
	v_cmp_gt_i32_e64 s[14:15], 0, v21
	v_cmp_nlt_f32_e32 vcc, s66, v11
                                        ; implicit-def: $vgpr19
	s_and_saveexec_b64 s[20:21], vcc
	s_xor_b64 s[46:47], exec, s[20:21]
	s_cbranch_execz .LBB50_183
; %bb.112:                              ;   in Loop: Header=BB50_4 Depth=1
	v_cmp_neq_f32_e32 vcc, 1.0, v20
	v_cmp_neq_f32_e64 s[20:21], 0, v21
	s_or_b64 s[20:21], s[20:21], vcc
                                        ; implicit-def: $vgpr19
	s_and_saveexec_b64 s[48:49], s[20:21]
	s_xor_b64 s[48:49], exec, s[48:49]
	s_cbranch_execz .LBB50_180
; %bb.113:                              ;   in Loop: Header=BB50_4 Depth=1
	v_pk_mov_b32 v[18:19], s[30:31], s[30:31] op_sel:[0,1]
	flat_store_dword v[18:19], v34
	s_waitcnt vmcnt(0)
	flat_load_dword v11, v[18:19] glc
	s_waitcnt vmcnt(0)
	v_pk_mov_b32 v[18:19], s[34:35], s[34:35] op_sel:[0,1]
	v_cmp_nlt_f32_e64 s[20:21], |v20|, s67
	v_cmp_nlt_f32_e64 s[50:51], |v21|, s67
	s_or_b64 s[20:21], s[50:51], s[20:21]
	s_waitcnt lgkmcnt(0)
	v_add_f32_e32 v11, 1.0, v11
	flat_store_dword v[18:19], v11
	s_waitcnt vmcnt(0)
	flat_load_dword v11, v[18:19] glc
	s_waitcnt vmcnt(0)
                                        ; implicit-def: $vgpr19
	s_and_saveexec_b64 s[50:51], s[20:21]
	s_xor_b64 s[50:51], exec, s[50:51]
	s_cbranch_execz .LBB50_177
; %bb.114:                              ;   in Loop: Header=BB50_4 Depth=1
	v_and_b32_e32 v22, 0x7fffffff, v20
	v_pk_add_f32 v[24:25], v[22:23], s[38:39] op_sel_hi:[0,1]
	s_waitcnt vmcnt(0) lgkmcnt(0)
	v_max_f32_e64 v11, v9, |v25|
	v_max_f32_e64 v9, v9, |v24|
	v_cvt_f64_f32_e32 v[18:19], v9
	v_frexp_exp_i32_f64_e32 v23, v[18:19]
	v_sub_u32_e32 v18, 0, v23
	v_ldexp_f32 v19, |v21|, v18
	v_ldexp_f32 v18, |v24|, v18
	v_mul_f32_e32 v18, v18, v18
	v_fmac_f32_e32 v18, v19, v19
	v_sqrt_f32_e32 v26, v18
	v_cvt_f64_f32_e32 v[18:19], v11
	v_frexp_exp_i32_f64_e32 v18, v[18:19]
	v_sub_u32_e32 v19, 0, v18
	v_ldexp_f32 v27, |v21|, v19
	v_ldexp_f32 v19, |v25|, v19
	v_mul_f32_e32 v19, v19, v19
	v_fmac_f32_e32 v19, v27, v27
	v_sqrt_f32_e32 v19, v19
	v_cmp_neq_f32_e32 vcc, s69, v11
	v_ldexp_f32 v26, v26, v23
	v_ldexp_f32 v18, v19, v18
	v_cndmask_b32_e32 v23, v47, v18, vcc
	v_cmp_neq_f32_e32 vcc, s69, v9
	v_cndmask_b32_e32 v55, v47, v26, vcc
	v_add_f32_e32 v9, v55, v23
	v_mul_f32_e32 v9, 0.5, v9
	v_cmp_ngt_f32_e32 vcc, 1.0, v9
	v_cndmask_b32_e32 v18, 1.0, v9, vcc
	v_cmp_ngt_f32_e32 vcc, s70, v18
                                        ; implicit-def: $vgpr9
	s_and_saveexec_b64 s[20:21], vcc
	s_xor_b64 s[52:53], exec, s[20:21]
	s_cbranch_execz .LBB50_116
; %bb.115:                              ;   in Loop: Header=BB50_4 Depth=1
	v_fma_f32 v9, v18, v18, -1.0
	v_mul_f32_e32 v11, 0x4f800000, v9
	v_cmp_gt_f32_e32 vcc, s71, v9
	v_cndmask_b32_e32 v9, v9, v11, vcc
	v_sqrt_f32_e32 v11, v9
	v_add_u32_e32 v19, -1, v11
	v_fma_f32 v27, -v19, v11, v9
	v_add_u32_e32 v26, 1, v11
	v_cmp_ge_f32_e64 s[20:21], 0, v27
	v_cndmask_b32_e64 v19, v11, v19, s[20:21]
	v_fma_f32 v11, -v26, v11, v9
	v_cmp_lt_f32_e64 s[20:21], 0, v11
	v_cndmask_b32_e64 v11, v19, v26, s[20:21]
	v_mul_f32_e32 v19, 0x37800000, v11
	v_cndmask_b32_e32 v11, v11, v19, vcc
	v_cmp_class_f32_e32 vcc, v9, v35
	v_cndmask_b32_e32 v9, v11, v9, vcc
	v_add_f32_e32 v9, v18, v9
	v_cmp_gt_f32_e32 vcc, s73, v9
	v_cndmask_b32_e32 v11, 1.0, v48, vcc
	v_mul_f32_e32 v9, v9, v11
	v_log_f32_e32 v9, v9
	v_mul_f32_e32 v11, 0x3f317217, v9
	v_fma_f32 v19, v9, s74, -v11
	v_fmac_f32_e32 v19, 0x3377d1cf, v9
	v_add_f32_e32 v11, v11, v19
	v_cmp_lt_f32_e64 s[20:21], |v9|, s69
	v_cndmask_b32_e64 v9, v9, v11, s[20:21]
	v_cndmask_b32_e32 v11, 0, v49, vcc
	v_sub_f32_e32 v9, v9, v11
.LBB50_116:                             ;   in Loop: Header=BB50_4 Depth=1
	s_or_saveexec_b64 s[52:53], s[52:53]
	v_and_b32_e32 v27, 0x7fffffff, v21
	v_and_b32_e32 v56, 0x7fffffff, v25
	s_xor_b64 exec, exec, s[52:53]
	s_cbranch_execz .LBB50_138
; %bb.117:                              ;   in Loop: Header=BB50_4 Depth=1
	v_cmp_neq_f32_e64 s[20:21], |v20|, 1.0
	v_cmp_nlt_f32_e64 s[54:55], |v21|, s75
	s_or_b64 s[20:21], s[54:55], s[20:21]
                                        ; implicit-def: $vgpr9
	s_and_saveexec_b64 s[54:55], s[20:21]
	s_xor_b64 s[54:55], exec, s[54:55]
	s_cbranch_execz .LBB50_135
; %bb.118:                              ;   in Loop: Header=BB50_4 Depth=1
	v_mul_f32_e32 v9, 0x34000000, v56
	v_cmp_le_f32_e64 s[20:21], v9, |v21|
                                        ; implicit-def: $vgpr9
	s_and_saveexec_b64 s[56:57], s[20:21]
	s_xor_b64 s[56:57], exec, s[56:57]
	s_cbranch_execz .LBB50_128
; %bb.119:                              ;   in Loop: Header=BB50_4 Depth=1
	v_cmp_neq_f32_e32 vcc, 0, v24
	v_mov_b32_e32 v9, v27
	s_and_saveexec_b64 s[20:21], vcc
	s_cbranch_execz .LBB50_121
; %bb.120:                              ;   in Loop: Header=BB50_4 Depth=1
	v_mul_f32_e32 v9, v21, v21
	v_add_f32_e32 v11, v24, v55
	v_div_scale_f32 v19, s[58:59], v11, v11, v9
	v_rcp_f32_e32 v26, v19
	v_fma_f32 v57, -v19, v26, 1.0
	v_fmac_f32_e32 v26, v57, v26
	v_div_scale_f32 v57, vcc, v9, v11, v9
	v_mul_f32_e32 v58, v57, v26
	v_fma_f32 v59, -v19, v58, v57
	v_fmac_f32_e32 v58, v59, v26
	v_fma_f32 v19, -v19, v58, v57
	v_div_fmas_f32 v19, v19, v26, v58
	v_div_fixup_f32 v9, v19, v11, v9
.LBB50_121:                             ;   in Loop: Header=BB50_4 Depth=1
	s_or_b64 exec, exec, s[20:21]
	v_sub_f32_e64 v19, 1.0, |v20|
	v_cmp_ngt_f32_e32 vcc, 0, v19
                                        ; implicit-def: $vgpr11
	s_and_saveexec_b64 s[20:21], vcc
	s_xor_b64 s[20:21], exec, s[20:21]
	s_cbranch_execz .LBB50_125
; %bb.122:                              ;   in Loop: Header=BB50_4 Depth=1
	v_cmp_neq_f32_e32 vcc, 0, v19
	v_mov_b32_e32 v11, v27
	s_and_saveexec_b64 s[58:59], vcc
	s_cbranch_execz .LBB50_124
; %bb.123:                              ;   in Loop: Header=BB50_4 Depth=1
	v_mul_f32_e32 v11, v21, v21
	v_add_f32_e32 v19, v19, v23
	v_div_scale_f32 v26, s[60:61], v19, v19, v11
	v_rcp_f32_e32 v57, v26
	v_fma_f32 v58, -v26, v57, 1.0
	v_fmac_f32_e32 v57, v58, v57
	v_div_scale_f32 v58, vcc, v11, v19, v11
	v_mul_f32_e32 v59, v58, v57
	v_fma_f32 v60, -v26, v59, v58
	v_fmac_f32_e32 v59, v60, v57
	v_fma_f32 v26, -v26, v59, v58
	v_div_fmas_f32 v26, v26, v57, v59
	v_div_fixup_f32 v11, v26, v19, v11
.LBB50_124:                             ;   in Loop: Header=BB50_4 Depth=1
	s_or_b64 exec, exec, s[58:59]
                                        ; implicit-def: $vgpr19
.LBB50_125:                             ;   in Loop: Header=BB50_4 Depth=1
	s_andn2_saveexec_b64 s[20:21], s[20:21]
; %bb.126:                              ;   in Loop: Header=BB50_4 Depth=1
	v_sub_f32_e32 v11, v23, v19
; %bb.127:                              ;   in Loop: Header=BB50_4 Depth=1
	s_or_b64 exec, exec, s[20:21]
	v_mul_f32_e32 v19, 0.5, v9
	v_mul_f32_e32 v9, 0.5, v11
	v_pk_add_f32 v[58:59], v[18:19], v[8:9]
	v_mul_f32_e32 v9, v58, v59
	v_mul_f32_e32 v11, 0x4f800000, v9
	v_cmp_gt_f32_e32 vcc, s71, v9
	v_cndmask_b32_e32 v9, v9, v11, vcc
	v_sqrt_f32_e32 v11, v9
	v_add_u32_e32 v19, -1, v11
	v_fma_f32 v26, -v19, v11, v9
	v_cmp_ge_f32_e64 s[20:21], 0, v26
	v_add_u32_e32 v26, 1, v11
	v_cndmask_b32_e64 v19, v11, v19, s[20:21]
	v_fma_f32 v11, -v26, v11, v9
	v_cmp_lt_f32_e64 s[20:21], 0, v11
	v_cndmask_b32_e64 v11, v19, v26, s[20:21]
	v_mul_f32_e32 v19, 0x37800000, v11
	v_cndmask_b32_e32 v11, v11, v19, vcc
	v_cmp_class_f32_e32 vcc, v9, v35
	v_cndmask_b32_e32 v9, v11, v9, vcc
	v_add_f32_e32 v58, v59, v9
	v_add_f32_e32 v61, 1.0, v58
	v_add_f32_e32 v59, -1.0, v61
	v_mov_b32_e32 v60, v59
	v_pk_add_f32 v[62:63], v[58:59], v[60:61] neg_lo:[0,1] neg_hi:[0,1]
	v_add_f32_e32 v9, 1.0, v63
	v_add_f32_e32 v9, v62, v9
	v_frexp_mant_f32_e32 v11, v61
	v_cvt_f64_f32_e32 v[62:63], v61
	v_frexp_exp_i32_f64_e32 v19, v[62:63]
	v_cmp_gt_f32_e32 vcc, s76, v11
	v_subbrev_co_u32_e32 v19, vcc, 0, v19, vcc
	v_sub_u32_e32 v11, 0, v19
	v_ldexp_f32 v26, v61, v11
	v_ldexp_f32 v9, v9, v11
	v_add_f32_e32 v11, -1.0, v26
	v_add_f32_e32 v59, 1.0, v26
	v_add_f32_e32 v57, 1.0, v11
	v_add_f32_e32 v60, -1.0, v59
	v_sub_f32_e32 v57, v26, v57
	v_sub_f32_e32 v26, v26, v60
	v_add_f32_e32 v57, v9, v57
	v_add_f32_e32 v9, v9, v26
	;; [unrolled: 1-line block ×3, first 2 shown]
	v_sub_f32_e32 v59, v26, v59
	v_sub_f32_e32 v9, v9, v59
	v_rcp_f32_e32 v59, v26
	v_add_f32_e32 v61, v11, v57
	v_sub_f32_e32 v11, v61, v11
	v_sub_f32_e32 v11, v57, v11
	v_mul_f32_e32 v57, v61, v59
	v_mul_f32_e32 v62, v26, v57
	v_fma_f32 v64, v57, v26, -v62
	v_fmac_f32_e32 v64, v57, v9
	v_add_f32_e32 v60, v62, v64
	v_sub_f32_e32 v63, v61, v60
	v_pk_add_f32 v[66:67], v[60:61], v[62:63] neg_lo:[0,1] neg_hi:[0,1]
	v_mov_b32_e32 v65, v60
	v_pk_add_f32 v[60:61], v[66:67], v[64:65] neg_lo:[0,1] neg_hi:[0,1]
	v_add_f32_e32 v11, v11, v61
	v_add_f32_e32 v11, v60, v11
	;; [unrolled: 1-line block ×3, first 2 shown]
	v_mul_f32_e32 v68, v59, v61
	v_mul_f32_e32 v62, v26, v68
	v_fma_f32 v64, v68, v26, -v62
	v_fmac_f32_e32 v64, v68, v9
	v_add_f32_e32 v60, v62, v64
	v_sub_f32_e32 v9, v63, v61
	v_sub_f32_e32 v63, v61, v60
	v_pk_add_f32 v[66:67], v[60:61], v[62:63] neg_lo:[0,1] neg_hi:[0,1]
	v_mov_b32_e32 v65, v60
	v_add_f32_e32 v9, v11, v9
	v_pk_add_f32 v[60:61], v[66:67], v[64:65] neg_lo:[0,1] neg_hi:[0,1]
	v_add_f32_e32 v9, v9, v61
	v_add_f32_e32 v9, v60, v9
	;; [unrolled: 1-line block ×4, first 2 shown]
	v_sub_f32_e32 v11, v26, v57
	v_mul_f32_e32 v9, v59, v9
	v_sub_f32_e32 v11, v68, v11
	v_add_f32_e32 v9, v11, v9
	v_add_f32_e32 v57, v26, v9
	v_cvt_f32_i32_e32 v60, v19
	v_mul_f32_e32 v59, v57, v57
	v_mov_b32_e32 v11, 0x3ecc95a3
	v_fmac_f32_e32 v11, 0x3e9b6dac, v59
	v_fma_f32 v11, v59, v11, v36
	v_mul_f32_e32 v61, v57, v59
	v_pk_mul_f32 v[64:65], v[60:61], v[10:11]
	v_fma_f32 v62, v60, s77, -v64
	v_ldexp_f32 v63, v57, 1
	v_fmac_f32_e32 v62, 0xb102e308, v60
	v_sub_f32_e32 v19, v57, v26
	v_pk_add_f32 v[60:61], v[64:65], v[62:63]
	v_sub_f32_e32 v9, v9, v19
	v_sub_f32_e32 v11, v61, v63
	v_ldexp_f32 v9, v9, 1
	v_sub_f32_e32 v11, v65, v11
	v_add_f32_e32 v67, v9, v11
	v_mov_b32_e32 v66, v64
	v_pk_add_f32 v[64:65], v[60:61], v[64:65] neg_lo:[0,1] neg_hi:[0,1]
	v_pk_add_f32 v[68:69], v[60:61], v[66:67]
	v_mov_b32_e32 v65, v69
	v_mov_b32_e32 v63, v60
	v_pk_add_f32 v[70:71], v[62:63], v[64:65] neg_lo:[0,1] neg_hi:[0,1]
	v_pk_add_f32 v[62:63], v[62:63], v[64:65]
	v_mov_b32_e32 v26, v63
	v_pk_add_f32 v[64:65], v[26:27], v[60:61] neg_lo:[0,1] neg_hi:[0,1]
	v_mov_b32_e32 v9, v64
	v_pk_add_f32 v[72:73], v[68:69], v[8:9] neg_lo:[0,1] neg_hi:[0,1]
	v_mov_b32_e32 v62, v69
	v_mov_b32_e32 v68, v61
	;; [unrolled: 1-line block ×4, first 2 shown]
	v_pk_add_f32 v[62:63], v[62:63], v[68:69] neg_lo:[0,1] neg_hi:[0,1]
	v_mov_b32_e32 v64, v67
	v_mov_b32_e32 v65, v60
	v_pk_add_f32 v[60:61], v[64:65], v[62:63] neg_lo:[0,1] neg_hi:[0,1]
	v_mov_b32_e32 v72, v70
	v_pk_add_f32 v[62:63], v[72:73], v[60:61]
	v_mov_b32_e32 v64, v63
	v_pk_add_f32 v[64:65], v[62:63], v[64:65]
	v_pk_add_f32 v[66:67], v[26:27], v[64:65]
	v_mov_b32_e32 v63, v66
	v_pk_add_f32 v[68:69], v[62:63], v[70:71] neg_lo:[0,1] neg_hi:[0,1]
	v_mov_b32_e32 v61, v64
	v_sub_f32_e32 v9, v62, v68
	v_pk_add_f32 v[60:61], v[60:61], v[68:69] neg_lo:[0,1] neg_hi:[0,1]
	v_sub_f32_e32 v9, v70, v9
	v_add_f32_e32 v9, v60, v9
	v_add_f32_e32 v9, v9, v61
	;; [unrolled: 1-line block ×3, first 2 shown]
	v_cmp_eq_f32_e32 vcc, s69, v58
	v_cndmask_b32_e32 v9, v9, v58, vcc
	v_cmp_ngt_f32_e32 vcc, -1.0, v58
	v_cndmask_b32_e32 v9, v50, v9, vcc
	v_cmp_neq_f32_e32 vcc, -1.0, v58
	v_cndmask_b32_e32 v9, v51, v9, vcc
	v_cmp_lt_f32_e64 vcc, |v58|, s78
	v_cndmask_b32_e32 v9, v9, v58, vcc
.LBB50_128:                             ;   in Loop: Header=BB50_4 Depth=1
	s_andn2_saveexec_b64 s[56:57], s[56:57]
	s_cbranch_execz .LBB50_134
; %bb.129:                              ;   in Loop: Header=BB50_4 Depth=1
	v_cmp_nlt_f32_e64 s[20:21], |v20|, 1.0
                                        ; implicit-def: $vgpr9
	s_and_saveexec_b64 s[58:59], s[20:21]
	s_xor_b64 s[58:59], exec, s[58:59]
	s_cbranch_execz .LBB50_131
; %bb.130:                              ;   in Loop: Header=BB50_4 Depth=1
	v_mul_f32_e32 v9, v25, v24
	v_mul_f32_e32 v11, 0x4f800000, v9
	v_cmp_gt_f32_e32 vcc, s71, v9
	v_cndmask_b32_e32 v9, v9, v11, vcc
	v_sqrt_f32_e32 v11, v9
	v_add_u32_e32 v19, -1, v11
	v_fma_f32 v57, -v19, v11, v9
	v_add_u32_e32 v26, 1, v11
	v_cmp_ge_f32_e64 s[20:21], 0, v57
	v_cndmask_b32_e64 v19, v11, v19, s[20:21]
	v_fma_f32 v11, -v26, v11, v9
	v_cmp_lt_f32_e64 s[20:21], 0, v11
	v_cndmask_b32_e64 v11, v19, v26, s[20:21]
	v_mul_f32_e32 v19, 0x37800000, v11
	v_cndmask_b32_e32 v11, v11, v19, vcc
	v_cmp_class_f32_e32 vcc, v9, v35
	v_cndmask_b32_e32 v9, v11, v9, vcc
	v_add_f32_e32 v58, v25, v9
	v_add_f32_e32 v61, 1.0, v58
	v_add_f32_e32 v59, -1.0, v61
	v_mov_b32_e32 v60, v59
	v_pk_add_f32 v[62:63], v[58:59], v[60:61] neg_lo:[0,1] neg_hi:[0,1]
	v_add_f32_e32 v9, 1.0, v63
	v_add_f32_e32 v9, v62, v9
	v_frexp_mant_f32_e32 v11, v61
	v_cvt_f64_f32_e32 v[62:63], v61
	v_frexp_exp_i32_f64_e32 v19, v[62:63]
	v_cmp_gt_f32_e32 vcc, s76, v11
	v_subbrev_co_u32_e32 v19, vcc, 0, v19, vcc
	v_sub_u32_e32 v11, 0, v19
	v_ldexp_f32 v26, v61, v11
	v_ldexp_f32 v9, v9, v11
	v_add_f32_e32 v11, -1.0, v26
	v_add_f32_e32 v59, 1.0, v26
	v_add_f32_e32 v57, 1.0, v11
	v_add_f32_e32 v60, -1.0, v59
	v_sub_f32_e32 v57, v26, v57
	v_sub_f32_e32 v26, v26, v60
	v_add_f32_e32 v57, v9, v57
	v_add_f32_e32 v9, v9, v26
	;; [unrolled: 1-line block ×3, first 2 shown]
	v_sub_f32_e32 v59, v26, v59
	v_sub_f32_e32 v9, v9, v59
	v_rcp_f32_e32 v59, v26
	v_add_f32_e32 v61, v11, v57
	v_sub_f32_e32 v11, v61, v11
	v_sub_f32_e32 v11, v57, v11
	v_mul_f32_e32 v57, v61, v59
	v_mul_f32_e32 v62, v26, v57
	v_fma_f32 v64, v57, v26, -v62
	v_fmac_f32_e32 v64, v57, v9
	v_add_f32_e32 v60, v62, v64
	v_sub_f32_e32 v63, v61, v60
	v_pk_add_f32 v[66:67], v[60:61], v[62:63] neg_lo:[0,1] neg_hi:[0,1]
	v_mov_b32_e32 v65, v60
	v_pk_add_f32 v[60:61], v[66:67], v[64:65] neg_lo:[0,1] neg_hi:[0,1]
	v_add_f32_e32 v11, v11, v61
	v_add_f32_e32 v11, v60, v11
	;; [unrolled: 1-line block ×3, first 2 shown]
	v_mul_f32_e32 v68, v59, v61
	v_mul_f32_e32 v62, v26, v68
	v_fma_f32 v64, v68, v26, -v62
	v_fmac_f32_e32 v64, v68, v9
	v_add_f32_e32 v60, v62, v64
	v_sub_f32_e32 v9, v63, v61
	v_sub_f32_e32 v63, v61, v60
	v_pk_add_f32 v[66:67], v[60:61], v[62:63] neg_lo:[0,1] neg_hi:[0,1]
	v_mov_b32_e32 v65, v60
	v_add_f32_e32 v9, v11, v9
	v_pk_add_f32 v[60:61], v[66:67], v[64:65] neg_lo:[0,1] neg_hi:[0,1]
	v_add_f32_e32 v9, v9, v61
	v_add_f32_e32 v9, v60, v9
	;; [unrolled: 1-line block ×4, first 2 shown]
	v_sub_f32_e32 v11, v26, v57
	v_mul_f32_e32 v9, v59, v9
	v_sub_f32_e32 v11, v68, v11
	v_add_f32_e32 v9, v11, v9
	v_add_f32_e32 v57, v26, v9
	v_cvt_f32_i32_e32 v60, v19
	v_mul_f32_e32 v59, v57, v57
	v_mov_b32_e32 v11, 0x3ecc95a3
	v_fmac_f32_e32 v11, 0x3e9b6dac, v59
	v_fma_f32 v11, v59, v11, v36
	v_mul_f32_e32 v61, v57, v59
	v_pk_mul_f32 v[64:65], v[60:61], v[10:11]
	v_fma_f32 v62, v60, s77, -v64
	v_ldexp_f32 v63, v57, 1
	v_fmac_f32_e32 v62, 0xb102e308, v60
	v_sub_f32_e32 v19, v57, v26
	v_pk_add_f32 v[60:61], v[64:65], v[62:63]
	v_sub_f32_e32 v9, v9, v19
	v_sub_f32_e32 v11, v61, v63
	v_ldexp_f32 v9, v9, 1
	v_sub_f32_e32 v11, v65, v11
	v_add_f32_e32 v67, v9, v11
	v_mov_b32_e32 v66, v64
	v_pk_add_f32 v[64:65], v[60:61], v[64:65] neg_lo:[0,1] neg_hi:[0,1]
	v_pk_add_f32 v[68:69], v[60:61], v[66:67]
	v_mov_b32_e32 v65, v69
	v_mov_b32_e32 v63, v60
	v_pk_add_f32 v[70:71], v[62:63], v[64:65] neg_lo:[0,1] neg_hi:[0,1]
	v_pk_add_f32 v[62:63], v[62:63], v[64:65]
	v_mov_b32_e32 v26, v63
	v_pk_add_f32 v[64:65], v[26:27], v[60:61] neg_lo:[0,1] neg_hi:[0,1]
	v_mov_b32_e32 v9, v64
	v_pk_add_f32 v[72:73], v[68:69], v[8:9] neg_lo:[0,1] neg_hi:[0,1]
	v_mov_b32_e32 v62, v69
	v_mov_b32_e32 v68, v61
	;; [unrolled: 1-line block ×4, first 2 shown]
	v_pk_add_f32 v[62:63], v[62:63], v[68:69] neg_lo:[0,1] neg_hi:[0,1]
	v_mov_b32_e32 v64, v67
	v_mov_b32_e32 v65, v60
	v_pk_add_f32 v[60:61], v[64:65], v[62:63] neg_lo:[0,1] neg_hi:[0,1]
	v_mov_b32_e32 v72, v70
	v_pk_add_f32 v[62:63], v[72:73], v[60:61]
	v_mov_b32_e32 v64, v63
	v_pk_add_f32 v[64:65], v[62:63], v[64:65]
	v_pk_add_f32 v[66:67], v[26:27], v[64:65]
	v_mov_b32_e32 v63, v66
	v_pk_add_f32 v[68:69], v[62:63], v[70:71] neg_lo:[0,1] neg_hi:[0,1]
	v_mov_b32_e32 v61, v64
	v_sub_f32_e32 v9, v62, v68
	v_pk_add_f32 v[60:61], v[60:61], v[68:69] neg_lo:[0,1] neg_hi:[0,1]
	v_sub_f32_e32 v9, v70, v9
	v_add_f32_e32 v9, v60, v9
	v_add_f32_e32 v9, v9, v61
	;; [unrolled: 1-line block ×3, first 2 shown]
	v_cmp_eq_f32_e32 vcc, s69, v58
	v_cndmask_b32_e32 v9, v9, v58, vcc
	v_cmp_ngt_f32_e32 vcc, -1.0, v58
	v_cndmask_b32_e32 v9, v50, v9, vcc
	v_cmp_neq_f32_e32 vcc, -1.0, v58
	v_cndmask_b32_e32 v9, v51, v9, vcc
	v_cmp_lt_f32_e64 vcc, |v58|, s78
	v_cndmask_b32_e32 v9, v9, v58, vcc
.LBB50_131:                             ;   in Loop: Header=BB50_4 Depth=1
	s_andn2_saveexec_b64 s[58:59], s[58:59]
	s_cbranch_execz .LBB50_133
; %bb.132:                              ;   in Loop: Header=BB50_4 Depth=1
	v_sub_f32_e64 v9, 1.0, |v20|
	v_mul_f32_e32 v9, v9, v24
	v_mul_f32_e32 v11, 0x4f800000, v9
	v_cmp_gt_f32_e32 vcc, s71, v9
	v_cndmask_b32_e32 v9, v9, v11, vcc
	v_sqrt_f32_e32 v11, v9
	v_add_u32_e32 v19, -1, v11
	v_fma_f32 v57, -v19, v11, v9
	v_add_u32_e32 v26, 1, v11
	v_cmp_ge_f32_e64 s[20:21], 0, v57
	v_cndmask_b32_e64 v19, v11, v19, s[20:21]
	v_fma_f32 v11, -v26, v11, v9
	v_cmp_lt_f32_e64 s[20:21], 0, v11
	v_cndmask_b32_e64 v11, v19, v26, s[20:21]
	v_mul_f32_e32 v19, 0x37800000, v11
	v_cndmask_b32_e32 v11, v11, v19, vcc
	v_cmp_class_f32_e32 vcc, v9, v35
	v_cndmask_b32_e32 v9, v11, v9, vcc
	v_and_b32_e32 v11, 0x7fffffff, v21
	v_div_scale_f32 v19, s[20:21], v9, v9, v11
	v_rcp_f32_e32 v26, v19
	v_div_scale_f32 v11, vcc, v11, v9, v11
	v_fma_f32 v57, -v19, v26, 1.0
	v_fmac_f32_e32 v26, v57, v26
	v_mul_f32_e32 v57, v11, v26
	v_fma_f32 v58, -v19, v57, v11
	v_fmac_f32_e32 v57, v58, v26
	v_fma_f32 v11, -v19, v57, v11
	v_div_fmas_f32 v11, v11, v26, v57
	v_div_fixup_f32 v9, v11, v9, |v21|
.LBB50_133:                             ;   in Loop: Header=BB50_4 Depth=1
	s_or_b64 exec, exec, s[58:59]
.LBB50_134:                             ;   in Loop: Header=BB50_4 Depth=1
	s_or_b64 exec, exec, s[56:57]
.LBB50_135:                             ;   in Loop: Header=BB50_4 Depth=1
	s_andn2_saveexec_b64 s[54:55], s[54:55]
	s_cbranch_execz .LBB50_137
; %bb.136:                              ;   in Loop: Header=BB50_4 Depth=1
	v_mul_f32_e64 v9, |v21|, s72
	v_cmp_lt_f32_e64 vcc, |v21|, s71
	v_cndmask_b32_e64 v9, |v21|, v9, vcc
	v_sqrt_f32_e32 v11, v9
	v_add_u32_e32 v19, -1, v11
	v_fma_f32 v57, -v19, v11, v9
	v_add_u32_e32 v26, 1, v11
	v_cmp_ge_f32_e64 s[20:21], 0, v57
	v_cndmask_b32_e64 v19, v11, v19, s[20:21]
	v_fma_f32 v11, -v26, v11, v9
	v_cmp_lt_f32_e64 s[20:21], 0, v11
	v_cndmask_b32_e64 v11, v19, v26, s[20:21]
	v_mul_f32_e32 v19, 0x37800000, v11
	v_cndmask_b32_e32 v11, v11, v19, vcc
	v_cmp_class_f32_e32 vcc, v9, v35
	v_cndmask_b32_e32 v9, v11, v9, vcc
.LBB50_137:                             ;   in Loop: Header=BB50_4 Depth=1
	s_or_b64 exec, exec, s[54:55]
.LBB50_138:                             ;   in Loop: Header=BB50_4 Depth=1
	s_or_b64 exec, exec, s[52:53]
	v_cmp_nlt_f32_e64 s[52:53], |v20|, s79
                                        ; implicit-def: $sgpr20_sgpr21
                                        ; implicit-def: $vgpr26
                                        ; implicit-def: $vgpr11
	s_and_saveexec_b64 s[54:55], s[52:53]
	s_xor_b64 s[52:53], exec, s[54:55]
	s_cbranch_execz .LBB50_162
; %bb.139:                              ;   in Loop: Header=BB50_4 Depth=1
	v_div_scale_f32 v11, s[20:21], v18, v18, v22
	v_rcp_f32_e32 v19, v11
	v_div_scale_f32 v26, vcc, v22, v18, v22
	s_mov_b64 s[20:21], 0
	v_fma_f32 v57, -v11, v19, 1.0
	v_fmac_f32_e32 v19, v57, v19
	v_mul_f32_e32 v57, v26, v19
	v_fma_f32 v58, -v11, v57, v26
	v_fmac_f32_e32 v57, v58, v19
	v_fma_f32 v11, -v11, v57, v26
	v_div_fmas_f32 v11, v11, v19, v57
	v_div_fixup_f32 v11, v11, v18, |v20|
	v_cmp_lt_f32_e32 vcc, s80, v11
                                        ; implicit-def: $vgpr26
	s_and_saveexec_b64 s[54:55], vcc
	s_cbranch_execz .LBB50_161
; %bb.140:                              ;   in Loop: Header=BB50_4 Depth=1
	v_cmp_neq_f32_e64 s[20:21], |v20|, 1.0
	v_cmp_nlt_f32_e64 s[56:57], |v21|, s81
	s_or_b64 s[20:21], s[56:57], s[20:21]
                                        ; implicit-def: $sgpr58_sgpr59
                                        ; implicit-def: $vgpr26
	s_and_saveexec_b64 s[56:57], s[20:21]
	s_xor_b64 s[56:57], exec, s[56:57]
	s_cbranch_execz .LBB50_158
; %bb.141:                              ;   in Loop: Header=BB50_4 Depth=1
	v_mul_f32_e32 v19, 0x34000000, v56
	v_cmp_le_f32_e64 s[20:21], v19, |v21|
                                        ; implicit-def: $vgpr26
                                        ; implicit-def: $sgpr58_sgpr59
	s_and_saveexec_b64 s[60:61], s[20:21]
	s_xor_b64 s[60:61], exec, s[60:61]
	s_cbranch_execz .LBB50_151
; %bb.142:                              ;   in Loop: Header=BB50_4 Depth=1
	v_cmp_neq_f32_e32 vcc, 0, v24
	v_mov_b32_e32 v19, v27
	s_and_saveexec_b64 s[20:21], vcc
	s_cbranch_execz .LBB50_144
; %bb.143:                              ;   in Loop: Header=BB50_4 Depth=1
	v_mul_f32_e32 v19, v21, v21
	v_add_f32_e32 v20, v24, v55
	v_div_scale_f32 v24, s[58:59], v20, v20, v19
	v_rcp_f32_e32 v26, v24
	v_fma_f32 v55, -v24, v26, 1.0
	v_fmac_f32_e32 v26, v55, v26
	v_div_scale_f32 v55, vcc, v19, v20, v19
	v_mul_f32_e32 v56, v55, v26
	v_fma_f32 v57, -v24, v56, v55
	v_fmac_f32_e32 v56, v57, v26
	v_fma_f32 v24, -v24, v56, v55
	v_div_fmas_f32 v24, v24, v26, v56
	v_div_fixup_f32 v19, v24, v20, v19
.LBB50_144:                             ;   in Loop: Header=BB50_4 Depth=1
	s_or_b64 exec, exec, s[20:21]
	v_cmp_ngt_f32_e32 vcc, 0, v25
	s_and_saveexec_b64 s[20:21], vcc
	s_xor_b64 s[20:21], exec, s[20:21]
	s_cbranch_execz .LBB50_148
; %bb.145:                              ;   in Loop: Header=BB50_4 Depth=1
	v_cmp_neq_f32_e32 vcc, 0, v25
	s_and_saveexec_b64 s[58:59], vcc
	s_cbranch_execz .LBB50_147
; %bb.146:                              ;   in Loop: Header=BB50_4 Depth=1
	v_mul_f32_e32 v20, v21, v21
	v_add_f32_e32 v21, v25, v23
	v_div_scale_f32 v23, s[62:63], v21, v21, v20
	v_rcp_f32_e32 v24, v23
	v_fma_f32 v25, -v23, v24, 1.0
	v_fmac_f32_e32 v24, v25, v24
	v_div_scale_f32 v25, vcc, v20, v21, v20
	v_mul_f32_e32 v26, v25, v24
	v_fma_f32 v27, -v23, v26, v25
	v_fmac_f32_e32 v26, v27, v24
	v_fma_f32 v23, -v23, v26, v25
	v_div_fmas_f32 v23, v23, v24, v26
	v_div_fixup_f32 v27, v23, v21, v20
.LBB50_147:                             ;   in Loop: Header=BB50_4 Depth=1
	s_or_b64 exec, exec, s[58:59]
                                        ; implicit-def: $vgpr23
                                        ; implicit-def: $vgpr24_vgpr25
.LBB50_148:                             ;   in Loop: Header=BB50_4 Depth=1
	s_andn2_saveexec_b64 s[20:21], s[20:21]
; %bb.149:                              ;   in Loop: Header=BB50_4 Depth=1
	v_sub_f32_e32 v27, v23, v25
; %bb.150:                              ;   in Loop: Header=BB50_4 Depth=1
	s_or_b64 exec, exec, s[20:21]
	v_mul_f32_e32 v23, 0.5, v19
	v_mul_f32_e32 v19, 0.5, v27
	v_pk_add_f32 v[18:19], v[22:23], v[18:19]
	v_mul_f32_e32 v18, v18, v19
	v_mul_f32_e32 v19, 0x4f800000, v18
	v_cmp_gt_f32_e32 vcc, s71, v18
	v_cndmask_b32_e32 v18, v18, v19, vcc
	v_sqrt_f32_e32 v19, v18
	s_mov_b64 s[58:59], -1
                                        ; implicit-def: $vgpr24_vgpr25
	v_add_u32_e32 v20, -1, v19
	v_fma_f32 v21, -v20, v19, v18
	v_cmp_ge_f32_e64 s[20:21], 0, v21
	v_add_u32_e32 v21, 1, v19
	v_cndmask_b32_e64 v20, v19, v20, s[20:21]
	v_fma_f32 v19, -v21, v19, v18
	v_cmp_lt_f32_e64 s[20:21], 0, v19
	v_cndmask_b32_e64 v19, v20, v21, s[20:21]
	v_mul_f32_e32 v20, 0x37800000, v19
	v_cndmask_b32_e32 v19, v19, v20, vcc
	v_cmp_class_f32_e32 vcc, v18, v35
	v_cndmask_b32_e32 v26, v19, v18, vcc
                                        ; implicit-def: $vgpr21
.LBB50_151:                             ;   in Loop: Header=BB50_4 Depth=1
	s_andn2_saveexec_b64 s[60:61], s[60:61]
	s_cbranch_execz .LBB50_157
; %bb.152:                              ;   in Loop: Header=BB50_4 Depth=1
	v_cmp_ngt_f32_e64 s[20:21], |v20|, 1.0
                                        ; implicit-def: $vgpr26
                                        ; implicit-def: $sgpr62_sgpr63
	s_and_saveexec_b64 s[64:65], s[20:21]
	s_xor_b64 s[64:65], exec, s[64:65]
	s_cbranch_execz .LBB50_154
; %bb.153:                              ;   in Loop: Header=BB50_4 Depth=1
	v_sub_f32_e64 v18, 1.0, |v20|
	v_mul_f32_e32 v18, v18, v24
	v_mul_f32_e32 v19, 0x4f800000, v18
	v_cmp_gt_f32_e32 vcc, s71, v18
	v_cndmask_b32_e32 v18, v18, v19, vcc
	v_sqrt_f32_e32 v19, v18
	s_mov_b64 s[62:63], -1
                                        ; implicit-def: $vgpr24_vgpr25
	v_add_u32_e32 v20, -1, v19
	v_fma_f32 v23, -v20, v19, v18
	v_add_u32_e32 v21, 1, v19
	v_cmp_ge_f32_e64 s[20:21], 0, v23
	v_cndmask_b32_e64 v20, v19, v20, s[20:21]
	v_fma_f32 v19, -v21, v19, v18
	v_cmp_lt_f32_e64 s[20:21], 0, v19
	v_cndmask_b32_e64 v19, v20, v21, s[20:21]
	v_mul_f32_e32 v20, 0x37800000, v19
	v_cndmask_b32_e32 v19, v19, v20, vcc
	v_cmp_class_f32_e32 vcc, v18, v35
	v_cndmask_b32_e32 v26, v19, v18, vcc
                                        ; implicit-def: $vgpr21
.LBB50_154:                             ;   in Loop: Header=BB50_4 Depth=1
	s_andn2_saveexec_b64 s[64:65], s[64:65]
	s_cbranch_execz .LBB50_156
; %bb.155:                              ;   in Loop: Header=BB50_4 Depth=1
	v_mul_f32_e32 v18, v24, v25
	v_mul_f32_e32 v19, 0x4f800000, v18
	v_cmp_gt_f32_e32 vcc, s71, v18
	v_cndmask_b32_e32 v18, v18, v19, vcc
	v_sqrt_f32_e32 v19, v18
	v_mul_f32_e64 v21, |v21|, s82
	v_mul_f32_e64 v21, |v20|, v21
	s_or_b64 s[62:63], s[62:63], exec
	v_add_u32_e32 v22, -1, v19
	v_fma_f32 v23, -v22, v19, v18
	v_cmp_ge_f32_e64 s[20:21], 0, v23
	v_add_u32_e32 v23, 1, v19
	v_cndmask_b32_e64 v22, v19, v22, s[20:21]
	v_fma_f32 v19, -v23, v19, v18
	v_cmp_lt_f32_e64 s[20:21], 0, v19
	v_cndmask_b32_e64 v19, v22, v23, s[20:21]
	v_mul_f32_e32 v22, 0x37800000, v19
	v_cndmask_b32_e32 v19, v19, v22, vcc
	v_cmp_class_f32_e32 vcc, v18, v35
	v_cndmask_b32_e32 v18, v19, v18, vcc
	v_div_scale_f32 v19, s[20:21], v18, v18, v21
	v_rcp_f32_e32 v22, v19
	v_fma_f32 v23, -v19, v22, 1.0
	v_fmac_f32_e32 v22, v23, v22
	v_div_scale_f32 v23, vcc, v21, v18, v21
	v_mul_f32_e32 v24, v23, v22
	v_fma_f32 v25, -v19, v24, v23
	v_fmac_f32_e32 v24, v25, v22
	v_fma_f32 v19, -v19, v24, v23
	v_div_fmas_f32 v19, v19, v22, v24
	v_div_fixup_f32 v26, v19, v18, v21
	v_mul_f32_e64 v22, |v20|, s82
.LBB50_156:                             ;   in Loop: Header=BB50_4 Depth=1
	s_or_b64 exec, exec, s[64:65]
	s_andn2_b64 s[20:21], s[58:59], exec
	s_and_b64 s[58:59], s[62:63], exec
	s_or_b64 s[58:59], s[20:21], s[58:59]
.LBB50_157:                             ;   in Loop: Header=BB50_4 Depth=1
	s_or_b64 exec, exec, s[60:61]
	s_and_b64 s[58:59], s[58:59], exec
                                        ; implicit-def: $vgpr21
                                        ; implicit-def: $vgpr18
.LBB50_158:                             ;   in Loop: Header=BB50_4 Depth=1
	s_andn2_saveexec_b64 s[56:57], s[56:57]
	s_cbranch_execz .LBB50_160
; %bb.159:                              ;   in Loop: Header=BB50_4 Depth=1
	v_mul_f32_e64 v19, |v21|, s72
	v_cmp_lt_f32_e64 vcc, |v21|, s71
	v_cndmask_b32_e64 v19, |v21|, v19, vcc
	v_sqrt_f32_e32 v20, v19
	v_add_f32_e32 v18, 1.0, v18
	v_mul_f32_e32 v18, 0.5, v18
	s_or_b64 s[58:59], s[58:59], exec
	v_add_u32_e32 v21, -1, v20
	v_fma_f32 v23, -v21, v20, v19
	v_add_u32_e32 v22, 1, v20
	v_cmp_ge_f32_e64 s[20:21], 0, v23
	v_cndmask_b32_e64 v21, v20, v21, s[20:21]
	v_fma_f32 v20, -v22, v20, v19
	v_cmp_lt_f32_e64 s[20:21], 0, v20
	v_cndmask_b32_e64 v20, v21, v22, s[20:21]
	v_mul_f32_e32 v22, 0x4f800000, v18
	v_cmp_gt_f32_e64 s[20:21], s71, v18
	v_cndmask_b32_e64 v18, v18, v22, s[20:21]
	v_sqrt_f32_e32 v22, v18
	v_mul_f32_e32 v21, 0x37800000, v20
	v_cndmask_b32_e32 v20, v20, v21, vcc
	v_cmp_class_f32_e32 vcc, v19, v35
	v_cndmask_b32_e32 v19, v20, v19, vcc
	v_add_u32_e32 v20, -1, v22
	v_fma_f32 v21, -v20, v22, v18
	v_cmp_ge_f32_e32 vcc, 0, v21
	v_add_u32_e32 v21, 1, v22
	v_cndmask_b32_e32 v20, v22, v20, vcc
	v_fma_f32 v22, -v21, v22, v18
	v_cmp_lt_f32_e32 vcc, 0, v22
	v_cndmask_b32_e32 v20, v20, v21, vcc
	v_mul_f32_e32 v21, 0x37800000, v20
	v_cndmask_b32_e64 v20, v20, v21, s[20:21]
	v_cmp_class_f32_e32 vcc, v18, v35
	v_cndmask_b32_e32 v18, v20, v18, vcc
	v_mul_f32_e32 v26, v19, v18
	v_mov_b32_e32 v22, 1.0
.LBB50_160:                             ;   in Loop: Header=BB50_4 Depth=1
	s_or_b64 exec, exec, s[56:57]
	s_and_b64 s[20:21], s[58:59], exec
.LBB50_161:                             ;   in Loop: Header=BB50_4 Depth=1
	s_or_b64 exec, exec, s[54:55]
	s_and_b64 s[20:21], s[20:21], exec
                                        ; implicit-def: $vgpr18
.LBB50_162:                             ;   in Loop: Header=BB50_4 Depth=1
	s_andn2_saveexec_b64 s[52:53], s[52:53]
; %bb.163:                              ;   in Loop: Header=BB50_4 Depth=1
	v_mov_b32_e32 v19, v22
	v_pk_mul_f32 v[26:27], v[18:19], s[40:41] op_sel_hi:[1,0]
	s_or_b64 s[20:21], s[20:21], exec
	v_mov_b32_e32 v22, v27
                                        ; implicit-def: $vgpr11
; %bb.164:                              ;   in Loop: Header=BB50_4 Depth=1
	s_or_b64 exec, exec, s[52:53]
	s_xor_b64 s[20:21], s[20:21], -1
                                        ; implicit-def: $vgpr18
	s_and_saveexec_b64 s[52:53], s[20:21]
	s_xor_b64 s[52:53], exec, s[52:53]
	s_cbranch_execz .LBB50_170
; %bb.165:                              ;   in Loop: Header=BB50_4 Depth=1
	v_mul_f32_e32 v19, v11, v11
	v_fma_f32 v20, |v11|, -0.5, 0.5
                                        ; implicit-def: $vgpr18
	s_and_saveexec_b64 s[20:21], s[18:19]
	s_xor_b64 s[20:21], exec, s[20:21]
	s_cbranch_execz .LBB50_167
; %bb.166:                              ;   in Loop: Header=BB50_4 Depth=1
	v_cmp_gt_f32_e64 vcc, |v11|, 0.5
	v_cndmask_b32_e32 v18, v19, v20, vcc
	v_mov_b32_e32 v19, 0x3c5fc5da
	v_fmac_f32_e32 v19, 0x3d1c21a7, v18
	v_fma_f32 v19, v18, v19, v37
	v_fma_f32 v19, v18, v19, v38
	v_sqrt_f32_e32 v20, v18
	v_fma_f32 v19, v18, v19, v39
	v_fma_f32 v19, v18, v19, v40
	v_mul_f32_e32 v18, v18, v19
	v_fmac_f32_e32 v20, v20, v18
	v_fmac_f32_e32 v11, v11, v18
	v_add_f32_e32 v19, v20, v20
	v_sub_f32_e32 v11, 0x3fc90fdb, v11
	v_cndmask_b32_e32 v18, v11, v19, vcc
                                        ; implicit-def: $vgpr11
                                        ; implicit-def: $vgpr19
                                        ; implicit-def: $vgpr20
.LBB50_167:                             ;   in Loop: Header=BB50_4 Depth=1
	s_andn2_saveexec_b64 s[54:55], s[20:21]
	s_cbranch_execz .LBB50_169
; %bb.168:                              ;   in Loop: Header=BB50_4 Depth=1
	v_cmp_gt_f32_e64 vcc, |v11|, 0.5
	v_cndmask_b32_e32 v18, v19, v20, vcc
	v_mov_b32_e32 v19, 0x3c5fc5da
	v_fmac_f32_e32 v19, 0x3d1c21a7, v18
	v_fma_f32 v19, v18, v19, v37
	v_fma_f32 v19, v18, v19, v38
	v_sqrt_f32_e32 v20, v18
	v_fma_f32 v19, v18, v19, v39
	v_fma_f32 v19, v18, v19, v40
	v_mul_f32_e32 v18, v18, v19
	v_fmac_f32_e32 v20, v20, v18
	v_add_f32_e32 v19, v20, v20
	v_sub_f32_e32 v20, 0x40490fdb, v19
	v_cmp_lt_f32_e64 s[20:21], 0, v11
	v_fma_f32 v11, -v11, v18, -v11
	v_cndmask_b32_e64 v19, v19, v20, s[20:21]
	v_sub_f32_e32 v11, 0x3fc90fdb, v11
	v_cndmask_b32_e32 v18, v11, v19, vcc
.LBB50_169:                             ;   in Loop: Header=BB50_4 Depth=1
	s_or_b64 exec, exec, s[54:55]
                                        ; implicit-def: $vgpr22
                                        ; implicit-def: $vgpr26
.LBB50_170:                             ;   in Loop: Header=BB50_4 Depth=1
	s_andn2_saveexec_b64 s[20:21], s[52:53]
	s_cbranch_execz .LBB50_176
; %bb.171:                              ;   in Loop: Header=BB50_4 Depth=1
	v_max_f32_e64 v18, |v26|, |v26|
	v_max_f32_e32 v19, v22, v22
	v_cmp_class_f32_e64 s[52:53], v26, s83
	v_min_f32_e32 v11, v19, v18
	v_max_f32_e32 v19, v19, v18
                                        ; implicit-def: $vgpr18
	s_and_saveexec_b64 s[54:55], s[18:19]
	s_xor_b64 s[18:19], exec, s[54:55]
	s_cbranch_execz .LBB50_173
; %bb.172:                              ;   in Loop: Header=BB50_4 Depth=1
	v_frexp_mant_f32_e32 v18, v19
	v_rcp_f32_e32 v18, v18
	v_frexp_exp_i32_f32_e32 v19, v19
	v_frexp_exp_i32_f32_e32 v20, v11
	v_frexp_mant_f32_e32 v11, v11
	v_mul_f32_e32 v11, v11, v18
	v_sub_u32_e32 v18, v20, v19
	v_ldexp_f32 v11, v11, v18
	v_mul_f32_e32 v18, v11, v11
	v_mov_b32_e32 v19, 0xbc7a590c
	v_fmac_f32_e32 v19, 0x3b2d2a58, v18
	v_fma_f32 v19, v18, v19, v41
	v_fma_f32 v19, v18, v19, v42
	;; [unrolled: 1-line block ×6, first 2 shown]
	v_mul_f32_e32 v18, v18, v19
	v_fmac_f32_e32 v11, v11, v18
	v_sub_f32_e32 v18, 0x3fc90fdb, v11
	v_cmp_gt_f32_e64 vcc, |v26|, v22
	v_cndmask_b32_e32 v11, v11, v18, vcc
	v_cmp_neq_f32_e32 vcc, 0, v26
	v_cndmask_b32_e32 v11, 0, v11, vcc
	v_cmp_eq_f32_e32 vcc, s69, v22
	s_and_b64 vcc, vcc, s[52:53]
	v_cndmask_b32_e32 v11, v11, v52, vcc
	v_cmp_o_f32_e32 vcc, v22, v26
	v_cndmask_b32_e32 v11, v50, v11, vcc
	v_bfi_b32 v18, s68, v11, v26
                                        ; implicit-def: $vgpr19
                                        ; implicit-def: $vgpr11
                                        ; implicit-def: $vgpr22
                                        ; implicit-def: $vgpr26
.LBB50_173:                             ;   in Loop: Header=BB50_4 Depth=1
	s_andn2_saveexec_b64 s[54:55], s[18:19]
	s_cbranch_execz .LBB50_175
; %bb.174:                              ;   in Loop: Header=BB50_4 Depth=1
	v_frexp_mant_f32_e32 v18, v19
	v_rcp_f32_e32 v18, v18
	v_frexp_exp_i32_f32_e32 v19, v19
	v_frexp_exp_i32_f32_e32 v20, v11
	v_frexp_mant_f32_e32 v11, v11
	v_mul_f32_e32 v11, v11, v18
	v_sub_u32_e32 v18, v20, v19
	v_ldexp_f32 v11, v11, v18
	v_mul_f32_e32 v18, v11, v11
	v_mov_b32_e32 v19, 0xbc7a590c
	v_fmac_f32_e32 v19, 0x3b2d2a58, v18
	v_fma_f32 v19, v18, v19, v41
	v_fma_f32 v19, v18, v19, v42
	;; [unrolled: 1-line block ×6, first 2 shown]
	v_mul_f32_e32 v18, v18, v19
	v_fmac_f32_e32 v11, v11, v18
	v_sub_f32_e32 v18, 0x3fc90fdb, v11
	v_cmp_gt_f32_e64 vcc, |v26|, v22
	v_cndmask_b32_e32 v11, v11, v18, vcc
	v_sub_f32_e32 v18, 0x40490fdb, v11
	v_cmp_lt_f32_e32 vcc, 0, v22
	v_cndmask_b32_e32 v11, v11, v18, vcc
	v_cmp_neq_f32_e64 s[18:19], 0, v26
	v_cndmask_b32_e32 v18, v52, v54, vcc
	v_cmp_eq_f32_e32 vcc, s69, v22
	v_cndmask_b32_e64 v11, v53, v11, s[18:19]
	s_and_b64 vcc, vcc, s[52:53]
	v_cndmask_b32_e32 v11, v11, v18, vcc
	v_cmp_o_f32_e64 vcc, v26, -v22
	v_cndmask_b32_e32 v11, v50, v11, vcc
	v_bfi_b32 v18, s68, v11, v26
.LBB50_175:                             ;   in Loop: Header=BB50_4 Depth=1
	s_or_b64 exec, exec, s[54:55]
.LBB50_176:                             ;   in Loop: Header=BB50_4 Depth=1
	s_or_b64 exec, exec, s[20:21]
	v_cndmask_b32_e64 v19, -v9, v9, s[14:15]
                                        ; implicit-def: $vgpr20
.LBB50_177:                             ;   in Loop: Header=BB50_4 Depth=1
	s_andn2_saveexec_b64 s[18:19], s[50:51]
	s_cbranch_execz .LBB50_179
; %bb.178:                              ;   in Loop: Header=BB50_4 Depth=1
	v_pk_mov_b32 v[18:19], s[28:29], s[28:29] op_sel:[0,1]
	flat_load_dword v9, v[18:19] glc
	s_waitcnt vmcnt(0)
	v_xor_b32_e32 v19, 0x80000000, v21
	s_waitcnt lgkmcnt(0)
	v_sub_f32_e32 v9, v9, v20
	v_add_f32_e32 v18, 0x3fc90fdb, v9
.LBB50_179:                             ;   in Loop: Header=BB50_4 Depth=1
	s_or_b64 exec, exec, s[18:19]
                                        ; implicit-def: $vgpr21
.LBB50_180:                             ;   in Loop: Header=BB50_4 Depth=1
	s_andn2_saveexec_b64 s[18:19], s[48:49]
; %bb.181:                              ;   in Loop: Header=BB50_4 Depth=1
	v_xor_b32_e32 v19, 0x80000000, v21
	v_mov_b32_e32 v18, 0
; %bb.182:                              ;   in Loop: Header=BB50_4 Depth=1
	s_or_b64 exec, exec, s[18:19]
                                        ; implicit-def: $vgpr20
                                        ; implicit-def: $vgpr22
                                        ; implicit-def: $vgpr9
                                        ; implicit-def: $vgpr11
.LBB50_183:                             ;   in Loop: Header=BB50_4 Depth=1
	s_andn2_saveexec_b64 s[46:47], s[46:47]
	s_cbranch_execz .LBB50_193
; %bb.184:                              ;   in Loop: Header=BB50_4 Depth=1
	v_cmp_lt_f32_e64 s[18:19], |v20|, |v21|
	v_cndmask_b32_e64 v23, |v20|, |v21|, s[18:19]
	v_cmp_nlt_f32_e32 vcc, s84, v23
                                        ; implicit-def: $vgpr19
                                        ; implicit-def: $vgpr18
	s_and_saveexec_b64 s[20:21], vcc
	s_xor_b64 s[48:49], exec, s[20:21]
	s_cbranch_execz .LBB50_190
; %bb.185:                              ;   in Loop: Header=BB50_4 Depth=1
	v_cndmask_b32_e64 v24, |v21|, |v20|, s[18:19]
	v_cmp_nlt_f32_e32 vcc, s85, v23
	v_cmp_ngt_f32_e64 s[20:21], s86, v24
	s_and_b64 s[20:21], vcc, s[20:21]
                                        ; implicit-def: $vgpr19
                                        ; implicit-def: $vgpr18
	s_and_saveexec_b64 s[50:51], s[20:21]
	s_xor_b64 s[20:21], exec, s[50:51]
	s_cbranch_execz .LBB50_187
; %bb.186:                              ;   in Loop: Header=BB50_4 Depth=1
	v_mul_f32_e32 v18, v24, v24
	v_fmac_f32_e32 v18, v23, v23
	v_cmp_gt_f32_e32 vcc, s73, v18
	v_cndmask_b32_e32 v19, 1.0, v48, vcc
	v_mul_f32_e32 v18, v18, v19
	v_log_f32_e32 v18, v18
	v_cndmask_b32_e32 v19, 0, v49, vcc
	v_min_f32_e32 v9, v22, v9
	v_frexp_exp_i32_f32_e32 v22, v9
	v_mul_f32_e32 v23, 0x3f317217, v18
	v_fma_f32 v24, v18, s74, -v23
	v_fmac_f32_e32 v24, 0x3377d1cf, v18
	v_add_f32_e32 v23, v23, v24
	v_cmp_lt_f32_e64 vcc, |v18|, s69
	v_cndmask_b32_e32 v18, v18, v23, vcc
	v_sub_f32_e32 v18, v18, v19
	v_mul_f32_e32 v19, 0.5, v18
	s_waitcnt vmcnt(0) lgkmcnt(0)
	v_frexp_mant_f32_e32 v18, v11
	v_rcp_f32_e32 v18, v18
	v_frexp_exp_i32_f32_e32 v11, v11
	v_frexp_mant_f32_e32 v9, v9
	v_sub_u32_e32 v11, v22, v11
	v_mul_f32_e32 v9, v9, v18
	v_ldexp_f32 v18, v9, v11
	v_mul_f32_e32 v9, v18, v18
	v_mov_b32_e32 v11, 0xbc7a590c
	v_fmac_f32_e32 v11, 0x3b2d2a58, v9
	v_fma_f32 v11, v9, v11, v41
	v_fma_f32 v11, v9, v11, v42
	;; [unrolled: 1-line block ×6, first 2 shown]
	v_mul_f32_e32 v9, v9, v11
	v_fmac_f32_e32 v18, v18, v9
                                        ; implicit-def: $vgpr11
                                        ; implicit-def: $vgpr22
                                        ; implicit-def: $vgpr9
.LBB50_187:                             ;   in Loop: Header=BB50_4 Depth=1
	s_andn2_saveexec_b64 s[20:21], s[20:21]
	s_cbranch_execz .LBB50_189
; %bb.188:                              ;   in Loop: Header=BB50_4 Depth=1
	s_waitcnt vmcnt(0) lgkmcnt(0)
	v_cvt_f64_f32_e32 v[18:19], v11
	v_frexp_exp_i32_f64_e32 v18, v[18:19]
	v_sub_u32_e32 v19, 0, v18
	v_ldexp_f32 v23, |v20|, v19
	v_ldexp_f32 v19, |v21|, v19
	v_mul_f32_e32 v19, v19, v19
	v_fmac_f32_e32 v19, v23, v23
	v_sqrt_f32_e32 v19, v19
	v_cmp_neq_f32_e32 vcc, s69, v11
	v_min_f32_e32 v9, v22, v9
	v_ldexp_f32 v18, v19, v18
	v_cndmask_b32_e32 v18, v47, v18, vcc
	v_cmp_gt_f32_e32 vcc, s73, v18
	v_cndmask_b32_e32 v19, 1.0, v48, vcc
	v_mul_f32_e32 v18, v18, v19
	v_log_f32_e32 v18, v18
	v_cndmask_b32_e32 v19, 0, v49, vcc
	v_mul_f32_e32 v22, 0x3f317217, v18
	v_fma_f32 v23, v18, s74, -v22
	v_fmac_f32_e32 v23, 0x3377d1cf, v18
	v_add_f32_e32 v22, v22, v23
	v_cmp_lt_f32_e64 vcc, |v18|, s69
	v_cndmask_b32_e32 v18, v18, v22, vcc
	v_sub_f32_e32 v19, v18, v19
	v_frexp_mant_f32_e32 v18, v11
	v_rcp_f32_e32 v18, v18
	v_frexp_exp_i32_f32_e32 v11, v11
	v_frexp_exp_i32_f32_e32 v22, v9
	v_frexp_mant_f32_e32 v9, v9
	v_mul_f32_e32 v9, v9, v18
	v_sub_u32_e32 v11, v22, v11
	v_ldexp_f32 v18, v9, v11
	v_mul_f32_e32 v9, v18, v18
	v_mov_b32_e32 v11, 0xbc7a590c
	v_fmac_f32_e32 v11, 0x3b2d2a58, v9
	v_fma_f32 v11, v9, v11, v41
	v_fma_f32 v11, v9, v11, v42
	v_fma_f32 v11, v9, v11, v43
	v_fma_f32 v11, v9, v11, v44
	v_fma_f32 v11, v9, v11, v45
	v_fma_f32 v11, v9, v11, v46
	v_mul_f32_e32 v9, v9, v11
	v_fmac_f32_e32 v18, v18, v9
.LBB50_189:                             ;   in Loop: Header=BB50_4 Depth=1
	s_or_b64 exec, exec, s[20:21]
                                        ; implicit-def: $vgpr22
                                        ; implicit-def: $vgpr9
                                        ; implicit-def: $vgpr11
.LBB50_190:                             ;   in Loop: Header=BB50_4 Depth=1
	s_andn2_saveexec_b64 s[48:49], s[48:49]
	s_cbranch_execz .LBB50_192
; %bb.191:                              ;   in Loop: Header=BB50_4 Depth=1
	v_div_scale_f32 v18, s[20:21], s87, s87, v20
	v_rcp_f32_e32 v19, v18
	v_div_scale_f32 v23, vcc, v20, s87, v20
	v_min_f32_e32 v9, v22, v9
	v_fma_f32 v24, -v18, v19, 1.0
	v_fmac_f32_e32 v19, v24, v19
	v_mul_f32_e32 v24, v23, v19
	v_fma_f32 v25, -v18, v24, v23
	v_fmac_f32_e32 v24, v25, v19
	v_fma_f32 v18, -v18, v24, v23
	v_div_scale_f32 v23, s[20:21], s87, s87, v21
	v_rcp_f32_e32 v25, v23
	v_div_fmas_f32 v18, v18, v19, v24
	v_div_fixup_f32 v24, v18, s87, v20
	v_frexp_exp_i32_f32_e32 v22, v9
	v_fma_f32 v18, -v23, v25, 1.0
	v_fmac_f32_e32 v25, v18, v25
	v_div_scale_f32 v18, vcc, v21, s87, v21
	v_mul_f32_e32 v19, v18, v25
	v_fma_f32 v26, -v23, v19, v18
	v_fmac_f32_e32 v19, v26, v25
	v_fma_f32 v18, -v23, v19, v18
	v_div_fmas_f32 v18, v18, v25, v19
	v_div_fixup_f32 v23, v18, s87, v21
	v_max_f32_e64 v25, |v24|, |v23|
	v_cvt_f64_f32_e32 v[18:19], v25
	v_frexp_exp_i32_f64_e32 v18, v[18:19]
	v_sub_u32_e32 v19, 0, v18
	v_ldexp_f32 v24, |v24|, v19
	v_ldexp_f32 v19, |v23|, v19
	v_mul_f32_e32 v19, v19, v19
	v_fmac_f32_e32 v19, v24, v24
	v_sqrt_f32_e32 v19, v19
	v_cmp_neq_f32_e32 vcc, s69, v25
	v_frexp_mant_f32_e32 v9, v9
	v_ldexp_f32 v18, v19, v18
	v_cndmask_b32_e32 v18, v47, v18, vcc
	v_cmp_gt_f32_e32 vcc, s73, v18
	v_cndmask_b32_e32 v19, 1.0, v48, vcc
	v_mul_f32_e32 v18, v18, v19
	v_log_f32_e32 v18, v18
	v_mul_f32_e32 v19, 0x3f317217, v18
	v_fma_f32 v23, v18, s74, -v19
	v_fmac_f32_e32 v23, 0x3377d1cf, v18
	v_add_f32_e32 v19, v19, v23
	v_cmp_lt_f32_e64 s[20:21], |v18|, s69
	v_cndmask_b32_e64 v18, v18, v19, s[20:21]
	v_cndmask_b32_e32 v19, 0, v49, vcc
	v_sub_f32_e32 v18, v18, v19
	v_add_f32_e32 v19, 1.0, v18
	s_waitcnt vmcnt(0) lgkmcnt(0)
	v_frexp_mant_f32_e32 v18, v11
	v_rcp_f32_e32 v18, v18
	v_frexp_exp_i32_f32_e32 v11, v11
	v_sub_u32_e32 v11, v22, v11
	v_mul_f32_e32 v9, v9, v18
	v_ldexp_f32 v18, v9, v11
	v_mul_f32_e32 v9, v18, v18
	v_mov_b32_e32 v11, 0xbc7a590c
	v_fmac_f32_e32 v11, 0x3b2d2a58, v9
	v_fma_f32 v11, v9, v11, v41
	v_fma_f32 v11, v9, v11, v42
	;; [unrolled: 1-line block ×6, first 2 shown]
	v_mul_f32_e32 v9, v9, v11
	v_fmac_f32_e32 v18, v18, v9
.LBB50_192:                             ;   in Loop: Header=BB50_4 Depth=1
	s_or_b64 exec, exec, s[48:49]
	v_sub_f32_e32 v9, 0x3fc90fdb, v18
	v_cndmask_b32_e64 v9, v18, v9, s[18:19]
	s_waitcnt vmcnt(0) lgkmcnt(0)
	v_sub_f32_e32 v11, 0x40490fdb, v9
	v_cmp_gt_f32_e32 vcc, 0, v20
	v_cndmask_b32_e32 v9, v9, v11, vcc
	v_cndmask_b32_e64 v11, 0, v53, s[16:17]
	v_cmp_eq_f32_e64 s[16:17], 0, v21
	v_cndmask_b32_e64 v9, v9, v11, s[16:17]
	v_cmp_class_f32_e64 s[16:17], v20, s83
	v_cmp_class_f32_e64 s[18:19], v21, s83
	v_cndmask_b32_e32 v11, v52, v54, vcc
	s_and_b64 vcc, s[18:19], s[16:17]
	v_cndmask_b32_e32 v9, v9, v11, vcc
	v_cmp_o_f32_e32 vcc, v20, v21
	v_cndmask_b32_e64 v18, v50, |v9|, vcc
	v_add_f32_e32 v9, 0x3f317218, v19
	v_cndmask_b32_e64 v19, -v9, v9, s[14:15]
.LBB50_193:                             ;   in Loop: Header=BB50_4 Depth=1
	s_or_b64 exec, exec, s[46:47]
                                        ; implicit-def: $vgpr21
.LBB50_194:                             ;   in Loop: Header=BB50_4 Depth=1
	s_andn2_saveexec_b64 s[14:15], s[44:45]
	s_cbranch_execz .LBB50_208
; %bb.195:                              ;   in Loop: Header=BB50_4 Depth=1
	v_cmp_neq_f32_e64 s[16:17], |v20|, s69
                                        ; implicit-def: $vgpr19
	s_and_saveexec_b64 s[18:19], s[16:17]
	s_xor_b64 s[16:17], exec, s[18:19]
	s_cbranch_execz .LBB50_205
; %bb.196:                              ;   in Loop: Header=BB50_4 Depth=1
	v_cmp_neq_f32_e64 s[18:19], |v21|, s69
                                        ; implicit-def: $vgpr19
	s_and_saveexec_b64 s[20:21], s[18:19]
	s_xor_b64 s[18:19], exec, s[20:21]
	s_cbranch_execz .LBB50_202
; %bb.197:                              ;   in Loop: Header=BB50_4 Depth=1
	v_cmp_neq_f32_e32 vcc, 0, v20
                                        ; implicit-def: $vgpr19
	s_and_saveexec_b64 s[20:21], vcc
	s_xor_b64 s[20:21], exec, s[20:21]
; %bb.198:                              ;   in Loop: Header=BB50_4 Depth=1
	v_add_f32_e32 v9, 0, v21
	v_add_f32_e32 v19, v9, v20
                                        ; implicit-def: $vgpr21
; %bb.199:                              ;   in Loop: Header=BB50_4 Depth=1
	s_or_saveexec_b64 s[20:21], s[20:21]
	v_mov_b32_e32 v18, v19
	s_xor_b64 exec, exec, s[20:21]
	s_cbranch_execz .LBB50_201
; %bb.200:                              ;   in Loop: Header=BB50_4 Depth=1
	v_pk_mov_b32 v[18:19], s[28:29], s[28:29] op_sel:[0,1]
	flat_load_dword v9, v[18:19] glc
	s_waitcnt vmcnt(0)
	v_add_f32_e32 v19, v21, v21
	s_waitcnt lgkmcnt(0)
	v_add_f32_e32 v18, 0x3fc90fdb, v9
.LBB50_201:                             ;   in Loop: Header=BB50_4 Depth=1
	s_or_b64 exec, exec, s[20:21]
                                        ; implicit-def: $vgpr20
.LBB50_202:                             ;   in Loop: Header=BB50_4 Depth=1
	s_andn2_saveexec_b64 s[18:19], s[18:19]
; %bb.203:                              ;   in Loop: Header=BB50_4 Depth=1
	v_add_f32_e32 v18, v20, v20
	v_xor_b32_e32 v19, 0x80000000, v21
; %bb.204:                              ;   in Loop: Header=BB50_4 Depth=1
	s_or_b64 exec, exec, s[18:19]
                                        ; implicit-def: $vgpr21
.LBB50_205:                             ;   in Loop: Header=BB50_4 Depth=1
	s_andn2_saveexec_b64 s[16:17], s[16:17]
; %bb.206:                              ;   in Loop: Header=BB50_4 Depth=1
	v_add_f32_e32 v18, v21, v21
	v_mov_b32_e32 v19, 0xff800000
; %bb.207:                              ;   in Loop: Header=BB50_4 Depth=1
	s_or_b64 exec, exec, s[16:17]
.LBB50_208:                             ;   in Loop: Header=BB50_4 Depth=1
	s_or_b64 exec, exec, s[14:15]
	v_cmp_o_f32_e32 vcc, v16, v16
	v_cmp_o_f32_e64 s[14:15], v17, v17
	v_pk_mov_b32 v[20:21], s[28:29], s[28:29] op_sel:[0,1]
	s_and_b64 s[14:15], vcc, s[14:15]
	flat_store_dword v[20:21], v33
	s_waitcnt vmcnt(0)
                                        ; implicit-def: $vgpr21
	s_and_saveexec_b64 s[16:17], s[14:15]
	s_xor_b64 s[44:45], exec, s[16:17]
	s_cbranch_execz .LBB50_292
; %bb.209:                              ;   in Loop: Header=BB50_4 Depth=1
	v_max_f32_e64 v22, |v16|, |v16|
	v_max_f32_e64 v9, |v17|, |v17|
	s_waitcnt vmcnt(0) lgkmcnt(0)
	v_max_f32_e32 v11, v9, v22
	v_cmp_gt_i32_e64 s[16:17], 0, v16
	v_cmp_lt_i32_e64 s[18:19], -1, v16
	v_cmp_gt_i32_e64 s[14:15], 0, v17
	v_cmp_nlt_f32_e32 vcc, s66, v11
                                        ; implicit-def: $vgpr21
	s_and_saveexec_b64 s[20:21], vcc
	s_xor_b64 s[46:47], exec, s[20:21]
	s_cbranch_execz .LBB50_281
; %bb.210:                              ;   in Loop: Header=BB50_4 Depth=1
	v_cmp_neq_f32_e32 vcc, 1.0, v16
	v_cmp_neq_f32_e64 s[20:21], 0, v17
	s_or_b64 s[20:21], s[20:21], vcc
                                        ; implicit-def: $vgpr21
	s_and_saveexec_b64 s[48:49], s[20:21]
	s_xor_b64 s[48:49], exec, s[48:49]
	s_cbranch_execz .LBB50_278
; %bb.211:                              ;   in Loop: Header=BB50_4 Depth=1
	v_pk_mov_b32 v[20:21], s[30:31], s[30:31] op_sel:[0,1]
	flat_store_dword v[20:21], v34
	s_waitcnt vmcnt(0)
	flat_load_dword v11, v[20:21] glc
	s_waitcnt vmcnt(0)
	v_pk_mov_b32 v[20:21], s[34:35], s[34:35] op_sel:[0,1]
	v_cmp_nlt_f32_e64 s[20:21], |v16|, s67
	v_cmp_nlt_f32_e64 s[50:51], |v17|, s67
	s_or_b64 s[20:21], s[50:51], s[20:21]
	s_waitcnt lgkmcnt(0)
	v_add_f32_e32 v11, 1.0, v11
	flat_store_dword v[20:21], v11
	s_waitcnt vmcnt(0)
	flat_load_dword v11, v[20:21] glc
	s_waitcnt vmcnt(0)
                                        ; implicit-def: $vgpr21
	s_and_saveexec_b64 s[50:51], s[20:21]
	s_xor_b64 s[50:51], exec, s[50:51]
	s_cbranch_execz .LBB50_275
; %bb.212:                              ;   in Loop: Header=BB50_4 Depth=1
	v_and_b32_e32 v22, 0x7fffffff, v16
	v_pk_add_f32 v[24:25], v[22:23], s[38:39] op_sel_hi:[0,1]
	s_waitcnt vmcnt(0) lgkmcnt(0)
	v_max_f32_e64 v11, v9, |v25|
	v_max_f32_e64 v9, v9, |v24|
	v_cvt_f64_f32_e32 v[20:21], v9
	v_frexp_exp_i32_f64_e32 v23, v[20:21]
	v_sub_u32_e32 v20, 0, v23
	v_ldexp_f32 v21, |v17|, v20
	v_ldexp_f32 v20, |v24|, v20
	v_mul_f32_e32 v20, v20, v20
	v_fmac_f32_e32 v20, v21, v21
	v_sqrt_f32_e32 v26, v20
	v_cvt_f64_f32_e32 v[20:21], v11
	v_frexp_exp_i32_f64_e32 v20, v[20:21]
	v_sub_u32_e32 v21, 0, v20
	v_ldexp_f32 v27, |v17|, v21
	v_ldexp_f32 v21, |v25|, v21
	v_mul_f32_e32 v21, v21, v21
	v_fmac_f32_e32 v21, v27, v27
	v_sqrt_f32_e32 v21, v21
	v_cmp_neq_f32_e32 vcc, s69, v11
	v_ldexp_f32 v26, v26, v23
	v_ldexp_f32 v20, v21, v20
	v_cndmask_b32_e32 v23, v47, v20, vcc
	v_cmp_neq_f32_e32 vcc, s69, v9
	v_cndmask_b32_e32 v55, v47, v26, vcc
	v_add_f32_e32 v9, v55, v23
	v_mul_f32_e32 v9, 0.5, v9
	v_cmp_ngt_f32_e32 vcc, 1.0, v9
	v_cndmask_b32_e32 v20, 1.0, v9, vcc
	v_cmp_ngt_f32_e32 vcc, s70, v20
                                        ; implicit-def: $vgpr9
	s_and_saveexec_b64 s[20:21], vcc
	s_xor_b64 s[52:53], exec, s[20:21]
	s_cbranch_execz .LBB50_214
; %bb.213:                              ;   in Loop: Header=BB50_4 Depth=1
	v_fma_f32 v9, v20, v20, -1.0
	v_mul_f32_e32 v11, 0x4f800000, v9
	v_cmp_gt_f32_e32 vcc, s71, v9
	v_cndmask_b32_e32 v9, v9, v11, vcc
	v_sqrt_f32_e32 v11, v9
	v_add_u32_e32 v21, -1, v11
	v_fma_f32 v27, -v21, v11, v9
	v_add_u32_e32 v26, 1, v11
	v_cmp_ge_f32_e64 s[20:21], 0, v27
	v_cndmask_b32_e64 v21, v11, v21, s[20:21]
	v_fma_f32 v11, -v26, v11, v9
	v_cmp_lt_f32_e64 s[20:21], 0, v11
	v_cndmask_b32_e64 v11, v21, v26, s[20:21]
	v_mul_f32_e32 v21, 0x37800000, v11
	v_cndmask_b32_e32 v11, v11, v21, vcc
	v_cmp_class_f32_e32 vcc, v9, v35
	v_cndmask_b32_e32 v9, v11, v9, vcc
	v_add_f32_e32 v9, v20, v9
	v_cmp_gt_f32_e32 vcc, s73, v9
	v_cndmask_b32_e32 v11, 1.0, v48, vcc
	v_mul_f32_e32 v9, v9, v11
	v_log_f32_e32 v9, v9
	v_mul_f32_e32 v11, 0x3f317217, v9
	v_fma_f32 v21, v9, s74, -v11
	v_fmac_f32_e32 v21, 0x3377d1cf, v9
	v_add_f32_e32 v11, v11, v21
	v_cmp_lt_f32_e64 s[20:21], |v9|, s69
	v_cndmask_b32_e64 v9, v9, v11, s[20:21]
	v_cndmask_b32_e32 v11, 0, v49, vcc
	v_sub_f32_e32 v9, v9, v11
.LBB50_214:                             ;   in Loop: Header=BB50_4 Depth=1
	s_or_saveexec_b64 s[52:53], s[52:53]
	v_and_b32_e32 v27, 0x7fffffff, v17
	v_and_b32_e32 v56, 0x7fffffff, v25
	s_xor_b64 exec, exec, s[52:53]
	s_cbranch_execz .LBB50_236
; %bb.215:                              ;   in Loop: Header=BB50_4 Depth=1
	v_cmp_neq_f32_e64 s[20:21], |v16|, 1.0
	v_cmp_nlt_f32_e64 s[54:55], |v17|, s75
	s_or_b64 s[20:21], s[54:55], s[20:21]
                                        ; implicit-def: $vgpr9
	s_and_saveexec_b64 s[54:55], s[20:21]
	s_xor_b64 s[54:55], exec, s[54:55]
	s_cbranch_execz .LBB50_233
; %bb.216:                              ;   in Loop: Header=BB50_4 Depth=1
	v_mul_f32_e32 v9, 0x34000000, v56
	v_cmp_le_f32_e64 s[20:21], v9, |v17|
                                        ; implicit-def: $vgpr9
	s_and_saveexec_b64 s[56:57], s[20:21]
	s_xor_b64 s[56:57], exec, s[56:57]
	s_cbranch_execz .LBB50_226
; %bb.217:                              ;   in Loop: Header=BB50_4 Depth=1
	v_cmp_neq_f32_e32 vcc, 0, v24
	v_mov_b32_e32 v9, v27
	s_and_saveexec_b64 s[20:21], vcc
	s_cbranch_execz .LBB50_219
; %bb.218:                              ;   in Loop: Header=BB50_4 Depth=1
	v_mul_f32_e32 v9, v17, v17
	v_add_f32_e32 v11, v24, v55
	v_div_scale_f32 v21, s[58:59], v11, v11, v9
	v_rcp_f32_e32 v26, v21
	v_fma_f32 v57, -v21, v26, 1.0
	v_fmac_f32_e32 v26, v57, v26
	v_div_scale_f32 v57, vcc, v9, v11, v9
	v_mul_f32_e32 v58, v57, v26
	v_fma_f32 v59, -v21, v58, v57
	v_fmac_f32_e32 v58, v59, v26
	v_fma_f32 v21, -v21, v58, v57
	v_div_fmas_f32 v21, v21, v26, v58
	v_div_fixup_f32 v9, v21, v11, v9
.LBB50_219:                             ;   in Loop: Header=BB50_4 Depth=1
	s_or_b64 exec, exec, s[20:21]
	v_sub_f32_e64 v21, 1.0, |v16|
	v_cmp_ngt_f32_e32 vcc, 0, v21
                                        ; implicit-def: $vgpr11
	s_and_saveexec_b64 s[20:21], vcc
	s_xor_b64 s[20:21], exec, s[20:21]
	s_cbranch_execz .LBB50_223
; %bb.220:                              ;   in Loop: Header=BB50_4 Depth=1
	v_cmp_neq_f32_e32 vcc, 0, v21
	v_mov_b32_e32 v11, v27
	s_and_saveexec_b64 s[58:59], vcc
	s_cbranch_execz .LBB50_222
; %bb.221:                              ;   in Loop: Header=BB50_4 Depth=1
	v_mul_f32_e32 v11, v17, v17
	v_add_f32_e32 v21, v21, v23
	v_div_scale_f32 v26, s[60:61], v21, v21, v11
	v_rcp_f32_e32 v57, v26
	v_fma_f32 v58, -v26, v57, 1.0
	v_fmac_f32_e32 v57, v58, v57
	v_div_scale_f32 v58, vcc, v11, v21, v11
	v_mul_f32_e32 v59, v58, v57
	v_fma_f32 v60, -v26, v59, v58
	v_fmac_f32_e32 v59, v60, v57
	v_fma_f32 v26, -v26, v59, v58
	v_div_fmas_f32 v26, v26, v57, v59
	v_div_fixup_f32 v11, v26, v21, v11
.LBB50_222:                             ;   in Loop: Header=BB50_4 Depth=1
	s_or_b64 exec, exec, s[58:59]
                                        ; implicit-def: $vgpr21
.LBB50_223:                             ;   in Loop: Header=BB50_4 Depth=1
	s_andn2_saveexec_b64 s[20:21], s[20:21]
; %bb.224:                              ;   in Loop: Header=BB50_4 Depth=1
	v_sub_f32_e32 v11, v23, v21
; %bb.225:                              ;   in Loop: Header=BB50_4 Depth=1
	s_or_b64 exec, exec, s[20:21]
	v_mul_f32_e32 v21, 0.5, v9
	v_mul_f32_e32 v9, 0.5, v11
	v_pk_add_f32 v[58:59], v[20:21], v[8:9]
	v_mul_f32_e32 v9, v58, v59
	v_mul_f32_e32 v11, 0x4f800000, v9
	v_cmp_gt_f32_e32 vcc, s71, v9
	v_cndmask_b32_e32 v9, v9, v11, vcc
	v_sqrt_f32_e32 v11, v9
	v_add_u32_e32 v21, -1, v11
	v_fma_f32 v26, -v21, v11, v9
	v_cmp_ge_f32_e64 s[20:21], 0, v26
	v_add_u32_e32 v26, 1, v11
	v_cndmask_b32_e64 v21, v11, v21, s[20:21]
	v_fma_f32 v11, -v26, v11, v9
	v_cmp_lt_f32_e64 s[20:21], 0, v11
	v_cndmask_b32_e64 v11, v21, v26, s[20:21]
	v_mul_f32_e32 v21, 0x37800000, v11
	v_cndmask_b32_e32 v11, v11, v21, vcc
	v_cmp_class_f32_e32 vcc, v9, v35
	v_cndmask_b32_e32 v9, v11, v9, vcc
	v_add_f32_e32 v58, v59, v9
	v_add_f32_e32 v61, 1.0, v58
	v_add_f32_e32 v59, -1.0, v61
	v_mov_b32_e32 v60, v59
	v_pk_add_f32 v[62:63], v[58:59], v[60:61] neg_lo:[0,1] neg_hi:[0,1]
	v_add_f32_e32 v9, 1.0, v63
	v_add_f32_e32 v9, v62, v9
	v_frexp_mant_f32_e32 v11, v61
	v_cvt_f64_f32_e32 v[62:63], v61
	v_frexp_exp_i32_f64_e32 v21, v[62:63]
	v_cmp_gt_f32_e32 vcc, s76, v11
	v_subbrev_co_u32_e32 v21, vcc, 0, v21, vcc
	v_sub_u32_e32 v11, 0, v21
	v_ldexp_f32 v26, v61, v11
	v_ldexp_f32 v9, v9, v11
	v_add_f32_e32 v11, -1.0, v26
	v_add_f32_e32 v59, 1.0, v26
	v_add_f32_e32 v57, 1.0, v11
	v_add_f32_e32 v60, -1.0, v59
	v_sub_f32_e32 v57, v26, v57
	v_sub_f32_e32 v26, v26, v60
	v_add_f32_e32 v57, v9, v57
	v_add_f32_e32 v9, v9, v26
	;; [unrolled: 1-line block ×3, first 2 shown]
	v_sub_f32_e32 v59, v26, v59
	v_sub_f32_e32 v9, v9, v59
	v_rcp_f32_e32 v59, v26
	v_add_f32_e32 v61, v11, v57
	v_sub_f32_e32 v11, v61, v11
	v_sub_f32_e32 v11, v57, v11
	v_mul_f32_e32 v57, v61, v59
	v_mul_f32_e32 v62, v26, v57
	v_fma_f32 v64, v57, v26, -v62
	v_fmac_f32_e32 v64, v57, v9
	v_add_f32_e32 v60, v62, v64
	v_sub_f32_e32 v63, v61, v60
	v_pk_add_f32 v[66:67], v[60:61], v[62:63] neg_lo:[0,1] neg_hi:[0,1]
	v_mov_b32_e32 v65, v60
	v_pk_add_f32 v[60:61], v[66:67], v[64:65] neg_lo:[0,1] neg_hi:[0,1]
	v_add_f32_e32 v11, v11, v61
	v_add_f32_e32 v11, v60, v11
	;; [unrolled: 1-line block ×3, first 2 shown]
	v_mul_f32_e32 v68, v59, v61
	v_mul_f32_e32 v62, v26, v68
	v_fma_f32 v64, v68, v26, -v62
	v_fmac_f32_e32 v64, v68, v9
	v_add_f32_e32 v60, v62, v64
	v_sub_f32_e32 v9, v63, v61
	v_sub_f32_e32 v63, v61, v60
	v_pk_add_f32 v[66:67], v[60:61], v[62:63] neg_lo:[0,1] neg_hi:[0,1]
	v_mov_b32_e32 v65, v60
	v_add_f32_e32 v9, v11, v9
	v_pk_add_f32 v[60:61], v[66:67], v[64:65] neg_lo:[0,1] neg_hi:[0,1]
	v_add_f32_e32 v9, v9, v61
	v_add_f32_e32 v9, v60, v9
	;; [unrolled: 1-line block ×4, first 2 shown]
	v_sub_f32_e32 v11, v26, v57
	v_mul_f32_e32 v9, v59, v9
	v_sub_f32_e32 v11, v68, v11
	v_add_f32_e32 v9, v11, v9
	v_add_f32_e32 v57, v26, v9
	v_cvt_f32_i32_e32 v60, v21
	v_mul_f32_e32 v59, v57, v57
	v_mov_b32_e32 v11, 0x3ecc95a3
	v_fmac_f32_e32 v11, 0x3e9b6dac, v59
	v_fma_f32 v11, v59, v11, v36
	v_mul_f32_e32 v61, v57, v59
	v_pk_mul_f32 v[64:65], v[60:61], v[10:11]
	v_fma_f32 v62, v60, s77, -v64
	v_ldexp_f32 v63, v57, 1
	v_fmac_f32_e32 v62, 0xb102e308, v60
	v_sub_f32_e32 v21, v57, v26
	v_pk_add_f32 v[60:61], v[64:65], v[62:63]
	v_sub_f32_e32 v9, v9, v21
	v_sub_f32_e32 v11, v61, v63
	v_ldexp_f32 v9, v9, 1
	v_sub_f32_e32 v11, v65, v11
	v_add_f32_e32 v67, v9, v11
	v_mov_b32_e32 v66, v64
	v_pk_add_f32 v[64:65], v[60:61], v[64:65] neg_lo:[0,1] neg_hi:[0,1]
	v_pk_add_f32 v[68:69], v[60:61], v[66:67]
	v_mov_b32_e32 v65, v69
	v_mov_b32_e32 v63, v60
	v_pk_add_f32 v[70:71], v[62:63], v[64:65] neg_lo:[0,1] neg_hi:[0,1]
	v_pk_add_f32 v[62:63], v[62:63], v[64:65]
	v_mov_b32_e32 v26, v63
	v_pk_add_f32 v[64:65], v[26:27], v[60:61] neg_lo:[0,1] neg_hi:[0,1]
	v_mov_b32_e32 v9, v64
	v_pk_add_f32 v[72:73], v[68:69], v[8:9] neg_lo:[0,1] neg_hi:[0,1]
	v_mov_b32_e32 v62, v69
	v_mov_b32_e32 v68, v61
	;; [unrolled: 1-line block ×4, first 2 shown]
	v_pk_add_f32 v[62:63], v[62:63], v[68:69] neg_lo:[0,1] neg_hi:[0,1]
	v_mov_b32_e32 v64, v67
	v_mov_b32_e32 v65, v60
	v_pk_add_f32 v[60:61], v[64:65], v[62:63] neg_lo:[0,1] neg_hi:[0,1]
	v_mov_b32_e32 v72, v70
	v_pk_add_f32 v[62:63], v[72:73], v[60:61]
	v_mov_b32_e32 v64, v63
	v_pk_add_f32 v[64:65], v[62:63], v[64:65]
	v_pk_add_f32 v[66:67], v[26:27], v[64:65]
	v_mov_b32_e32 v63, v66
	v_pk_add_f32 v[68:69], v[62:63], v[70:71] neg_lo:[0,1] neg_hi:[0,1]
	v_mov_b32_e32 v61, v64
	v_sub_f32_e32 v9, v62, v68
	v_pk_add_f32 v[60:61], v[60:61], v[68:69] neg_lo:[0,1] neg_hi:[0,1]
	v_sub_f32_e32 v9, v70, v9
	v_add_f32_e32 v9, v60, v9
	v_add_f32_e32 v9, v9, v61
	;; [unrolled: 1-line block ×3, first 2 shown]
	v_cmp_eq_f32_e32 vcc, s69, v58
	v_cndmask_b32_e32 v9, v9, v58, vcc
	v_cmp_ngt_f32_e32 vcc, -1.0, v58
	v_cndmask_b32_e32 v9, v50, v9, vcc
	v_cmp_neq_f32_e32 vcc, -1.0, v58
	v_cndmask_b32_e32 v9, v51, v9, vcc
	v_cmp_lt_f32_e64 vcc, |v58|, s78
	v_cndmask_b32_e32 v9, v9, v58, vcc
.LBB50_226:                             ;   in Loop: Header=BB50_4 Depth=1
	s_andn2_saveexec_b64 s[56:57], s[56:57]
	s_cbranch_execz .LBB50_232
; %bb.227:                              ;   in Loop: Header=BB50_4 Depth=1
	v_cmp_nlt_f32_e64 s[20:21], |v16|, 1.0
                                        ; implicit-def: $vgpr9
	s_and_saveexec_b64 s[58:59], s[20:21]
	s_xor_b64 s[58:59], exec, s[58:59]
	s_cbranch_execz .LBB50_229
; %bb.228:                              ;   in Loop: Header=BB50_4 Depth=1
	v_mul_f32_e32 v9, v25, v24
	v_mul_f32_e32 v11, 0x4f800000, v9
	v_cmp_gt_f32_e32 vcc, s71, v9
	v_cndmask_b32_e32 v9, v9, v11, vcc
	v_sqrt_f32_e32 v11, v9
	v_add_u32_e32 v21, -1, v11
	v_fma_f32 v57, -v21, v11, v9
	v_add_u32_e32 v26, 1, v11
	v_cmp_ge_f32_e64 s[20:21], 0, v57
	v_cndmask_b32_e64 v21, v11, v21, s[20:21]
	v_fma_f32 v11, -v26, v11, v9
	v_cmp_lt_f32_e64 s[20:21], 0, v11
	v_cndmask_b32_e64 v11, v21, v26, s[20:21]
	v_mul_f32_e32 v21, 0x37800000, v11
	v_cndmask_b32_e32 v11, v11, v21, vcc
	v_cmp_class_f32_e32 vcc, v9, v35
	v_cndmask_b32_e32 v9, v11, v9, vcc
	v_add_f32_e32 v58, v25, v9
	v_add_f32_e32 v61, 1.0, v58
	v_add_f32_e32 v59, -1.0, v61
	v_mov_b32_e32 v60, v59
	v_pk_add_f32 v[62:63], v[58:59], v[60:61] neg_lo:[0,1] neg_hi:[0,1]
	v_add_f32_e32 v9, 1.0, v63
	v_add_f32_e32 v9, v62, v9
	v_frexp_mant_f32_e32 v11, v61
	v_cvt_f64_f32_e32 v[62:63], v61
	v_frexp_exp_i32_f64_e32 v21, v[62:63]
	v_cmp_gt_f32_e32 vcc, s76, v11
	v_subbrev_co_u32_e32 v21, vcc, 0, v21, vcc
	v_sub_u32_e32 v11, 0, v21
	v_ldexp_f32 v26, v61, v11
	v_ldexp_f32 v9, v9, v11
	v_add_f32_e32 v11, -1.0, v26
	v_add_f32_e32 v59, 1.0, v26
	v_add_f32_e32 v57, 1.0, v11
	v_add_f32_e32 v60, -1.0, v59
	v_sub_f32_e32 v57, v26, v57
	v_sub_f32_e32 v26, v26, v60
	v_add_f32_e32 v57, v9, v57
	v_add_f32_e32 v9, v9, v26
	;; [unrolled: 1-line block ×3, first 2 shown]
	v_sub_f32_e32 v59, v26, v59
	v_sub_f32_e32 v9, v9, v59
	v_rcp_f32_e32 v59, v26
	v_add_f32_e32 v61, v11, v57
	v_sub_f32_e32 v11, v61, v11
	v_sub_f32_e32 v11, v57, v11
	v_mul_f32_e32 v57, v61, v59
	v_mul_f32_e32 v62, v26, v57
	v_fma_f32 v64, v57, v26, -v62
	v_fmac_f32_e32 v64, v57, v9
	v_add_f32_e32 v60, v62, v64
	v_sub_f32_e32 v63, v61, v60
	v_pk_add_f32 v[66:67], v[60:61], v[62:63] neg_lo:[0,1] neg_hi:[0,1]
	v_mov_b32_e32 v65, v60
	v_pk_add_f32 v[60:61], v[66:67], v[64:65] neg_lo:[0,1] neg_hi:[0,1]
	v_add_f32_e32 v11, v11, v61
	v_add_f32_e32 v11, v60, v11
	;; [unrolled: 1-line block ×3, first 2 shown]
	v_mul_f32_e32 v68, v59, v61
	v_mul_f32_e32 v62, v26, v68
	v_fma_f32 v64, v68, v26, -v62
	v_fmac_f32_e32 v64, v68, v9
	v_add_f32_e32 v60, v62, v64
	v_sub_f32_e32 v9, v63, v61
	v_sub_f32_e32 v63, v61, v60
	v_pk_add_f32 v[66:67], v[60:61], v[62:63] neg_lo:[0,1] neg_hi:[0,1]
	v_mov_b32_e32 v65, v60
	v_add_f32_e32 v9, v11, v9
	v_pk_add_f32 v[60:61], v[66:67], v[64:65] neg_lo:[0,1] neg_hi:[0,1]
	v_add_f32_e32 v9, v9, v61
	v_add_f32_e32 v9, v60, v9
	;; [unrolled: 1-line block ×4, first 2 shown]
	v_sub_f32_e32 v11, v26, v57
	v_mul_f32_e32 v9, v59, v9
	v_sub_f32_e32 v11, v68, v11
	v_add_f32_e32 v9, v11, v9
	v_add_f32_e32 v57, v26, v9
	v_cvt_f32_i32_e32 v60, v21
	v_mul_f32_e32 v59, v57, v57
	v_mov_b32_e32 v11, 0x3ecc95a3
	v_fmac_f32_e32 v11, 0x3e9b6dac, v59
	v_fma_f32 v11, v59, v11, v36
	v_mul_f32_e32 v61, v57, v59
	v_pk_mul_f32 v[64:65], v[60:61], v[10:11]
	v_fma_f32 v62, v60, s77, -v64
	v_ldexp_f32 v63, v57, 1
	v_fmac_f32_e32 v62, 0xb102e308, v60
	v_sub_f32_e32 v21, v57, v26
	v_pk_add_f32 v[60:61], v[64:65], v[62:63]
	v_sub_f32_e32 v9, v9, v21
	v_sub_f32_e32 v11, v61, v63
	v_ldexp_f32 v9, v9, 1
	v_sub_f32_e32 v11, v65, v11
	v_add_f32_e32 v67, v9, v11
	v_mov_b32_e32 v66, v64
	v_pk_add_f32 v[64:65], v[60:61], v[64:65] neg_lo:[0,1] neg_hi:[0,1]
	v_pk_add_f32 v[68:69], v[60:61], v[66:67]
	v_mov_b32_e32 v65, v69
	v_mov_b32_e32 v63, v60
	v_pk_add_f32 v[70:71], v[62:63], v[64:65] neg_lo:[0,1] neg_hi:[0,1]
	v_pk_add_f32 v[62:63], v[62:63], v[64:65]
	v_mov_b32_e32 v26, v63
	v_pk_add_f32 v[64:65], v[26:27], v[60:61] neg_lo:[0,1] neg_hi:[0,1]
	v_mov_b32_e32 v9, v64
	v_pk_add_f32 v[72:73], v[68:69], v[8:9] neg_lo:[0,1] neg_hi:[0,1]
	v_mov_b32_e32 v62, v69
	v_mov_b32_e32 v68, v61
	;; [unrolled: 1-line block ×4, first 2 shown]
	v_pk_add_f32 v[62:63], v[62:63], v[68:69] neg_lo:[0,1] neg_hi:[0,1]
	v_mov_b32_e32 v64, v67
	v_mov_b32_e32 v65, v60
	v_pk_add_f32 v[60:61], v[64:65], v[62:63] neg_lo:[0,1] neg_hi:[0,1]
	v_mov_b32_e32 v72, v70
	v_pk_add_f32 v[62:63], v[72:73], v[60:61]
	v_mov_b32_e32 v64, v63
	v_pk_add_f32 v[64:65], v[62:63], v[64:65]
	v_pk_add_f32 v[66:67], v[26:27], v[64:65]
	v_mov_b32_e32 v63, v66
	v_pk_add_f32 v[68:69], v[62:63], v[70:71] neg_lo:[0,1] neg_hi:[0,1]
	v_mov_b32_e32 v61, v64
	v_sub_f32_e32 v9, v62, v68
	v_pk_add_f32 v[60:61], v[60:61], v[68:69] neg_lo:[0,1] neg_hi:[0,1]
	v_sub_f32_e32 v9, v70, v9
	v_add_f32_e32 v9, v60, v9
	v_add_f32_e32 v9, v9, v61
	;; [unrolled: 1-line block ×3, first 2 shown]
	v_cmp_eq_f32_e32 vcc, s69, v58
	v_cndmask_b32_e32 v9, v9, v58, vcc
	v_cmp_ngt_f32_e32 vcc, -1.0, v58
	v_cndmask_b32_e32 v9, v50, v9, vcc
	v_cmp_neq_f32_e32 vcc, -1.0, v58
	v_cndmask_b32_e32 v9, v51, v9, vcc
	v_cmp_lt_f32_e64 vcc, |v58|, s78
	v_cndmask_b32_e32 v9, v9, v58, vcc
.LBB50_229:                             ;   in Loop: Header=BB50_4 Depth=1
	s_andn2_saveexec_b64 s[58:59], s[58:59]
	s_cbranch_execz .LBB50_231
; %bb.230:                              ;   in Loop: Header=BB50_4 Depth=1
	v_sub_f32_e64 v9, 1.0, |v16|
	v_mul_f32_e32 v9, v9, v24
	v_mul_f32_e32 v11, 0x4f800000, v9
	v_cmp_gt_f32_e32 vcc, s71, v9
	v_cndmask_b32_e32 v9, v9, v11, vcc
	v_sqrt_f32_e32 v11, v9
	v_add_u32_e32 v21, -1, v11
	v_fma_f32 v57, -v21, v11, v9
	v_add_u32_e32 v26, 1, v11
	v_cmp_ge_f32_e64 s[20:21], 0, v57
	v_cndmask_b32_e64 v21, v11, v21, s[20:21]
	v_fma_f32 v11, -v26, v11, v9
	v_cmp_lt_f32_e64 s[20:21], 0, v11
	v_cndmask_b32_e64 v11, v21, v26, s[20:21]
	v_mul_f32_e32 v21, 0x37800000, v11
	v_cndmask_b32_e32 v11, v11, v21, vcc
	v_cmp_class_f32_e32 vcc, v9, v35
	v_cndmask_b32_e32 v9, v11, v9, vcc
	v_and_b32_e32 v11, 0x7fffffff, v17
	v_div_scale_f32 v21, s[20:21], v9, v9, v11
	v_rcp_f32_e32 v26, v21
	v_div_scale_f32 v11, vcc, v11, v9, v11
	v_fma_f32 v57, -v21, v26, 1.0
	v_fmac_f32_e32 v26, v57, v26
	v_mul_f32_e32 v57, v11, v26
	v_fma_f32 v58, -v21, v57, v11
	v_fmac_f32_e32 v57, v58, v26
	v_fma_f32 v11, -v21, v57, v11
	v_div_fmas_f32 v11, v11, v26, v57
	v_div_fixup_f32 v9, v11, v9, |v17|
.LBB50_231:                             ;   in Loop: Header=BB50_4 Depth=1
	s_or_b64 exec, exec, s[58:59]
.LBB50_232:                             ;   in Loop: Header=BB50_4 Depth=1
	s_or_b64 exec, exec, s[56:57]
.LBB50_233:                             ;   in Loop: Header=BB50_4 Depth=1
	s_andn2_saveexec_b64 s[54:55], s[54:55]
	s_cbranch_execz .LBB50_235
; %bb.234:                              ;   in Loop: Header=BB50_4 Depth=1
	v_mul_f32_e64 v9, |v17|, s72
	v_cmp_lt_f32_e64 vcc, |v17|, s71
	v_cndmask_b32_e64 v9, |v17|, v9, vcc
	v_sqrt_f32_e32 v11, v9
	v_add_u32_e32 v21, -1, v11
	v_fma_f32 v57, -v21, v11, v9
	v_add_u32_e32 v26, 1, v11
	v_cmp_ge_f32_e64 s[20:21], 0, v57
	v_cndmask_b32_e64 v21, v11, v21, s[20:21]
	v_fma_f32 v11, -v26, v11, v9
	v_cmp_lt_f32_e64 s[20:21], 0, v11
	v_cndmask_b32_e64 v11, v21, v26, s[20:21]
	v_mul_f32_e32 v21, 0x37800000, v11
	v_cndmask_b32_e32 v11, v11, v21, vcc
	v_cmp_class_f32_e32 vcc, v9, v35
	v_cndmask_b32_e32 v9, v11, v9, vcc
.LBB50_235:                             ;   in Loop: Header=BB50_4 Depth=1
	s_or_b64 exec, exec, s[54:55]
.LBB50_236:                             ;   in Loop: Header=BB50_4 Depth=1
	s_or_b64 exec, exec, s[52:53]
	v_cmp_nlt_f32_e64 s[52:53], |v16|, s79
                                        ; implicit-def: $sgpr20_sgpr21
                                        ; implicit-def: $vgpr26
                                        ; implicit-def: $vgpr11
	s_and_saveexec_b64 s[54:55], s[52:53]
	s_xor_b64 s[52:53], exec, s[54:55]
	s_cbranch_execz .LBB50_260
; %bb.237:                              ;   in Loop: Header=BB50_4 Depth=1
	v_div_scale_f32 v11, s[20:21], v20, v20, v22
	v_rcp_f32_e32 v21, v11
	v_div_scale_f32 v26, vcc, v22, v20, v22
	s_mov_b64 s[20:21], 0
	v_fma_f32 v57, -v11, v21, 1.0
	v_fmac_f32_e32 v21, v57, v21
	v_mul_f32_e32 v57, v26, v21
	v_fma_f32 v58, -v11, v57, v26
	v_fmac_f32_e32 v57, v58, v21
	v_fma_f32 v11, -v11, v57, v26
	v_div_fmas_f32 v11, v11, v21, v57
	v_div_fixup_f32 v11, v11, v20, |v16|
	v_cmp_lt_f32_e32 vcc, s80, v11
                                        ; implicit-def: $vgpr26
	s_and_saveexec_b64 s[54:55], vcc
	s_cbranch_execz .LBB50_259
; %bb.238:                              ;   in Loop: Header=BB50_4 Depth=1
	v_cmp_neq_f32_e64 s[20:21], |v16|, 1.0
	v_cmp_nlt_f32_e64 s[56:57], |v17|, s81
	s_or_b64 s[20:21], s[56:57], s[20:21]
                                        ; implicit-def: $sgpr58_sgpr59
                                        ; implicit-def: $vgpr26
	s_and_saveexec_b64 s[56:57], s[20:21]
	s_xor_b64 s[56:57], exec, s[56:57]
	s_cbranch_execz .LBB50_256
; %bb.239:                              ;   in Loop: Header=BB50_4 Depth=1
	v_mul_f32_e32 v21, 0x34000000, v56
	v_cmp_le_f32_e64 s[20:21], v21, |v17|
                                        ; implicit-def: $vgpr26
                                        ; implicit-def: $sgpr58_sgpr59
	s_and_saveexec_b64 s[60:61], s[20:21]
	s_xor_b64 s[60:61], exec, s[60:61]
	s_cbranch_execz .LBB50_249
; %bb.240:                              ;   in Loop: Header=BB50_4 Depth=1
	v_cmp_neq_f32_e32 vcc, 0, v24
	v_mov_b32_e32 v16, v27
	s_and_saveexec_b64 s[20:21], vcc
	s_cbranch_execz .LBB50_242
; %bb.241:                              ;   in Loop: Header=BB50_4 Depth=1
	v_mul_f32_e32 v16, v17, v17
	v_add_f32_e32 v21, v24, v55
	v_div_scale_f32 v24, s[58:59], v21, v21, v16
	v_rcp_f32_e32 v26, v24
	v_fma_f32 v55, -v24, v26, 1.0
	v_fmac_f32_e32 v26, v55, v26
	v_div_scale_f32 v55, vcc, v16, v21, v16
	v_mul_f32_e32 v56, v55, v26
	v_fma_f32 v57, -v24, v56, v55
	v_fmac_f32_e32 v56, v57, v26
	v_fma_f32 v24, -v24, v56, v55
	v_div_fmas_f32 v24, v24, v26, v56
	v_div_fixup_f32 v16, v24, v21, v16
.LBB50_242:                             ;   in Loop: Header=BB50_4 Depth=1
	s_or_b64 exec, exec, s[20:21]
	v_cmp_ngt_f32_e32 vcc, 0, v25
	s_and_saveexec_b64 s[20:21], vcc
	s_xor_b64 s[20:21], exec, s[20:21]
	s_cbranch_execz .LBB50_246
; %bb.243:                              ;   in Loop: Header=BB50_4 Depth=1
	v_cmp_neq_f32_e32 vcc, 0, v25
	s_and_saveexec_b64 s[58:59], vcc
	s_cbranch_execz .LBB50_245
; %bb.244:                              ;   in Loop: Header=BB50_4 Depth=1
	v_mul_f32_e32 v17, v17, v17
	v_add_f32_e32 v21, v25, v23
	v_div_scale_f32 v23, s[62:63], v21, v21, v17
	v_rcp_f32_e32 v24, v23
	v_fma_f32 v25, -v23, v24, 1.0
	v_fmac_f32_e32 v24, v25, v24
	v_div_scale_f32 v25, vcc, v17, v21, v17
	v_mul_f32_e32 v26, v25, v24
	v_fma_f32 v27, -v23, v26, v25
	v_fmac_f32_e32 v26, v27, v24
	v_fma_f32 v23, -v23, v26, v25
	v_div_fmas_f32 v23, v23, v24, v26
	v_div_fixup_f32 v27, v23, v21, v17
.LBB50_245:                             ;   in Loop: Header=BB50_4 Depth=1
	s_or_b64 exec, exec, s[58:59]
                                        ; implicit-def: $vgpr23
                                        ; implicit-def: $vgpr24_vgpr25
.LBB50_246:                             ;   in Loop: Header=BB50_4 Depth=1
	s_andn2_saveexec_b64 s[20:21], s[20:21]
; %bb.247:                              ;   in Loop: Header=BB50_4 Depth=1
	v_sub_f32_e32 v27, v23, v25
; %bb.248:                              ;   in Loop: Header=BB50_4 Depth=1
	s_or_b64 exec, exec, s[20:21]
	v_mul_f32_e32 v23, 0.5, v16
	v_mul_f32_e32 v21, 0.5, v27
	v_pk_add_f32 v[16:17], v[22:23], v[20:21]
	v_mul_f32_e32 v16, v16, v17
	v_mul_f32_e32 v17, 0x4f800000, v16
	v_cmp_gt_f32_e32 vcc, s71, v16
	v_cndmask_b32_e32 v16, v16, v17, vcc
	v_sqrt_f32_e32 v17, v16
	s_mov_b64 s[58:59], -1
                                        ; implicit-def: $vgpr24_vgpr25
	v_add_u32_e32 v20, -1, v17
	v_fma_f32 v21, -v20, v17, v16
	v_cmp_ge_f32_e64 s[20:21], 0, v21
	v_add_u32_e32 v21, 1, v17
	v_cndmask_b32_e64 v20, v17, v20, s[20:21]
	v_fma_f32 v17, -v21, v17, v16
	v_cmp_lt_f32_e64 s[20:21], 0, v17
	v_cndmask_b32_e64 v17, v20, v21, s[20:21]
	v_mul_f32_e32 v20, 0x37800000, v17
	v_cndmask_b32_e32 v17, v17, v20, vcc
	v_cmp_class_f32_e32 vcc, v16, v35
	v_cndmask_b32_e32 v26, v17, v16, vcc
                                        ; implicit-def: $vgpr17
.LBB50_249:                             ;   in Loop: Header=BB50_4 Depth=1
	s_andn2_saveexec_b64 s[60:61], s[60:61]
	s_cbranch_execz .LBB50_255
; %bb.250:                              ;   in Loop: Header=BB50_4 Depth=1
	v_cmp_ngt_f32_e64 s[20:21], |v16|, 1.0
                                        ; implicit-def: $vgpr26
                                        ; implicit-def: $sgpr62_sgpr63
	s_and_saveexec_b64 s[64:65], s[20:21]
	s_xor_b64 s[64:65], exec, s[64:65]
	s_cbranch_execz .LBB50_252
; %bb.251:                              ;   in Loop: Header=BB50_4 Depth=1
	v_sub_f32_e64 v16, 1.0, |v16|
	v_mul_f32_e32 v16, v16, v24
	v_mul_f32_e32 v17, 0x4f800000, v16
	v_cmp_gt_f32_e32 vcc, s71, v16
	v_cndmask_b32_e32 v16, v16, v17, vcc
	v_sqrt_f32_e32 v17, v16
	s_mov_b64 s[62:63], -1
                                        ; implicit-def: $vgpr24_vgpr25
	v_add_u32_e32 v20, -1, v17
	v_fma_f32 v23, -v20, v17, v16
	v_add_u32_e32 v21, 1, v17
	v_cmp_ge_f32_e64 s[20:21], 0, v23
	v_cndmask_b32_e64 v20, v17, v20, s[20:21]
	v_fma_f32 v17, -v21, v17, v16
	v_cmp_lt_f32_e64 s[20:21], 0, v17
	v_cndmask_b32_e64 v17, v20, v21, s[20:21]
	v_mul_f32_e32 v20, 0x37800000, v17
	v_cndmask_b32_e32 v17, v17, v20, vcc
	v_cmp_class_f32_e32 vcc, v16, v35
	v_cndmask_b32_e32 v26, v17, v16, vcc
                                        ; implicit-def: $vgpr17
.LBB50_252:                             ;   in Loop: Header=BB50_4 Depth=1
	s_andn2_saveexec_b64 s[64:65], s[64:65]
	s_cbranch_execz .LBB50_254
; %bb.253:                              ;   in Loop: Header=BB50_4 Depth=1
	v_mul_f32_e32 v20, v24, v25
	v_mul_f32_e32 v21, 0x4f800000, v20
	v_cmp_gt_f32_e32 vcc, s71, v20
	v_cndmask_b32_e32 v20, v20, v21, vcc
	v_sqrt_f32_e32 v21, v20
	v_mul_f32_e64 v17, |v17|, s82
	v_mul_f32_e64 v17, |v16|, v17
	s_or_b64 s[62:63], s[62:63], exec
	v_add_u32_e32 v22, -1, v21
	v_fma_f32 v23, -v22, v21, v20
	v_cmp_ge_f32_e64 s[20:21], 0, v23
	v_add_u32_e32 v23, 1, v21
	v_cndmask_b32_e64 v22, v21, v22, s[20:21]
	v_fma_f32 v21, -v23, v21, v20
	v_cmp_lt_f32_e64 s[20:21], 0, v21
	v_cndmask_b32_e64 v21, v22, v23, s[20:21]
	v_mul_f32_e32 v22, 0x37800000, v21
	v_cndmask_b32_e32 v21, v21, v22, vcc
	v_cmp_class_f32_e32 vcc, v20, v35
	v_cndmask_b32_e32 v20, v21, v20, vcc
	v_div_scale_f32 v21, s[20:21], v20, v20, v17
	v_rcp_f32_e32 v22, v21
	v_fma_f32 v23, -v21, v22, 1.0
	v_fmac_f32_e32 v22, v23, v22
	v_div_scale_f32 v23, vcc, v17, v20, v17
	v_mul_f32_e32 v24, v23, v22
	v_fma_f32 v25, -v21, v24, v23
	v_fmac_f32_e32 v24, v25, v22
	v_fma_f32 v21, -v21, v24, v23
	v_div_fmas_f32 v21, v21, v22, v24
	v_div_fixup_f32 v26, v21, v20, v17
	v_mul_f32_e64 v22, |v16|, s82
.LBB50_254:                             ;   in Loop: Header=BB50_4 Depth=1
	s_or_b64 exec, exec, s[64:65]
	s_andn2_b64 s[20:21], s[58:59], exec
	s_and_b64 s[58:59], s[62:63], exec
	s_or_b64 s[58:59], s[20:21], s[58:59]
.LBB50_255:                             ;   in Loop: Header=BB50_4 Depth=1
	s_or_b64 exec, exec, s[60:61]
	s_and_b64 s[58:59], s[58:59], exec
                                        ; implicit-def: $vgpr17
                                        ; implicit-def: $vgpr20
.LBB50_256:                             ;   in Loop: Header=BB50_4 Depth=1
	s_andn2_saveexec_b64 s[56:57], s[56:57]
	s_cbranch_execz .LBB50_258
; %bb.257:                              ;   in Loop: Header=BB50_4 Depth=1
	v_mul_f32_e64 v16, |v17|, s72
	v_cmp_lt_f32_e64 vcc, |v17|, s71
	v_cndmask_b32_e64 v16, |v17|, v16, vcc
	v_sqrt_f32_e32 v17, v16
	v_add_f32_e32 v20, 1.0, v20
	v_mul_f32_e32 v20, 0.5, v20
	s_or_b64 s[58:59], s[58:59], exec
	v_add_u32_e32 v21, -1, v17
	v_fma_f32 v23, -v21, v17, v16
	v_add_u32_e32 v22, 1, v17
	v_cmp_ge_f32_e64 s[20:21], 0, v23
	v_cndmask_b32_e64 v21, v17, v21, s[20:21]
	v_fma_f32 v17, -v22, v17, v16
	v_cmp_lt_f32_e64 s[20:21], 0, v17
	v_cndmask_b32_e64 v17, v21, v22, s[20:21]
	v_mul_f32_e32 v22, 0x4f800000, v20
	v_cmp_gt_f32_e64 s[20:21], s71, v20
	v_cndmask_b32_e64 v20, v20, v22, s[20:21]
	v_sqrt_f32_e32 v22, v20
	v_mul_f32_e32 v21, 0x37800000, v17
	v_cndmask_b32_e32 v17, v17, v21, vcc
	v_cmp_class_f32_e32 vcc, v16, v35
	v_cndmask_b32_e32 v16, v17, v16, vcc
	v_add_u32_e32 v17, -1, v22
	v_fma_f32 v21, -v17, v22, v20
	v_cmp_ge_f32_e32 vcc, 0, v21
	v_add_u32_e32 v21, 1, v22
	v_cndmask_b32_e32 v17, v22, v17, vcc
	v_fma_f32 v22, -v21, v22, v20
	v_cmp_lt_f32_e32 vcc, 0, v22
	v_cndmask_b32_e32 v17, v17, v21, vcc
	v_mul_f32_e32 v21, 0x37800000, v17
	v_cndmask_b32_e64 v17, v17, v21, s[20:21]
	v_cmp_class_f32_e32 vcc, v20, v35
	v_cndmask_b32_e32 v17, v17, v20, vcc
	v_mul_f32_e32 v26, v16, v17
	v_mov_b32_e32 v22, 1.0
.LBB50_258:                             ;   in Loop: Header=BB50_4 Depth=1
	s_or_b64 exec, exec, s[56:57]
	s_and_b64 s[20:21], s[58:59], exec
.LBB50_259:                             ;   in Loop: Header=BB50_4 Depth=1
	s_or_b64 exec, exec, s[54:55]
	s_and_b64 s[20:21], s[20:21], exec
                                        ; implicit-def: $vgpr20
.LBB50_260:                             ;   in Loop: Header=BB50_4 Depth=1
	s_andn2_saveexec_b64 s[52:53], s[52:53]
; %bb.261:                              ;   in Loop: Header=BB50_4 Depth=1
	v_mov_b32_e32 v21, v22
	v_pk_mul_f32 v[26:27], v[20:21], s[40:41] op_sel_hi:[1,0]
	s_or_b64 s[20:21], s[20:21], exec
	v_mov_b32_e32 v22, v27
                                        ; implicit-def: $vgpr11
; %bb.262:                              ;   in Loop: Header=BB50_4 Depth=1
	s_or_b64 exec, exec, s[52:53]
	s_xor_b64 s[20:21], s[20:21], -1
                                        ; implicit-def: $vgpr20
	s_and_saveexec_b64 s[52:53], s[20:21]
	s_xor_b64 s[52:53], exec, s[52:53]
	s_cbranch_execz .LBB50_268
; %bb.263:                              ;   in Loop: Header=BB50_4 Depth=1
	v_mul_f32_e32 v16, v11, v11
	v_fma_f32 v17, |v11|, -0.5, 0.5
                                        ; implicit-def: $vgpr20
	s_and_saveexec_b64 s[20:21], s[18:19]
	s_xor_b64 s[20:21], exec, s[20:21]
	s_cbranch_execz .LBB50_265
; %bb.264:                              ;   in Loop: Header=BB50_4 Depth=1
	v_cmp_gt_f32_e64 vcc, |v11|, 0.5
	v_cndmask_b32_e32 v16, v16, v17, vcc
	v_mov_b32_e32 v17, 0x3c5fc5da
	v_fmac_f32_e32 v17, 0x3d1c21a7, v16
	v_fma_f32 v17, v16, v17, v37
	v_fma_f32 v17, v16, v17, v38
	v_sqrt_f32_e32 v20, v16
	v_fma_f32 v17, v16, v17, v39
	v_fma_f32 v17, v16, v17, v40
	v_mul_f32_e32 v16, v16, v17
	v_fmac_f32_e32 v20, v20, v16
	v_fmac_f32_e32 v11, v11, v16
	v_add_f32_e32 v17, v20, v20
	v_sub_f32_e32 v11, 0x3fc90fdb, v11
	v_cndmask_b32_e32 v20, v11, v17, vcc
                                        ; implicit-def: $vgpr11
                                        ; implicit-def: $vgpr16
                                        ; implicit-def: $vgpr17
.LBB50_265:                             ;   in Loop: Header=BB50_4 Depth=1
	s_andn2_saveexec_b64 s[54:55], s[20:21]
	s_cbranch_execz .LBB50_267
; %bb.266:                              ;   in Loop: Header=BB50_4 Depth=1
	v_cmp_gt_f32_e64 vcc, |v11|, 0.5
	v_cndmask_b32_e32 v16, v16, v17, vcc
	v_mov_b32_e32 v17, 0x3c5fc5da
	v_fmac_f32_e32 v17, 0x3d1c21a7, v16
	v_fma_f32 v17, v16, v17, v37
	v_fma_f32 v17, v16, v17, v38
	v_sqrt_f32_e32 v20, v16
	v_fma_f32 v17, v16, v17, v39
	v_fma_f32 v17, v16, v17, v40
	v_mul_f32_e32 v16, v16, v17
	v_fmac_f32_e32 v20, v20, v16
	v_add_f32_e32 v17, v20, v20
	v_sub_f32_e32 v20, 0x40490fdb, v17
	v_cmp_lt_f32_e64 s[20:21], 0, v11
	v_fma_f32 v11, -v11, v16, -v11
	v_cndmask_b32_e64 v17, v17, v20, s[20:21]
	v_sub_f32_e32 v11, 0x3fc90fdb, v11
	v_cndmask_b32_e32 v20, v11, v17, vcc
.LBB50_267:                             ;   in Loop: Header=BB50_4 Depth=1
	s_or_b64 exec, exec, s[54:55]
                                        ; implicit-def: $vgpr22
                                        ; implicit-def: $vgpr26
.LBB50_268:                             ;   in Loop: Header=BB50_4 Depth=1
	s_andn2_saveexec_b64 s[20:21], s[52:53]
	s_cbranch_execz .LBB50_274
; %bb.269:                              ;   in Loop: Header=BB50_4 Depth=1
	v_max_f32_e64 v16, |v26|, |v26|
	v_max_f32_e32 v17, v22, v22
	v_cmp_class_f32_e64 s[52:53], v26, s83
	v_min_f32_e32 v11, v17, v16
	v_max_f32_e32 v16, v17, v16
                                        ; implicit-def: $vgpr20
	s_and_saveexec_b64 s[54:55], s[18:19]
	s_xor_b64 s[18:19], exec, s[54:55]
	s_cbranch_execz .LBB50_271
; %bb.270:                              ;   in Loop: Header=BB50_4 Depth=1
	v_frexp_mant_f32_e32 v17, v16
	v_rcp_f32_e32 v17, v17
	v_frexp_exp_i32_f32_e32 v16, v16
	v_frexp_exp_i32_f32_e32 v20, v11
	v_frexp_mant_f32_e32 v11, v11
	v_mul_f32_e32 v11, v11, v17
	v_sub_u32_e32 v16, v20, v16
	v_ldexp_f32 v11, v11, v16
	v_mul_f32_e32 v16, v11, v11
	v_mov_b32_e32 v17, 0xbc7a590c
	v_fmac_f32_e32 v17, 0x3b2d2a58, v16
	v_fma_f32 v17, v16, v17, v41
	v_fma_f32 v17, v16, v17, v42
	;; [unrolled: 1-line block ×6, first 2 shown]
	v_mul_f32_e32 v16, v16, v17
	v_fmac_f32_e32 v11, v11, v16
	v_sub_f32_e32 v16, 0x3fc90fdb, v11
	v_cmp_gt_f32_e64 vcc, |v26|, v22
	v_cndmask_b32_e32 v11, v11, v16, vcc
	v_cmp_neq_f32_e32 vcc, 0, v26
	v_cndmask_b32_e32 v11, 0, v11, vcc
	v_cmp_eq_f32_e32 vcc, s69, v22
	s_and_b64 vcc, vcc, s[52:53]
	v_cndmask_b32_e32 v11, v11, v52, vcc
	v_cmp_o_f32_e32 vcc, v22, v26
	v_cndmask_b32_e32 v11, v50, v11, vcc
	v_bfi_b32 v20, s68, v11, v26
                                        ; implicit-def: $vgpr16
                                        ; implicit-def: $vgpr11
                                        ; implicit-def: $vgpr22
                                        ; implicit-def: $vgpr26
.LBB50_271:                             ;   in Loop: Header=BB50_4 Depth=1
	s_andn2_saveexec_b64 s[54:55], s[18:19]
	s_cbranch_execz .LBB50_273
; %bb.272:                              ;   in Loop: Header=BB50_4 Depth=1
	v_frexp_mant_f32_e32 v17, v16
	v_rcp_f32_e32 v17, v17
	v_frexp_exp_i32_f32_e32 v16, v16
	v_frexp_exp_i32_f32_e32 v20, v11
	v_frexp_mant_f32_e32 v11, v11
	v_mul_f32_e32 v11, v11, v17
	v_sub_u32_e32 v16, v20, v16
	v_ldexp_f32 v11, v11, v16
	v_mul_f32_e32 v16, v11, v11
	v_mov_b32_e32 v17, 0xbc7a590c
	v_fmac_f32_e32 v17, 0x3b2d2a58, v16
	v_fma_f32 v17, v16, v17, v41
	v_fma_f32 v17, v16, v17, v42
	;; [unrolled: 1-line block ×6, first 2 shown]
	v_mul_f32_e32 v16, v16, v17
	v_fmac_f32_e32 v11, v11, v16
	v_sub_f32_e32 v16, 0x3fc90fdb, v11
	v_cmp_gt_f32_e64 vcc, |v26|, v22
	v_cndmask_b32_e32 v11, v11, v16, vcc
	v_sub_f32_e32 v16, 0x40490fdb, v11
	v_cmp_lt_f32_e32 vcc, 0, v22
	v_cndmask_b32_e32 v11, v11, v16, vcc
	v_cmp_neq_f32_e64 s[18:19], 0, v26
	v_cndmask_b32_e32 v16, v52, v54, vcc
	v_cmp_eq_f32_e32 vcc, s69, v22
	v_cndmask_b32_e64 v11, v53, v11, s[18:19]
	s_and_b64 vcc, vcc, s[52:53]
	v_cndmask_b32_e32 v11, v11, v16, vcc
	v_cmp_o_f32_e64 vcc, v26, -v22
	v_cndmask_b32_e32 v11, v50, v11, vcc
	v_bfi_b32 v20, s68, v11, v26
.LBB50_273:                             ;   in Loop: Header=BB50_4 Depth=1
	s_or_b64 exec, exec, s[54:55]
.LBB50_274:                             ;   in Loop: Header=BB50_4 Depth=1
	s_or_b64 exec, exec, s[20:21]
	v_cndmask_b32_e64 v21, -v9, v9, s[14:15]
                                        ; implicit-def: $vgpr16
.LBB50_275:                             ;   in Loop: Header=BB50_4 Depth=1
	s_andn2_saveexec_b64 s[18:19], s[50:51]
	s_cbranch_execz .LBB50_277
; %bb.276:                              ;   in Loop: Header=BB50_4 Depth=1
	v_pk_mov_b32 v[20:21], s[28:29], s[28:29] op_sel:[0,1]
	flat_load_dword v9, v[20:21] glc
	s_waitcnt vmcnt(0)
	v_xor_b32_e32 v21, 0x80000000, v17
	s_waitcnt lgkmcnt(0)
	v_sub_f32_e32 v9, v9, v16
	v_add_f32_e32 v20, 0x3fc90fdb, v9
.LBB50_277:                             ;   in Loop: Header=BB50_4 Depth=1
	s_or_b64 exec, exec, s[18:19]
                                        ; implicit-def: $vgpr17
.LBB50_278:                             ;   in Loop: Header=BB50_4 Depth=1
	s_andn2_saveexec_b64 s[18:19], s[48:49]
; %bb.279:                              ;   in Loop: Header=BB50_4 Depth=1
	v_xor_b32_e32 v21, 0x80000000, v17
	v_mov_b32_e32 v20, 0
; %bb.280:                              ;   in Loop: Header=BB50_4 Depth=1
	s_or_b64 exec, exec, s[18:19]
                                        ; implicit-def: $vgpr16
                                        ; implicit-def: $vgpr22
                                        ; implicit-def: $vgpr9
                                        ; implicit-def: $vgpr11
.LBB50_281:                             ;   in Loop: Header=BB50_4 Depth=1
	s_andn2_saveexec_b64 s[46:47], s[46:47]
	s_cbranch_execz .LBB50_291
; %bb.282:                              ;   in Loop: Header=BB50_4 Depth=1
	v_cmp_lt_f32_e64 s[18:19], |v16|, |v17|
	v_cndmask_b32_e64 v23, |v16|, |v17|, s[18:19]
	v_cmp_nlt_f32_e32 vcc, s84, v23
                                        ; implicit-def: $vgpr21
                                        ; implicit-def: $vgpr20
	s_and_saveexec_b64 s[20:21], vcc
	s_xor_b64 s[48:49], exec, s[20:21]
	s_cbranch_execz .LBB50_288
; %bb.283:                              ;   in Loop: Header=BB50_4 Depth=1
	v_cndmask_b32_e64 v24, |v17|, |v16|, s[18:19]
	v_cmp_nlt_f32_e32 vcc, s85, v23
	v_cmp_ngt_f32_e64 s[20:21], s86, v24
	s_and_b64 s[20:21], vcc, s[20:21]
                                        ; implicit-def: $vgpr21
                                        ; implicit-def: $vgpr20
	s_and_saveexec_b64 s[50:51], s[20:21]
	s_xor_b64 s[20:21], exec, s[50:51]
	s_cbranch_execz .LBB50_285
; %bb.284:                              ;   in Loop: Header=BB50_4 Depth=1
	v_mul_f32_e32 v20, v24, v24
	v_fmac_f32_e32 v20, v23, v23
	v_cmp_gt_f32_e32 vcc, s73, v20
	v_cndmask_b32_e32 v21, 1.0, v48, vcc
	v_mul_f32_e32 v20, v20, v21
	v_log_f32_e32 v20, v20
	v_cndmask_b32_e32 v21, 0, v49, vcc
	v_min_f32_e32 v9, v22, v9
	v_frexp_exp_i32_f32_e32 v22, v9
	v_mul_f32_e32 v23, 0x3f317217, v20
	v_fma_f32 v24, v20, s74, -v23
	v_fmac_f32_e32 v24, 0x3377d1cf, v20
	v_add_f32_e32 v23, v23, v24
	v_cmp_lt_f32_e64 vcc, |v20|, s69
	v_cndmask_b32_e32 v20, v20, v23, vcc
	v_sub_f32_e32 v20, v20, v21
	v_mul_f32_e32 v21, 0.5, v20
	s_waitcnt vmcnt(0) lgkmcnt(0)
	v_frexp_mant_f32_e32 v20, v11
	v_rcp_f32_e32 v20, v20
	v_frexp_exp_i32_f32_e32 v11, v11
	v_frexp_mant_f32_e32 v9, v9
	v_sub_u32_e32 v11, v22, v11
	v_mul_f32_e32 v9, v9, v20
	v_ldexp_f32 v20, v9, v11
	v_mul_f32_e32 v9, v20, v20
	v_mov_b32_e32 v11, 0xbc7a590c
	v_fmac_f32_e32 v11, 0x3b2d2a58, v9
	v_fma_f32 v11, v9, v11, v41
	v_fma_f32 v11, v9, v11, v42
	;; [unrolled: 1-line block ×6, first 2 shown]
	v_mul_f32_e32 v9, v9, v11
	v_fmac_f32_e32 v20, v20, v9
                                        ; implicit-def: $vgpr11
                                        ; implicit-def: $vgpr22
                                        ; implicit-def: $vgpr9
.LBB50_285:                             ;   in Loop: Header=BB50_4 Depth=1
	s_andn2_saveexec_b64 s[20:21], s[20:21]
	s_cbranch_execz .LBB50_287
; %bb.286:                              ;   in Loop: Header=BB50_4 Depth=1
	s_waitcnt vmcnt(0) lgkmcnt(0)
	v_cvt_f64_f32_e32 v[20:21], v11
	v_frexp_exp_i32_f64_e32 v20, v[20:21]
	v_sub_u32_e32 v21, 0, v20
	v_ldexp_f32 v23, |v16|, v21
	v_ldexp_f32 v21, |v17|, v21
	v_mul_f32_e32 v21, v21, v21
	v_fmac_f32_e32 v21, v23, v23
	v_sqrt_f32_e32 v21, v21
	v_cmp_neq_f32_e32 vcc, s69, v11
	v_min_f32_e32 v9, v22, v9
	v_ldexp_f32 v20, v21, v20
	v_cndmask_b32_e32 v20, v47, v20, vcc
	v_cmp_gt_f32_e32 vcc, s73, v20
	v_cndmask_b32_e32 v21, 1.0, v48, vcc
	v_mul_f32_e32 v20, v20, v21
	v_log_f32_e32 v20, v20
	v_cndmask_b32_e32 v21, 0, v49, vcc
	v_mul_f32_e32 v22, 0x3f317217, v20
	v_fma_f32 v23, v20, s74, -v22
	v_fmac_f32_e32 v23, 0x3377d1cf, v20
	v_add_f32_e32 v22, v22, v23
	v_cmp_lt_f32_e64 vcc, |v20|, s69
	v_cndmask_b32_e32 v20, v20, v22, vcc
	v_sub_f32_e32 v21, v20, v21
	v_frexp_mant_f32_e32 v20, v11
	v_rcp_f32_e32 v20, v20
	v_frexp_exp_i32_f32_e32 v11, v11
	v_frexp_exp_i32_f32_e32 v22, v9
	v_frexp_mant_f32_e32 v9, v9
	v_mul_f32_e32 v9, v9, v20
	v_sub_u32_e32 v11, v22, v11
	v_ldexp_f32 v20, v9, v11
	v_mul_f32_e32 v9, v20, v20
	v_mov_b32_e32 v11, 0xbc7a590c
	v_fmac_f32_e32 v11, 0x3b2d2a58, v9
	v_fma_f32 v11, v9, v11, v41
	v_fma_f32 v11, v9, v11, v42
	v_fma_f32 v11, v9, v11, v43
	v_fma_f32 v11, v9, v11, v44
	v_fma_f32 v11, v9, v11, v45
	v_fma_f32 v11, v9, v11, v46
	v_mul_f32_e32 v9, v9, v11
	v_fmac_f32_e32 v20, v20, v9
.LBB50_287:                             ;   in Loop: Header=BB50_4 Depth=1
	s_or_b64 exec, exec, s[20:21]
                                        ; implicit-def: $vgpr22
                                        ; implicit-def: $vgpr9
                                        ; implicit-def: $vgpr11
.LBB50_288:                             ;   in Loop: Header=BB50_4 Depth=1
	s_andn2_saveexec_b64 s[48:49], s[48:49]
	s_cbranch_execz .LBB50_290
; %bb.289:                              ;   in Loop: Header=BB50_4 Depth=1
	v_div_scale_f32 v20, s[20:21], s87, s87, v16
	v_rcp_f32_e32 v21, v20
	v_div_scale_f32 v23, vcc, v16, s87, v16
	v_min_f32_e32 v9, v22, v9
	v_fma_f32 v24, -v20, v21, 1.0
	v_fmac_f32_e32 v21, v24, v21
	v_mul_f32_e32 v24, v23, v21
	v_fma_f32 v25, -v20, v24, v23
	v_fmac_f32_e32 v24, v25, v21
	v_fma_f32 v20, -v20, v24, v23
	v_div_scale_f32 v23, s[20:21], s87, s87, v17
	v_rcp_f32_e32 v25, v23
	v_div_fmas_f32 v20, v20, v21, v24
	v_div_fixup_f32 v24, v20, s87, v16
	v_frexp_exp_i32_f32_e32 v22, v9
	v_fma_f32 v20, -v23, v25, 1.0
	v_fmac_f32_e32 v25, v20, v25
	v_div_scale_f32 v20, vcc, v17, s87, v17
	v_mul_f32_e32 v21, v20, v25
	v_fma_f32 v26, -v23, v21, v20
	v_fmac_f32_e32 v21, v26, v25
	v_fma_f32 v20, -v23, v21, v20
	v_div_fmas_f32 v20, v20, v25, v21
	v_div_fixup_f32 v23, v20, s87, v17
	v_max_f32_e64 v25, |v24|, |v23|
	v_cvt_f64_f32_e32 v[20:21], v25
	v_frexp_exp_i32_f64_e32 v20, v[20:21]
	v_sub_u32_e32 v21, 0, v20
	v_ldexp_f32 v24, |v24|, v21
	v_ldexp_f32 v21, |v23|, v21
	v_mul_f32_e32 v21, v21, v21
	v_fmac_f32_e32 v21, v24, v24
	v_sqrt_f32_e32 v21, v21
	v_cmp_neq_f32_e32 vcc, s69, v25
	v_frexp_mant_f32_e32 v9, v9
	v_ldexp_f32 v20, v21, v20
	v_cndmask_b32_e32 v20, v47, v20, vcc
	v_cmp_gt_f32_e32 vcc, s73, v20
	v_cndmask_b32_e32 v21, 1.0, v48, vcc
	v_mul_f32_e32 v20, v20, v21
	v_log_f32_e32 v20, v20
	v_mul_f32_e32 v21, 0x3f317217, v20
	v_fma_f32 v23, v20, s74, -v21
	v_fmac_f32_e32 v23, 0x3377d1cf, v20
	v_add_f32_e32 v21, v21, v23
	v_cmp_lt_f32_e64 s[20:21], |v20|, s69
	v_cndmask_b32_e64 v20, v20, v21, s[20:21]
	v_cndmask_b32_e32 v21, 0, v49, vcc
	v_sub_f32_e32 v20, v20, v21
	v_add_f32_e32 v21, 1.0, v20
	s_waitcnt vmcnt(0) lgkmcnt(0)
	v_frexp_mant_f32_e32 v20, v11
	v_rcp_f32_e32 v20, v20
	v_frexp_exp_i32_f32_e32 v11, v11
	v_sub_u32_e32 v11, v22, v11
	v_mul_f32_e32 v9, v9, v20
	v_ldexp_f32 v20, v9, v11
	v_mul_f32_e32 v9, v20, v20
	v_mov_b32_e32 v11, 0xbc7a590c
	v_fmac_f32_e32 v11, 0x3b2d2a58, v9
	v_fma_f32 v11, v9, v11, v41
	v_fma_f32 v11, v9, v11, v42
	;; [unrolled: 1-line block ×6, first 2 shown]
	v_mul_f32_e32 v9, v9, v11
	v_fmac_f32_e32 v20, v20, v9
.LBB50_290:                             ;   in Loop: Header=BB50_4 Depth=1
	s_or_b64 exec, exec, s[48:49]
	v_sub_f32_e32 v9, 0x3fc90fdb, v20
	v_cndmask_b32_e64 v9, v20, v9, s[18:19]
	s_waitcnt vmcnt(0) lgkmcnt(0)
	v_sub_f32_e32 v11, 0x40490fdb, v9
	v_cmp_gt_f32_e32 vcc, 0, v16
	v_cndmask_b32_e32 v9, v9, v11, vcc
	v_cndmask_b32_e64 v11, 0, v53, s[16:17]
	v_cmp_eq_f32_e64 s[16:17], 0, v17
	v_cndmask_b32_e64 v9, v9, v11, s[16:17]
	v_cmp_class_f32_e64 s[16:17], v16, s83
	v_cmp_class_f32_e64 s[18:19], v17, s83
	v_cndmask_b32_e32 v11, v52, v54, vcc
	s_and_b64 vcc, s[18:19], s[16:17]
	v_cndmask_b32_e32 v9, v9, v11, vcc
	v_cmp_o_f32_e32 vcc, v16, v17
	v_cndmask_b32_e64 v20, v50, |v9|, vcc
	v_add_f32_e32 v9, 0x3f317218, v21
	v_cndmask_b32_e64 v21, -v9, v9, s[14:15]
.LBB50_291:                             ;   in Loop: Header=BB50_4 Depth=1
	s_or_b64 exec, exec, s[46:47]
                                        ; implicit-def: $vgpr17
.LBB50_292:                             ;   in Loop: Header=BB50_4 Depth=1
	s_andn2_saveexec_b64 s[14:15], s[44:45]
	s_cbranch_execz .LBB50_306
; %bb.293:                              ;   in Loop: Header=BB50_4 Depth=1
	v_cmp_neq_f32_e64 s[16:17], |v16|, s69
                                        ; implicit-def: $vgpr21
	s_and_saveexec_b64 s[18:19], s[16:17]
	s_xor_b64 s[16:17], exec, s[18:19]
	s_cbranch_execz .LBB50_303
; %bb.294:                              ;   in Loop: Header=BB50_4 Depth=1
	v_cmp_neq_f32_e64 s[18:19], |v17|, s69
                                        ; implicit-def: $vgpr21
	s_and_saveexec_b64 s[20:21], s[18:19]
	s_xor_b64 s[18:19], exec, s[20:21]
	s_cbranch_execz .LBB50_300
; %bb.295:                              ;   in Loop: Header=BB50_4 Depth=1
	v_cmp_neq_f32_e32 vcc, 0, v16
                                        ; implicit-def: $vgpr21
	s_and_saveexec_b64 s[20:21], vcc
	s_xor_b64 s[20:21], exec, s[20:21]
; %bb.296:                              ;   in Loop: Header=BB50_4 Depth=1
	v_add_f32_e32 v9, 0, v17
	v_add_f32_e32 v21, v9, v16
                                        ; implicit-def: $vgpr17
; %bb.297:                              ;   in Loop: Header=BB50_4 Depth=1
	s_or_saveexec_b64 s[20:21], s[20:21]
	v_mov_b32_e32 v20, v21
	s_xor_b64 exec, exec, s[20:21]
	s_cbranch_execz .LBB50_299
; %bb.298:                              ;   in Loop: Header=BB50_4 Depth=1
	v_pk_mov_b32 v[20:21], s[28:29], s[28:29] op_sel:[0,1]
	flat_load_dword v9, v[20:21] glc
	s_waitcnt vmcnt(0)
	v_add_f32_e32 v21, v17, v17
	s_waitcnt lgkmcnt(0)
	v_add_f32_e32 v20, 0x3fc90fdb, v9
.LBB50_299:                             ;   in Loop: Header=BB50_4 Depth=1
	s_or_b64 exec, exec, s[20:21]
                                        ; implicit-def: $vgpr16
.LBB50_300:                             ;   in Loop: Header=BB50_4 Depth=1
	s_andn2_saveexec_b64 s[18:19], s[18:19]
; %bb.301:                              ;   in Loop: Header=BB50_4 Depth=1
	v_add_f32_e32 v20, v16, v16
	v_xor_b32_e32 v21, 0x80000000, v17
; %bb.302:                              ;   in Loop: Header=BB50_4 Depth=1
	s_or_b64 exec, exec, s[18:19]
                                        ; implicit-def: $vgpr17
.LBB50_303:                             ;   in Loop: Header=BB50_4 Depth=1
	s_andn2_saveexec_b64 s[16:17], s[16:17]
; %bb.304:                              ;   in Loop: Header=BB50_4 Depth=1
	v_add_f32_e32 v20, v17, v17
	v_mov_b32_e32 v21, 0xff800000
; %bb.305:                              ;   in Loop: Header=BB50_4 Depth=1
	s_or_b64 exec, exec, s[16:17]
.LBB50_306:                             ;   in Loop: Header=BB50_4 Depth=1
	s_or_b64 exec, exec, s[14:15]
	v_cmp_o_f32_e32 vcc, v12, v12
	v_cmp_o_f32_e64 s[14:15], v13, v13
	v_pk_mov_b32 v[16:17], s[28:29], s[28:29] op_sel:[0,1]
	s_and_b64 s[14:15], vcc, s[14:15]
	flat_store_dword v[16:17], v33
	s_waitcnt vmcnt(0)
                                        ; implicit-def: $vgpr23
	s_and_saveexec_b64 s[16:17], s[14:15]
	s_xor_b64 s[44:45], exec, s[16:17]
	s_cbranch_execnz .LBB50_312
; %bb.307:                              ;   in Loop: Header=BB50_4 Depth=1
	s_andn2_saveexec_b64 s[14:15], s[44:45]
	s_cbranch_execnz .LBB50_395
.LBB50_308:                             ;   in Loop: Header=BB50_4 Depth=1
	s_or_b64 exec, exec, s[14:15]
	s_and_saveexec_b64 s[14:15], s[6:7]
	s_xor_b64 s[6:7], exec, s[14:15]
	s_cbranch_execnz .LBB50_408
.LBB50_309:                             ;   in Loop: Header=BB50_4 Depth=1
	s_or_b64 exec, exec, s[6:7]
	s_and_saveexec_b64 s[6:7], s[8:9]
	s_cbranch_execnz .LBB50_409
.LBB50_310:                             ;   in Loop: Header=BB50_4 Depth=1
	s_or_b64 exec, exec, s[6:7]
	s_and_saveexec_b64 s[6:7], s[10:11]
	s_cbranch_execnz .LBB50_410
.LBB50_311:                             ;   in Loop: Header=BB50_4 Depth=1
	s_or_b64 exec, exec, s[6:7]
	s_and_saveexec_b64 s[6:7], s[12:13]
	s_cbranch_execz .LBB50_3
	s_branch .LBB50_411
.LBB50_312:                             ;   in Loop: Header=BB50_4 Depth=1
	v_max_f32_e64 v16, |v12|, |v12|
	v_max_f32_e64 v9, |v13|, |v13|
	s_waitcnt vmcnt(0) lgkmcnt(0)
	v_max_f32_e32 v11, v9, v16
	v_cmp_gt_i32_e64 s[16:17], 0, v12
	v_cmp_lt_i32_e64 s[18:19], -1, v12
	v_cmp_gt_i32_e64 s[14:15], 0, v13
	v_cmp_nlt_f32_e32 vcc, s66, v11
                                        ; implicit-def: $vgpr23
	s_and_saveexec_b64 s[20:21], vcc
	s_xor_b64 s[46:47], exec, s[20:21]
	s_cbranch_execz .LBB50_384
; %bb.313:                              ;   in Loop: Header=BB50_4 Depth=1
	v_cmp_neq_f32_e32 vcc, 1.0, v12
	v_cmp_neq_f32_e64 s[20:21], 0, v13
	s_or_b64 s[20:21], s[20:21], vcc
                                        ; implicit-def: $vgpr23
	s_and_saveexec_b64 s[48:49], s[20:21]
	s_xor_b64 s[48:49], exec, s[48:49]
	s_cbranch_execz .LBB50_381
; %bb.314:                              ;   in Loop: Header=BB50_4 Depth=1
	v_pk_mov_b32 v[16:17], s[30:31], s[30:31] op_sel:[0,1]
	flat_store_dword v[16:17], v34
	s_waitcnt vmcnt(0)
	flat_load_dword v11, v[16:17] glc
	s_waitcnt vmcnt(0)
	v_pk_mov_b32 v[16:17], s[34:35], s[34:35] op_sel:[0,1]
	v_cmp_nlt_f32_e64 s[20:21], |v12|, s67
	v_cmp_nlt_f32_e64 s[50:51], |v13|, s67
	s_or_b64 s[20:21], s[50:51], s[20:21]
                                        ; implicit-def: $vgpr23
	s_waitcnt lgkmcnt(0)
	v_add_f32_e32 v11, 1.0, v11
	flat_store_dword v[16:17], v11
	s_waitcnt vmcnt(0)
	flat_load_dword v11, v[16:17] glc
	s_waitcnt vmcnt(0)
	s_and_saveexec_b64 s[50:51], s[20:21]
	s_xor_b64 s[50:51], exec, s[50:51]
	s_cbranch_execz .LBB50_378
; %bb.315:                              ;   in Loop: Header=BB50_4 Depth=1
	v_and_b32_e32 v16, 0x7fffffff, v12
	v_pk_add_f32 v[24:25], v[16:17], s[38:39] op_sel_hi:[0,1]
	s_waitcnt lgkmcnt(0)
	v_max_f32_e64 v11, v9, |v25|
	v_max_f32_e64 v9, v9, |v24|
	v_cvt_f64_f32_e32 v[22:23], v9
	v_frexp_exp_i32_f64_e32 v17, v[22:23]
	v_sub_u32_e32 v22, 0, v17
	v_ldexp_f32 v23, |v13|, v22
	v_ldexp_f32 v22, |v24|, v22
	v_mul_f32_e32 v22, v22, v22
	v_fmac_f32_e32 v22, v23, v23
	v_sqrt_f32_e32 v26, v22
	v_cvt_f64_f32_e32 v[22:23], v11
	v_frexp_exp_i32_f64_e32 v22, v[22:23]
	v_sub_u32_e32 v23, 0, v22
	v_ldexp_f32 v27, |v13|, v23
	v_ldexp_f32 v23, |v25|, v23
	v_mul_f32_e32 v23, v23, v23
	v_fmac_f32_e32 v23, v27, v27
	v_sqrt_f32_e32 v23, v23
	v_ldexp_f32 v26, v26, v17
	v_cmp_neq_f32_e32 vcc, s69, v11
	v_ldexp_f32 v17, v23, v22
	v_cndmask_b32_e32 v17, v47, v17, vcc
	v_cmp_neq_f32_e32 vcc, s69, v9
	v_cndmask_b32_e32 v55, v47, v26, vcc
	v_add_f32_e32 v9, v55, v17
	v_mul_f32_e32 v9, 0.5, v9
	v_cmp_ngt_f32_e32 vcc, 1.0, v9
	v_cndmask_b32_e32 v22, 1.0, v9, vcc
	v_cmp_ngt_f32_e32 vcc, s70, v22
                                        ; implicit-def: $vgpr9
	s_and_saveexec_b64 s[20:21], vcc
	s_xor_b64 s[52:53], exec, s[20:21]
	s_cbranch_execz .LBB50_317
; %bb.316:                              ;   in Loop: Header=BB50_4 Depth=1
	v_fma_f32 v9, v22, v22, -1.0
	v_mul_f32_e32 v11, 0x4f800000, v9
	v_cmp_gt_f32_e32 vcc, s71, v9
	v_cndmask_b32_e32 v9, v9, v11, vcc
	v_sqrt_f32_e32 v11, v9
	v_add_u32_e32 v23, -1, v11
	v_fma_f32 v27, -v23, v11, v9
	v_add_u32_e32 v26, 1, v11
	v_cmp_ge_f32_e64 s[20:21], 0, v27
	v_cndmask_b32_e64 v23, v11, v23, s[20:21]
	v_fma_f32 v11, -v26, v11, v9
	v_cmp_lt_f32_e64 s[20:21], 0, v11
	v_cndmask_b32_e64 v11, v23, v26, s[20:21]
	v_mul_f32_e32 v23, 0x37800000, v11
	v_cndmask_b32_e32 v11, v11, v23, vcc
	v_cmp_class_f32_e32 vcc, v9, v35
	v_cndmask_b32_e32 v9, v11, v9, vcc
	v_add_f32_e32 v9, v22, v9
	v_cmp_gt_f32_e32 vcc, s73, v9
	v_cndmask_b32_e32 v11, 1.0, v48, vcc
	v_mul_f32_e32 v9, v9, v11
	v_log_f32_e32 v9, v9
	v_mul_f32_e32 v11, 0x3f317217, v9
	v_fma_f32 v23, v9, s74, -v11
	v_fmac_f32_e32 v23, 0x3377d1cf, v9
	v_add_f32_e32 v11, v11, v23
	v_cmp_lt_f32_e64 s[20:21], |v9|, s69
	v_cndmask_b32_e64 v9, v9, v11, s[20:21]
	v_cndmask_b32_e32 v11, 0, v49, vcc
	v_sub_f32_e32 v9, v9, v11
.LBB50_317:                             ;   in Loop: Header=BB50_4 Depth=1
	s_or_saveexec_b64 s[52:53], s[52:53]
	v_and_b32_e32 v27, 0x7fffffff, v13
	v_and_b32_e32 v56, 0x7fffffff, v25
	s_xor_b64 exec, exec, s[52:53]
	s_cbranch_execz .LBB50_339
; %bb.318:                              ;   in Loop: Header=BB50_4 Depth=1
	v_cmp_neq_f32_e64 s[20:21], |v12|, 1.0
	v_cmp_nlt_f32_e64 s[54:55], |v13|, s75
	s_or_b64 s[20:21], s[54:55], s[20:21]
                                        ; implicit-def: $vgpr9
	s_and_saveexec_b64 s[54:55], s[20:21]
	s_xor_b64 s[54:55], exec, s[54:55]
	s_cbranch_execz .LBB50_336
; %bb.319:                              ;   in Loop: Header=BB50_4 Depth=1
	v_mul_f32_e32 v9, 0x34000000, v56
	v_cmp_le_f32_e64 s[20:21], v9, |v13|
                                        ; implicit-def: $vgpr9
	s_and_saveexec_b64 s[56:57], s[20:21]
	s_xor_b64 s[56:57], exec, s[56:57]
	s_cbranch_execz .LBB50_329
; %bb.320:                              ;   in Loop: Header=BB50_4 Depth=1
	v_cmp_neq_f32_e32 vcc, 0, v24
	v_mov_b32_e32 v9, v27
	s_and_saveexec_b64 s[20:21], vcc
	s_cbranch_execz .LBB50_322
; %bb.321:                              ;   in Loop: Header=BB50_4 Depth=1
	v_mul_f32_e32 v9, v13, v13
	v_add_f32_e32 v11, v24, v55
	v_div_scale_f32 v23, s[58:59], v11, v11, v9
	v_rcp_f32_e32 v26, v23
	v_fma_f32 v57, -v23, v26, 1.0
	v_fmac_f32_e32 v26, v57, v26
	v_div_scale_f32 v57, vcc, v9, v11, v9
	v_mul_f32_e32 v58, v57, v26
	v_fma_f32 v59, -v23, v58, v57
	v_fmac_f32_e32 v58, v59, v26
	v_fma_f32 v23, -v23, v58, v57
	v_div_fmas_f32 v23, v23, v26, v58
	v_div_fixup_f32 v9, v23, v11, v9
.LBB50_322:                             ;   in Loop: Header=BB50_4 Depth=1
	s_or_b64 exec, exec, s[20:21]
	v_sub_f32_e64 v23, 1.0, |v12|
	v_cmp_ngt_f32_e32 vcc, 0, v23
                                        ; implicit-def: $vgpr11
	s_and_saveexec_b64 s[20:21], vcc
	s_xor_b64 s[20:21], exec, s[20:21]
	s_cbranch_execz .LBB50_326
; %bb.323:                              ;   in Loop: Header=BB50_4 Depth=1
	v_cmp_neq_f32_e32 vcc, 0, v23
	v_mov_b32_e32 v11, v27
	s_and_saveexec_b64 s[58:59], vcc
	s_cbranch_execz .LBB50_325
; %bb.324:                              ;   in Loop: Header=BB50_4 Depth=1
	v_mul_f32_e32 v11, v13, v13
	v_add_f32_e32 v23, v23, v17
	v_div_scale_f32 v26, s[60:61], v23, v23, v11
	v_rcp_f32_e32 v57, v26
	v_fma_f32 v58, -v26, v57, 1.0
	v_fmac_f32_e32 v57, v58, v57
	v_div_scale_f32 v58, vcc, v11, v23, v11
	v_mul_f32_e32 v59, v58, v57
	v_fma_f32 v60, -v26, v59, v58
	v_fmac_f32_e32 v59, v60, v57
	v_fma_f32 v26, -v26, v59, v58
	v_div_fmas_f32 v26, v26, v57, v59
	v_div_fixup_f32 v11, v26, v23, v11
.LBB50_325:                             ;   in Loop: Header=BB50_4 Depth=1
	s_or_b64 exec, exec, s[58:59]
                                        ; implicit-def: $vgpr23
.LBB50_326:                             ;   in Loop: Header=BB50_4 Depth=1
	s_andn2_saveexec_b64 s[20:21], s[20:21]
; %bb.327:                              ;   in Loop: Header=BB50_4 Depth=1
	v_sub_f32_e32 v11, v17, v23
; %bb.328:                              ;   in Loop: Header=BB50_4 Depth=1
	s_or_b64 exec, exec, s[20:21]
	v_mul_f32_e32 v23, 0.5, v9
	v_mul_f32_e32 v9, 0.5, v11
	v_pk_add_f32 v[58:59], v[22:23], v[8:9]
	v_mul_f32_e32 v9, v58, v59
	v_mul_f32_e32 v11, 0x4f800000, v9
	v_cmp_gt_f32_e32 vcc, s71, v9
	v_cndmask_b32_e32 v9, v9, v11, vcc
	v_sqrt_f32_e32 v11, v9
	v_add_u32_e32 v23, -1, v11
	v_fma_f32 v26, -v23, v11, v9
	v_cmp_ge_f32_e64 s[20:21], 0, v26
	v_add_u32_e32 v26, 1, v11
	v_cndmask_b32_e64 v23, v11, v23, s[20:21]
	v_fma_f32 v11, -v26, v11, v9
	v_cmp_lt_f32_e64 s[20:21], 0, v11
	v_cndmask_b32_e64 v11, v23, v26, s[20:21]
	v_mul_f32_e32 v23, 0x37800000, v11
	v_cndmask_b32_e32 v11, v11, v23, vcc
	v_cmp_class_f32_e32 vcc, v9, v35
	v_cndmask_b32_e32 v9, v11, v9, vcc
	v_add_f32_e32 v58, v59, v9
	v_add_f32_e32 v61, 1.0, v58
	v_add_f32_e32 v59, -1.0, v61
	v_mov_b32_e32 v60, v59
	v_pk_add_f32 v[62:63], v[58:59], v[60:61] neg_lo:[0,1] neg_hi:[0,1]
	v_add_f32_e32 v9, 1.0, v63
	v_add_f32_e32 v9, v62, v9
	v_frexp_mant_f32_e32 v11, v61
	v_cvt_f64_f32_e32 v[62:63], v61
	v_frexp_exp_i32_f64_e32 v23, v[62:63]
	v_cmp_gt_f32_e32 vcc, s76, v11
	v_subbrev_co_u32_e32 v23, vcc, 0, v23, vcc
	v_sub_u32_e32 v11, 0, v23
	v_ldexp_f32 v26, v61, v11
	v_ldexp_f32 v9, v9, v11
	v_add_f32_e32 v11, -1.0, v26
	v_add_f32_e32 v59, 1.0, v26
	v_add_f32_e32 v57, 1.0, v11
	v_add_f32_e32 v60, -1.0, v59
	v_sub_f32_e32 v57, v26, v57
	v_sub_f32_e32 v26, v26, v60
	v_add_f32_e32 v57, v9, v57
	v_add_f32_e32 v9, v9, v26
	;; [unrolled: 1-line block ×3, first 2 shown]
	v_sub_f32_e32 v59, v26, v59
	v_sub_f32_e32 v9, v9, v59
	v_rcp_f32_e32 v59, v26
	v_add_f32_e32 v61, v11, v57
	v_sub_f32_e32 v11, v61, v11
	v_sub_f32_e32 v11, v57, v11
	v_mul_f32_e32 v57, v61, v59
	v_mul_f32_e32 v62, v26, v57
	v_fma_f32 v64, v57, v26, -v62
	v_fmac_f32_e32 v64, v57, v9
	v_add_f32_e32 v60, v62, v64
	v_sub_f32_e32 v63, v61, v60
	v_pk_add_f32 v[66:67], v[60:61], v[62:63] neg_lo:[0,1] neg_hi:[0,1]
	v_mov_b32_e32 v65, v60
	v_pk_add_f32 v[60:61], v[66:67], v[64:65] neg_lo:[0,1] neg_hi:[0,1]
	v_add_f32_e32 v11, v11, v61
	v_add_f32_e32 v11, v60, v11
	;; [unrolled: 1-line block ×3, first 2 shown]
	v_mul_f32_e32 v68, v59, v61
	v_mul_f32_e32 v62, v26, v68
	v_fma_f32 v64, v68, v26, -v62
	v_fmac_f32_e32 v64, v68, v9
	v_add_f32_e32 v60, v62, v64
	v_sub_f32_e32 v9, v63, v61
	v_sub_f32_e32 v63, v61, v60
	v_pk_add_f32 v[66:67], v[60:61], v[62:63] neg_lo:[0,1] neg_hi:[0,1]
	v_mov_b32_e32 v65, v60
	v_add_f32_e32 v9, v11, v9
	v_pk_add_f32 v[60:61], v[66:67], v[64:65] neg_lo:[0,1] neg_hi:[0,1]
	v_add_f32_e32 v9, v9, v61
	v_add_f32_e32 v9, v60, v9
	;; [unrolled: 1-line block ×4, first 2 shown]
	v_sub_f32_e32 v11, v26, v57
	v_mul_f32_e32 v9, v59, v9
	v_sub_f32_e32 v11, v68, v11
	v_add_f32_e32 v9, v11, v9
	v_add_f32_e32 v57, v26, v9
	v_cvt_f32_i32_e32 v60, v23
	v_mul_f32_e32 v59, v57, v57
	v_mov_b32_e32 v11, 0x3ecc95a3
	v_fmac_f32_e32 v11, 0x3e9b6dac, v59
	v_fma_f32 v11, v59, v11, v36
	v_mul_f32_e32 v61, v57, v59
	v_pk_mul_f32 v[64:65], v[60:61], v[10:11]
	v_fma_f32 v62, v60, s77, -v64
	v_ldexp_f32 v63, v57, 1
	v_fmac_f32_e32 v62, 0xb102e308, v60
	v_sub_f32_e32 v23, v57, v26
	v_pk_add_f32 v[60:61], v[64:65], v[62:63]
	v_sub_f32_e32 v9, v9, v23
	v_sub_f32_e32 v11, v61, v63
	v_ldexp_f32 v9, v9, 1
	v_sub_f32_e32 v11, v65, v11
	v_add_f32_e32 v67, v9, v11
	v_mov_b32_e32 v66, v64
	v_pk_add_f32 v[64:65], v[60:61], v[64:65] neg_lo:[0,1] neg_hi:[0,1]
	v_pk_add_f32 v[68:69], v[60:61], v[66:67]
	v_mov_b32_e32 v65, v69
	v_mov_b32_e32 v63, v60
	v_pk_add_f32 v[70:71], v[62:63], v[64:65] neg_lo:[0,1] neg_hi:[0,1]
	v_pk_add_f32 v[62:63], v[62:63], v[64:65]
	v_mov_b32_e32 v26, v63
	v_pk_add_f32 v[64:65], v[26:27], v[60:61] neg_lo:[0,1] neg_hi:[0,1]
	v_mov_b32_e32 v9, v64
	v_pk_add_f32 v[72:73], v[68:69], v[8:9] neg_lo:[0,1] neg_hi:[0,1]
	v_mov_b32_e32 v62, v69
	v_mov_b32_e32 v68, v61
	;; [unrolled: 1-line block ×4, first 2 shown]
	v_pk_add_f32 v[62:63], v[62:63], v[68:69] neg_lo:[0,1] neg_hi:[0,1]
	v_mov_b32_e32 v64, v67
	v_mov_b32_e32 v65, v60
	v_pk_add_f32 v[60:61], v[64:65], v[62:63] neg_lo:[0,1] neg_hi:[0,1]
	v_mov_b32_e32 v72, v70
	v_pk_add_f32 v[62:63], v[72:73], v[60:61]
	v_mov_b32_e32 v64, v63
	v_pk_add_f32 v[64:65], v[62:63], v[64:65]
	v_pk_add_f32 v[66:67], v[26:27], v[64:65]
	v_mov_b32_e32 v63, v66
	v_pk_add_f32 v[68:69], v[62:63], v[70:71] neg_lo:[0,1] neg_hi:[0,1]
	v_mov_b32_e32 v61, v64
	v_sub_f32_e32 v9, v62, v68
	v_pk_add_f32 v[60:61], v[60:61], v[68:69] neg_lo:[0,1] neg_hi:[0,1]
	v_sub_f32_e32 v9, v70, v9
	v_add_f32_e32 v9, v60, v9
	v_add_f32_e32 v9, v9, v61
	;; [unrolled: 1-line block ×3, first 2 shown]
	v_cmp_eq_f32_e32 vcc, s69, v58
	v_cndmask_b32_e32 v9, v9, v58, vcc
	v_cmp_ngt_f32_e32 vcc, -1.0, v58
	v_cndmask_b32_e32 v9, v50, v9, vcc
	v_cmp_neq_f32_e32 vcc, -1.0, v58
	v_cndmask_b32_e32 v9, v51, v9, vcc
	v_cmp_lt_f32_e64 vcc, |v58|, s78
	v_cndmask_b32_e32 v9, v9, v58, vcc
.LBB50_329:                             ;   in Loop: Header=BB50_4 Depth=1
	s_andn2_saveexec_b64 s[56:57], s[56:57]
	s_cbranch_execz .LBB50_335
; %bb.330:                              ;   in Loop: Header=BB50_4 Depth=1
	v_cmp_nlt_f32_e64 s[20:21], |v12|, 1.0
                                        ; implicit-def: $vgpr9
	s_and_saveexec_b64 s[58:59], s[20:21]
	s_xor_b64 s[58:59], exec, s[58:59]
	s_cbranch_execz .LBB50_332
; %bb.331:                              ;   in Loop: Header=BB50_4 Depth=1
	v_mul_f32_e32 v9, v25, v24
	v_mul_f32_e32 v11, 0x4f800000, v9
	v_cmp_gt_f32_e32 vcc, s71, v9
	v_cndmask_b32_e32 v9, v9, v11, vcc
	v_sqrt_f32_e32 v11, v9
	v_add_u32_e32 v23, -1, v11
	v_fma_f32 v57, -v23, v11, v9
	v_add_u32_e32 v26, 1, v11
	v_cmp_ge_f32_e64 s[20:21], 0, v57
	v_cndmask_b32_e64 v23, v11, v23, s[20:21]
	v_fma_f32 v11, -v26, v11, v9
	v_cmp_lt_f32_e64 s[20:21], 0, v11
	v_cndmask_b32_e64 v11, v23, v26, s[20:21]
	v_mul_f32_e32 v23, 0x37800000, v11
	v_cndmask_b32_e32 v11, v11, v23, vcc
	v_cmp_class_f32_e32 vcc, v9, v35
	v_cndmask_b32_e32 v9, v11, v9, vcc
	v_add_f32_e32 v58, v25, v9
	v_add_f32_e32 v61, 1.0, v58
	v_add_f32_e32 v59, -1.0, v61
	v_mov_b32_e32 v60, v59
	v_pk_add_f32 v[62:63], v[58:59], v[60:61] neg_lo:[0,1] neg_hi:[0,1]
	v_add_f32_e32 v9, 1.0, v63
	v_add_f32_e32 v9, v62, v9
	v_frexp_mant_f32_e32 v11, v61
	v_cvt_f64_f32_e32 v[62:63], v61
	v_frexp_exp_i32_f64_e32 v23, v[62:63]
	v_cmp_gt_f32_e32 vcc, s76, v11
	v_subbrev_co_u32_e32 v23, vcc, 0, v23, vcc
	v_sub_u32_e32 v11, 0, v23
	v_ldexp_f32 v26, v61, v11
	v_ldexp_f32 v9, v9, v11
	v_add_f32_e32 v11, -1.0, v26
	v_add_f32_e32 v59, 1.0, v26
	v_add_f32_e32 v57, 1.0, v11
	v_add_f32_e32 v60, -1.0, v59
	v_sub_f32_e32 v57, v26, v57
	v_sub_f32_e32 v26, v26, v60
	v_add_f32_e32 v57, v9, v57
	v_add_f32_e32 v9, v9, v26
	;; [unrolled: 1-line block ×3, first 2 shown]
	v_sub_f32_e32 v59, v26, v59
	v_sub_f32_e32 v9, v9, v59
	v_rcp_f32_e32 v59, v26
	v_add_f32_e32 v61, v11, v57
	v_sub_f32_e32 v11, v61, v11
	v_sub_f32_e32 v11, v57, v11
	v_mul_f32_e32 v57, v61, v59
	v_mul_f32_e32 v62, v26, v57
	v_fma_f32 v64, v57, v26, -v62
	v_fmac_f32_e32 v64, v57, v9
	v_add_f32_e32 v60, v62, v64
	v_sub_f32_e32 v63, v61, v60
	v_pk_add_f32 v[66:67], v[60:61], v[62:63] neg_lo:[0,1] neg_hi:[0,1]
	v_mov_b32_e32 v65, v60
	v_pk_add_f32 v[60:61], v[66:67], v[64:65] neg_lo:[0,1] neg_hi:[0,1]
	v_add_f32_e32 v11, v11, v61
	v_add_f32_e32 v11, v60, v11
	;; [unrolled: 1-line block ×3, first 2 shown]
	v_mul_f32_e32 v68, v59, v61
	v_mul_f32_e32 v62, v26, v68
	v_fma_f32 v64, v68, v26, -v62
	v_fmac_f32_e32 v64, v68, v9
	v_add_f32_e32 v60, v62, v64
	v_sub_f32_e32 v9, v63, v61
	v_sub_f32_e32 v63, v61, v60
	v_pk_add_f32 v[66:67], v[60:61], v[62:63] neg_lo:[0,1] neg_hi:[0,1]
	v_mov_b32_e32 v65, v60
	v_add_f32_e32 v9, v11, v9
	v_pk_add_f32 v[60:61], v[66:67], v[64:65] neg_lo:[0,1] neg_hi:[0,1]
	v_add_f32_e32 v9, v9, v61
	v_add_f32_e32 v9, v60, v9
	;; [unrolled: 1-line block ×4, first 2 shown]
	v_sub_f32_e32 v11, v26, v57
	v_mul_f32_e32 v9, v59, v9
	v_sub_f32_e32 v11, v68, v11
	v_add_f32_e32 v9, v11, v9
	v_add_f32_e32 v57, v26, v9
	v_cvt_f32_i32_e32 v60, v23
	v_mul_f32_e32 v59, v57, v57
	v_mov_b32_e32 v11, 0x3ecc95a3
	v_fmac_f32_e32 v11, 0x3e9b6dac, v59
	v_fma_f32 v11, v59, v11, v36
	v_mul_f32_e32 v61, v57, v59
	v_pk_mul_f32 v[64:65], v[60:61], v[10:11]
	v_fma_f32 v62, v60, s77, -v64
	v_ldexp_f32 v63, v57, 1
	v_fmac_f32_e32 v62, 0xb102e308, v60
	v_sub_f32_e32 v23, v57, v26
	v_pk_add_f32 v[60:61], v[64:65], v[62:63]
	v_sub_f32_e32 v9, v9, v23
	v_sub_f32_e32 v11, v61, v63
	v_ldexp_f32 v9, v9, 1
	v_sub_f32_e32 v11, v65, v11
	v_add_f32_e32 v67, v9, v11
	v_mov_b32_e32 v66, v64
	v_pk_add_f32 v[64:65], v[60:61], v[64:65] neg_lo:[0,1] neg_hi:[0,1]
	v_pk_add_f32 v[68:69], v[60:61], v[66:67]
	v_mov_b32_e32 v65, v69
	v_mov_b32_e32 v63, v60
	v_pk_add_f32 v[70:71], v[62:63], v[64:65] neg_lo:[0,1] neg_hi:[0,1]
	v_pk_add_f32 v[62:63], v[62:63], v[64:65]
	v_mov_b32_e32 v26, v63
	v_pk_add_f32 v[64:65], v[26:27], v[60:61] neg_lo:[0,1] neg_hi:[0,1]
	v_mov_b32_e32 v9, v64
	v_pk_add_f32 v[72:73], v[68:69], v[8:9] neg_lo:[0,1] neg_hi:[0,1]
	v_mov_b32_e32 v62, v69
	v_mov_b32_e32 v68, v61
	;; [unrolled: 1-line block ×4, first 2 shown]
	v_pk_add_f32 v[62:63], v[62:63], v[68:69] neg_lo:[0,1] neg_hi:[0,1]
	v_mov_b32_e32 v64, v67
	v_mov_b32_e32 v65, v60
	v_pk_add_f32 v[60:61], v[64:65], v[62:63] neg_lo:[0,1] neg_hi:[0,1]
	v_mov_b32_e32 v72, v70
	v_pk_add_f32 v[62:63], v[72:73], v[60:61]
	v_mov_b32_e32 v64, v63
	v_pk_add_f32 v[64:65], v[62:63], v[64:65]
	v_pk_add_f32 v[66:67], v[26:27], v[64:65]
	v_mov_b32_e32 v63, v66
	v_pk_add_f32 v[68:69], v[62:63], v[70:71] neg_lo:[0,1] neg_hi:[0,1]
	v_mov_b32_e32 v61, v64
	v_sub_f32_e32 v9, v62, v68
	v_pk_add_f32 v[60:61], v[60:61], v[68:69] neg_lo:[0,1] neg_hi:[0,1]
	v_sub_f32_e32 v9, v70, v9
	v_add_f32_e32 v9, v60, v9
	v_add_f32_e32 v9, v9, v61
	v_add_f32_e32 v9, v66, v9
	v_cmp_eq_f32_e32 vcc, s69, v58
	v_cndmask_b32_e32 v9, v9, v58, vcc
	v_cmp_ngt_f32_e32 vcc, -1.0, v58
	v_cndmask_b32_e32 v9, v50, v9, vcc
	v_cmp_neq_f32_e32 vcc, -1.0, v58
	v_cndmask_b32_e32 v9, v51, v9, vcc
	v_cmp_lt_f32_e64 vcc, |v58|, s78
	v_cndmask_b32_e32 v9, v9, v58, vcc
.LBB50_332:                             ;   in Loop: Header=BB50_4 Depth=1
	s_andn2_saveexec_b64 s[58:59], s[58:59]
	s_cbranch_execz .LBB50_334
; %bb.333:                              ;   in Loop: Header=BB50_4 Depth=1
	v_sub_f32_e64 v9, 1.0, |v12|
	v_mul_f32_e32 v9, v9, v24
	v_mul_f32_e32 v11, 0x4f800000, v9
	v_cmp_gt_f32_e32 vcc, s71, v9
	v_cndmask_b32_e32 v9, v9, v11, vcc
	v_sqrt_f32_e32 v11, v9
	v_add_u32_e32 v23, -1, v11
	v_fma_f32 v57, -v23, v11, v9
	v_add_u32_e32 v26, 1, v11
	v_cmp_ge_f32_e64 s[20:21], 0, v57
	v_cndmask_b32_e64 v23, v11, v23, s[20:21]
	v_fma_f32 v11, -v26, v11, v9
	v_cmp_lt_f32_e64 s[20:21], 0, v11
	v_cndmask_b32_e64 v11, v23, v26, s[20:21]
	v_mul_f32_e32 v23, 0x37800000, v11
	v_cndmask_b32_e32 v11, v11, v23, vcc
	v_cmp_class_f32_e32 vcc, v9, v35
	v_cndmask_b32_e32 v9, v11, v9, vcc
	v_and_b32_e32 v11, 0x7fffffff, v13
	v_div_scale_f32 v23, s[20:21], v9, v9, v11
	v_rcp_f32_e32 v26, v23
	v_div_scale_f32 v11, vcc, v11, v9, v11
	v_fma_f32 v57, -v23, v26, 1.0
	v_fmac_f32_e32 v26, v57, v26
	v_mul_f32_e32 v57, v11, v26
	v_fma_f32 v58, -v23, v57, v11
	v_fmac_f32_e32 v57, v58, v26
	v_fma_f32 v11, -v23, v57, v11
	v_div_fmas_f32 v11, v11, v26, v57
	v_div_fixup_f32 v9, v11, v9, |v13|
.LBB50_334:                             ;   in Loop: Header=BB50_4 Depth=1
	s_or_b64 exec, exec, s[58:59]
.LBB50_335:                             ;   in Loop: Header=BB50_4 Depth=1
	s_or_b64 exec, exec, s[56:57]
.LBB50_336:                             ;   in Loop: Header=BB50_4 Depth=1
	s_andn2_saveexec_b64 s[54:55], s[54:55]
	s_cbranch_execz .LBB50_338
; %bb.337:                              ;   in Loop: Header=BB50_4 Depth=1
	v_mul_f32_e64 v9, |v13|, s72
	v_cmp_lt_f32_e64 vcc, |v13|, s71
	v_cndmask_b32_e64 v9, |v13|, v9, vcc
	v_sqrt_f32_e32 v11, v9
	v_add_u32_e32 v23, -1, v11
	v_fma_f32 v57, -v23, v11, v9
	v_add_u32_e32 v26, 1, v11
	v_cmp_ge_f32_e64 s[20:21], 0, v57
	v_cndmask_b32_e64 v23, v11, v23, s[20:21]
	v_fma_f32 v11, -v26, v11, v9
	v_cmp_lt_f32_e64 s[20:21], 0, v11
	v_cndmask_b32_e64 v11, v23, v26, s[20:21]
	v_mul_f32_e32 v23, 0x37800000, v11
	v_cndmask_b32_e32 v11, v11, v23, vcc
	v_cmp_class_f32_e32 vcc, v9, v35
	v_cndmask_b32_e32 v9, v11, v9, vcc
.LBB50_338:                             ;   in Loop: Header=BB50_4 Depth=1
	s_or_b64 exec, exec, s[54:55]
.LBB50_339:                             ;   in Loop: Header=BB50_4 Depth=1
	s_or_b64 exec, exec, s[52:53]
	v_cmp_nlt_f32_e64 s[52:53], |v12|, s79
                                        ; implicit-def: $sgpr20_sgpr21
                                        ; implicit-def: $vgpr26
                                        ; implicit-def: $vgpr11
	s_and_saveexec_b64 s[54:55], s[52:53]
	s_xor_b64 s[52:53], exec, s[54:55]
	s_cbranch_execz .LBB50_363
; %bb.340:                              ;   in Loop: Header=BB50_4 Depth=1
	v_div_scale_f32 v11, s[20:21], v22, v22, v16
	v_rcp_f32_e32 v23, v11
	v_div_scale_f32 v26, vcc, v16, v22, v16
	s_mov_b64 s[20:21], 0
	v_fma_f32 v57, -v11, v23, 1.0
	v_fmac_f32_e32 v23, v57, v23
	v_mul_f32_e32 v57, v26, v23
	v_fma_f32 v58, -v11, v57, v26
	v_fmac_f32_e32 v57, v58, v23
	v_fma_f32 v11, -v11, v57, v26
	v_div_fmas_f32 v11, v11, v23, v57
	v_div_fixup_f32 v11, v11, v22, |v12|
	v_cmp_lt_f32_e32 vcc, s80, v11
                                        ; implicit-def: $vgpr26
	s_and_saveexec_b64 s[54:55], vcc
	s_cbranch_execz .LBB50_362
; %bb.341:                              ;   in Loop: Header=BB50_4 Depth=1
	v_cmp_neq_f32_e64 s[20:21], |v12|, 1.0
	v_cmp_nlt_f32_e64 s[56:57], |v13|, s81
	s_or_b64 s[20:21], s[56:57], s[20:21]
                                        ; implicit-def: $sgpr58_sgpr59
                                        ; implicit-def: $vgpr26
	s_and_saveexec_b64 s[56:57], s[20:21]
	s_xor_b64 s[56:57], exec, s[56:57]
	s_cbranch_execz .LBB50_359
; %bb.342:                              ;   in Loop: Header=BB50_4 Depth=1
	v_mul_f32_e32 v23, 0x34000000, v56
	v_cmp_le_f32_e64 s[20:21], v23, |v13|
                                        ; implicit-def: $vgpr26
                                        ; implicit-def: $sgpr58_sgpr59
	s_and_saveexec_b64 s[60:61], s[20:21]
	s_xor_b64 s[60:61], exec, s[60:61]
	s_cbranch_execz .LBB50_352
; %bb.343:                              ;   in Loop: Header=BB50_4 Depth=1
	v_cmp_neq_f32_e32 vcc, 0, v24
	v_mov_b32_e32 v12, v27
	s_and_saveexec_b64 s[20:21], vcc
	s_cbranch_execz .LBB50_345
; %bb.344:                              ;   in Loop: Header=BB50_4 Depth=1
	v_mul_f32_e32 v12, v13, v13
	v_add_f32_e32 v23, v24, v55
	v_div_scale_f32 v24, s[58:59], v23, v23, v12
	v_rcp_f32_e32 v26, v24
	v_fma_f32 v55, -v24, v26, 1.0
	v_fmac_f32_e32 v26, v55, v26
	v_div_scale_f32 v55, vcc, v12, v23, v12
	v_mul_f32_e32 v56, v55, v26
	v_fma_f32 v57, -v24, v56, v55
	v_fmac_f32_e32 v56, v57, v26
	v_fma_f32 v24, -v24, v56, v55
	v_div_fmas_f32 v24, v24, v26, v56
	v_div_fixup_f32 v12, v24, v23, v12
.LBB50_345:                             ;   in Loop: Header=BB50_4 Depth=1
	s_or_b64 exec, exec, s[20:21]
	v_cmp_ngt_f32_e32 vcc, 0, v25
	s_and_saveexec_b64 s[20:21], vcc
	s_xor_b64 s[20:21], exec, s[20:21]
	s_cbranch_execz .LBB50_349
; %bb.346:                              ;   in Loop: Header=BB50_4 Depth=1
	v_cmp_neq_f32_e32 vcc, 0, v25
	s_and_saveexec_b64 s[58:59], vcc
	s_cbranch_execz .LBB50_348
; %bb.347:                              ;   in Loop: Header=BB50_4 Depth=1
	v_mul_f32_e32 v13, v13, v13
	v_add_f32_e32 v17, v25, v17
	v_div_scale_f32 v23, s[62:63], v17, v17, v13
	v_rcp_f32_e32 v24, v23
	v_fma_f32 v25, -v23, v24, 1.0
	v_fmac_f32_e32 v24, v25, v24
	v_div_scale_f32 v25, vcc, v13, v17, v13
	v_mul_f32_e32 v26, v25, v24
	v_fma_f32 v27, -v23, v26, v25
	v_fmac_f32_e32 v26, v27, v24
	v_fma_f32 v23, -v23, v26, v25
	v_div_fmas_f32 v23, v23, v24, v26
	v_div_fixup_f32 v27, v23, v17, v13
.LBB50_348:                             ;   in Loop: Header=BB50_4 Depth=1
	s_or_b64 exec, exec, s[58:59]
                                        ; implicit-def: $vgpr17
                                        ; implicit-def: $vgpr24_vgpr25
.LBB50_349:                             ;   in Loop: Header=BB50_4 Depth=1
	s_andn2_saveexec_b64 s[20:21], s[20:21]
; %bb.350:                              ;   in Loop: Header=BB50_4 Depth=1
	v_sub_f32_e32 v27, v17, v25
; %bb.351:                              ;   in Loop: Header=BB50_4 Depth=1
	s_or_b64 exec, exec, s[20:21]
	v_mul_f32_e32 v17, 0.5, v12
	v_mul_f32_e32 v23, 0.5, v27
	v_pk_add_f32 v[12:13], v[16:17], v[22:23]
	v_mul_f32_e32 v12, v12, v13
	v_mul_f32_e32 v13, 0x4f800000, v12
	v_cmp_gt_f32_e32 vcc, s71, v12
	v_cndmask_b32_e32 v12, v12, v13, vcc
	v_sqrt_f32_e32 v13, v12
	s_mov_b64 s[58:59], -1
                                        ; implicit-def: $vgpr24_vgpr25
	v_add_u32_e32 v17, -1, v13
	v_fma_f32 v22, -v17, v13, v12
	v_cmp_ge_f32_e64 s[20:21], 0, v22
	v_add_u32_e32 v22, 1, v13
	v_cndmask_b32_e64 v17, v13, v17, s[20:21]
	v_fma_f32 v13, -v22, v13, v12
	v_cmp_lt_f32_e64 s[20:21], 0, v13
	v_cndmask_b32_e64 v13, v17, v22, s[20:21]
	v_mul_f32_e32 v17, 0x37800000, v13
	v_cndmask_b32_e32 v13, v13, v17, vcc
	v_cmp_class_f32_e32 vcc, v12, v35
	v_cndmask_b32_e32 v26, v13, v12, vcc
                                        ; implicit-def: $vgpr13
.LBB50_352:                             ;   in Loop: Header=BB50_4 Depth=1
	s_andn2_saveexec_b64 s[60:61], s[60:61]
	s_cbranch_execz .LBB50_358
; %bb.353:                              ;   in Loop: Header=BB50_4 Depth=1
	v_cmp_ngt_f32_e64 s[20:21], |v12|, 1.0
                                        ; implicit-def: $vgpr26
                                        ; implicit-def: $sgpr62_sgpr63
	s_and_saveexec_b64 s[64:65], s[20:21]
	s_xor_b64 s[64:65], exec, s[64:65]
	s_cbranch_execz .LBB50_355
; %bb.354:                              ;   in Loop: Header=BB50_4 Depth=1
	v_sub_f32_e64 v12, 1.0, |v12|
	v_mul_f32_e32 v12, v12, v24
	v_mul_f32_e32 v13, 0x4f800000, v12
	v_cmp_gt_f32_e32 vcc, s71, v12
	v_cndmask_b32_e32 v12, v12, v13, vcc
	v_sqrt_f32_e32 v13, v12
	s_mov_b64 s[62:63], -1
                                        ; implicit-def: $vgpr24_vgpr25
	v_add_u32_e32 v17, -1, v13
	v_fma_f32 v23, -v17, v13, v12
	v_add_u32_e32 v22, 1, v13
	v_cmp_ge_f32_e64 s[20:21], 0, v23
	v_cndmask_b32_e64 v17, v13, v17, s[20:21]
	v_fma_f32 v13, -v22, v13, v12
	v_cmp_lt_f32_e64 s[20:21], 0, v13
	v_cndmask_b32_e64 v13, v17, v22, s[20:21]
	v_mul_f32_e32 v17, 0x37800000, v13
	v_cndmask_b32_e32 v13, v13, v17, vcc
	v_cmp_class_f32_e32 vcc, v12, v35
	v_cndmask_b32_e32 v26, v13, v12, vcc
                                        ; implicit-def: $vgpr13
.LBB50_355:                             ;   in Loop: Header=BB50_4 Depth=1
	s_andn2_saveexec_b64 s[64:65], s[64:65]
	s_cbranch_execz .LBB50_357
; %bb.356:                              ;   in Loop: Header=BB50_4 Depth=1
	v_mul_f32_e32 v16, v24, v25
	v_mul_f32_e32 v17, 0x4f800000, v16
	v_cmp_gt_f32_e32 vcc, s71, v16
	v_cndmask_b32_e32 v16, v16, v17, vcc
	v_sqrt_f32_e32 v17, v16
	v_mul_f32_e64 v13, |v13|, s82
	v_mul_f32_e64 v13, |v12|, v13
	s_or_b64 s[62:63], s[62:63], exec
	v_add_u32_e32 v22, -1, v17
	v_fma_f32 v23, -v22, v17, v16
	v_cmp_ge_f32_e64 s[20:21], 0, v23
	v_add_u32_e32 v23, 1, v17
	v_cndmask_b32_e64 v22, v17, v22, s[20:21]
	v_fma_f32 v17, -v23, v17, v16
	v_cmp_lt_f32_e64 s[20:21], 0, v17
	v_cndmask_b32_e64 v17, v22, v23, s[20:21]
	v_mul_f32_e32 v22, 0x37800000, v17
	v_cndmask_b32_e32 v17, v17, v22, vcc
	v_cmp_class_f32_e32 vcc, v16, v35
	v_cndmask_b32_e32 v16, v17, v16, vcc
	v_div_scale_f32 v17, s[20:21], v16, v16, v13
	v_rcp_f32_e32 v22, v17
	v_fma_f32 v23, -v17, v22, 1.0
	v_fmac_f32_e32 v22, v23, v22
	v_div_scale_f32 v23, vcc, v13, v16, v13
	v_mul_f32_e32 v24, v23, v22
	v_fma_f32 v25, -v17, v24, v23
	v_fmac_f32_e32 v24, v25, v22
	v_fma_f32 v17, -v17, v24, v23
	v_div_fmas_f32 v17, v17, v22, v24
	v_div_fixup_f32 v26, v17, v16, v13
	v_mul_f32_e64 v16, |v12|, s82
.LBB50_357:                             ;   in Loop: Header=BB50_4 Depth=1
	s_or_b64 exec, exec, s[64:65]
	s_andn2_b64 s[20:21], s[58:59], exec
	s_and_b64 s[58:59], s[62:63], exec
	s_or_b64 s[58:59], s[20:21], s[58:59]
.LBB50_358:                             ;   in Loop: Header=BB50_4 Depth=1
	s_or_b64 exec, exec, s[60:61]
	s_and_b64 s[58:59], s[58:59], exec
                                        ; implicit-def: $vgpr13
                                        ; implicit-def: $vgpr22
.LBB50_359:                             ;   in Loop: Header=BB50_4 Depth=1
	s_andn2_saveexec_b64 s[56:57], s[56:57]
	s_cbranch_execz .LBB50_361
; %bb.360:                              ;   in Loop: Header=BB50_4 Depth=1
	v_mul_f32_e64 v12, |v13|, s72
	v_cmp_lt_f32_e64 vcc, |v13|, s71
	v_cndmask_b32_e64 v12, |v13|, v12, vcc
	v_sqrt_f32_e32 v13, v12
	s_or_b64 s[58:59], s[58:59], exec
	v_add_u32_e32 v16, -1, v13
	v_fma_f32 v23, -v16, v13, v12
	v_add_u32_e32 v17, 1, v13
	v_cmp_ge_f32_e64 s[20:21], 0, v23
	v_cndmask_b32_e64 v16, v13, v16, s[20:21]
	v_fma_f32 v13, -v17, v13, v12
	v_cmp_lt_f32_e64 s[20:21], 0, v13
	v_cndmask_b32_e64 v13, v16, v17, s[20:21]
	v_add_f32_e32 v17, 1.0, v22
	v_mul_f32_e32 v17, 0.5, v17
	v_mul_f32_e32 v22, 0x4f800000, v17
	v_cmp_gt_f32_e64 s[20:21], s71, v17
	v_cndmask_b32_e64 v17, v17, v22, s[20:21]
	v_sqrt_f32_e32 v22, v17
	v_mul_f32_e32 v16, 0x37800000, v13
	v_cndmask_b32_e32 v13, v13, v16, vcc
	v_cmp_class_f32_e32 vcc, v12, v35
	v_cndmask_b32_e32 v12, v13, v12, vcc
	v_add_u32_e32 v13, -1, v22
	v_fma_f32 v16, -v13, v22, v17
	v_cmp_ge_f32_e32 vcc, 0, v16
	v_add_u32_e32 v16, 1, v22
	v_cndmask_b32_e32 v13, v22, v13, vcc
	v_fma_f32 v22, -v16, v22, v17
	v_cmp_lt_f32_e32 vcc, 0, v22
	v_cndmask_b32_e32 v13, v13, v16, vcc
	v_mul_f32_e32 v16, 0x37800000, v13
	v_cndmask_b32_e64 v13, v13, v16, s[20:21]
	v_cmp_class_f32_e32 vcc, v17, v35
	v_cndmask_b32_e32 v13, v13, v17, vcc
	v_mul_f32_e32 v26, v12, v13
	v_mov_b32_e32 v16, 1.0
.LBB50_361:                             ;   in Loop: Header=BB50_4 Depth=1
	s_or_b64 exec, exec, s[56:57]
	s_and_b64 s[20:21], s[58:59], exec
.LBB50_362:                             ;   in Loop: Header=BB50_4 Depth=1
	s_or_b64 exec, exec, s[54:55]
	s_and_b64 s[20:21], s[20:21], exec
                                        ; implicit-def: $vgpr22
.LBB50_363:                             ;   in Loop: Header=BB50_4 Depth=1
	s_andn2_saveexec_b64 s[52:53], s[52:53]
; %bb.364:                              ;   in Loop: Header=BB50_4 Depth=1
	v_mov_b32_e32 v23, v16
	v_pk_mul_f32 v[26:27], v[22:23], s[40:41] op_sel_hi:[1,0]
	s_or_b64 s[20:21], s[20:21], exec
	v_mov_b32_e32 v16, v27
                                        ; implicit-def: $vgpr11
; %bb.365:                              ;   in Loop: Header=BB50_4 Depth=1
	s_or_b64 exec, exec, s[52:53]
	s_xor_b64 s[20:21], s[20:21], -1
                                        ; implicit-def: $vgpr22
	s_and_saveexec_b64 s[52:53], s[20:21]
	s_xor_b64 s[52:53], exec, s[52:53]
	s_cbranch_execz .LBB50_371
; %bb.366:                              ;   in Loop: Header=BB50_4 Depth=1
	v_mul_f32_e32 v12, v11, v11
	v_fma_f32 v13, |v11|, -0.5, 0.5
                                        ; implicit-def: $vgpr22
	s_and_saveexec_b64 s[20:21], s[18:19]
	s_xor_b64 s[20:21], exec, s[20:21]
	s_cbranch_execz .LBB50_368
; %bb.367:                              ;   in Loop: Header=BB50_4 Depth=1
	v_cmp_gt_f32_e64 vcc, |v11|, 0.5
	v_cndmask_b32_e32 v12, v12, v13, vcc
	v_mov_b32_e32 v13, 0x3c5fc5da
	v_fmac_f32_e32 v13, 0x3d1c21a7, v12
	v_fma_f32 v13, v12, v13, v37
	v_fma_f32 v13, v12, v13, v38
	v_sqrt_f32_e32 v16, v12
	v_fma_f32 v13, v12, v13, v39
	v_fma_f32 v13, v12, v13, v40
	v_mul_f32_e32 v12, v12, v13
	v_fmac_f32_e32 v16, v16, v12
	v_fmac_f32_e32 v11, v11, v12
	v_add_f32_e32 v13, v16, v16
	v_sub_f32_e32 v11, 0x3fc90fdb, v11
	v_cndmask_b32_e32 v22, v11, v13, vcc
                                        ; implicit-def: $vgpr11
                                        ; implicit-def: $vgpr12
                                        ; implicit-def: $vgpr13
.LBB50_368:                             ;   in Loop: Header=BB50_4 Depth=1
	s_andn2_saveexec_b64 s[54:55], s[20:21]
	s_cbranch_execz .LBB50_370
; %bb.369:                              ;   in Loop: Header=BB50_4 Depth=1
	v_cmp_gt_f32_e64 vcc, |v11|, 0.5
	v_cndmask_b32_e32 v12, v12, v13, vcc
	v_mov_b32_e32 v13, 0x3c5fc5da
	v_fmac_f32_e32 v13, 0x3d1c21a7, v12
	v_fma_f32 v13, v12, v13, v37
	v_fma_f32 v13, v12, v13, v38
	v_sqrt_f32_e32 v16, v12
	v_fma_f32 v13, v12, v13, v39
	v_fma_f32 v13, v12, v13, v40
	v_mul_f32_e32 v12, v12, v13
	v_fmac_f32_e32 v16, v16, v12
	v_add_f32_e32 v13, v16, v16
	v_sub_f32_e32 v16, 0x40490fdb, v13
	v_cmp_lt_f32_e64 s[20:21], 0, v11
	v_fma_f32 v11, -v11, v12, -v11
	v_cndmask_b32_e64 v13, v13, v16, s[20:21]
	v_sub_f32_e32 v11, 0x3fc90fdb, v11
	v_cndmask_b32_e32 v22, v11, v13, vcc
.LBB50_370:                             ;   in Loop: Header=BB50_4 Depth=1
	s_or_b64 exec, exec, s[54:55]
                                        ; implicit-def: $vgpr16
                                        ; implicit-def: $vgpr26
.LBB50_371:                             ;   in Loop: Header=BB50_4 Depth=1
	s_andn2_saveexec_b64 s[20:21], s[52:53]
	s_cbranch_execz .LBB50_377
; %bb.372:                              ;   in Loop: Header=BB50_4 Depth=1
	v_max_f32_e64 v12, |v26|, |v26|
	v_max_f32_e32 v13, v16, v16
	v_cmp_class_f32_e64 s[52:53], v26, s83
	v_min_f32_e32 v11, v13, v12
	v_max_f32_e32 v12, v13, v12
                                        ; implicit-def: $vgpr22
	s_and_saveexec_b64 s[54:55], s[18:19]
	s_xor_b64 s[18:19], exec, s[54:55]
	s_cbranch_execz .LBB50_374
; %bb.373:                              ;   in Loop: Header=BB50_4 Depth=1
	v_frexp_mant_f32_e32 v13, v12
	v_rcp_f32_e32 v13, v13
	v_frexp_exp_i32_f32_e32 v12, v12
	v_frexp_exp_i32_f32_e32 v17, v11
	v_frexp_mant_f32_e32 v11, v11
	v_mul_f32_e32 v11, v11, v13
	v_sub_u32_e32 v12, v17, v12
	v_ldexp_f32 v11, v11, v12
	v_mul_f32_e32 v12, v11, v11
	v_mov_b32_e32 v13, 0xbc7a590c
	v_fmac_f32_e32 v13, 0x3b2d2a58, v12
	v_fma_f32 v13, v12, v13, v41
	v_fma_f32 v13, v12, v13, v42
	;; [unrolled: 1-line block ×6, first 2 shown]
	v_mul_f32_e32 v12, v12, v13
	v_fmac_f32_e32 v11, v11, v12
	v_sub_f32_e32 v12, 0x3fc90fdb, v11
	v_cmp_gt_f32_e64 vcc, |v26|, v16
	v_cndmask_b32_e32 v11, v11, v12, vcc
	v_cmp_neq_f32_e32 vcc, 0, v26
	v_cndmask_b32_e32 v11, 0, v11, vcc
	v_cmp_eq_f32_e32 vcc, s69, v16
	s_and_b64 vcc, vcc, s[52:53]
	v_cndmask_b32_e32 v11, v11, v52, vcc
	v_cmp_o_f32_e32 vcc, v16, v26
	v_cndmask_b32_e32 v11, v50, v11, vcc
	v_bfi_b32 v22, s68, v11, v26
                                        ; implicit-def: $vgpr12
                                        ; implicit-def: $vgpr11
                                        ; implicit-def: $vgpr16
                                        ; implicit-def: $vgpr26
.LBB50_374:                             ;   in Loop: Header=BB50_4 Depth=1
	s_andn2_saveexec_b64 s[54:55], s[18:19]
	s_cbranch_execz .LBB50_376
; %bb.375:                              ;   in Loop: Header=BB50_4 Depth=1
	v_frexp_mant_f32_e32 v13, v12
	v_rcp_f32_e32 v13, v13
	v_frexp_exp_i32_f32_e32 v12, v12
	v_frexp_exp_i32_f32_e32 v17, v11
	v_frexp_mant_f32_e32 v11, v11
	v_mul_f32_e32 v11, v11, v13
	v_sub_u32_e32 v12, v17, v12
	v_ldexp_f32 v11, v11, v12
	v_mul_f32_e32 v12, v11, v11
	v_mov_b32_e32 v13, 0xbc7a590c
	v_fmac_f32_e32 v13, 0x3b2d2a58, v12
	v_fma_f32 v13, v12, v13, v41
	v_fma_f32 v13, v12, v13, v42
	;; [unrolled: 1-line block ×6, first 2 shown]
	v_mul_f32_e32 v12, v12, v13
	v_fmac_f32_e32 v11, v11, v12
	v_sub_f32_e32 v12, 0x3fc90fdb, v11
	v_cmp_gt_f32_e64 vcc, |v26|, v16
	v_cndmask_b32_e32 v11, v11, v12, vcc
	v_sub_f32_e32 v12, 0x40490fdb, v11
	v_cmp_lt_f32_e32 vcc, 0, v16
	v_cndmask_b32_e32 v11, v11, v12, vcc
	v_cmp_neq_f32_e64 s[18:19], 0, v26
	v_cndmask_b32_e32 v12, v52, v54, vcc
	v_cmp_eq_f32_e32 vcc, s69, v16
	v_cndmask_b32_e64 v11, v53, v11, s[18:19]
	s_and_b64 vcc, vcc, s[52:53]
	v_cndmask_b32_e32 v11, v11, v12, vcc
	v_cmp_o_f32_e64 vcc, v26, -v16
	v_cndmask_b32_e32 v11, v50, v11, vcc
	v_bfi_b32 v22, s68, v11, v26
.LBB50_376:                             ;   in Loop: Header=BB50_4 Depth=1
	s_or_b64 exec, exec, s[54:55]
.LBB50_377:                             ;   in Loop: Header=BB50_4 Depth=1
	s_or_b64 exec, exec, s[20:21]
	v_cndmask_b32_e64 v23, -v9, v9, s[14:15]
                                        ; implicit-def: $vgpr12
.LBB50_378:                             ;   in Loop: Header=BB50_4 Depth=1
	s_andn2_saveexec_b64 s[18:19], s[50:51]
	s_cbranch_execz .LBB50_380
; %bb.379:                              ;   in Loop: Header=BB50_4 Depth=1
	v_pk_mov_b32 v[16:17], s[28:29], s[28:29] op_sel:[0,1]
	flat_load_dword v9, v[16:17] glc
	s_waitcnt vmcnt(0)
	v_xor_b32_e32 v23, 0x80000000, v13
	s_waitcnt lgkmcnt(0)
	v_sub_f32_e32 v9, v9, v12
	v_add_f32_e32 v22, 0x3fc90fdb, v9
.LBB50_380:                             ;   in Loop: Header=BB50_4 Depth=1
	s_or_b64 exec, exec, s[18:19]
                                        ; implicit-def: $vgpr13
.LBB50_381:                             ;   in Loop: Header=BB50_4 Depth=1
	s_andn2_saveexec_b64 s[18:19], s[48:49]
; %bb.382:                              ;   in Loop: Header=BB50_4 Depth=1
	v_xor_b32_e32 v23, 0x80000000, v13
	v_mov_b32_e32 v22, 0
; %bb.383:                              ;   in Loop: Header=BB50_4 Depth=1
	s_or_b64 exec, exec, s[18:19]
                                        ; implicit-def: $vgpr12
                                        ; implicit-def: $vgpr16
                                        ; implicit-def: $vgpr9
                                        ; implicit-def: $vgpr11
.LBB50_384:                             ;   in Loop: Header=BB50_4 Depth=1
	s_andn2_saveexec_b64 s[46:47], s[46:47]
	s_cbranch_execz .LBB50_394
; %bb.385:                              ;   in Loop: Header=BB50_4 Depth=1
	v_cmp_lt_f32_e64 s[18:19], |v12|, |v13|
	v_cndmask_b32_e64 v23, |v12|, |v13|, s[18:19]
	v_cmp_nlt_f32_e32 vcc, s84, v23
                                        ; implicit-def: $vgpr17
                                        ; implicit-def: $vgpr22
	s_and_saveexec_b64 s[20:21], vcc
	s_xor_b64 s[48:49], exec, s[20:21]
	s_cbranch_execz .LBB50_391
; %bb.386:                              ;   in Loop: Header=BB50_4 Depth=1
	v_cndmask_b32_e64 v24, |v13|, |v12|, s[18:19]
	v_cmp_nlt_f32_e32 vcc, s85, v23
	v_cmp_ngt_f32_e64 s[20:21], s86, v24
	s_and_b64 s[20:21], vcc, s[20:21]
                                        ; implicit-def: $vgpr17
                                        ; implicit-def: $vgpr22
	s_and_saveexec_b64 s[50:51], s[20:21]
	s_xor_b64 s[20:21], exec, s[50:51]
	s_cbranch_execz .LBB50_388
; %bb.387:                              ;   in Loop: Header=BB50_4 Depth=1
	v_mul_f32_e32 v17, v24, v24
	v_fmac_f32_e32 v17, v23, v23
	v_cmp_gt_f32_e32 vcc, s73, v17
	v_cndmask_b32_e32 v22, 1.0, v48, vcc
	v_mul_f32_e32 v17, v17, v22
	v_log_f32_e32 v17, v17
	v_min_f32_e32 v9, v16, v9
	s_waitcnt lgkmcnt(0)
	v_frexp_mant_f32_e32 v16, v11
	v_rcp_f32_e32 v16, v16
	v_mul_f32_e32 v23, 0x3f317217, v17
	v_fma_f32 v24, v17, s74, -v23
	v_fmac_f32_e32 v24, 0x3377d1cf, v17
	v_cndmask_b32_e32 v22, 0, v49, vcc
	v_add_f32_e32 v23, v23, v24
	v_cmp_lt_f32_e64 vcc, |v17|, s69
	v_cndmask_b32_e32 v17, v17, v23, vcc
	v_sub_f32_e32 v17, v17, v22
	v_frexp_exp_i32_f32_e32 v11, v11
	v_frexp_exp_i32_f32_e32 v22, v9
	v_frexp_mant_f32_e32 v9, v9
	v_mul_f32_e32 v9, v9, v16
	v_sub_u32_e32 v11, v22, v11
	v_ldexp_f32 v22, v9, v11
	v_mul_f32_e32 v9, v22, v22
	v_mov_b32_e32 v11, 0xbc7a590c
	v_fmac_f32_e32 v11, 0x3b2d2a58, v9
	v_fma_f32 v11, v9, v11, v41
	v_fma_f32 v11, v9, v11, v42
	;; [unrolled: 1-line block ×6, first 2 shown]
	v_mul_f32_e32 v9, v9, v11
	v_mul_f32_e32 v17, 0.5, v17
	v_fmac_f32_e32 v22, v22, v9
                                        ; implicit-def: $vgpr11
                                        ; implicit-def: $vgpr16
                                        ; implicit-def: $vgpr9
.LBB50_388:                             ;   in Loop: Header=BB50_4 Depth=1
	s_andn2_saveexec_b64 s[20:21], s[20:21]
	s_cbranch_execz .LBB50_390
; %bb.389:                              ;   in Loop: Header=BB50_4 Depth=1
	s_waitcnt lgkmcnt(0)
	v_cvt_f64_f32_e32 v[22:23], v11
	v_frexp_exp_i32_f64_e32 v17, v[22:23]
	v_sub_u32_e32 v22, 0, v17
	v_ldexp_f32 v23, |v12|, v22
	v_ldexp_f32 v22, |v13|, v22
	v_mul_f32_e32 v22, v22, v22
	v_fmac_f32_e32 v22, v23, v23
	v_sqrt_f32_e32 v22, v22
	v_cmp_neq_f32_e32 vcc, s69, v11
	v_min_f32_e32 v9, v16, v9
	v_ldexp_f32 v17, v22, v17
	v_cndmask_b32_e32 v17, v47, v17, vcc
	v_cmp_gt_f32_e32 vcc, s73, v17
	v_cndmask_b32_e32 v22, 1.0, v48, vcc
	v_mul_f32_e32 v17, v17, v22
	v_log_f32_e32 v17, v17
	v_cndmask_b32_e32 v16, 0, v49, vcc
	v_mul_f32_e32 v22, 0x3f317217, v17
	v_fma_f32 v23, v17, s74, -v22
	v_fmac_f32_e32 v23, 0x3377d1cf, v17
	v_add_f32_e32 v22, v22, v23
	v_cmp_lt_f32_e64 vcc, |v17|, s69
	v_cndmask_b32_e32 v17, v17, v22, vcc
	v_sub_f32_e32 v17, v17, v16
	v_frexp_mant_f32_e32 v16, v11
	v_rcp_f32_e32 v16, v16
	v_frexp_exp_i32_f32_e32 v11, v11
	v_frexp_exp_i32_f32_e32 v22, v9
	v_frexp_mant_f32_e32 v9, v9
	v_mul_f32_e32 v9, v9, v16
	v_sub_u32_e32 v11, v22, v11
	v_ldexp_f32 v22, v9, v11
	v_mul_f32_e32 v9, v22, v22
	v_mov_b32_e32 v11, 0xbc7a590c
	v_fmac_f32_e32 v11, 0x3b2d2a58, v9
	v_fma_f32 v11, v9, v11, v41
	v_fma_f32 v11, v9, v11, v42
	;; [unrolled: 1-line block ×6, first 2 shown]
	v_mul_f32_e32 v9, v9, v11
	v_fmac_f32_e32 v22, v22, v9
.LBB50_390:                             ;   in Loop: Header=BB50_4 Depth=1
	s_or_b64 exec, exec, s[20:21]
                                        ; implicit-def: $vgpr16
                                        ; implicit-def: $vgpr9
                                        ; implicit-def: $vgpr11
.LBB50_391:                             ;   in Loop: Header=BB50_4 Depth=1
	s_andn2_saveexec_b64 s[48:49], s[48:49]
	s_cbranch_execz .LBB50_393
; %bb.392:                              ;   in Loop: Header=BB50_4 Depth=1
	v_div_scale_f32 v17, s[20:21], s87, s87, v12
	v_rcp_f32_e32 v22, v17
	v_div_scale_f32 v23, vcc, v12, s87, v12
	v_min_f32_e32 v9, v16, v9
	v_fma_f32 v24, -v17, v22, 1.0
	v_fmac_f32_e32 v22, v24, v22
	v_mul_f32_e32 v24, v23, v22
	v_fma_f32 v25, -v17, v24, v23
	v_fmac_f32_e32 v24, v25, v22
	v_fma_f32 v17, -v17, v24, v23
	v_div_scale_f32 v23, s[20:21], s87, s87, v13
	v_rcp_f32_e32 v25, v23
	v_div_fmas_f32 v17, v17, v22, v24
	v_div_fixup_f32 v17, v17, s87, v12
	s_waitcnt lgkmcnt(0)
	v_frexp_mant_f32_e32 v16, v11
	v_fma_f32 v22, -v23, v25, 1.0
	v_fmac_f32_e32 v25, v22, v25
	v_div_scale_f32 v22, vcc, v13, s87, v13
	v_mul_f32_e32 v24, v22, v25
	v_fma_f32 v26, -v23, v24, v22
	v_fmac_f32_e32 v24, v26, v25
	v_fma_f32 v22, -v23, v24, v22
	v_div_fmas_f32 v22, v22, v25, v24
	v_div_fixup_f32 v24, v22, s87, v13
	v_max_f32_e64 v25, |v17|, |v24|
	v_cvt_f64_f32_e32 v[22:23], v25
	v_frexp_exp_i32_f64_e32 v22, v[22:23]
	v_sub_u32_e32 v23, 0, v22
	v_ldexp_f32 v17, |v17|, v23
	v_ldexp_f32 v23, |v24|, v23
	v_mul_f32_e32 v23, v23, v23
	v_fmac_f32_e32 v23, v17, v17
	v_sqrt_f32_e32 v17, v23
	v_cmp_neq_f32_e32 vcc, s69, v25
	v_rcp_f32_e32 v16, v16
	v_frexp_exp_i32_f32_e32 v11, v11
	v_ldexp_f32 v17, v17, v22
	v_cndmask_b32_e32 v17, v47, v17, vcc
	v_cmp_gt_f32_e32 vcc, s73, v17
	v_cndmask_b32_e32 v22, 1.0, v48, vcc
	v_mul_f32_e32 v17, v17, v22
	v_log_f32_e32 v17, v17
	v_mul_f32_e32 v22, 0x3f317217, v17
	v_fma_f32 v23, v17, s74, -v22
	v_fmac_f32_e32 v23, 0x3377d1cf, v17
	v_add_f32_e32 v22, v22, v23
	v_cmp_lt_f32_e64 s[20:21], |v17|, s69
	v_cndmask_b32_e64 v17, v17, v22, s[20:21]
	v_cndmask_b32_e32 v22, 0, v49, vcc
	v_sub_f32_e32 v17, v17, v22
	v_frexp_exp_i32_f32_e32 v22, v9
	v_frexp_mant_f32_e32 v9, v9
	v_mul_f32_e32 v9, v9, v16
	v_sub_u32_e32 v11, v22, v11
	v_ldexp_f32 v22, v9, v11
	v_mul_f32_e32 v9, v22, v22
	v_mov_b32_e32 v11, 0xbc7a590c
	v_fmac_f32_e32 v11, 0x3b2d2a58, v9
	v_fma_f32 v11, v9, v11, v41
	v_fma_f32 v11, v9, v11, v42
	;; [unrolled: 1-line block ×6, first 2 shown]
	v_mul_f32_e32 v9, v9, v11
	v_add_f32_e32 v17, 1.0, v17
	v_fmac_f32_e32 v22, v22, v9
.LBB50_393:                             ;   in Loop: Header=BB50_4 Depth=1
	s_or_b64 exec, exec, s[48:49]
	v_sub_f32_e32 v9, 0x3fc90fdb, v22
	v_cndmask_b32_e64 v9, v22, v9, s[18:19]
	s_waitcnt lgkmcnt(0)
	v_sub_f32_e32 v11, 0x40490fdb, v9
	v_cmp_gt_f32_e32 vcc, 0, v12
	v_cndmask_b32_e32 v9, v9, v11, vcc
	v_cndmask_b32_e64 v11, 0, v53, s[16:17]
	v_cmp_eq_f32_e64 s[16:17], 0, v13
	v_cndmask_b32_e64 v9, v9, v11, s[16:17]
	v_cmp_class_f32_e64 s[16:17], v12, s83
	v_cmp_class_f32_e64 s[18:19], v13, s83
	v_cndmask_b32_e32 v11, v52, v54, vcc
	s_and_b64 vcc, s[18:19], s[16:17]
	v_cndmask_b32_e32 v9, v9, v11, vcc
	v_cmp_o_f32_e32 vcc, v12, v13
	v_cndmask_b32_e64 v22, v50, |v9|, vcc
	v_add_f32_e32 v9, 0x3f317218, v17
	v_cndmask_b32_e64 v23, -v9, v9, s[14:15]
.LBB50_394:                             ;   in Loop: Header=BB50_4 Depth=1
	s_or_b64 exec, exec, s[46:47]
                                        ; implicit-def: $vgpr13
	s_andn2_saveexec_b64 s[14:15], s[44:45]
	s_cbranch_execz .LBB50_308
.LBB50_395:                             ;   in Loop: Header=BB50_4 Depth=1
	v_cmp_neq_f32_e64 s[16:17], |v12|, s69
                                        ; implicit-def: $vgpr23
	s_and_saveexec_b64 s[18:19], s[16:17]
	s_xor_b64 s[16:17], exec, s[18:19]
	s_cbranch_execz .LBB50_405
; %bb.396:                              ;   in Loop: Header=BB50_4 Depth=1
	v_cmp_neq_f32_e64 s[18:19], |v13|, s69
                                        ; implicit-def: $vgpr23
	s_and_saveexec_b64 s[20:21], s[18:19]
	s_xor_b64 s[18:19], exec, s[20:21]
	s_cbranch_execz .LBB50_402
; %bb.397:                              ;   in Loop: Header=BB50_4 Depth=1
	v_cmp_neq_f32_e32 vcc, 0, v12
                                        ; implicit-def: $vgpr23
	s_and_saveexec_b64 s[20:21], vcc
	s_xor_b64 s[20:21], exec, s[20:21]
; %bb.398:                              ;   in Loop: Header=BB50_4 Depth=1
	v_add_f32_e32 v9, 0, v13
	v_add_f32_e32 v23, v9, v12
                                        ; implicit-def: $vgpr13
; %bb.399:                              ;   in Loop: Header=BB50_4 Depth=1
	s_or_saveexec_b64 s[20:21], s[20:21]
	v_mov_b32_e32 v22, v23
	s_xor_b64 exec, exec, s[20:21]
	s_cbranch_execz .LBB50_401
; %bb.400:                              ;   in Loop: Header=BB50_4 Depth=1
	v_pk_mov_b32 v[16:17], s[28:29], s[28:29] op_sel:[0,1]
	flat_load_dword v9, v[16:17] glc
	s_waitcnt vmcnt(0)
	v_add_f32_e32 v23, v13, v13
	s_waitcnt lgkmcnt(0)
	v_add_f32_e32 v22, 0x3fc90fdb, v9
.LBB50_401:                             ;   in Loop: Header=BB50_4 Depth=1
	s_or_b64 exec, exec, s[20:21]
                                        ; implicit-def: $vgpr12
.LBB50_402:                             ;   in Loop: Header=BB50_4 Depth=1
	s_andn2_saveexec_b64 s[18:19], s[18:19]
; %bb.403:                              ;   in Loop: Header=BB50_4 Depth=1
	v_add_f32_e32 v22, v12, v12
	v_xor_b32_e32 v23, 0x80000000, v13
; %bb.404:                              ;   in Loop: Header=BB50_4 Depth=1
	s_or_b64 exec, exec, s[18:19]
                                        ; implicit-def: $vgpr13
.LBB50_405:                             ;   in Loop: Header=BB50_4 Depth=1
	s_andn2_saveexec_b64 s[16:17], s[16:17]
; %bb.406:                              ;   in Loop: Header=BB50_4 Depth=1
	v_add_f32_e32 v22, v13, v13
	v_mov_b32_e32 v23, 0xff800000
; %bb.407:                              ;   in Loop: Header=BB50_4 Depth=1
	s_or_b64 exec, exec, s[16:17]
	s_or_b64 exec, exec, s[14:15]
	s_and_saveexec_b64 s[14:15], s[6:7]
	s_xor_b64 s[6:7], exec, s[14:15]
	s_cbranch_execz .LBB50_309
.LBB50_408:                             ;   in Loop: Header=BB50_4 Depth=1
	v_mov_b32_e32 v9, s43
	v_add_co_u32_e32 v12, vcc, s42, v2
	v_addc_co_u32_e32 v13, vcc, 0, v9, vcc
	global_store_dwordx2 v[12:13], v[14:15], off
	s_or_b64 exec, exec, s[6:7]
	s_and_saveexec_b64 s[6:7], s[8:9]
	s_cbranch_execz .LBB50_310
.LBB50_409:                             ;   in Loop: Header=BB50_4 Depth=1
	v_mov_b32_e32 v9, s43
	v_add_co_u32_e32 v12, vcc, s42, v6
	v_addc_co_u32_e32 v13, vcc, 0, v9, vcc
	global_store_dwordx2 v[12:13], v[18:19], off
	s_or_b64 exec, exec, s[6:7]
	s_and_saveexec_b64 s[6:7], s[10:11]
	s_cbranch_execz .LBB50_311
.LBB50_410:                             ;   in Loop: Header=BB50_4 Depth=1
	v_mov_b32_e32 v9, s43
	v_add_co_u32_e32 v12, vcc, s42, v7
	v_addc_co_u32_e32 v13, vcc, v9, v28, vcc
	global_store_dwordx2 v[12:13], v[20:21], off
	s_or_b64 exec, exec, s[6:7]
	s_and_saveexec_b64 s[6:7], s[12:13]
	s_cbranch_execz .LBB50_3
.LBB50_411:                             ;   in Loop: Header=BB50_4 Depth=1
	v_mov_b32_e32 v9, s43
	v_add_co_u32_e32 v12, vcc, s42, v4
	v_addc_co_u32_e32 v13, vcc, v9, v5, vcc
	global_store_dwordx2 v[12:13], v[22:23], off
	s_branch .LBB50_3
.LBB50_412:
	s_cbranch_execz .LBB50_414
	s_branch .LBB50_809
.LBB50_413:
.LBB50_414:
	v_mov_b32_e32 v3, 0
	v_lshlrev_b32_e32 v2, 2, v0
	v_cmp_gt_i64_e32 vcc, s[24:25], v[2:3]
	s_and_saveexec_b64 s[6:7], vcc
	s_cbranch_execz .LBB50_809
; %bb.415:
	s_mov_b64 s[14:15], src_private_base
	s_add_u32 s12, s4, 0xd30
	s_mov_b32 s14, 8
	s_mov_b32 s26, 1.0
	v_mov_b32_e32 v1, v3
	s_addc_u32 s13, s5, 0
	s_mov_b32 s16, 0
	s_mov_b32 s17, s15
	;; [unrolled: 1-line block ×4, first 2 shown]
	s_mov_b64 s[20:21], 0
	v_mov_b32_e32 v26, s23
	v_mov_b32_e32 v27, 0x248d3132
	v_pk_mov_b32 v[14:15], s[14:15], s[14:15] op_sel:[0,1]
	s_mov_b32 s23, 0x4b000000
	s_mov_b32 s27, -1.0
	v_mov_b32_e32 v28, 0xd800000
	s_mov_b32 s29, 0x395db3d7
	s_brev_b32 s33, -2
	s_mov_b32 s56, 0x7f800000
	s_mov_b32 s57, 0x41200000
	;; [unrolled: 1-line block ×4, first 2 shown]
	v_mov_b32_e32 v29, 0x260
	s_mov_b32 s60, 0x800000
	s_mov_b32 s61, 0x3f317217
	;; [unrolled: 1-line block ×4, first 2 shown]
	v_mov_b32_e32 v30, 0x3f2aaada
	s_mov_b32 s64, 0x3f317218
	s_mov_b32 s65, 0x33800000
	;; [unrolled: 1-line block ×7, first 2 shown]
	v_mov_b32_e32 v31, 0x3d034c3c
	v_mov_b32_e32 v32, 0x3d3641b1
	;; [unrolled: 1-line block ×10, first 2 shown]
	s_movk_i32 s70, 0x204
	s_mov_b32 s71, 0x7effffff
	s_mov_b32 s72, 0x5e000000
	s_brev_b32 s73, 4
	s_mov_b32 s74, 0x402df854
	s_mov_b64 s[30:31], 0xffff
	v_mov_b32_e32 v41, 0x7f800000
	v_mov_b32_e32 v42, 0x4f800000
	;; [unrolled: 1-line block ×3, first 2 shown]
	v_mov_b32_e32 v16, 1.0
	v_mov_b32_e32 v18, 0x3f317218
	v_mov_b32_e32 v44, 0x7fc00000
	;; [unrolled: 1-line block ×6, first 2 shown]
	s_branch .LBB50_418
.LBB50_416:                             ;   in Loop: Header=BB50_418 Depth=1
	s_or_b64 exec, exec, s[6:7]
.LBB50_417:                             ;   in Loop: Header=BB50_418 Depth=1
	s_or_b64 exec, exec, s[4:5]
	s_waitcnt lgkmcnt(0)
	global_store_dwordx4 v[20:21], v[6:9], off
	global_store_dwordx4 v[20:21], v[10:13], off offset:16
	s_load_dword s4, s[12:13], 0xc
	s_waitcnt lgkmcnt(0)
	s_and_b32 s4, s4, 0xffff
	v_add_co_u32_e32 v0, vcc, s4, v0
	v_addc_co_u32_e32 v1, vcc, 0, v1, vcc
	v_lshlrev_b64 v[2:3], 2, v[0:1]
	v_cmp_le_i64_e32 vcc, s[24:25], v[2:3]
	v_cmp_lt_u64_e64 s[4:5], s[30:31], v[2:3]
	s_or_b64 s[4:5], vcc, s[4:5]
	s_and_b64 s[4:5], exec, s[4:5]
	s_or_b64 s[20:21], s[4:5], s[20:21]
	s_andn2_b64 exec, exec, s[20:21]
	s_cbranch_execz .LBB50_809
.LBB50_418:                             ; =>This Inner Loop Header: Depth=1
	v_lshlrev_b64 v[2:3], 5, v[0:1]
	v_add_co_u32_e32 v20, vcc, s22, v2
	v_addc_co_u32_e32 v21, vcc, v26, v3, vcc
	s_waitcnt lgkmcnt(0)
	global_load_dwordx4 v[10:13], v[20:21], off
	global_load_dwordx4 v[2:5], v[20:21], off offset:16
                                        ; implicit-def: $vgpr7
	s_waitcnt vmcnt(0)
	v_cmp_o_f32_e32 vcc, v10, v10
	v_cmp_o_f32_e64 s[4:5], v11, v11
	s_and_b64 s[4:5], vcc, s[4:5]
	flat_store_dword v[14:15], v27
	s_waitcnt vmcnt(0)
	s_and_saveexec_b64 s[6:7], s[4:5]
	s_xor_b64 s[34:35], exec, s[6:7]
	s_cbranch_execz .LBB50_502
; %bb.419:                              ;   in Loop: Header=BB50_418 Depth=1
	v_max_f32_e64 v9, |v11|, |v11|
	v_max_f32_e64 v17, |v10|, |v10|
	v_max_f32_e32 v8, v17, v9
	v_cmp_gt_i32_e64 s[6:7], 0, v10
	v_cmp_lt_i32_e64 s[8:9], -1, v10
	v_cmp_gt_i32_e64 s[4:5], 0, v11
	v_cmp_nlt_f32_e32 vcc, s23, v8
                                        ; implicit-def: $vgpr7
	s_and_saveexec_b64 s[10:11], vcc
	s_xor_b64 s[36:37], exec, s[10:11]
	s_cbranch_execz .LBB50_491
; %bb.420:                              ;   in Loop: Header=BB50_418 Depth=1
	v_cmp_neq_f32_e32 vcc, 1.0, v10
	v_cmp_neq_f32_e64 s[10:11], 0, v11
	s_or_b64 s[10:11], vcc, s[10:11]
                                        ; implicit-def: $vgpr7
	s_and_saveexec_b64 s[38:39], s[10:11]
	s_xor_b64 s[38:39], exec, s[38:39]
	s_cbranch_execz .LBB50_488
; %bb.421:                              ;   in Loop: Header=BB50_418 Depth=1
	v_pk_mov_b32 v[6:7], s[16:17], s[16:17] op_sel:[0,1]
	flat_store_dword v[6:7], v28
	s_waitcnt vmcnt(0)
	flat_load_dword v6, v[6:7] glc
	s_waitcnt vmcnt(0)
	v_cmp_nlt_f32_e64 s[10:11], |v10|, s29
	v_cmp_nlt_f32_e64 s[40:41], |v11|, s29
	s_or_b64 s[10:11], s[10:11], s[40:41]
	s_waitcnt lgkmcnt(0)
	v_add_f32_e32 v8, 1.0, v6
	v_pk_mov_b32 v[6:7], s[18:19], s[18:19] op_sel:[0,1]
	flat_store_dword v[6:7], v8
	s_waitcnt vmcnt(0)
	flat_load_dword v6, v[6:7] glc
	s_waitcnt vmcnt(0)
                                        ; implicit-def: $vgpr7
	s_and_saveexec_b64 s[40:41], s[10:11]
	s_xor_b64 s[40:41], exec, s[40:41]
	s_cbranch_execz .LBB50_485
; %bb.422:                              ;   in Loop: Header=BB50_418 Depth=1
	v_and_b32_e32 v8, 0x7fffffff, v10
	v_pk_add_f32 v[22:23], v[8:9], s[26:27] op_sel_hi:[0,1]
	v_max_f32_e64 v19, v9, |v22|
	s_waitcnt vmcnt(0) lgkmcnt(0)
	v_cvt_f64_f32_e32 v[6:7], v19
	v_max_f32_e64 v17, v9, |v23|
	v_frexp_exp_i32_f64_e32 v9, v[6:7]
	v_sub_u32_e32 v6, 0, v9
	v_ldexp_f32 v7, |v11|, v6
	v_ldexp_f32 v6, |v22|, v6
	v_mul_f32_e32 v6, v6, v6
	v_fmac_f32_e32 v6, v7, v7
	v_sqrt_f32_e32 v24, v6
	v_cvt_f64_f32_e32 v[6:7], v17
	v_frexp_exp_i32_f64_e32 v6, v[6:7]
	v_sub_u32_e32 v7, 0, v6
	v_ldexp_f32 v25, |v11|, v7
	v_ldexp_f32 v7, |v23|, v7
	v_mul_f32_e32 v7, v7, v7
	v_fmac_f32_e32 v7, v25, v25
	v_sqrt_f32_e32 v7, v7
	v_cmp_neq_f32_e32 vcc, s56, v17
	v_ldexp_f32 v24, v24, v9
                                        ; implicit-def: $vgpr17
	v_ldexp_f32 v6, v7, v6
	v_cndmask_b32_e32 v9, v41, v6, vcc
	v_cmp_neq_f32_e32 vcc, s56, v19
	v_cndmask_b32_e32 v49, v41, v24, vcc
	v_add_f32_e32 v6, v49, v9
	v_mul_f32_e32 v6, 0.5, v6
	v_cmp_ngt_f32_e32 vcc, 1.0, v6
	v_cndmask_b32_e32 v6, 1.0, v6, vcc
	v_cmp_ngt_f32_e32 vcc, s57, v6
	s_and_saveexec_b64 s[10:11], vcc
	s_xor_b64 s[42:43], exec, s[10:11]
	s_cbranch_execz .LBB50_424
; %bb.423:                              ;   in Loop: Header=BB50_418 Depth=1
	v_fma_f32 v7, v6, v6, -1.0
	v_mul_f32_e32 v17, 0x4f800000, v7
	v_cmp_gt_f32_e32 vcc, s58, v7
	v_cndmask_b32_e32 v7, v7, v17, vcc
	v_sqrt_f32_e32 v17, v7
	v_add_u32_e32 v19, -1, v17
	v_fma_f32 v25, -v19, v17, v7
	v_add_u32_e32 v24, 1, v17
	v_cmp_ge_f32_e64 s[10:11], 0, v25
	v_cndmask_b32_e64 v19, v17, v19, s[10:11]
	v_fma_f32 v17, -v24, v17, v7
	v_cmp_lt_f32_e64 s[10:11], 0, v17
	v_cndmask_b32_e64 v17, v19, v24, s[10:11]
	v_mul_f32_e32 v19, 0x37800000, v17
	v_cndmask_b32_e32 v17, v17, v19, vcc
	v_cmp_class_f32_e32 vcc, v7, v29
	v_cndmask_b32_e32 v7, v17, v7, vcc
	v_add_f32_e32 v7, v6, v7
	v_cmp_gt_f32_e32 vcc, s60, v7
	v_cndmask_b32_e32 v17, 1.0, v42, vcc
	v_mul_f32_e32 v7, v7, v17
	v_log_f32_e32 v7, v7
	v_mul_f32_e32 v17, 0x3f317217, v7
	v_fma_f32 v19, v7, s61, -v17
	v_fmac_f32_e32 v19, 0x3377d1cf, v7
	v_add_f32_e32 v17, v17, v19
	v_cmp_lt_f32_e64 s[10:11], |v7|, s56
	v_cndmask_b32_e64 v7, v7, v17, s[10:11]
	v_cndmask_b32_e32 v17, 0, v43, vcc
	v_sub_f32_e32 v17, v7, v17
.LBB50_424:                             ;   in Loop: Header=BB50_418 Depth=1
	s_or_saveexec_b64 s[42:43], s[42:43]
	v_and_b32_e32 v25, 0x7fffffff, v11
	v_and_b32_e32 v50, 0x7fffffff, v23
	s_xor_b64 exec, exec, s[42:43]
	s_cbranch_execz .LBB50_446
; %bb.425:                              ;   in Loop: Header=BB50_418 Depth=1
	v_cmp_neq_f32_e64 s[10:11], |v10|, 1.0
	v_cmp_nlt_f32_e64 s[44:45], |v11|, s62
	s_or_b64 s[10:11], s[10:11], s[44:45]
                                        ; implicit-def: $vgpr17
	s_and_saveexec_b64 s[44:45], s[10:11]
	s_xor_b64 s[44:45], exec, s[44:45]
	s_cbranch_execz .LBB50_443
; %bb.426:                              ;   in Loop: Header=BB50_418 Depth=1
	v_mul_f32_e32 v7, 0x34000000, v50
	v_cmp_le_f32_e64 s[10:11], v7, |v11|
                                        ; implicit-def: $vgpr17
	s_and_saveexec_b64 s[46:47], s[10:11]
	s_xor_b64 s[46:47], exec, s[46:47]
	s_cbranch_execz .LBB50_436
; %bb.427:                              ;   in Loop: Header=BB50_418 Depth=1
	v_cmp_neq_f32_e32 vcc, 0, v22
	v_mov_b32_e32 v7, v25
	s_and_saveexec_b64 s[10:11], vcc
	s_cbranch_execz .LBB50_429
; %bb.428:                              ;   in Loop: Header=BB50_418 Depth=1
	v_mul_f32_e32 v7, v11, v11
	v_add_f32_e32 v17, v22, v49
	v_div_scale_f32 v19, s[48:49], v17, v17, v7
	v_rcp_f32_e32 v24, v19
	v_fma_f32 v51, -v19, v24, 1.0
	v_fmac_f32_e32 v24, v51, v24
	v_div_scale_f32 v51, vcc, v7, v17, v7
	v_mul_f32_e32 v52, v51, v24
	v_fma_f32 v53, -v19, v52, v51
	v_fmac_f32_e32 v52, v53, v24
	v_fma_f32 v19, -v19, v52, v51
	v_div_fmas_f32 v19, v19, v24, v52
	v_div_fixup_f32 v7, v19, v17, v7
.LBB50_429:                             ;   in Loop: Header=BB50_418 Depth=1
	s_or_b64 exec, exec, s[10:11]
	v_sub_f32_e64 v19, 1.0, |v10|
	v_cmp_ngt_f32_e32 vcc, 0, v19
                                        ; implicit-def: $vgpr17
	s_and_saveexec_b64 s[10:11], vcc
	s_xor_b64 s[10:11], exec, s[10:11]
	s_cbranch_execz .LBB50_433
; %bb.430:                              ;   in Loop: Header=BB50_418 Depth=1
	v_cmp_neq_f32_e32 vcc, 0, v19
	v_mov_b32_e32 v17, v25
	s_and_saveexec_b64 s[48:49], vcc
	s_cbranch_execz .LBB50_432
; %bb.431:                              ;   in Loop: Header=BB50_418 Depth=1
	v_mul_f32_e32 v17, v11, v11
	v_add_f32_e32 v19, v19, v9
	v_div_scale_f32 v24, s[50:51], v19, v19, v17
	v_rcp_f32_e32 v51, v24
	v_fma_f32 v52, -v24, v51, 1.0
	v_fmac_f32_e32 v51, v52, v51
	v_div_scale_f32 v52, vcc, v17, v19, v17
	v_mul_f32_e32 v53, v52, v51
	v_fma_f32 v54, -v24, v53, v52
	v_fmac_f32_e32 v53, v54, v51
	v_fma_f32 v24, -v24, v53, v52
	v_div_fmas_f32 v24, v24, v51, v53
	v_div_fixup_f32 v17, v24, v19, v17
.LBB50_432:                             ;   in Loop: Header=BB50_418 Depth=1
	s_or_b64 exec, exec, s[48:49]
                                        ; implicit-def: $vgpr19
.LBB50_433:                             ;   in Loop: Header=BB50_418 Depth=1
	s_andn2_saveexec_b64 s[10:11], s[10:11]
; %bb.434:                              ;   in Loop: Header=BB50_418 Depth=1
	v_sub_f32_e32 v17, v9, v19
; %bb.435:                              ;   in Loop: Header=BB50_418 Depth=1
	s_or_b64 exec, exec, s[10:11]
	v_mul_f32_e32 v7, 0.5, v7
	v_mul_f32_e32 v17, 0.5, v17
	v_pk_add_f32 v[52:53], v[6:7], v[16:17]
	v_mul_f32_e32 v7, v52, v53
	v_mul_f32_e32 v17, 0x4f800000, v7
	v_cmp_gt_f32_e32 vcc, s58, v7
	v_cndmask_b32_e32 v7, v7, v17, vcc
	v_sqrt_f32_e32 v17, v7
	v_add_u32_e32 v19, -1, v17
	v_fma_f32 v24, -v19, v17, v7
	v_cmp_ge_f32_e64 s[10:11], 0, v24
	v_add_u32_e32 v24, 1, v17
	v_cndmask_b32_e64 v19, v17, v19, s[10:11]
	v_fma_f32 v17, -v24, v17, v7
	v_cmp_lt_f32_e64 s[10:11], 0, v17
	v_cndmask_b32_e64 v17, v19, v24, s[10:11]
	v_mul_f32_e32 v19, 0x37800000, v17
	v_cndmask_b32_e32 v17, v17, v19, vcc
	v_cmp_class_f32_e32 vcc, v7, v29
	v_cndmask_b32_e32 v7, v17, v7, vcc
	v_add_f32_e32 v52, v53, v7
	v_add_f32_e32 v55, 1.0, v52
	v_add_f32_e32 v53, -1.0, v55
	v_mov_b32_e32 v54, v53
	v_pk_add_f32 v[56:57], v[52:53], v[54:55] neg_lo:[0,1] neg_hi:[0,1]
	v_add_f32_e32 v7, 1.0, v57
	v_add_f32_e32 v7, v56, v7
	v_frexp_mant_f32_e32 v17, v55
	v_cvt_f64_f32_e32 v[56:57], v55
	v_frexp_exp_i32_f64_e32 v19, v[56:57]
	v_cmp_gt_f32_e32 vcc, s63, v17
	v_subbrev_co_u32_e32 v17, vcc, 0, v19, vcc
	v_sub_u32_e32 v19, 0, v17
	v_ldexp_f32 v24, v55, v19
	v_ldexp_f32 v7, v7, v19
	v_add_f32_e32 v19, -1.0, v24
	v_add_f32_e32 v53, 1.0, v24
	v_add_f32_e32 v51, 1.0, v19
	v_add_f32_e32 v54, -1.0, v53
	v_sub_f32_e32 v51, v24, v51
	v_sub_f32_e32 v24, v24, v54
	v_add_f32_e32 v51, v7, v51
	v_add_f32_e32 v7, v7, v24
	;; [unrolled: 1-line block ×3, first 2 shown]
	v_sub_f32_e32 v53, v24, v53
	v_sub_f32_e32 v7, v7, v53
	v_rcp_f32_e32 v53, v24
	v_add_f32_e32 v55, v19, v51
	v_sub_f32_e32 v19, v55, v19
	v_sub_f32_e32 v19, v51, v19
	v_mul_f32_e32 v51, v55, v53
	v_mul_f32_e32 v56, v24, v51
	v_fma_f32 v58, v51, v24, -v56
	v_fmac_f32_e32 v58, v51, v7
	v_add_f32_e32 v54, v56, v58
	v_sub_f32_e32 v57, v55, v54
	v_pk_add_f32 v[60:61], v[54:55], v[56:57] neg_lo:[0,1] neg_hi:[0,1]
	v_mov_b32_e32 v59, v54
	v_pk_add_f32 v[54:55], v[60:61], v[58:59] neg_lo:[0,1] neg_hi:[0,1]
	v_add_f32_e32 v19, v19, v55
	v_add_f32_e32 v19, v54, v19
	v_add_f32_e32 v55, v57, v19
	v_mul_f32_e32 v62, v53, v55
	v_mul_f32_e32 v56, v24, v62
	v_fma_f32 v58, v62, v24, -v56
	v_fmac_f32_e32 v58, v62, v7
	v_add_f32_e32 v54, v56, v58
	v_sub_f32_e32 v7, v57, v55
	v_sub_f32_e32 v57, v55, v54
	v_pk_add_f32 v[60:61], v[54:55], v[56:57] neg_lo:[0,1] neg_hi:[0,1]
	v_mov_b32_e32 v59, v54
	v_add_f32_e32 v7, v19, v7
	v_pk_add_f32 v[54:55], v[60:61], v[58:59] neg_lo:[0,1] neg_hi:[0,1]
	v_add_f32_e32 v7, v7, v55
	v_add_f32_e32 v7, v54, v7
	v_add_f32_e32 v24, v51, v62
	v_add_f32_e32 v7, v57, v7
	v_sub_f32_e32 v19, v24, v51
	v_mul_f32_e32 v7, v53, v7
	v_sub_f32_e32 v19, v62, v19
	v_add_f32_e32 v7, v19, v7
	v_add_f32_e32 v51, v24, v7
	v_cvt_f32_i32_e32 v54, v17
	v_mul_f32_e32 v53, v51, v51
	v_mov_b32_e32 v19, 0x3ecc95a3
	v_fmac_f32_e32 v19, 0x3e9b6dac, v53
	v_fma_f32 v19, v53, v19, v30
	v_mul_f32_e32 v55, v51, v53
	v_pk_mul_f32 v[58:59], v[54:55], v[18:19]
	v_fma_f32 v56, v54, s64, -v58
	v_ldexp_f32 v57, v51, 1
	v_fmac_f32_e32 v56, 0xb102e308, v54
	v_sub_f32_e32 v17, v51, v24
	v_pk_add_f32 v[54:55], v[58:59], v[56:57]
	v_sub_f32_e32 v7, v7, v17
	v_sub_f32_e32 v17, v55, v57
	v_ldexp_f32 v7, v7, 1
	v_sub_f32_e32 v17, v59, v17
	v_add_f32_e32 v61, v7, v17
	v_mov_b32_e32 v60, v58
	v_pk_add_f32 v[58:59], v[54:55], v[58:59] neg_lo:[0,1] neg_hi:[0,1]
	v_pk_add_f32 v[62:63], v[54:55], v[60:61]
	v_mov_b32_e32 v59, v63
	v_mov_b32_e32 v57, v54
	v_pk_add_f32 v[64:65], v[56:57], v[58:59] neg_lo:[0,1] neg_hi:[0,1]
	v_pk_add_f32 v[56:57], v[56:57], v[58:59]
	v_mov_b32_e32 v24, v57
	v_pk_add_f32 v[58:59], v[24:25], v[54:55] neg_lo:[0,1] neg_hi:[0,1]
	v_mov_b32_e32 v7, v58
	v_pk_add_f32 v[66:67], v[62:63], v[6:7] neg_lo:[0,1] neg_hi:[0,1]
	v_mov_b32_e32 v56, v63
	v_mov_b32_e32 v62, v55
	;; [unrolled: 1-line block ×4, first 2 shown]
	v_pk_add_f32 v[56:57], v[56:57], v[62:63] neg_lo:[0,1] neg_hi:[0,1]
	v_mov_b32_e32 v58, v61
	v_mov_b32_e32 v59, v54
	v_pk_add_f32 v[54:55], v[58:59], v[56:57] neg_lo:[0,1] neg_hi:[0,1]
	v_mov_b32_e32 v66, v64
	v_pk_add_f32 v[56:57], v[66:67], v[54:55]
	v_mov_b32_e32 v58, v57
	v_pk_add_f32 v[58:59], v[56:57], v[58:59]
	v_pk_add_f32 v[60:61], v[24:25], v[58:59]
	v_mov_b32_e32 v57, v60
	v_pk_add_f32 v[62:63], v[56:57], v[64:65] neg_lo:[0,1] neg_hi:[0,1]
	v_mov_b32_e32 v55, v58
	v_sub_f32_e32 v7, v56, v62
	v_pk_add_f32 v[54:55], v[54:55], v[62:63] neg_lo:[0,1] neg_hi:[0,1]
	v_sub_f32_e32 v7, v64, v7
	v_add_f32_e32 v7, v54, v7
	v_add_f32_e32 v7, v7, v55
	;; [unrolled: 1-line block ×3, first 2 shown]
	v_cmp_eq_f32_e32 vcc, s56, v52
	v_cndmask_b32_e32 v7, v7, v52, vcc
	v_cmp_ngt_f32_e32 vcc, -1.0, v52
	v_cndmask_b32_e32 v7, v44, v7, vcc
	v_cmp_neq_f32_e32 vcc, -1.0, v52
	v_cndmask_b32_e32 v7, v45, v7, vcc
	v_cmp_lt_f32_e64 vcc, |v52|, s65
	v_cndmask_b32_e32 v17, v7, v52, vcc
.LBB50_436:                             ;   in Loop: Header=BB50_418 Depth=1
	s_andn2_saveexec_b64 s[46:47], s[46:47]
	s_cbranch_execz .LBB50_442
; %bb.437:                              ;   in Loop: Header=BB50_418 Depth=1
	v_cmp_nlt_f32_e64 s[10:11], |v10|, 1.0
                                        ; implicit-def: $vgpr17
	s_and_saveexec_b64 s[48:49], s[10:11]
	s_xor_b64 s[48:49], exec, s[48:49]
	s_cbranch_execz .LBB50_439
; %bb.438:                              ;   in Loop: Header=BB50_418 Depth=1
	v_mul_f32_e32 v7, v23, v22
	v_mul_f32_e32 v17, 0x4f800000, v7
	v_cmp_gt_f32_e32 vcc, s58, v7
	v_cndmask_b32_e32 v7, v7, v17, vcc
	v_sqrt_f32_e32 v17, v7
	v_add_u32_e32 v19, -1, v17
	v_fma_f32 v51, -v19, v17, v7
	v_add_u32_e32 v24, 1, v17
	v_cmp_ge_f32_e64 s[10:11], 0, v51
	v_cndmask_b32_e64 v19, v17, v19, s[10:11]
	v_fma_f32 v17, -v24, v17, v7
	v_cmp_lt_f32_e64 s[10:11], 0, v17
	v_cndmask_b32_e64 v17, v19, v24, s[10:11]
	v_mul_f32_e32 v19, 0x37800000, v17
	v_cndmask_b32_e32 v17, v17, v19, vcc
	v_cmp_class_f32_e32 vcc, v7, v29
	v_cndmask_b32_e32 v7, v17, v7, vcc
	v_add_f32_e32 v52, v23, v7
	v_add_f32_e32 v55, 1.0, v52
	v_add_f32_e32 v53, -1.0, v55
	v_mov_b32_e32 v54, v53
	v_pk_add_f32 v[56:57], v[52:53], v[54:55] neg_lo:[0,1] neg_hi:[0,1]
	v_add_f32_e32 v7, 1.0, v57
	v_add_f32_e32 v7, v56, v7
	v_frexp_mant_f32_e32 v17, v55
	v_cvt_f64_f32_e32 v[56:57], v55
	v_frexp_exp_i32_f64_e32 v19, v[56:57]
	v_cmp_gt_f32_e32 vcc, s63, v17
	v_subbrev_co_u32_e32 v17, vcc, 0, v19, vcc
	v_sub_u32_e32 v19, 0, v17
	v_ldexp_f32 v24, v55, v19
	v_ldexp_f32 v7, v7, v19
	v_add_f32_e32 v19, -1.0, v24
	v_add_f32_e32 v53, 1.0, v24
	v_add_f32_e32 v51, 1.0, v19
	v_add_f32_e32 v54, -1.0, v53
	v_sub_f32_e32 v51, v24, v51
	v_sub_f32_e32 v24, v24, v54
	v_add_f32_e32 v51, v7, v51
	v_add_f32_e32 v7, v7, v24
	;; [unrolled: 1-line block ×3, first 2 shown]
	v_sub_f32_e32 v53, v24, v53
	v_sub_f32_e32 v7, v7, v53
	v_rcp_f32_e32 v53, v24
	v_add_f32_e32 v55, v19, v51
	v_sub_f32_e32 v19, v55, v19
	v_sub_f32_e32 v19, v51, v19
	v_mul_f32_e32 v51, v55, v53
	v_mul_f32_e32 v56, v24, v51
	v_fma_f32 v58, v51, v24, -v56
	v_fmac_f32_e32 v58, v51, v7
	v_add_f32_e32 v54, v56, v58
	v_sub_f32_e32 v57, v55, v54
	v_pk_add_f32 v[60:61], v[54:55], v[56:57] neg_lo:[0,1] neg_hi:[0,1]
	v_mov_b32_e32 v59, v54
	v_pk_add_f32 v[54:55], v[60:61], v[58:59] neg_lo:[0,1] neg_hi:[0,1]
	v_add_f32_e32 v19, v19, v55
	v_add_f32_e32 v19, v54, v19
	;; [unrolled: 1-line block ×3, first 2 shown]
	v_mul_f32_e32 v62, v53, v55
	v_mul_f32_e32 v56, v24, v62
	v_fma_f32 v58, v62, v24, -v56
	v_fmac_f32_e32 v58, v62, v7
	v_add_f32_e32 v54, v56, v58
	v_sub_f32_e32 v7, v57, v55
	v_sub_f32_e32 v57, v55, v54
	v_pk_add_f32 v[60:61], v[54:55], v[56:57] neg_lo:[0,1] neg_hi:[0,1]
	v_mov_b32_e32 v59, v54
	v_add_f32_e32 v7, v19, v7
	v_pk_add_f32 v[54:55], v[60:61], v[58:59] neg_lo:[0,1] neg_hi:[0,1]
	v_add_f32_e32 v7, v7, v55
	v_add_f32_e32 v7, v54, v7
	;; [unrolled: 1-line block ×4, first 2 shown]
	v_sub_f32_e32 v19, v24, v51
	v_mul_f32_e32 v7, v53, v7
	v_sub_f32_e32 v19, v62, v19
	v_add_f32_e32 v7, v19, v7
	v_add_f32_e32 v51, v24, v7
	v_cvt_f32_i32_e32 v54, v17
	v_mul_f32_e32 v53, v51, v51
	v_mov_b32_e32 v19, 0x3ecc95a3
	v_fmac_f32_e32 v19, 0x3e9b6dac, v53
	v_fma_f32 v19, v53, v19, v30
	v_mul_f32_e32 v55, v51, v53
	v_pk_mul_f32 v[58:59], v[54:55], v[18:19]
	v_fma_f32 v56, v54, s64, -v58
	v_ldexp_f32 v57, v51, 1
	v_fmac_f32_e32 v56, 0xb102e308, v54
	v_sub_f32_e32 v17, v51, v24
	v_pk_add_f32 v[54:55], v[58:59], v[56:57]
	v_sub_f32_e32 v7, v7, v17
	v_sub_f32_e32 v17, v55, v57
	v_ldexp_f32 v7, v7, 1
	v_sub_f32_e32 v17, v59, v17
	v_add_f32_e32 v61, v7, v17
	v_mov_b32_e32 v60, v58
	v_pk_add_f32 v[58:59], v[54:55], v[58:59] neg_lo:[0,1] neg_hi:[0,1]
	v_pk_add_f32 v[62:63], v[54:55], v[60:61]
	v_mov_b32_e32 v59, v63
	v_mov_b32_e32 v57, v54
	v_pk_add_f32 v[64:65], v[56:57], v[58:59] neg_lo:[0,1] neg_hi:[0,1]
	v_pk_add_f32 v[56:57], v[56:57], v[58:59]
	v_mov_b32_e32 v24, v57
	v_pk_add_f32 v[58:59], v[24:25], v[54:55] neg_lo:[0,1] neg_hi:[0,1]
	v_mov_b32_e32 v7, v58
	v_pk_add_f32 v[66:67], v[62:63], v[6:7] neg_lo:[0,1] neg_hi:[0,1]
	v_mov_b32_e32 v56, v63
	v_mov_b32_e32 v62, v55
	v_mov_b32_e32 v63, v58
	v_mov_b32_e32 v65, v57
	v_pk_add_f32 v[56:57], v[56:57], v[62:63] neg_lo:[0,1] neg_hi:[0,1]
	v_mov_b32_e32 v58, v61
	v_mov_b32_e32 v59, v54
	v_pk_add_f32 v[54:55], v[58:59], v[56:57] neg_lo:[0,1] neg_hi:[0,1]
	v_mov_b32_e32 v66, v64
	v_pk_add_f32 v[56:57], v[66:67], v[54:55]
	v_mov_b32_e32 v58, v57
	v_pk_add_f32 v[58:59], v[56:57], v[58:59]
	v_pk_add_f32 v[60:61], v[24:25], v[58:59]
	v_mov_b32_e32 v57, v60
	v_pk_add_f32 v[62:63], v[56:57], v[64:65] neg_lo:[0,1] neg_hi:[0,1]
	v_mov_b32_e32 v55, v58
	v_sub_f32_e32 v7, v56, v62
	v_pk_add_f32 v[54:55], v[54:55], v[62:63] neg_lo:[0,1] neg_hi:[0,1]
	v_sub_f32_e32 v7, v64, v7
	v_add_f32_e32 v7, v54, v7
	v_add_f32_e32 v7, v7, v55
	;; [unrolled: 1-line block ×3, first 2 shown]
	v_cmp_eq_f32_e32 vcc, s56, v52
	v_cndmask_b32_e32 v7, v7, v52, vcc
	v_cmp_ngt_f32_e32 vcc, -1.0, v52
	v_cndmask_b32_e32 v7, v44, v7, vcc
	v_cmp_neq_f32_e32 vcc, -1.0, v52
	v_cndmask_b32_e32 v7, v45, v7, vcc
	v_cmp_lt_f32_e64 vcc, |v52|, s65
	v_cndmask_b32_e32 v17, v7, v52, vcc
.LBB50_439:                             ;   in Loop: Header=BB50_418 Depth=1
	s_andn2_saveexec_b64 s[48:49], s[48:49]
	s_cbranch_execz .LBB50_441
; %bb.440:                              ;   in Loop: Header=BB50_418 Depth=1
	v_sub_f32_e64 v7, 1.0, |v10|
	v_mul_f32_e32 v7, v7, v22
	v_mul_f32_e32 v17, 0x4f800000, v7
	v_cmp_gt_f32_e32 vcc, s58, v7
	v_cndmask_b32_e32 v7, v7, v17, vcc
	v_sqrt_f32_e32 v17, v7
	v_add_u32_e32 v19, -1, v17
	v_fma_f32 v51, -v19, v17, v7
	v_add_u32_e32 v24, 1, v17
	v_cmp_ge_f32_e64 s[10:11], 0, v51
	v_cndmask_b32_e64 v19, v17, v19, s[10:11]
	v_fma_f32 v17, -v24, v17, v7
	v_cmp_lt_f32_e64 s[10:11], 0, v17
	v_cndmask_b32_e64 v17, v19, v24, s[10:11]
	v_mul_f32_e32 v19, 0x37800000, v17
	v_cndmask_b32_e32 v17, v17, v19, vcc
	v_cmp_class_f32_e32 vcc, v7, v29
	v_cndmask_b32_e32 v7, v17, v7, vcc
	v_and_b32_e32 v17, 0x7fffffff, v11
	v_div_scale_f32 v19, s[10:11], v7, v7, v17
	v_rcp_f32_e32 v24, v19
	v_div_scale_f32 v17, vcc, v17, v7, v17
	v_fma_f32 v51, -v19, v24, 1.0
	v_fmac_f32_e32 v24, v51, v24
	v_mul_f32_e32 v51, v17, v24
	v_fma_f32 v52, -v19, v51, v17
	v_fmac_f32_e32 v51, v52, v24
	v_fma_f32 v17, -v19, v51, v17
	v_div_fmas_f32 v17, v17, v24, v51
	v_div_fixup_f32 v17, v17, v7, |v11|
.LBB50_441:                             ;   in Loop: Header=BB50_418 Depth=1
	s_or_b64 exec, exec, s[48:49]
.LBB50_442:                             ;   in Loop: Header=BB50_418 Depth=1
	s_or_b64 exec, exec, s[46:47]
.LBB50_443:                             ;   in Loop: Header=BB50_418 Depth=1
	s_andn2_saveexec_b64 s[44:45], s[44:45]
	s_cbranch_execz .LBB50_445
; %bb.444:                              ;   in Loop: Header=BB50_418 Depth=1
	v_mul_f32_e64 v7, |v11|, s59
	v_cmp_lt_f32_e64 vcc, |v11|, s58
	v_cndmask_b32_e64 v7, |v11|, v7, vcc
	v_sqrt_f32_e32 v17, v7
	v_add_u32_e32 v19, -1, v17
	v_fma_f32 v51, -v19, v17, v7
	v_add_u32_e32 v24, 1, v17
	v_cmp_ge_f32_e64 s[10:11], 0, v51
	v_cndmask_b32_e64 v19, v17, v19, s[10:11]
	v_fma_f32 v17, -v24, v17, v7
	v_cmp_lt_f32_e64 s[10:11], 0, v17
	v_cndmask_b32_e64 v17, v19, v24, s[10:11]
	v_mul_f32_e32 v19, 0x37800000, v17
	v_cndmask_b32_e32 v17, v17, v19, vcc
	v_cmp_class_f32_e32 vcc, v7, v29
	v_cndmask_b32_e32 v17, v17, v7, vcc
.LBB50_445:                             ;   in Loop: Header=BB50_418 Depth=1
	s_or_b64 exec, exec, s[44:45]
.LBB50_446:                             ;   in Loop: Header=BB50_418 Depth=1
	s_or_b64 exec, exec, s[42:43]
	v_cmp_nlt_f32_e64 s[42:43], |v10|, s66
                                        ; implicit-def: $sgpr10_sgpr11
                                        ; implicit-def: $vgpr24
                                        ; implicit-def: $vgpr19
	s_and_saveexec_b64 s[44:45], s[42:43]
	s_xor_b64 s[42:43], exec, s[44:45]
	s_cbranch_execz .LBB50_470
; %bb.447:                              ;   in Loop: Header=BB50_418 Depth=1
	v_div_scale_f32 v7, s[10:11], v6, v6, v8
	v_rcp_f32_e32 v19, v7
	v_div_scale_f32 v24, vcc, v8, v6, v8
	s_mov_b64 s[10:11], 0
	v_fma_f32 v51, -v7, v19, 1.0
	v_fmac_f32_e32 v19, v51, v19
	v_mul_f32_e32 v51, v24, v19
	v_fma_f32 v52, -v7, v51, v24
	v_fmac_f32_e32 v51, v52, v19
	v_fma_f32 v7, -v7, v51, v24
	v_div_fmas_f32 v7, v7, v19, v51
	v_div_fixup_f32 v19, v7, v6, |v10|
	v_cmp_lt_f32_e32 vcc, s67, v19
                                        ; implicit-def: $vgpr24
	s_and_saveexec_b64 s[44:45], vcc
	s_cbranch_execz .LBB50_469
; %bb.448:                              ;   in Loop: Header=BB50_418 Depth=1
	v_cmp_neq_f32_e64 s[10:11], |v10|, 1.0
	v_cmp_nlt_f32_e64 s[46:47], |v11|, s68
	s_or_b64 s[10:11], s[10:11], s[46:47]
                                        ; implicit-def: $sgpr48_sgpr49
                                        ; implicit-def: $vgpr24
	s_and_saveexec_b64 s[46:47], s[10:11]
	s_xor_b64 s[46:47], exec, s[46:47]
	s_cbranch_execz .LBB50_466
; %bb.449:                              ;   in Loop: Header=BB50_418 Depth=1
	v_mul_f32_e32 v7, 0x34000000, v50
	v_cmp_le_f32_e64 s[10:11], v7, |v11|
                                        ; implicit-def: $vgpr24
                                        ; implicit-def: $sgpr48_sgpr49
	s_and_saveexec_b64 s[50:51], s[10:11]
	s_xor_b64 s[50:51], exec, s[50:51]
	s_cbranch_execz .LBB50_459
; %bb.450:                              ;   in Loop: Header=BB50_418 Depth=1
	v_cmp_neq_f32_e32 vcc, 0, v22
	v_mov_b32_e32 v7, v25
	s_and_saveexec_b64 s[10:11], vcc
	s_cbranch_execz .LBB50_452
; %bb.451:                              ;   in Loop: Header=BB50_418 Depth=1
	v_mul_f32_e32 v7, v11, v11
	v_add_f32_e32 v22, v22, v49
	v_div_scale_f32 v24, s[48:49], v22, v22, v7
	v_rcp_f32_e32 v49, v24
	v_fma_f32 v50, -v24, v49, 1.0
	v_fmac_f32_e32 v49, v50, v49
	v_div_scale_f32 v50, vcc, v7, v22, v7
	v_mul_f32_e32 v51, v50, v49
	v_fma_f32 v52, -v24, v51, v50
	v_fmac_f32_e32 v51, v52, v49
	v_fma_f32 v24, -v24, v51, v50
	v_div_fmas_f32 v24, v24, v49, v51
	v_div_fixup_f32 v7, v24, v22, v7
.LBB50_452:                             ;   in Loop: Header=BB50_418 Depth=1
	s_or_b64 exec, exec, s[10:11]
	v_cmp_ngt_f32_e32 vcc, 0, v23
	s_and_saveexec_b64 s[10:11], vcc
	s_xor_b64 s[10:11], exec, s[10:11]
	s_cbranch_execz .LBB50_456
; %bb.453:                              ;   in Loop: Header=BB50_418 Depth=1
	v_cmp_neq_f32_e32 vcc, 0, v23
	s_and_saveexec_b64 s[48:49], vcc
	s_cbranch_execz .LBB50_455
; %bb.454:                              ;   in Loop: Header=BB50_418 Depth=1
	v_mul_f32_e32 v22, v11, v11
	v_add_f32_e32 v9, v23, v9
	v_div_scale_f32 v23, s[52:53], v9, v9, v22
	v_rcp_f32_e32 v24, v23
	v_fma_f32 v25, -v23, v24, 1.0
	v_fmac_f32_e32 v24, v25, v24
	v_div_scale_f32 v25, vcc, v22, v9, v22
	v_mul_f32_e32 v49, v25, v24
	v_fma_f32 v50, -v23, v49, v25
	v_fmac_f32_e32 v49, v50, v24
	v_fma_f32 v23, -v23, v49, v25
	v_div_fmas_f32 v23, v23, v24, v49
	v_div_fixup_f32 v25, v23, v9, v22
.LBB50_455:                             ;   in Loop: Header=BB50_418 Depth=1
	s_or_b64 exec, exec, s[48:49]
                                        ; implicit-def: $vgpr9
                                        ; implicit-def: $vgpr22_vgpr23
.LBB50_456:                             ;   in Loop: Header=BB50_418 Depth=1
	s_andn2_saveexec_b64 s[10:11], s[10:11]
; %bb.457:                              ;   in Loop: Header=BB50_418 Depth=1
	v_sub_f32_e32 v25, v9, v23
; %bb.458:                              ;   in Loop: Header=BB50_418 Depth=1
	s_or_b64 exec, exec, s[10:11]
	v_mul_f32_e32 v9, 0.5, v7
	v_mul_f32_e32 v7, 0.5, v25
	v_pk_add_f32 v[6:7], v[8:9], v[6:7]
	v_mul_f32_e32 v6, v6, v7
	v_mul_f32_e32 v7, 0x4f800000, v6
	v_cmp_gt_f32_e32 vcc, s58, v6
	v_cndmask_b32_e32 v6, v6, v7, vcc
	v_sqrt_f32_e32 v7, v6
	s_mov_b64 s[48:49], -1
	v_add_u32_e32 v9, -1, v7
	v_fma_f32 v22, -v9, v7, v6
	v_cmp_ge_f32_e64 s[10:11], 0, v22
	v_add_u32_e32 v22, 1, v7
	v_cndmask_b32_e64 v9, v7, v9, s[10:11]
	v_fma_f32 v7, -v22, v7, v6
	v_cmp_lt_f32_e64 s[10:11], 0, v7
	v_cndmask_b32_e64 v7, v9, v22, s[10:11]
	v_mul_f32_e32 v9, 0x37800000, v7
	v_cndmask_b32_e32 v7, v7, v9, vcc
	v_cmp_class_f32_e32 vcc, v6, v29
	v_cndmask_b32_e32 v24, v7, v6, vcc
                                        ; implicit-def: $vgpr22_vgpr23
.LBB50_459:                             ;   in Loop: Header=BB50_418 Depth=1
	s_andn2_saveexec_b64 s[50:51], s[50:51]
	s_cbranch_execz .LBB50_465
; %bb.460:                              ;   in Loop: Header=BB50_418 Depth=1
	v_cmp_ngt_f32_e64 s[10:11], |v10|, 1.0
                                        ; implicit-def: $vgpr24
                                        ; implicit-def: $sgpr52_sgpr53
	s_and_saveexec_b64 s[54:55], s[10:11]
	s_xor_b64 s[54:55], exec, s[54:55]
	s_cbranch_execz .LBB50_462
; %bb.461:                              ;   in Loop: Header=BB50_418 Depth=1
	v_sub_f32_e64 v6, 1.0, |v10|
	v_mul_f32_e32 v6, v6, v22
	v_mul_f32_e32 v7, 0x4f800000, v6
	v_cmp_gt_f32_e32 vcc, s58, v6
	v_cndmask_b32_e32 v6, v6, v7, vcc
	v_sqrt_f32_e32 v7, v6
	s_mov_b64 s[52:53], -1
	v_add_u32_e32 v9, -1, v7
	v_fma_f32 v23, -v9, v7, v6
	v_add_u32_e32 v22, 1, v7
	v_cmp_ge_f32_e64 s[10:11], 0, v23
	v_cndmask_b32_e64 v9, v7, v9, s[10:11]
	v_fma_f32 v7, -v22, v7, v6
	v_cmp_lt_f32_e64 s[10:11], 0, v7
	v_cndmask_b32_e64 v7, v9, v22, s[10:11]
	v_mul_f32_e32 v9, 0x37800000, v7
	v_cndmask_b32_e32 v7, v7, v9, vcc
	v_cmp_class_f32_e32 vcc, v6, v29
	v_cndmask_b32_e32 v24, v7, v6, vcc
                                        ; implicit-def: $vgpr22_vgpr23
.LBB50_462:                             ;   in Loop: Header=BB50_418 Depth=1
	s_andn2_saveexec_b64 s[54:55], s[54:55]
	s_cbranch_execz .LBB50_464
; %bb.463:                              ;   in Loop: Header=BB50_418 Depth=1
	v_mul_f32_e32 v6, v22, v23
	v_mul_f32_e32 v7, 0x4f800000, v6
	v_cmp_gt_f32_e32 vcc, s58, v6
	v_cndmask_b32_e32 v6, v6, v7, vcc
	v_sqrt_f32_e32 v7, v6
	v_mul_f32_e64 v8, |v11|, s69
	v_mul_f32_e64 v8, |v10|, v8
	s_or_b64 s[52:53], s[52:53], exec
	v_add_u32_e32 v9, -1, v7
	v_fma_f32 v22, -v9, v7, v6
	v_cmp_ge_f32_e64 s[10:11], 0, v22
	v_add_u32_e32 v22, 1, v7
	v_cndmask_b32_e64 v9, v7, v9, s[10:11]
	v_fma_f32 v7, -v22, v7, v6
	v_cmp_lt_f32_e64 s[10:11], 0, v7
	v_cndmask_b32_e64 v7, v9, v22, s[10:11]
	v_mul_f32_e32 v9, 0x37800000, v7
	v_cndmask_b32_e32 v7, v7, v9, vcc
	v_cmp_class_f32_e32 vcc, v6, v29
	v_cndmask_b32_e32 v6, v7, v6, vcc
	v_div_scale_f32 v7, s[10:11], v6, v6, v8
	v_rcp_f32_e32 v9, v7
	v_fma_f32 v22, -v7, v9, 1.0
	v_fmac_f32_e32 v9, v22, v9
	v_div_scale_f32 v22, vcc, v8, v6, v8
	v_mul_f32_e32 v23, v22, v9
	v_fma_f32 v24, -v7, v23, v22
	v_fmac_f32_e32 v23, v24, v9
	v_fma_f32 v7, -v7, v23, v22
	v_div_fmas_f32 v7, v7, v9, v23
	v_div_fixup_f32 v24, v7, v6, v8
	v_mul_f32_e64 v8, |v10|, s69
.LBB50_464:                             ;   in Loop: Header=BB50_418 Depth=1
	s_or_b64 exec, exec, s[54:55]
	s_andn2_b64 s[10:11], s[48:49], exec
	s_and_b64 s[48:49], s[52:53], exec
	s_or_b64 s[48:49], s[10:11], s[48:49]
.LBB50_465:                             ;   in Loop: Header=BB50_418 Depth=1
	s_or_b64 exec, exec, s[50:51]
	s_and_b64 s[48:49], s[48:49], exec
                                        ; implicit-def: $vgpr6
.LBB50_466:                             ;   in Loop: Header=BB50_418 Depth=1
	s_andn2_saveexec_b64 s[46:47], s[46:47]
	s_cbranch_execz .LBB50_468
; %bb.467:                              ;   in Loop: Header=BB50_418 Depth=1
	v_mul_f32_e64 v7, |v11|, s59
	v_cmp_lt_f32_e64 vcc, |v11|, s58
	v_cndmask_b32_e64 v7, |v11|, v7, vcc
	v_sqrt_f32_e32 v8, v7
	v_add_f32_e32 v6, 1.0, v6
	v_mul_f32_e32 v6, 0.5, v6
	s_or_b64 s[48:49], s[48:49], exec
	v_add_u32_e32 v9, -1, v8
	v_fma_f32 v23, -v9, v8, v7
	v_add_u32_e32 v22, 1, v8
	v_cmp_ge_f32_e64 s[10:11], 0, v23
	v_cndmask_b32_e64 v9, v8, v9, s[10:11]
	v_fma_f32 v8, -v22, v8, v7
	v_cmp_lt_f32_e64 s[10:11], 0, v8
	v_cndmask_b32_e64 v8, v9, v22, s[10:11]
	v_mul_f32_e32 v22, 0x4f800000, v6
	v_cmp_gt_f32_e64 s[10:11], s58, v6
	v_cndmask_b32_e64 v6, v6, v22, s[10:11]
	v_sqrt_f32_e32 v22, v6
	v_mul_f32_e32 v9, 0x37800000, v8
	v_cndmask_b32_e32 v8, v8, v9, vcc
	v_cmp_class_f32_e32 vcc, v7, v29
	v_cndmask_b32_e32 v7, v8, v7, vcc
	v_add_u32_e32 v8, -1, v22
	v_fma_f32 v9, -v8, v22, v6
	v_cmp_ge_f32_e32 vcc, 0, v9
	v_add_u32_e32 v9, 1, v22
	v_cndmask_b32_e32 v8, v22, v8, vcc
	v_fma_f32 v22, -v9, v22, v6
	v_cmp_lt_f32_e32 vcc, 0, v22
	v_cndmask_b32_e32 v8, v8, v9, vcc
	v_mul_f32_e32 v9, 0x37800000, v8
	v_cndmask_b32_e64 v8, v8, v9, s[10:11]
	v_cmp_class_f32_e32 vcc, v6, v29
	v_cndmask_b32_e32 v6, v8, v6, vcc
	v_mul_f32_e32 v24, v7, v6
	v_mov_b32_e32 v8, 1.0
.LBB50_468:                             ;   in Loop: Header=BB50_418 Depth=1
	s_or_b64 exec, exec, s[46:47]
	s_and_b64 s[10:11], s[48:49], exec
.LBB50_469:                             ;   in Loop: Header=BB50_418 Depth=1
	s_or_b64 exec, exec, s[44:45]
	s_and_b64 s[10:11], s[10:11], exec
                                        ; implicit-def: $vgpr6
.LBB50_470:                             ;   in Loop: Header=BB50_418 Depth=1
	s_andn2_saveexec_b64 s[42:43], s[42:43]
; %bb.471:                              ;   in Loop: Header=BB50_418 Depth=1
	v_mov_b32_e32 v7, v8
	v_pk_mul_f32 v[24:25], v[6:7], s[28:29] op_sel_hi:[1,0]
	s_or_b64 s[10:11], s[10:11], exec
	v_mov_b32_e32 v8, v25
                                        ; implicit-def: $vgpr19
; %bb.472:                              ;   in Loop: Header=BB50_418 Depth=1
	s_or_b64 exec, exec, s[42:43]
	s_xor_b64 s[10:11], s[10:11], -1
                                        ; implicit-def: $vgpr6
	s_and_saveexec_b64 s[42:43], s[10:11]
	s_xor_b64 s[42:43], exec, s[42:43]
	s_cbranch_execz .LBB50_478
; %bb.473:                              ;   in Loop: Header=BB50_418 Depth=1
                                        ; implicit-def: $vgpr6
	s_and_saveexec_b64 s[10:11], s[8:9]
	s_xor_b64 s[10:11], exec, s[10:11]
	s_cbranch_execz .LBB50_475
; %bb.474:                              ;   in Loop: Header=BB50_418 Depth=1
	v_fma_f32 v6, |v19|, -0.5, 0.5
	v_mul_f32_e32 v7, v19, v19
	v_cmp_gt_f32_e64 vcc, |v19|, 0.5
	v_cndmask_b32_e32 v6, v7, v6, vcc
	v_mov_b32_e32 v7, 0x3c5fc5da
	v_fmac_f32_e32 v7, 0x3d1c21a7, v6
	v_fma_f32 v7, v6, v7, v31
	v_fma_f32 v7, v6, v7, v32
	v_sqrt_f32_e32 v8, v6
	v_fma_f32 v7, v6, v7, v33
	v_fma_f32 v7, v6, v7, v34
	v_mul_f32_e32 v6, v6, v7
	v_fmac_f32_e32 v8, v8, v6
	v_fmac_f32_e32 v19, v19, v6
	v_add_f32_e32 v7, v8, v8
	v_sub_f32_e32 v6, 0x3fc90fdb, v19
	v_cndmask_b32_e32 v6, v6, v7, vcc
                                        ; implicit-def: $vgpr19
.LBB50_475:                             ;   in Loop: Header=BB50_418 Depth=1
	s_andn2_saveexec_b64 s[44:45], s[10:11]
	s_cbranch_execz .LBB50_477
; %bb.476:                              ;   in Loop: Header=BB50_418 Depth=1
	v_fma_f32 v6, |v19|, -0.5, 0.5
	v_mul_f32_e32 v7, v19, v19
	v_cmp_gt_f32_e64 vcc, |v19|, 0.5
	v_cndmask_b32_e32 v6, v7, v6, vcc
	v_mov_b32_e32 v7, 0x3c5fc5da
	v_fmac_f32_e32 v7, 0x3d1c21a7, v6
	v_fma_f32 v7, v6, v7, v31
	v_fma_f32 v7, v6, v7, v32
	v_sqrt_f32_e32 v8, v6
	v_fma_f32 v7, v6, v7, v33
	v_fma_f32 v7, v6, v7, v34
	v_mul_f32_e32 v6, v6, v7
	v_fmac_f32_e32 v8, v8, v6
	v_add_f32_e32 v7, v8, v8
	v_sub_f32_e32 v8, 0x40490fdb, v7
	v_cmp_lt_f32_e64 s[10:11], 0, v19
	v_fma_f32 v6, -v19, v6, -v19
	v_cndmask_b32_e64 v7, v7, v8, s[10:11]
	v_sub_f32_e32 v6, 0x3fc90fdb, v6
	v_cndmask_b32_e32 v6, v6, v7, vcc
.LBB50_477:                             ;   in Loop: Header=BB50_418 Depth=1
	s_or_b64 exec, exec, s[44:45]
                                        ; implicit-def: $vgpr24
                                        ; implicit-def: $vgpr8
.LBB50_478:                             ;   in Loop: Header=BB50_418 Depth=1
	s_andn2_saveexec_b64 s[10:11], s[42:43]
	s_cbranch_execz .LBB50_484
; %bb.479:                              ;   in Loop: Header=BB50_418 Depth=1
                                        ; implicit-def: $vgpr6
	s_and_saveexec_b64 s[42:43], s[8:9]
	s_xor_b64 s[8:9], exec, s[42:43]
	s_cbranch_execz .LBB50_481
; %bb.480:                              ;   in Loop: Header=BB50_418 Depth=1
	v_max_f32_e64 v6, |v24|, |v24|
	v_max_f32_e32 v7, v8, v8
	v_min_f32_e32 v9, v7, v6
	v_max_f32_e32 v6, v7, v6
	v_frexp_mant_f32_e32 v7, v6
	v_rcp_f32_e32 v7, v7
	v_frexp_exp_i32_f32_e32 v6, v6
	v_frexp_exp_i32_f32_e32 v19, v9
	v_frexp_mant_f32_e32 v9, v9
	v_mul_f32_e32 v7, v9, v7
	v_sub_u32_e32 v6, v19, v6
	v_ldexp_f32 v6, v7, v6
	v_mul_f32_e32 v7, v6, v6
	v_mov_b32_e32 v9, 0xbc7a590c
	v_fmac_f32_e32 v9, 0x3b2d2a58, v7
	v_fma_f32 v9, v7, v9, v35
	v_fma_f32 v9, v7, v9, v36
	;; [unrolled: 1-line block ×6, first 2 shown]
	v_mul_f32_e32 v7, v7, v9
	v_fmac_f32_e32 v6, v6, v7
	v_sub_f32_e32 v7, 0x3fc90fdb, v6
	v_cmp_gt_f32_e64 vcc, |v24|, v8
	v_cndmask_b32_e32 v6, v6, v7, vcc
	v_cmp_neq_f32_e32 vcc, 0, v24
	v_cndmask_b32_e32 v6, 0, v6, vcc
	v_cmp_eq_f32_e32 vcc, s56, v8
	v_cmp_class_f32_e64 s[42:43], v24, s70
	s_and_b64 vcc, vcc, s[42:43]
	v_cndmask_b32_e32 v6, v6, v46, vcc
	v_cmp_o_f32_e32 vcc, v8, v24
	v_cndmask_b32_e32 v6, v44, v6, vcc
	v_bfi_b32 v6, s33, v6, v24
                                        ; implicit-def: $vgpr24
                                        ; implicit-def: $vgpr8
.LBB50_481:                             ;   in Loop: Header=BB50_418 Depth=1
	s_andn2_saveexec_b64 s[42:43], s[8:9]
	s_cbranch_execz .LBB50_483
; %bb.482:                              ;   in Loop: Header=BB50_418 Depth=1
	v_max_f32_e64 v6, |v24|, |v24|
	v_max_f32_e32 v7, v8, v8
	v_min_f32_e32 v9, v7, v6
	v_max_f32_e32 v6, v7, v6
	v_frexp_mant_f32_e32 v7, v6
	v_rcp_f32_e32 v7, v7
	v_frexp_exp_i32_f32_e32 v6, v6
	v_frexp_exp_i32_f32_e32 v19, v9
	v_frexp_mant_f32_e32 v9, v9
	v_mul_f32_e32 v7, v9, v7
	v_sub_u32_e32 v6, v19, v6
	v_ldexp_f32 v6, v7, v6
	v_mul_f32_e32 v7, v6, v6
	v_mov_b32_e32 v9, 0xbc7a590c
	v_fmac_f32_e32 v9, 0x3b2d2a58, v7
	v_fma_f32 v9, v7, v9, v35
	v_fma_f32 v9, v7, v9, v36
	;; [unrolled: 1-line block ×6, first 2 shown]
	v_mul_f32_e32 v7, v7, v9
	v_fmac_f32_e32 v6, v6, v7
	v_sub_f32_e32 v7, 0x3fc90fdb, v6
	v_cmp_gt_f32_e64 vcc, |v24|, v8
	v_cndmask_b32_e32 v6, v6, v7, vcc
	v_sub_f32_e32 v7, 0x40490fdb, v6
	v_cmp_lt_f32_e32 vcc, 0, v8
	v_cndmask_b32_e32 v6, v6, v7, vcc
	v_cmp_neq_f32_e64 s[8:9], 0, v24
	v_cndmask_b32_e64 v6, v47, v6, s[8:9]
	v_cndmask_b32_e32 v7, v46, v48, vcc
	v_cmp_eq_f32_e32 vcc, s56, v8
	v_cmp_class_f32_e64 s[8:9], v24, s70
	s_and_b64 vcc, vcc, s[8:9]
	v_cndmask_b32_e32 v6, v6, v7, vcc
	v_cmp_o_f32_e64 vcc, v24, -v8
	v_cndmask_b32_e32 v6, v44, v6, vcc
	v_bfi_b32 v6, s33, v6, v24
.LBB50_483:                             ;   in Loop: Header=BB50_418 Depth=1
	s_or_b64 exec, exec, s[42:43]
.LBB50_484:                             ;   in Loop: Header=BB50_418 Depth=1
	s_or_b64 exec, exec, s[10:11]
	v_cndmask_b32_e64 v7, -v17, v17, s[4:5]
.LBB50_485:                             ;   in Loop: Header=BB50_418 Depth=1
	s_andn2_saveexec_b64 s[8:9], s[40:41]
	s_cbranch_execz .LBB50_487
; %bb.486:                              ;   in Loop: Header=BB50_418 Depth=1
	s_waitcnt vmcnt(0) lgkmcnt(0)
	v_pk_mov_b32 v[6:7], s[14:15], s[14:15] op_sel:[0,1]
	flat_load_dword v6, v[6:7] glc
	s_waitcnt vmcnt(0)
	v_xor_b32_e32 v7, 0x80000000, v11
	s_waitcnt lgkmcnt(0)
	v_sub_f32_e32 v6, v6, v10
	v_add_f32_e32 v6, 0x3fc90fdb, v6
.LBB50_487:                             ;   in Loop: Header=BB50_418 Depth=1
	s_or_b64 exec, exec, s[8:9]
.LBB50_488:                             ;   in Loop: Header=BB50_418 Depth=1
	s_andn2_saveexec_b64 s[8:9], s[38:39]
	s_cbranch_execz .LBB50_490
; %bb.489:                              ;   in Loop: Header=BB50_418 Depth=1
	v_xor_b32_e32 v7, 0x80000000, v11
	s_waitcnt vmcnt(0) lgkmcnt(0)
	v_mov_b32_e32 v6, 0
.LBB50_490:                             ;   in Loop: Header=BB50_418 Depth=1
	s_or_b64 exec, exec, s[8:9]
                                        ; implicit-def: $vgpr17
                                        ; implicit-def: $vgpr9
                                        ; implicit-def: $vgpr8
.LBB50_491:                             ;   in Loop: Header=BB50_418 Depth=1
	s_andn2_saveexec_b64 s[36:37], s[36:37]
	s_cbranch_execz .LBB50_501
; %bb.492:                              ;   in Loop: Header=BB50_418 Depth=1
	v_cmp_lt_f32_e64 s[8:9], |v10|, |v11|
	v_cndmask_b32_e64 v19, |v10|, |v11|, s[8:9]
	v_cmp_nlt_f32_e32 vcc, s71, v19
                                        ; implicit-def: $vgpr7
                                        ; implicit-def: $vgpr6
	s_and_saveexec_b64 s[10:11], vcc
	s_xor_b64 s[38:39], exec, s[10:11]
	s_cbranch_execz .LBB50_498
; %bb.493:                              ;   in Loop: Header=BB50_418 Depth=1
	v_cndmask_b32_e64 v22, |v11|, |v10|, s[8:9]
	v_cmp_nlt_f32_e32 vcc, s72, v19
	v_cmp_ngt_f32_e64 s[10:11], s73, v22
	s_and_b64 s[10:11], vcc, s[10:11]
                                        ; implicit-def: $vgpr7
                                        ; implicit-def: $vgpr6
	s_and_saveexec_b64 s[40:41], s[10:11]
	s_xor_b64 s[10:11], exec, s[40:41]
	s_cbranch_execz .LBB50_495
; %bb.494:                              ;   in Loop: Header=BB50_418 Depth=1
	s_waitcnt vmcnt(0) lgkmcnt(0)
	v_mul_f32_e32 v6, v22, v22
	v_fmac_f32_e32 v6, v19, v19
	v_cmp_gt_f32_e32 vcc, s60, v6
	v_cndmask_b32_e32 v7, 1.0, v42, vcc
	v_mul_f32_e32 v6, v6, v7
	v_log_f32_e32 v6, v6
	v_cndmask_b32_e32 v7, 0, v43, vcc
	v_mul_f32_e32 v19, 0x3f317217, v6
	v_fma_f32 v22, v6, s61, -v19
	v_fmac_f32_e32 v22, 0x3377d1cf, v6
	v_add_f32_e32 v19, v19, v22
	v_cmp_lt_f32_e64 vcc, |v6|, s56
	v_cndmask_b32_e32 v6, v6, v19, vcc
	v_sub_f32_e32 v6, v6, v7
	v_mul_f32_e32 v7, 0.5, v6
	v_min_f32_e32 v6, v17, v9
	v_frexp_mant_f32_e32 v9, v8
	v_rcp_f32_e32 v9, v9
	v_frexp_exp_i32_f32_e32 v8, v8
	v_frexp_exp_i32_f32_e32 v17, v6
	v_frexp_mant_f32_e32 v6, v6
	v_mul_f32_e32 v6, v6, v9
	v_sub_u32_e32 v8, v17, v8
	v_ldexp_f32 v6, v6, v8
	v_mul_f32_e32 v8, v6, v6
	v_mov_b32_e32 v9, 0xbc7a590c
	v_fmac_f32_e32 v9, 0x3b2d2a58, v8
	v_fma_f32 v9, v8, v9, v35
	v_fma_f32 v9, v8, v9, v36
	;; [unrolled: 1-line block ×6, first 2 shown]
	v_mul_f32_e32 v8, v8, v9
	v_fmac_f32_e32 v6, v6, v8
                                        ; implicit-def: $vgpr8
                                        ; implicit-def: $vgpr17
                                        ; implicit-def: $vgpr9
.LBB50_495:                             ;   in Loop: Header=BB50_418 Depth=1
	s_andn2_saveexec_b64 s[10:11], s[10:11]
	s_cbranch_execz .LBB50_497
; %bb.496:                              ;   in Loop: Header=BB50_418 Depth=1
	s_waitcnt vmcnt(0) lgkmcnt(0)
	v_cvt_f64_f32_e32 v[6:7], v8
	v_frexp_exp_i32_f64_e32 v6, v[6:7]
	v_sub_u32_e32 v7, 0, v6
	v_ldexp_f32 v19, |v10|, v7
	v_ldexp_f32 v7, |v11|, v7
	v_mul_f32_e32 v7, v7, v7
	v_fmac_f32_e32 v7, v19, v19
	v_sqrt_f32_e32 v7, v7
	v_cmp_neq_f32_e32 vcc, s56, v8
	v_min_f32_e32 v9, v17, v9
	v_ldexp_f32 v6, v7, v6
	v_cndmask_b32_e32 v6, v41, v6, vcc
	v_cmp_gt_f32_e32 vcc, s60, v6
	v_cndmask_b32_e32 v7, 1.0, v42, vcc
	v_mul_f32_e32 v6, v6, v7
	v_log_f32_e32 v6, v6
	v_cndmask_b32_e32 v7, 0, v43, vcc
	v_mul_f32_e32 v17, 0x3f317217, v6
	v_fma_f32 v19, v6, s61, -v17
	v_fmac_f32_e32 v19, 0x3377d1cf, v6
	v_add_f32_e32 v17, v17, v19
	v_cmp_lt_f32_e64 vcc, |v6|, s56
	v_cndmask_b32_e32 v6, v6, v17, vcc
	v_sub_f32_e32 v7, v6, v7
	v_frexp_mant_f32_e32 v6, v8
	v_rcp_f32_e32 v6, v6
	v_frexp_exp_i32_f32_e32 v8, v8
	v_frexp_exp_i32_f32_e32 v17, v9
	v_frexp_mant_f32_e32 v9, v9
	v_mul_f32_e32 v6, v9, v6
	v_sub_u32_e32 v8, v17, v8
	v_ldexp_f32 v6, v6, v8
	v_mul_f32_e32 v8, v6, v6
	v_mov_b32_e32 v9, 0xbc7a590c
	v_fmac_f32_e32 v9, 0x3b2d2a58, v8
	v_fma_f32 v9, v8, v9, v35
	v_fma_f32 v9, v8, v9, v36
	;; [unrolled: 1-line block ×6, first 2 shown]
	v_mul_f32_e32 v8, v8, v9
	v_fmac_f32_e32 v6, v6, v8
.LBB50_497:                             ;   in Loop: Header=BB50_418 Depth=1
	s_or_b64 exec, exec, s[10:11]
                                        ; implicit-def: $vgpr17
                                        ; implicit-def: $vgpr9
                                        ; implicit-def: $vgpr8
.LBB50_498:                             ;   in Loop: Header=BB50_418 Depth=1
	s_andn2_saveexec_b64 s[38:39], s[38:39]
	s_cbranch_execz .LBB50_500
; %bb.499:                              ;   in Loop: Header=BB50_418 Depth=1
	s_waitcnt vmcnt(0) lgkmcnt(0)
	v_div_scale_f32 v6, s[10:11], s74, s74, v10
	v_rcp_f32_e32 v7, v6
	v_div_scale_f32 v19, vcc, v10, s74, v10
	v_fma_f32 v22, -v6, v7, 1.0
	v_fmac_f32_e32 v7, v22, v7
	v_mul_f32_e32 v22, v19, v7
	v_fma_f32 v23, -v6, v22, v19
	v_fmac_f32_e32 v22, v23, v7
	v_fma_f32 v6, -v6, v22, v19
	v_div_scale_f32 v19, s[10:11], s74, s74, v11
	v_rcp_f32_e32 v23, v19
	v_div_fmas_f32 v6, v6, v7, v22
	v_div_fixup_f32 v22, v6, s74, v10
	v_fma_f32 v6, -v19, v23, 1.0
	v_fmac_f32_e32 v23, v6, v23
	v_div_scale_f32 v6, vcc, v11, s74, v11
	v_mul_f32_e32 v7, v6, v23
	v_fma_f32 v24, -v19, v7, v6
	v_fmac_f32_e32 v7, v24, v23
	v_fma_f32 v6, -v19, v7, v6
	v_div_fmas_f32 v6, v6, v23, v7
	v_div_fixup_f32 v19, v6, s74, v11
	v_max_f32_e64 v23, |v22|, |v19|
	v_cvt_f64_f32_e32 v[6:7], v23
	v_frexp_exp_i32_f64_e32 v6, v[6:7]
	v_sub_u32_e32 v7, 0, v6
	v_ldexp_f32 v22, |v22|, v7
	v_ldexp_f32 v7, |v19|, v7
	v_mul_f32_e32 v7, v7, v7
	v_fmac_f32_e32 v7, v22, v22
	v_sqrt_f32_e32 v7, v7
	v_cmp_neq_f32_e32 vcc, s56, v23
	v_ldexp_f32 v6, v7, v6
	v_cndmask_b32_e32 v6, v41, v6, vcc
	v_cmp_gt_f32_e32 vcc, s60, v6
	v_cndmask_b32_e32 v7, 1.0, v42, vcc
	v_mul_f32_e32 v6, v6, v7
	v_log_f32_e32 v6, v6
	v_mul_f32_e32 v7, 0x3f317217, v6
	v_fma_f32 v19, v6, s61, -v7
	v_fmac_f32_e32 v19, 0x3377d1cf, v6
	v_add_f32_e32 v7, v7, v19
	v_cmp_lt_f32_e64 s[10:11], |v6|, s56
	v_cndmask_b32_e64 v6, v6, v7, s[10:11]
	v_cndmask_b32_e32 v7, 0, v43, vcc
	v_sub_f32_e32 v6, v6, v7
	v_add_f32_e32 v7, 1.0, v6
	v_min_f32_e32 v6, v17, v9
	v_frexp_mant_f32_e32 v9, v8
	v_rcp_f32_e32 v9, v9
	v_frexp_exp_i32_f32_e32 v8, v8
	v_frexp_exp_i32_f32_e32 v17, v6
	v_frexp_mant_f32_e32 v6, v6
	v_mul_f32_e32 v6, v6, v9
	v_sub_u32_e32 v8, v17, v8
	v_ldexp_f32 v6, v6, v8
	v_mul_f32_e32 v8, v6, v6
	v_mov_b32_e32 v9, 0xbc7a590c
	v_fmac_f32_e32 v9, 0x3b2d2a58, v8
	v_fma_f32 v9, v8, v9, v35
	v_fma_f32 v9, v8, v9, v36
	;; [unrolled: 1-line block ×6, first 2 shown]
	v_mul_f32_e32 v8, v8, v9
	v_fmac_f32_e32 v6, v6, v8
.LBB50_500:                             ;   in Loop: Header=BB50_418 Depth=1
	s_or_b64 exec, exec, s[38:39]
	s_waitcnt vmcnt(0) lgkmcnt(0)
	v_sub_f32_e32 v8, 0x3fc90fdb, v6
	v_cndmask_b32_e64 v6, v6, v8, s[8:9]
	v_sub_f32_e32 v8, 0x40490fdb, v6
	v_cmp_gt_f32_e32 vcc, 0, v10
	v_cndmask_b32_e32 v6, v6, v8, vcc
	v_cndmask_b32_e64 v8, 0, v47, s[6:7]
	v_cmp_eq_f32_e64 s[6:7], 0, v11
	v_cndmask_b32_e64 v6, v6, v8, s[6:7]
	v_cmp_class_f32_e64 s[6:7], v10, s70
	v_cmp_class_f32_e64 s[8:9], v11, s70
	v_cndmask_b32_e32 v8, v46, v48, vcc
	s_and_b64 vcc, s[6:7], s[8:9]
	v_cndmask_b32_e32 v6, v6, v8, vcc
	v_cmp_o_f32_e32 vcc, v10, v11
	v_add_f32_e32 v7, 0x3f317218, v7
	v_cndmask_b32_e64 v6, v44, |v6|, vcc
	v_cndmask_b32_e64 v7, -v7, v7, s[4:5]
.LBB50_501:                             ;   in Loop: Header=BB50_418 Depth=1
	s_or_b64 exec, exec, s[36:37]
.LBB50_502:                             ;   in Loop: Header=BB50_418 Depth=1
	s_andn2_saveexec_b64 s[4:5], s[34:35]
	s_cbranch_execz .LBB50_516
; %bb.503:                              ;   in Loop: Header=BB50_418 Depth=1
	v_cmp_neq_f32_e64 s[6:7], |v10|, s56
                                        ; implicit-def: $vgpr7
	s_and_saveexec_b64 s[8:9], s[6:7]
	s_xor_b64 s[6:7], exec, s[8:9]
	s_cbranch_execz .LBB50_513
; %bb.504:                              ;   in Loop: Header=BB50_418 Depth=1
	v_cmp_neq_f32_e64 s[8:9], |v11|, s56
                                        ; implicit-def: $vgpr7
	s_and_saveexec_b64 s[10:11], s[8:9]
	s_xor_b64 s[8:9], exec, s[10:11]
	s_cbranch_execz .LBB50_510
; %bb.505:                              ;   in Loop: Header=BB50_418 Depth=1
	v_cmp_neq_f32_e32 vcc, 0, v10
                                        ; implicit-def: $vgpr7
	s_and_saveexec_b64 s[10:11], vcc
	s_xor_b64 s[10:11], exec, s[10:11]
	s_cbranch_execz .LBB50_507
; %bb.506:                              ;   in Loop: Header=BB50_418 Depth=1
	s_waitcnt vmcnt(0) lgkmcnt(0)
	v_add_f32_e32 v6, 0, v11
	v_add_f32_e32 v7, v10, v6
.LBB50_507:                             ;   in Loop: Header=BB50_418 Depth=1
	s_or_saveexec_b64 s[10:11], s[10:11]
	s_waitcnt vmcnt(0) lgkmcnt(0)
	v_mov_b32_e32 v6, v7
	s_xor_b64 exec, exec, s[10:11]
	s_cbranch_execz .LBB50_509
; %bb.508:                              ;   in Loop: Header=BB50_418 Depth=1
	v_pk_mov_b32 v[6:7], s[14:15], s[14:15] op_sel:[0,1]
	flat_load_dword v6, v[6:7] glc
	s_waitcnt vmcnt(0)
	v_add_f32_e32 v7, v11, v11
	s_waitcnt lgkmcnt(0)
	v_add_f32_e32 v6, 0x3fc90fdb, v6
.LBB50_509:                             ;   in Loop: Header=BB50_418 Depth=1
	s_or_b64 exec, exec, s[10:11]
.LBB50_510:                             ;   in Loop: Header=BB50_418 Depth=1
	s_andn2_saveexec_b64 s[8:9], s[8:9]
	s_cbranch_execz .LBB50_512
; %bb.511:                              ;   in Loop: Header=BB50_418 Depth=1
	s_waitcnt vmcnt(0) lgkmcnt(0)
	v_add_f32_e32 v6, v10, v10
	v_xor_b32_e32 v7, 0x80000000, v11
.LBB50_512:                             ;   in Loop: Header=BB50_418 Depth=1
	s_or_b64 exec, exec, s[8:9]
.LBB50_513:                             ;   in Loop: Header=BB50_418 Depth=1
	s_andn2_saveexec_b64 s[6:7], s[6:7]
	s_cbranch_execz .LBB50_515
; %bb.514:                              ;   in Loop: Header=BB50_418 Depth=1
	s_waitcnt vmcnt(0) lgkmcnt(0)
	v_add_f32_e32 v6, v11, v11
	v_mov_b32_e32 v7, 0xff800000
.LBB50_515:                             ;   in Loop: Header=BB50_418 Depth=1
	s_or_b64 exec, exec, s[6:7]
.LBB50_516:                             ;   in Loop: Header=BB50_418 Depth=1
	s_or_b64 exec, exec, s[4:5]
	v_cmp_o_f32_e32 vcc, v12, v12
	v_cmp_o_f32_e64 s[4:5], v13, v13
	v_pk_mov_b32 v[8:9], s[14:15], s[14:15] op_sel:[0,1]
	s_and_b64 s[4:5], vcc, s[4:5]
	flat_store_dword v[8:9], v27
	s_waitcnt vmcnt(0)
	s_and_saveexec_b64 s[6:7], s[4:5]
	s_xor_b64 s[34:35], exec, s[6:7]
	s_cbranch_execz .LBB50_600
; %bb.517:                              ;   in Loop: Header=BB50_418 Depth=1
	v_max_f32_e64 v17, |v13|, |v13|
	v_max_f32_e64 v11, |v12|, |v12|
	v_max_f32_e32 v10, v11, v17
	v_cmp_gt_i32_e64 s[6:7], 0, v12
	v_cmp_lt_i32_e64 s[8:9], -1, v12
	v_cmp_gt_i32_e64 s[4:5], 0, v13
	v_cmp_nlt_f32_e32 vcc, s23, v10
	s_and_saveexec_b64 s[10:11], vcc
	s_xor_b64 s[36:37], exec, s[10:11]
	s_cbranch_execz .LBB50_589
; %bb.518:                              ;   in Loop: Header=BB50_418 Depth=1
	v_cmp_neq_f32_e32 vcc, 1.0, v12
	v_cmp_neq_f32_e64 s[10:11], 0, v13
	s_or_b64 s[10:11], vcc, s[10:11]
	s_and_saveexec_b64 s[38:39], s[10:11]
	s_xor_b64 s[38:39], exec, s[38:39]
	s_cbranch_execz .LBB50_586
; %bb.519:                              ;   in Loop: Header=BB50_418 Depth=1
	v_pk_mov_b32 v[8:9], s[16:17], s[16:17] op_sel:[0,1]
	flat_store_dword v[8:9], v28
	s_waitcnt vmcnt(0)
	flat_load_dword v8, v[8:9] glc
	s_waitcnt vmcnt(0)
	v_cmp_nlt_f32_e64 s[10:11], |v12|, s29
	v_cmp_nlt_f32_e64 s[40:41], |v13|, s29
	s_or_b64 s[10:11], s[10:11], s[40:41]
	s_waitcnt lgkmcnt(0)
	v_add_f32_e32 v10, 1.0, v8
	v_pk_mov_b32 v[8:9], s[18:19], s[18:19] op_sel:[0,1]
	flat_store_dword v[8:9], v10
	s_waitcnt vmcnt(0)
	flat_load_dword v8, v[8:9] glc
	s_waitcnt vmcnt(0)
	s_and_saveexec_b64 s[40:41], s[10:11]
	s_xor_b64 s[40:41], exec, s[40:41]
	s_cbranch_execz .LBB50_583
; %bb.520:                              ;   in Loop: Header=BB50_418 Depth=1
	v_and_b32_e32 v22, 0x7fffffff, v12
	v_pk_add_f32 v[10:11], v[22:23], s[26:27] op_sel_hi:[0,1]
	v_max_f32_e64 v19, v17, |v11|
	v_max_f32_e64 v17, v17, |v10|
	s_waitcnt lgkmcnt(0)
	v_cvt_f64_f32_e32 v[8:9], v17
	v_frexp_exp_i32_f64_e32 v23, v[8:9]
	v_sub_u32_e32 v8, 0, v23
	v_ldexp_f32 v9, |v13|, v8
	v_ldexp_f32 v8, |v10|, v8
	v_mul_f32_e32 v8, v8, v8
	v_fmac_f32_e32 v8, v9, v9
	v_sqrt_f32_e32 v24, v8
	v_cvt_f64_f32_e32 v[8:9], v19
	v_frexp_exp_i32_f64_e32 v8, v[8:9]
	v_sub_u32_e32 v9, 0, v8
	v_ldexp_f32 v25, |v13|, v9
	v_ldexp_f32 v9, |v11|, v9
	v_mul_f32_e32 v9, v9, v9
	v_fmac_f32_e32 v9, v25, v25
	v_sqrt_f32_e32 v9, v9
	v_cmp_neq_f32_e32 vcc, s56, v19
	v_ldexp_f32 v24, v24, v23
	v_ldexp_f32 v8, v9, v8
	v_cndmask_b32_e32 v23, v41, v8, vcc
	v_cmp_neq_f32_e32 vcc, s56, v17
	v_cndmask_b32_e32 v49, v41, v24, vcc
	v_add_f32_e32 v8, v49, v23
	v_mul_f32_e32 v8, 0.5, v8
	v_cmp_ngt_f32_e32 vcc, 1.0, v8
	v_cndmask_b32_e32 v8, 1.0, v8, vcc
	v_cmp_ngt_f32_e32 vcc, s57, v8
                                        ; implicit-def: $vgpr17
	s_and_saveexec_b64 s[10:11], vcc
	s_xor_b64 s[42:43], exec, s[10:11]
	s_cbranch_execz .LBB50_522
; %bb.521:                              ;   in Loop: Header=BB50_418 Depth=1
	v_fma_f32 v9, v8, v8, -1.0
	v_mul_f32_e32 v17, 0x4f800000, v9
	v_cmp_gt_f32_e32 vcc, s58, v9
	v_cndmask_b32_e32 v9, v9, v17, vcc
	v_sqrt_f32_e32 v17, v9
	v_add_u32_e32 v19, -1, v17
	v_fma_f32 v25, -v19, v17, v9
	v_add_u32_e32 v24, 1, v17
	v_cmp_ge_f32_e64 s[10:11], 0, v25
	v_cndmask_b32_e64 v19, v17, v19, s[10:11]
	v_fma_f32 v17, -v24, v17, v9
	v_cmp_lt_f32_e64 s[10:11], 0, v17
	v_cndmask_b32_e64 v17, v19, v24, s[10:11]
	v_mul_f32_e32 v19, 0x37800000, v17
	v_cndmask_b32_e32 v17, v17, v19, vcc
	v_cmp_class_f32_e32 vcc, v9, v29
	v_cndmask_b32_e32 v9, v17, v9, vcc
	v_add_f32_e32 v9, v8, v9
	v_cmp_gt_f32_e32 vcc, s60, v9
	v_cndmask_b32_e32 v17, 1.0, v42, vcc
	v_mul_f32_e32 v9, v9, v17
	v_log_f32_e32 v9, v9
	v_mul_f32_e32 v17, 0x3f317217, v9
	v_fma_f32 v19, v9, s61, -v17
	v_fmac_f32_e32 v19, 0x3377d1cf, v9
	v_add_f32_e32 v17, v17, v19
	v_cmp_lt_f32_e64 s[10:11], |v9|, s56
	v_cndmask_b32_e64 v9, v9, v17, s[10:11]
	v_cndmask_b32_e32 v17, 0, v43, vcc
	v_sub_f32_e32 v17, v9, v17
.LBB50_522:                             ;   in Loop: Header=BB50_418 Depth=1
	s_or_saveexec_b64 s[42:43], s[42:43]
	v_and_b32_e32 v25, 0x7fffffff, v13
	v_and_b32_e32 v50, 0x7fffffff, v11
	s_xor_b64 exec, exec, s[42:43]
	s_cbranch_execz .LBB50_544
; %bb.523:                              ;   in Loop: Header=BB50_418 Depth=1
	v_cmp_neq_f32_e64 s[10:11], |v12|, 1.0
	v_cmp_nlt_f32_e64 s[44:45], |v13|, s62
	s_or_b64 s[10:11], s[10:11], s[44:45]
                                        ; implicit-def: $vgpr17
	s_and_saveexec_b64 s[44:45], s[10:11]
	s_xor_b64 s[44:45], exec, s[44:45]
	s_cbranch_execz .LBB50_541
; %bb.524:                              ;   in Loop: Header=BB50_418 Depth=1
	v_mul_f32_e32 v9, 0x34000000, v50
	v_cmp_le_f32_e64 s[10:11], v9, |v13|
                                        ; implicit-def: $vgpr17
	s_and_saveexec_b64 s[46:47], s[10:11]
	s_xor_b64 s[46:47], exec, s[46:47]
	s_cbranch_execz .LBB50_534
; %bb.525:                              ;   in Loop: Header=BB50_418 Depth=1
	v_cmp_neq_f32_e32 vcc, 0, v10
	v_mov_b32_e32 v9, v25
	s_and_saveexec_b64 s[10:11], vcc
	s_cbranch_execz .LBB50_527
; %bb.526:                              ;   in Loop: Header=BB50_418 Depth=1
	v_mul_f32_e32 v9, v13, v13
	v_add_f32_e32 v17, v10, v49
	v_div_scale_f32 v19, s[48:49], v17, v17, v9
	v_rcp_f32_e32 v24, v19
	v_fma_f32 v51, -v19, v24, 1.0
	v_fmac_f32_e32 v24, v51, v24
	v_div_scale_f32 v51, vcc, v9, v17, v9
	v_mul_f32_e32 v52, v51, v24
	v_fma_f32 v53, -v19, v52, v51
	v_fmac_f32_e32 v52, v53, v24
	v_fma_f32 v19, -v19, v52, v51
	v_div_fmas_f32 v19, v19, v24, v52
	v_div_fixup_f32 v9, v19, v17, v9
.LBB50_527:                             ;   in Loop: Header=BB50_418 Depth=1
	s_or_b64 exec, exec, s[10:11]
	v_sub_f32_e64 v19, 1.0, |v12|
	v_cmp_ngt_f32_e32 vcc, 0, v19
                                        ; implicit-def: $vgpr17
	s_and_saveexec_b64 s[10:11], vcc
	s_xor_b64 s[10:11], exec, s[10:11]
	s_cbranch_execz .LBB50_531
; %bb.528:                              ;   in Loop: Header=BB50_418 Depth=1
	v_cmp_neq_f32_e32 vcc, 0, v19
	v_mov_b32_e32 v17, v25
	s_and_saveexec_b64 s[48:49], vcc
	s_cbranch_execz .LBB50_530
; %bb.529:                              ;   in Loop: Header=BB50_418 Depth=1
	v_mul_f32_e32 v17, v13, v13
	v_add_f32_e32 v19, v19, v23
	v_div_scale_f32 v24, s[50:51], v19, v19, v17
	v_rcp_f32_e32 v51, v24
	v_fma_f32 v52, -v24, v51, 1.0
	v_fmac_f32_e32 v51, v52, v51
	v_div_scale_f32 v52, vcc, v17, v19, v17
	v_mul_f32_e32 v53, v52, v51
	v_fma_f32 v54, -v24, v53, v52
	v_fmac_f32_e32 v53, v54, v51
	v_fma_f32 v24, -v24, v53, v52
	v_div_fmas_f32 v24, v24, v51, v53
	v_div_fixup_f32 v17, v24, v19, v17
.LBB50_530:                             ;   in Loop: Header=BB50_418 Depth=1
	s_or_b64 exec, exec, s[48:49]
                                        ; implicit-def: $vgpr19
.LBB50_531:                             ;   in Loop: Header=BB50_418 Depth=1
	s_andn2_saveexec_b64 s[10:11], s[10:11]
; %bb.532:                              ;   in Loop: Header=BB50_418 Depth=1
	v_sub_f32_e32 v17, v23, v19
; %bb.533:                              ;   in Loop: Header=BB50_418 Depth=1
	s_or_b64 exec, exec, s[10:11]
	v_mul_f32_e32 v9, 0.5, v9
	v_mul_f32_e32 v17, 0.5, v17
	v_pk_add_f32 v[52:53], v[8:9], v[16:17]
	v_mul_f32_e32 v9, v52, v53
	v_mul_f32_e32 v17, 0x4f800000, v9
	v_cmp_gt_f32_e32 vcc, s58, v9
	v_cndmask_b32_e32 v9, v9, v17, vcc
	v_sqrt_f32_e32 v17, v9
	v_add_u32_e32 v19, -1, v17
	v_fma_f32 v24, -v19, v17, v9
	v_cmp_ge_f32_e64 s[10:11], 0, v24
	v_add_u32_e32 v24, 1, v17
	v_cndmask_b32_e64 v19, v17, v19, s[10:11]
	v_fma_f32 v17, -v24, v17, v9
	v_cmp_lt_f32_e64 s[10:11], 0, v17
	v_cndmask_b32_e64 v17, v19, v24, s[10:11]
	v_mul_f32_e32 v19, 0x37800000, v17
	v_cndmask_b32_e32 v17, v17, v19, vcc
	v_cmp_class_f32_e32 vcc, v9, v29
	v_cndmask_b32_e32 v9, v17, v9, vcc
	v_add_f32_e32 v52, v53, v9
	v_add_f32_e32 v55, 1.0, v52
	v_add_f32_e32 v53, -1.0, v55
	v_mov_b32_e32 v54, v53
	v_pk_add_f32 v[56:57], v[52:53], v[54:55] neg_lo:[0,1] neg_hi:[0,1]
	v_add_f32_e32 v9, 1.0, v57
	v_add_f32_e32 v9, v56, v9
	v_frexp_mant_f32_e32 v17, v55
	v_cvt_f64_f32_e32 v[56:57], v55
	v_frexp_exp_i32_f64_e32 v19, v[56:57]
	v_cmp_gt_f32_e32 vcc, s63, v17
	v_subbrev_co_u32_e32 v17, vcc, 0, v19, vcc
	v_sub_u32_e32 v19, 0, v17
	v_ldexp_f32 v24, v55, v19
	v_ldexp_f32 v9, v9, v19
	v_add_f32_e32 v19, -1.0, v24
	v_add_f32_e32 v53, 1.0, v24
	v_add_f32_e32 v51, 1.0, v19
	v_add_f32_e32 v54, -1.0, v53
	v_sub_f32_e32 v51, v24, v51
	v_sub_f32_e32 v24, v24, v54
	v_add_f32_e32 v51, v9, v51
	v_add_f32_e32 v9, v9, v24
	;; [unrolled: 1-line block ×3, first 2 shown]
	v_sub_f32_e32 v53, v24, v53
	v_sub_f32_e32 v9, v9, v53
	v_rcp_f32_e32 v53, v24
	v_add_f32_e32 v55, v19, v51
	v_sub_f32_e32 v19, v55, v19
	v_sub_f32_e32 v19, v51, v19
	v_mul_f32_e32 v51, v55, v53
	v_mul_f32_e32 v56, v24, v51
	v_fma_f32 v58, v51, v24, -v56
	v_fmac_f32_e32 v58, v51, v9
	v_add_f32_e32 v54, v56, v58
	v_sub_f32_e32 v57, v55, v54
	v_pk_add_f32 v[60:61], v[54:55], v[56:57] neg_lo:[0,1] neg_hi:[0,1]
	v_mov_b32_e32 v59, v54
	v_pk_add_f32 v[54:55], v[60:61], v[58:59] neg_lo:[0,1] neg_hi:[0,1]
	v_add_f32_e32 v19, v19, v55
	v_add_f32_e32 v19, v54, v19
	;; [unrolled: 1-line block ×3, first 2 shown]
	v_mul_f32_e32 v62, v53, v55
	v_mul_f32_e32 v56, v24, v62
	v_fma_f32 v58, v62, v24, -v56
	v_fmac_f32_e32 v58, v62, v9
	v_add_f32_e32 v54, v56, v58
	v_sub_f32_e32 v9, v57, v55
	v_sub_f32_e32 v57, v55, v54
	v_pk_add_f32 v[60:61], v[54:55], v[56:57] neg_lo:[0,1] neg_hi:[0,1]
	v_mov_b32_e32 v59, v54
	v_add_f32_e32 v9, v19, v9
	v_pk_add_f32 v[54:55], v[60:61], v[58:59] neg_lo:[0,1] neg_hi:[0,1]
	v_add_f32_e32 v9, v9, v55
	v_add_f32_e32 v9, v54, v9
	v_add_f32_e32 v24, v51, v62
	v_add_f32_e32 v9, v57, v9
	v_sub_f32_e32 v19, v24, v51
	v_mul_f32_e32 v9, v53, v9
	v_sub_f32_e32 v19, v62, v19
	v_add_f32_e32 v9, v19, v9
	v_add_f32_e32 v51, v24, v9
	v_cvt_f32_i32_e32 v54, v17
	v_mul_f32_e32 v53, v51, v51
	v_mov_b32_e32 v19, 0x3ecc95a3
	v_fmac_f32_e32 v19, 0x3e9b6dac, v53
	v_fma_f32 v19, v53, v19, v30
	v_mul_f32_e32 v55, v51, v53
	v_pk_mul_f32 v[58:59], v[54:55], v[18:19]
	v_fma_f32 v56, v54, s64, -v58
	v_ldexp_f32 v57, v51, 1
	v_fmac_f32_e32 v56, 0xb102e308, v54
	v_sub_f32_e32 v17, v51, v24
	v_pk_add_f32 v[54:55], v[58:59], v[56:57]
	v_sub_f32_e32 v9, v9, v17
	v_sub_f32_e32 v17, v55, v57
	v_ldexp_f32 v9, v9, 1
	v_sub_f32_e32 v17, v59, v17
	v_add_f32_e32 v61, v9, v17
	v_mov_b32_e32 v60, v58
	v_pk_add_f32 v[58:59], v[54:55], v[58:59] neg_lo:[0,1] neg_hi:[0,1]
	v_pk_add_f32 v[62:63], v[54:55], v[60:61]
	v_mov_b32_e32 v59, v63
	v_mov_b32_e32 v57, v54
	v_pk_add_f32 v[64:65], v[56:57], v[58:59] neg_lo:[0,1] neg_hi:[0,1]
	v_pk_add_f32 v[56:57], v[56:57], v[58:59]
	v_mov_b32_e32 v24, v57
	v_pk_add_f32 v[58:59], v[24:25], v[54:55] neg_lo:[0,1] neg_hi:[0,1]
	v_mov_b32_e32 v9, v58
	v_pk_add_f32 v[66:67], v[62:63], v[8:9] neg_lo:[0,1] neg_hi:[0,1]
	v_mov_b32_e32 v56, v63
	v_mov_b32_e32 v62, v55
	;; [unrolled: 1-line block ×4, first 2 shown]
	v_pk_add_f32 v[56:57], v[56:57], v[62:63] neg_lo:[0,1] neg_hi:[0,1]
	v_mov_b32_e32 v58, v61
	v_mov_b32_e32 v59, v54
	v_pk_add_f32 v[54:55], v[58:59], v[56:57] neg_lo:[0,1] neg_hi:[0,1]
	v_mov_b32_e32 v66, v64
	v_pk_add_f32 v[56:57], v[66:67], v[54:55]
	v_mov_b32_e32 v58, v57
	v_pk_add_f32 v[58:59], v[56:57], v[58:59]
	v_pk_add_f32 v[60:61], v[24:25], v[58:59]
	v_mov_b32_e32 v57, v60
	v_pk_add_f32 v[62:63], v[56:57], v[64:65] neg_lo:[0,1] neg_hi:[0,1]
	v_mov_b32_e32 v55, v58
	v_sub_f32_e32 v9, v56, v62
	v_pk_add_f32 v[54:55], v[54:55], v[62:63] neg_lo:[0,1] neg_hi:[0,1]
	v_sub_f32_e32 v9, v64, v9
	v_add_f32_e32 v9, v54, v9
	v_add_f32_e32 v9, v9, v55
	;; [unrolled: 1-line block ×3, first 2 shown]
	v_cmp_eq_f32_e32 vcc, s56, v52
	v_cndmask_b32_e32 v9, v9, v52, vcc
	v_cmp_ngt_f32_e32 vcc, -1.0, v52
	v_cndmask_b32_e32 v9, v44, v9, vcc
	v_cmp_neq_f32_e32 vcc, -1.0, v52
	v_cndmask_b32_e32 v9, v45, v9, vcc
	v_cmp_lt_f32_e64 vcc, |v52|, s65
	v_cndmask_b32_e32 v17, v9, v52, vcc
.LBB50_534:                             ;   in Loop: Header=BB50_418 Depth=1
	s_andn2_saveexec_b64 s[46:47], s[46:47]
	s_cbranch_execz .LBB50_540
; %bb.535:                              ;   in Loop: Header=BB50_418 Depth=1
	v_cmp_nlt_f32_e64 s[10:11], |v12|, 1.0
                                        ; implicit-def: $vgpr17
	s_and_saveexec_b64 s[48:49], s[10:11]
	s_xor_b64 s[48:49], exec, s[48:49]
	s_cbranch_execz .LBB50_537
; %bb.536:                              ;   in Loop: Header=BB50_418 Depth=1
	v_mul_f32_e32 v9, v11, v10
	v_mul_f32_e32 v17, 0x4f800000, v9
	v_cmp_gt_f32_e32 vcc, s58, v9
	v_cndmask_b32_e32 v9, v9, v17, vcc
	v_sqrt_f32_e32 v17, v9
	v_add_u32_e32 v19, -1, v17
	v_fma_f32 v51, -v19, v17, v9
	v_add_u32_e32 v24, 1, v17
	v_cmp_ge_f32_e64 s[10:11], 0, v51
	v_cndmask_b32_e64 v19, v17, v19, s[10:11]
	v_fma_f32 v17, -v24, v17, v9
	v_cmp_lt_f32_e64 s[10:11], 0, v17
	v_cndmask_b32_e64 v17, v19, v24, s[10:11]
	v_mul_f32_e32 v19, 0x37800000, v17
	v_cndmask_b32_e32 v17, v17, v19, vcc
	v_cmp_class_f32_e32 vcc, v9, v29
	v_cndmask_b32_e32 v9, v17, v9, vcc
	v_add_f32_e32 v52, v11, v9
	v_add_f32_e32 v55, 1.0, v52
	v_add_f32_e32 v53, -1.0, v55
	v_mov_b32_e32 v54, v53
	v_pk_add_f32 v[56:57], v[52:53], v[54:55] neg_lo:[0,1] neg_hi:[0,1]
	v_add_f32_e32 v9, 1.0, v57
	v_add_f32_e32 v9, v56, v9
	v_frexp_mant_f32_e32 v17, v55
	v_cvt_f64_f32_e32 v[56:57], v55
	v_frexp_exp_i32_f64_e32 v19, v[56:57]
	v_cmp_gt_f32_e32 vcc, s63, v17
	v_subbrev_co_u32_e32 v17, vcc, 0, v19, vcc
	v_sub_u32_e32 v19, 0, v17
	v_ldexp_f32 v24, v55, v19
	v_ldexp_f32 v9, v9, v19
	v_add_f32_e32 v19, -1.0, v24
	v_add_f32_e32 v53, 1.0, v24
	v_add_f32_e32 v51, 1.0, v19
	v_add_f32_e32 v54, -1.0, v53
	v_sub_f32_e32 v51, v24, v51
	v_sub_f32_e32 v24, v24, v54
	v_add_f32_e32 v51, v9, v51
	v_add_f32_e32 v9, v9, v24
	;; [unrolled: 1-line block ×3, first 2 shown]
	v_sub_f32_e32 v53, v24, v53
	v_sub_f32_e32 v9, v9, v53
	v_rcp_f32_e32 v53, v24
	v_add_f32_e32 v55, v19, v51
	v_sub_f32_e32 v19, v55, v19
	v_sub_f32_e32 v19, v51, v19
	v_mul_f32_e32 v51, v55, v53
	v_mul_f32_e32 v56, v24, v51
	v_fma_f32 v58, v51, v24, -v56
	v_fmac_f32_e32 v58, v51, v9
	v_add_f32_e32 v54, v56, v58
	v_sub_f32_e32 v57, v55, v54
	v_pk_add_f32 v[60:61], v[54:55], v[56:57] neg_lo:[0,1] neg_hi:[0,1]
	v_mov_b32_e32 v59, v54
	v_pk_add_f32 v[54:55], v[60:61], v[58:59] neg_lo:[0,1] neg_hi:[0,1]
	v_add_f32_e32 v19, v19, v55
	v_add_f32_e32 v19, v54, v19
	;; [unrolled: 1-line block ×3, first 2 shown]
	v_mul_f32_e32 v62, v53, v55
	v_mul_f32_e32 v56, v24, v62
	v_fma_f32 v58, v62, v24, -v56
	v_fmac_f32_e32 v58, v62, v9
	v_add_f32_e32 v54, v56, v58
	v_sub_f32_e32 v9, v57, v55
	v_sub_f32_e32 v57, v55, v54
	v_pk_add_f32 v[60:61], v[54:55], v[56:57] neg_lo:[0,1] neg_hi:[0,1]
	v_mov_b32_e32 v59, v54
	v_add_f32_e32 v9, v19, v9
	v_pk_add_f32 v[54:55], v[60:61], v[58:59] neg_lo:[0,1] neg_hi:[0,1]
	v_add_f32_e32 v9, v9, v55
	v_add_f32_e32 v9, v54, v9
	v_add_f32_e32 v24, v51, v62
	v_add_f32_e32 v9, v57, v9
	v_sub_f32_e32 v19, v24, v51
	v_mul_f32_e32 v9, v53, v9
	v_sub_f32_e32 v19, v62, v19
	v_add_f32_e32 v9, v19, v9
	v_add_f32_e32 v51, v24, v9
	v_cvt_f32_i32_e32 v54, v17
	v_mul_f32_e32 v53, v51, v51
	v_mov_b32_e32 v19, 0x3ecc95a3
	v_fmac_f32_e32 v19, 0x3e9b6dac, v53
	v_fma_f32 v19, v53, v19, v30
	v_mul_f32_e32 v55, v51, v53
	v_pk_mul_f32 v[58:59], v[54:55], v[18:19]
	v_fma_f32 v56, v54, s64, -v58
	v_ldexp_f32 v57, v51, 1
	v_fmac_f32_e32 v56, 0xb102e308, v54
	v_sub_f32_e32 v17, v51, v24
	v_pk_add_f32 v[54:55], v[58:59], v[56:57]
	v_sub_f32_e32 v9, v9, v17
	v_sub_f32_e32 v17, v55, v57
	v_ldexp_f32 v9, v9, 1
	v_sub_f32_e32 v17, v59, v17
	v_add_f32_e32 v61, v9, v17
	v_mov_b32_e32 v60, v58
	v_pk_add_f32 v[58:59], v[54:55], v[58:59] neg_lo:[0,1] neg_hi:[0,1]
	v_pk_add_f32 v[62:63], v[54:55], v[60:61]
	v_mov_b32_e32 v59, v63
	v_mov_b32_e32 v57, v54
	v_pk_add_f32 v[64:65], v[56:57], v[58:59] neg_lo:[0,1] neg_hi:[0,1]
	v_pk_add_f32 v[56:57], v[56:57], v[58:59]
	v_mov_b32_e32 v24, v57
	v_pk_add_f32 v[58:59], v[24:25], v[54:55] neg_lo:[0,1] neg_hi:[0,1]
	v_mov_b32_e32 v9, v58
	v_pk_add_f32 v[66:67], v[62:63], v[8:9] neg_lo:[0,1] neg_hi:[0,1]
	v_mov_b32_e32 v56, v63
	v_mov_b32_e32 v62, v55
	;; [unrolled: 1-line block ×4, first 2 shown]
	v_pk_add_f32 v[56:57], v[56:57], v[62:63] neg_lo:[0,1] neg_hi:[0,1]
	v_mov_b32_e32 v58, v61
	v_mov_b32_e32 v59, v54
	v_pk_add_f32 v[54:55], v[58:59], v[56:57] neg_lo:[0,1] neg_hi:[0,1]
	v_mov_b32_e32 v66, v64
	v_pk_add_f32 v[56:57], v[66:67], v[54:55]
	v_mov_b32_e32 v58, v57
	v_pk_add_f32 v[58:59], v[56:57], v[58:59]
	v_pk_add_f32 v[60:61], v[24:25], v[58:59]
	v_mov_b32_e32 v57, v60
	v_pk_add_f32 v[62:63], v[56:57], v[64:65] neg_lo:[0,1] neg_hi:[0,1]
	v_mov_b32_e32 v55, v58
	v_sub_f32_e32 v9, v56, v62
	v_pk_add_f32 v[54:55], v[54:55], v[62:63] neg_lo:[0,1] neg_hi:[0,1]
	v_sub_f32_e32 v9, v64, v9
	v_add_f32_e32 v9, v54, v9
	v_add_f32_e32 v9, v9, v55
	;; [unrolled: 1-line block ×3, first 2 shown]
	v_cmp_eq_f32_e32 vcc, s56, v52
	v_cndmask_b32_e32 v9, v9, v52, vcc
	v_cmp_ngt_f32_e32 vcc, -1.0, v52
	v_cndmask_b32_e32 v9, v44, v9, vcc
	v_cmp_neq_f32_e32 vcc, -1.0, v52
	v_cndmask_b32_e32 v9, v45, v9, vcc
	v_cmp_lt_f32_e64 vcc, |v52|, s65
	v_cndmask_b32_e32 v17, v9, v52, vcc
.LBB50_537:                             ;   in Loop: Header=BB50_418 Depth=1
	s_andn2_saveexec_b64 s[48:49], s[48:49]
	s_cbranch_execz .LBB50_539
; %bb.538:                              ;   in Loop: Header=BB50_418 Depth=1
	v_sub_f32_e64 v9, 1.0, |v12|
	v_mul_f32_e32 v9, v9, v10
	v_mul_f32_e32 v17, 0x4f800000, v9
	v_cmp_gt_f32_e32 vcc, s58, v9
	v_cndmask_b32_e32 v9, v9, v17, vcc
	v_sqrt_f32_e32 v17, v9
	v_add_u32_e32 v19, -1, v17
	v_fma_f32 v51, -v19, v17, v9
	v_add_u32_e32 v24, 1, v17
	v_cmp_ge_f32_e64 s[10:11], 0, v51
	v_cndmask_b32_e64 v19, v17, v19, s[10:11]
	v_fma_f32 v17, -v24, v17, v9
	v_cmp_lt_f32_e64 s[10:11], 0, v17
	v_cndmask_b32_e64 v17, v19, v24, s[10:11]
	v_mul_f32_e32 v19, 0x37800000, v17
	v_cndmask_b32_e32 v17, v17, v19, vcc
	v_cmp_class_f32_e32 vcc, v9, v29
	v_cndmask_b32_e32 v9, v17, v9, vcc
	v_and_b32_e32 v17, 0x7fffffff, v13
	v_div_scale_f32 v19, s[10:11], v9, v9, v17
	v_rcp_f32_e32 v24, v19
	v_div_scale_f32 v17, vcc, v17, v9, v17
	v_fma_f32 v51, -v19, v24, 1.0
	v_fmac_f32_e32 v24, v51, v24
	v_mul_f32_e32 v51, v17, v24
	v_fma_f32 v52, -v19, v51, v17
	v_fmac_f32_e32 v51, v52, v24
	v_fma_f32 v17, -v19, v51, v17
	v_div_fmas_f32 v17, v17, v24, v51
	v_div_fixup_f32 v17, v17, v9, |v13|
.LBB50_539:                             ;   in Loop: Header=BB50_418 Depth=1
	s_or_b64 exec, exec, s[48:49]
.LBB50_540:                             ;   in Loop: Header=BB50_418 Depth=1
	s_or_b64 exec, exec, s[46:47]
.LBB50_541:                             ;   in Loop: Header=BB50_418 Depth=1
	s_andn2_saveexec_b64 s[44:45], s[44:45]
	s_cbranch_execz .LBB50_543
; %bb.542:                              ;   in Loop: Header=BB50_418 Depth=1
	v_mul_f32_e64 v9, |v13|, s59
	v_cmp_lt_f32_e64 vcc, |v13|, s58
	v_cndmask_b32_e64 v9, |v13|, v9, vcc
	v_sqrt_f32_e32 v17, v9
	v_add_u32_e32 v19, -1, v17
	v_fma_f32 v51, -v19, v17, v9
	v_add_u32_e32 v24, 1, v17
	v_cmp_ge_f32_e64 s[10:11], 0, v51
	v_cndmask_b32_e64 v19, v17, v19, s[10:11]
	v_fma_f32 v17, -v24, v17, v9
	v_cmp_lt_f32_e64 s[10:11], 0, v17
	v_cndmask_b32_e64 v17, v19, v24, s[10:11]
	v_mul_f32_e32 v19, 0x37800000, v17
	v_cndmask_b32_e32 v17, v17, v19, vcc
	v_cmp_class_f32_e32 vcc, v9, v29
	v_cndmask_b32_e32 v17, v17, v9, vcc
.LBB50_543:                             ;   in Loop: Header=BB50_418 Depth=1
	s_or_b64 exec, exec, s[44:45]
.LBB50_544:                             ;   in Loop: Header=BB50_418 Depth=1
	s_or_b64 exec, exec, s[42:43]
	v_cmp_nlt_f32_e64 s[42:43], |v12|, s66
                                        ; implicit-def: $sgpr10_sgpr11
                                        ; implicit-def: $vgpr24
                                        ; implicit-def: $vgpr19
	s_and_saveexec_b64 s[44:45], s[42:43]
	s_xor_b64 s[42:43], exec, s[44:45]
	s_cbranch_execz .LBB50_568
; %bb.545:                              ;   in Loop: Header=BB50_418 Depth=1
	v_div_scale_f32 v9, s[10:11], v8, v8, v22
	v_rcp_f32_e32 v19, v9
	v_div_scale_f32 v24, vcc, v22, v8, v22
	s_mov_b64 s[10:11], 0
	v_fma_f32 v51, -v9, v19, 1.0
	v_fmac_f32_e32 v19, v51, v19
	v_mul_f32_e32 v51, v24, v19
	v_fma_f32 v52, -v9, v51, v24
	v_fmac_f32_e32 v51, v52, v19
	v_fma_f32 v9, -v9, v51, v24
	v_div_fmas_f32 v9, v9, v19, v51
	v_div_fixup_f32 v19, v9, v8, |v12|
	v_cmp_lt_f32_e32 vcc, s67, v19
                                        ; implicit-def: $vgpr24
	s_and_saveexec_b64 s[44:45], vcc
	s_cbranch_execz .LBB50_567
; %bb.546:                              ;   in Loop: Header=BB50_418 Depth=1
	v_cmp_neq_f32_e64 s[10:11], |v12|, 1.0
	v_cmp_nlt_f32_e64 s[46:47], |v13|, s68
	s_or_b64 s[10:11], s[10:11], s[46:47]
                                        ; implicit-def: $sgpr48_sgpr49
                                        ; implicit-def: $vgpr24
	s_and_saveexec_b64 s[46:47], s[10:11]
	s_xor_b64 s[46:47], exec, s[46:47]
	s_cbranch_execz .LBB50_564
; %bb.547:                              ;   in Loop: Header=BB50_418 Depth=1
	v_mul_f32_e32 v9, 0x34000000, v50
	v_cmp_le_f32_e64 s[10:11], v9, |v13|
                                        ; implicit-def: $vgpr24
                                        ; implicit-def: $sgpr48_sgpr49
	s_and_saveexec_b64 s[50:51], s[10:11]
	s_xor_b64 s[50:51], exec, s[50:51]
	s_cbranch_execz .LBB50_557
; %bb.548:                              ;   in Loop: Header=BB50_418 Depth=1
	v_cmp_neq_f32_e32 vcc, 0, v10
	v_mov_b32_e32 v9, v25
	s_and_saveexec_b64 s[10:11], vcc
	s_cbranch_execz .LBB50_550
; %bb.549:                              ;   in Loop: Header=BB50_418 Depth=1
	v_mul_f32_e32 v9, v13, v13
	v_add_f32_e32 v10, v10, v49
	v_div_scale_f32 v12, s[48:49], v10, v10, v9
	v_rcp_f32_e32 v24, v12
	v_fma_f32 v49, -v12, v24, 1.0
	v_fmac_f32_e32 v24, v49, v24
	v_div_scale_f32 v49, vcc, v9, v10, v9
	v_mul_f32_e32 v50, v49, v24
	v_fma_f32 v51, -v12, v50, v49
	v_fmac_f32_e32 v50, v51, v24
	v_fma_f32 v12, -v12, v50, v49
	v_div_fmas_f32 v12, v12, v24, v50
	v_div_fixup_f32 v9, v12, v10, v9
.LBB50_550:                             ;   in Loop: Header=BB50_418 Depth=1
	s_or_b64 exec, exec, s[10:11]
	v_cmp_ngt_f32_e32 vcc, 0, v11
	s_and_saveexec_b64 s[10:11], vcc
	s_xor_b64 s[10:11], exec, s[10:11]
	s_cbranch_execz .LBB50_554
; %bb.551:                              ;   in Loop: Header=BB50_418 Depth=1
	v_cmp_neq_f32_e32 vcc, 0, v11
	s_and_saveexec_b64 s[48:49], vcc
	s_cbranch_execz .LBB50_553
; %bb.552:                              ;   in Loop: Header=BB50_418 Depth=1
	v_mul_f32_e32 v10, v13, v13
	v_add_f32_e32 v11, v11, v23
	v_div_scale_f32 v12, s[52:53], v11, v11, v10
	v_rcp_f32_e32 v13, v12
	v_fma_f32 v23, -v12, v13, 1.0
	v_fmac_f32_e32 v13, v23, v13
	v_div_scale_f32 v23, vcc, v10, v11, v10
	v_mul_f32_e32 v24, v23, v13
	v_fma_f32 v25, -v12, v24, v23
	v_fmac_f32_e32 v24, v25, v13
	v_fma_f32 v12, -v12, v24, v23
	v_div_fmas_f32 v12, v12, v13, v24
	v_div_fixup_f32 v25, v12, v11, v10
.LBB50_553:                             ;   in Loop: Header=BB50_418 Depth=1
	s_or_b64 exec, exec, s[48:49]
                                        ; implicit-def: $vgpr23
                                        ; implicit-def: $vgpr10_vgpr11
.LBB50_554:                             ;   in Loop: Header=BB50_418 Depth=1
	s_andn2_saveexec_b64 s[10:11], s[10:11]
; %bb.555:                              ;   in Loop: Header=BB50_418 Depth=1
	v_sub_f32_e32 v25, v23, v11
; %bb.556:                              ;   in Loop: Header=BB50_418 Depth=1
	s_or_b64 exec, exec, s[10:11]
	v_mul_f32_e32 v23, 0.5, v9
	v_mul_f32_e32 v9, 0.5, v25
	v_pk_add_f32 v[8:9], v[22:23], v[8:9]
	v_mul_f32_e32 v8, v8, v9
	v_mul_f32_e32 v9, 0x4f800000, v8
	v_cmp_gt_f32_e32 vcc, s58, v8
	v_cndmask_b32_e32 v8, v8, v9, vcc
	v_sqrt_f32_e32 v9, v8
	s_mov_b64 s[48:49], -1
	v_add_u32_e32 v10, -1, v9
	v_fma_f32 v11, -v10, v9, v8
	v_cmp_ge_f32_e64 s[10:11], 0, v11
	v_add_u32_e32 v11, 1, v9
	v_cndmask_b32_e64 v10, v9, v10, s[10:11]
	v_fma_f32 v9, -v11, v9, v8
	v_cmp_lt_f32_e64 s[10:11], 0, v9
	v_cndmask_b32_e64 v9, v10, v11, s[10:11]
	v_mul_f32_e32 v10, 0x37800000, v9
	v_cndmask_b32_e32 v9, v9, v10, vcc
	v_cmp_class_f32_e32 vcc, v8, v29
	v_cndmask_b32_e32 v24, v9, v8, vcc
                                        ; implicit-def: $vgpr10_vgpr11_vgpr12_vgpr13
                                        ; implicit-def: $vgpr10_vgpr11
.LBB50_557:                             ;   in Loop: Header=BB50_418 Depth=1
	s_andn2_saveexec_b64 s[50:51], s[50:51]
	s_cbranch_execz .LBB50_563
; %bb.558:                              ;   in Loop: Header=BB50_418 Depth=1
	v_cmp_ngt_f32_e64 s[10:11], |v12|, 1.0
                                        ; implicit-def: $vgpr24
                                        ; implicit-def: $sgpr52_sgpr53
	s_and_saveexec_b64 s[54:55], s[10:11]
	s_xor_b64 s[54:55], exec, s[54:55]
	s_cbranch_execz .LBB50_560
; %bb.559:                              ;   in Loop: Header=BB50_418 Depth=1
	v_sub_f32_e64 v8, 1.0, |v12|
	v_mul_f32_e32 v8, v8, v10
	v_mul_f32_e32 v9, 0x4f800000, v8
	v_cmp_gt_f32_e32 vcc, s58, v8
	v_cndmask_b32_e32 v8, v8, v9, vcc
	v_sqrt_f32_e32 v9, v8
	s_mov_b64 s[52:53], -1
	v_add_u32_e32 v10, -1, v9
	v_fma_f32 v12, -v10, v9, v8
	v_add_u32_e32 v11, 1, v9
	v_cmp_ge_f32_e64 s[10:11], 0, v12
	v_cndmask_b32_e64 v10, v9, v10, s[10:11]
	v_fma_f32 v9, -v11, v9, v8
	v_cmp_lt_f32_e64 s[10:11], 0, v9
	v_cndmask_b32_e64 v9, v10, v11, s[10:11]
	v_mul_f32_e32 v10, 0x37800000, v9
	v_cndmask_b32_e32 v9, v9, v10, vcc
	v_cmp_class_f32_e32 vcc, v8, v29
	v_cndmask_b32_e32 v24, v9, v8, vcc
                                        ; implicit-def: $vgpr10_vgpr11_vgpr12_vgpr13
                                        ; implicit-def: $vgpr10_vgpr11
.LBB50_560:                             ;   in Loop: Header=BB50_418 Depth=1
	s_andn2_saveexec_b64 s[54:55], s[54:55]
	s_cbranch_execz .LBB50_562
; %bb.561:                              ;   in Loop: Header=BB50_418 Depth=1
	v_mul_f32_e32 v8, v10, v11
	v_mul_f32_e32 v9, 0x4f800000, v8
	v_cmp_gt_f32_e32 vcc, s58, v8
	v_cndmask_b32_e32 v8, v8, v9, vcc
	v_sqrt_f32_e32 v9, v8
	v_mul_f32_e64 v10, |v13|, s69
	v_mul_f32_e64 v10, |v12|, v10
	s_or_b64 s[52:53], s[52:53], exec
	v_add_u32_e32 v11, -1, v9
	v_fma_f32 v13, -v11, v9, v8
	v_cmp_ge_f32_e64 s[10:11], 0, v13
	v_add_u32_e32 v13, 1, v9
	v_cndmask_b32_e64 v11, v9, v11, s[10:11]
	v_fma_f32 v9, -v13, v9, v8
	v_cmp_lt_f32_e64 s[10:11], 0, v9
	v_cndmask_b32_e64 v9, v11, v13, s[10:11]
	v_mul_f32_e32 v11, 0x37800000, v9
	v_cndmask_b32_e32 v9, v9, v11, vcc
	v_cmp_class_f32_e32 vcc, v8, v29
	v_cndmask_b32_e32 v8, v9, v8, vcc
	v_div_scale_f32 v9, s[10:11], v8, v8, v10
	v_rcp_f32_e32 v11, v9
	v_fma_f32 v13, -v9, v11, 1.0
	v_fmac_f32_e32 v11, v13, v11
	v_div_scale_f32 v13, vcc, v10, v8, v10
	v_mul_f32_e32 v22, v13, v11
	v_fma_f32 v23, -v9, v22, v13
	v_fmac_f32_e32 v22, v23, v11
	v_fma_f32 v9, -v9, v22, v13
	v_div_fmas_f32 v9, v9, v11, v22
	v_div_fixup_f32 v24, v9, v8, v10
	v_mul_f32_e64 v22, |v12|, s69
.LBB50_562:                             ;   in Loop: Header=BB50_418 Depth=1
	s_or_b64 exec, exec, s[54:55]
	s_andn2_b64 s[10:11], s[48:49], exec
	s_and_b64 s[48:49], s[52:53], exec
	s_or_b64 s[48:49], s[10:11], s[48:49]
.LBB50_563:                             ;   in Loop: Header=BB50_418 Depth=1
	s_or_b64 exec, exec, s[50:51]
	s_and_b64 s[48:49], s[48:49], exec
                                        ; implicit-def: $vgpr10_vgpr11_vgpr12_vgpr13
                                        ; implicit-def: $vgpr8
.LBB50_564:                             ;   in Loop: Header=BB50_418 Depth=1
	s_andn2_saveexec_b64 s[46:47], s[46:47]
	s_cbranch_execz .LBB50_566
; %bb.565:                              ;   in Loop: Header=BB50_418 Depth=1
	v_mul_f32_e64 v9, |v13|, s59
	v_cmp_lt_f32_e64 vcc, |v13|, s58
	v_cndmask_b32_e64 v9, |v13|, v9, vcc
	v_sqrt_f32_e32 v10, v9
	v_add_f32_e32 v8, 1.0, v8
	v_mul_f32_e32 v8, 0.5, v8
	v_mov_b32_e32 v22, 1.0
	v_add_u32_e32 v11, -1, v10
	v_fma_f32 v13, -v11, v10, v9
	v_add_u32_e32 v12, 1, v10
	v_cmp_ge_f32_e64 s[10:11], 0, v13
	v_cndmask_b32_e64 v11, v10, v11, s[10:11]
	v_fma_f32 v10, -v12, v10, v9
	v_cmp_lt_f32_e64 s[10:11], 0, v10
	v_cndmask_b32_e64 v10, v11, v12, s[10:11]
	v_mul_f32_e32 v12, 0x4f800000, v8
	v_cmp_gt_f32_e64 s[10:11], s58, v8
	v_cndmask_b32_e64 v8, v8, v12, s[10:11]
	v_sqrt_f32_e32 v12, v8
	v_mul_f32_e32 v11, 0x37800000, v10
	v_cndmask_b32_e32 v10, v10, v11, vcc
	v_cmp_class_f32_e32 vcc, v9, v29
	v_cndmask_b32_e32 v9, v10, v9, vcc
	v_add_u32_e32 v10, -1, v12
	v_fma_f32 v11, -v10, v12, v8
	v_cmp_ge_f32_e32 vcc, 0, v11
	v_add_u32_e32 v11, 1, v12
	v_cndmask_b32_e32 v10, v12, v10, vcc
	v_fma_f32 v12, -v11, v12, v8
	v_cmp_lt_f32_e32 vcc, 0, v12
	v_cndmask_b32_e32 v10, v10, v11, vcc
	v_mul_f32_e32 v11, 0x37800000, v10
	v_cndmask_b32_e64 v10, v10, v11, s[10:11]
	v_cmp_class_f32_e32 vcc, v8, v29
	v_cndmask_b32_e32 v8, v10, v8, vcc
	v_mul_f32_e32 v24, v9, v8
	s_or_b64 s[48:49], s[48:49], exec
.LBB50_566:                             ;   in Loop: Header=BB50_418 Depth=1
	s_or_b64 exec, exec, s[46:47]
	s_and_b64 s[10:11], s[48:49], exec
.LBB50_567:                             ;   in Loop: Header=BB50_418 Depth=1
	s_or_b64 exec, exec, s[44:45]
	s_and_b64 s[10:11], s[10:11], exec
                                        ; implicit-def: $vgpr8
.LBB50_568:                             ;   in Loop: Header=BB50_418 Depth=1
	s_andn2_saveexec_b64 s[42:43], s[42:43]
; %bb.569:                              ;   in Loop: Header=BB50_418 Depth=1
	v_mov_b32_e32 v9, v22
	v_pk_mul_f32 v[24:25], v[8:9], s[28:29] op_sel_hi:[1,0]
	s_or_b64 s[10:11], s[10:11], exec
	v_mov_b32_e32 v22, v25
                                        ; implicit-def: $vgpr19
; %bb.570:                              ;   in Loop: Header=BB50_418 Depth=1
	s_or_b64 exec, exec, s[42:43]
	s_xor_b64 s[10:11], s[10:11], -1
	s_and_saveexec_b64 s[42:43], s[10:11]
	s_xor_b64 s[42:43], exec, s[42:43]
	s_cbranch_execz .LBB50_576
; %bb.571:                              ;   in Loop: Header=BB50_418 Depth=1
	s_and_saveexec_b64 s[10:11], s[8:9]
	s_xor_b64 s[10:11], exec, s[10:11]
	s_cbranch_execz .LBB50_573
; %bb.572:                              ;   in Loop: Header=BB50_418 Depth=1
	v_fma_f32 v8, |v19|, -0.5, 0.5
	v_mul_f32_e32 v9, v19, v19
	v_cmp_gt_f32_e64 vcc, |v19|, 0.5
	v_cndmask_b32_e32 v8, v9, v8, vcc
	v_mov_b32_e32 v9, 0x3c5fc5da
	v_fmac_f32_e32 v9, 0x3d1c21a7, v8
	v_fma_f32 v9, v8, v9, v31
	v_fma_f32 v9, v8, v9, v32
	v_sqrt_f32_e32 v10, v8
	v_fma_f32 v9, v8, v9, v33
	v_fma_f32 v9, v8, v9, v34
	v_mul_f32_e32 v8, v8, v9
	v_fmac_f32_e32 v10, v10, v8
	v_fmac_f32_e32 v19, v19, v8
	v_add_f32_e32 v9, v10, v10
	v_sub_f32_e32 v8, 0x3fc90fdb, v19
	v_cndmask_b32_e32 v8, v8, v9, vcc
                                        ; implicit-def: $vgpr19
.LBB50_573:                             ;   in Loop: Header=BB50_418 Depth=1
	s_andn2_saveexec_b64 s[44:45], s[10:11]
	s_cbranch_execz .LBB50_575
; %bb.574:                              ;   in Loop: Header=BB50_418 Depth=1
	v_fma_f32 v8, |v19|, -0.5, 0.5
	v_mul_f32_e32 v9, v19, v19
	v_cmp_gt_f32_e64 vcc, |v19|, 0.5
	v_cndmask_b32_e32 v8, v9, v8, vcc
	v_mov_b32_e32 v9, 0x3c5fc5da
	v_fmac_f32_e32 v9, 0x3d1c21a7, v8
	v_fma_f32 v9, v8, v9, v31
	v_fma_f32 v9, v8, v9, v32
	v_sqrt_f32_e32 v10, v8
	v_fma_f32 v9, v8, v9, v33
	v_fma_f32 v9, v8, v9, v34
	v_mul_f32_e32 v8, v8, v9
	v_fmac_f32_e32 v10, v10, v8
	v_add_f32_e32 v9, v10, v10
	v_sub_f32_e32 v10, 0x40490fdb, v9
	v_cmp_lt_f32_e64 s[10:11], 0, v19
	v_fma_f32 v8, -v19, v8, -v19
	v_cndmask_b32_e64 v9, v9, v10, s[10:11]
	v_sub_f32_e32 v8, 0x3fc90fdb, v8
	v_cndmask_b32_e32 v8, v8, v9, vcc
.LBB50_575:                             ;   in Loop: Header=BB50_418 Depth=1
	s_or_b64 exec, exec, s[44:45]
                                        ; implicit-def: $vgpr24
                                        ; implicit-def: $vgpr22
.LBB50_576:                             ;   in Loop: Header=BB50_418 Depth=1
	s_andn2_saveexec_b64 s[10:11], s[42:43]
	s_cbranch_execz .LBB50_582
; %bb.577:                              ;   in Loop: Header=BB50_418 Depth=1
	s_and_saveexec_b64 s[42:43], s[8:9]
	s_xor_b64 s[8:9], exec, s[42:43]
	s_cbranch_execz .LBB50_579
; %bb.578:                              ;   in Loop: Header=BB50_418 Depth=1
	v_max_f32_e64 v8, |v24|, |v24|
	v_max_f32_e32 v9, v22, v22
	v_min_f32_e32 v10, v9, v8
	v_max_f32_e32 v8, v9, v8
	v_frexp_mant_f32_e32 v9, v8
	v_rcp_f32_e32 v9, v9
	v_frexp_exp_i32_f32_e32 v8, v8
	v_frexp_exp_i32_f32_e32 v11, v10
	v_frexp_mant_f32_e32 v10, v10
	v_mul_f32_e32 v9, v10, v9
	v_sub_u32_e32 v8, v11, v8
	v_ldexp_f32 v8, v9, v8
	v_mul_f32_e32 v9, v8, v8
	v_mov_b32_e32 v10, 0xbc7a590c
	v_fmac_f32_e32 v10, 0x3b2d2a58, v9
	v_fma_f32 v10, v9, v10, v35
	v_fma_f32 v10, v9, v10, v36
	;; [unrolled: 1-line block ×6, first 2 shown]
	v_mul_f32_e32 v9, v9, v10
	v_fmac_f32_e32 v8, v8, v9
	v_sub_f32_e32 v9, 0x3fc90fdb, v8
	v_cmp_gt_f32_e64 vcc, |v24|, v22
	v_cndmask_b32_e32 v8, v8, v9, vcc
	v_cmp_neq_f32_e32 vcc, 0, v24
	v_cndmask_b32_e32 v8, 0, v8, vcc
	v_cmp_eq_f32_e32 vcc, s56, v22
	v_cmp_class_f32_e64 s[42:43], v24, s70
	s_and_b64 vcc, vcc, s[42:43]
	v_cndmask_b32_e32 v8, v8, v46, vcc
	v_cmp_o_f32_e32 vcc, v22, v24
	v_cndmask_b32_e32 v8, v44, v8, vcc
	v_bfi_b32 v8, s33, v8, v24
                                        ; implicit-def: $vgpr24
                                        ; implicit-def: $vgpr22
.LBB50_579:                             ;   in Loop: Header=BB50_418 Depth=1
	s_andn2_saveexec_b64 s[42:43], s[8:9]
	s_cbranch_execz .LBB50_581
; %bb.580:                              ;   in Loop: Header=BB50_418 Depth=1
	v_max_f32_e64 v8, |v24|, |v24|
	v_max_f32_e32 v9, v22, v22
	v_min_f32_e32 v10, v9, v8
	v_max_f32_e32 v8, v9, v8
	v_frexp_mant_f32_e32 v9, v8
	v_rcp_f32_e32 v9, v9
	v_frexp_exp_i32_f32_e32 v8, v8
	v_frexp_exp_i32_f32_e32 v11, v10
	v_frexp_mant_f32_e32 v10, v10
	v_mul_f32_e32 v9, v10, v9
	v_sub_u32_e32 v8, v11, v8
	v_ldexp_f32 v8, v9, v8
	v_mul_f32_e32 v9, v8, v8
	v_mov_b32_e32 v10, 0xbc7a590c
	v_fmac_f32_e32 v10, 0x3b2d2a58, v9
	v_fma_f32 v10, v9, v10, v35
	v_fma_f32 v10, v9, v10, v36
	v_fma_f32 v10, v9, v10, v37
	v_fma_f32 v10, v9, v10, v38
	v_fma_f32 v10, v9, v10, v39
	v_fma_f32 v10, v9, v10, v40
	v_mul_f32_e32 v9, v9, v10
	v_fmac_f32_e32 v8, v8, v9
	v_sub_f32_e32 v9, 0x3fc90fdb, v8
	v_cmp_gt_f32_e64 vcc, |v24|, v22
	v_cndmask_b32_e32 v8, v8, v9, vcc
	v_sub_f32_e32 v9, 0x40490fdb, v8
	v_cmp_lt_f32_e32 vcc, 0, v22
	v_cndmask_b32_e32 v8, v8, v9, vcc
	v_cmp_neq_f32_e64 s[8:9], 0, v24
	v_cndmask_b32_e64 v8, v47, v8, s[8:9]
	v_cndmask_b32_e32 v9, v46, v48, vcc
	v_cmp_eq_f32_e32 vcc, s56, v22
	v_cmp_class_f32_e64 s[8:9], v24, s70
	s_and_b64 vcc, vcc, s[8:9]
	v_cndmask_b32_e32 v8, v8, v9, vcc
	v_cmp_o_f32_e64 vcc, v24, -v22
	v_cndmask_b32_e32 v8, v44, v8, vcc
	v_bfi_b32 v8, s33, v8, v24
.LBB50_581:                             ;   in Loop: Header=BB50_418 Depth=1
	s_or_b64 exec, exec, s[42:43]
.LBB50_582:                             ;   in Loop: Header=BB50_418 Depth=1
	s_or_b64 exec, exec, s[10:11]
	v_cndmask_b32_e64 v9, -v17, v17, s[4:5]
                                        ; implicit-def: $vgpr10_vgpr11_vgpr12_vgpr13
.LBB50_583:                             ;   in Loop: Header=BB50_418 Depth=1
	s_andn2_saveexec_b64 s[8:9], s[40:41]
	s_cbranch_execz .LBB50_585
; %bb.584:                              ;   in Loop: Header=BB50_418 Depth=1
	s_waitcnt lgkmcnt(0)
	v_pk_mov_b32 v[8:9], s[14:15], s[14:15] op_sel:[0,1]
	flat_load_dword v8, v[8:9] glc
	s_waitcnt vmcnt(0)
	v_xor_b32_e32 v9, 0x80000000, v13
	s_waitcnt lgkmcnt(0)
	v_sub_f32_e32 v8, v8, v12
	v_add_f32_e32 v8, 0x3fc90fdb, v8
.LBB50_585:                             ;   in Loop: Header=BB50_418 Depth=1
	s_or_b64 exec, exec, s[8:9]
                                        ; implicit-def: $vgpr10_vgpr11_vgpr12_vgpr13
.LBB50_586:                             ;   in Loop: Header=BB50_418 Depth=1
	s_andn2_saveexec_b64 s[8:9], s[38:39]
	s_cbranch_execz .LBB50_588
; %bb.587:                              ;   in Loop: Header=BB50_418 Depth=1
	v_xor_b32_e32 v9, 0x80000000, v13
	s_waitcnt lgkmcnt(0)
	v_mov_b32_e32 v8, 0
.LBB50_588:                             ;   in Loop: Header=BB50_418 Depth=1
	s_or_b64 exec, exec, s[8:9]
                                        ; implicit-def: $vgpr10_vgpr11_vgpr12_vgpr13
                                        ; implicit-def: $vgpr17
                                        ; implicit-def: $vgpr11
                                        ; implicit-def: $vgpr10
.LBB50_589:                             ;   in Loop: Header=BB50_418 Depth=1
	s_andn2_saveexec_b64 s[36:37], s[36:37]
	s_cbranch_execz .LBB50_599
; %bb.590:                              ;   in Loop: Header=BB50_418 Depth=1
	v_cmp_lt_f32_e64 s[8:9], |v12|, |v13|
	v_cndmask_b32_e64 v19, |v12|, |v13|, s[8:9]
	v_cmp_nlt_f32_e32 vcc, s71, v19
                                        ; implicit-def: $vgpr9
                                        ; implicit-def: $vgpr8
	s_and_saveexec_b64 s[10:11], vcc
	s_xor_b64 s[38:39], exec, s[10:11]
	s_cbranch_execz .LBB50_596
; %bb.591:                              ;   in Loop: Header=BB50_418 Depth=1
	v_cndmask_b32_e64 v22, |v13|, |v12|, s[8:9]
	v_cmp_nlt_f32_e32 vcc, s72, v19
	v_cmp_ngt_f32_e64 s[10:11], s73, v22
	s_and_b64 s[10:11], vcc, s[10:11]
                                        ; implicit-def: $vgpr9
                                        ; implicit-def: $vgpr8
	s_and_saveexec_b64 s[40:41], s[10:11]
	s_xor_b64 s[10:11], exec, s[40:41]
	s_cbranch_execz .LBB50_593
; %bb.592:                              ;   in Loop: Header=BB50_418 Depth=1
	s_waitcnt lgkmcnt(0)
	v_mul_f32_e32 v8, v22, v22
	v_fmac_f32_e32 v8, v19, v19
	v_cmp_gt_f32_e32 vcc, s60, v8
	v_cndmask_b32_e32 v9, 1.0, v42, vcc
	v_mul_f32_e32 v8, v8, v9
	v_log_f32_e32 v8, v8
	v_cndmask_b32_e32 v9, 0, v43, vcc
	v_mul_f32_e32 v19, 0x3f317217, v8
	v_fma_f32 v22, v8, s61, -v19
	v_fmac_f32_e32 v22, 0x3377d1cf, v8
	v_add_f32_e32 v19, v19, v22
	v_cmp_lt_f32_e64 vcc, |v8|, s56
	v_cndmask_b32_e32 v8, v8, v19, vcc
	v_sub_f32_e32 v8, v8, v9
	v_mul_f32_e32 v9, 0.5, v8
	v_min_f32_e32 v8, v11, v17
	v_frexp_mant_f32_e32 v11, v10
	v_rcp_f32_e32 v11, v11
	v_frexp_exp_i32_f32_e32 v10, v10
	v_frexp_exp_i32_f32_e32 v17, v8
	v_frexp_mant_f32_e32 v8, v8
	v_mul_f32_e32 v8, v8, v11
	v_sub_u32_e32 v10, v17, v10
	v_ldexp_f32 v8, v8, v10
	v_mul_f32_e32 v10, v8, v8
	v_mov_b32_e32 v11, 0xbc7a590c
	v_fmac_f32_e32 v11, 0x3b2d2a58, v10
	v_fma_f32 v11, v10, v11, v35
	v_fma_f32 v11, v10, v11, v36
	;; [unrolled: 1-line block ×6, first 2 shown]
	v_mul_f32_e32 v10, v10, v11
	v_fmac_f32_e32 v8, v8, v10
                                        ; implicit-def: $vgpr10
                                        ; implicit-def: $vgpr11
                                        ; implicit-def: $vgpr17
.LBB50_593:                             ;   in Loop: Header=BB50_418 Depth=1
	s_andn2_saveexec_b64 s[10:11], s[10:11]
	s_cbranch_execz .LBB50_595
; %bb.594:                              ;   in Loop: Header=BB50_418 Depth=1
	s_waitcnt lgkmcnt(0)
	v_cvt_f64_f32_e32 v[8:9], v10
	v_frexp_exp_i32_f64_e32 v8, v[8:9]
	v_sub_u32_e32 v9, 0, v8
	v_ldexp_f32 v19, |v12|, v9
	v_ldexp_f32 v9, |v13|, v9
	v_mul_f32_e32 v9, v9, v9
	v_fmac_f32_e32 v9, v19, v19
	v_sqrt_f32_e32 v9, v9
	v_cmp_neq_f32_e32 vcc, s56, v10
	v_min_f32_e32 v11, v11, v17
	v_ldexp_f32 v8, v9, v8
	v_cndmask_b32_e32 v8, v41, v8, vcc
	v_cmp_gt_f32_e32 vcc, s60, v8
	v_cndmask_b32_e32 v9, 1.0, v42, vcc
	v_mul_f32_e32 v8, v8, v9
	v_log_f32_e32 v8, v8
	v_cndmask_b32_e32 v9, 0, v43, vcc
	v_mul_f32_e32 v17, 0x3f317217, v8
	v_fma_f32 v19, v8, s61, -v17
	v_fmac_f32_e32 v19, 0x3377d1cf, v8
	v_add_f32_e32 v17, v17, v19
	v_cmp_lt_f32_e64 vcc, |v8|, s56
	v_cndmask_b32_e32 v8, v8, v17, vcc
	v_sub_f32_e32 v9, v8, v9
	v_frexp_mant_f32_e32 v8, v10
	v_rcp_f32_e32 v8, v8
	v_frexp_exp_i32_f32_e32 v10, v10
	v_frexp_exp_i32_f32_e32 v17, v11
	v_frexp_mant_f32_e32 v11, v11
	v_mul_f32_e32 v8, v11, v8
	v_sub_u32_e32 v10, v17, v10
	v_ldexp_f32 v8, v8, v10
	v_mul_f32_e32 v10, v8, v8
	v_mov_b32_e32 v11, 0xbc7a590c
	v_fmac_f32_e32 v11, 0x3b2d2a58, v10
	v_fma_f32 v11, v10, v11, v35
	v_fma_f32 v11, v10, v11, v36
	;; [unrolled: 1-line block ×6, first 2 shown]
	v_mul_f32_e32 v10, v10, v11
	v_fmac_f32_e32 v8, v8, v10
.LBB50_595:                             ;   in Loop: Header=BB50_418 Depth=1
	s_or_b64 exec, exec, s[10:11]
                                        ; implicit-def: $vgpr11
                                        ; implicit-def: $vgpr17
                                        ; implicit-def: $vgpr10
.LBB50_596:                             ;   in Loop: Header=BB50_418 Depth=1
	s_andn2_saveexec_b64 s[38:39], s[38:39]
	s_cbranch_execz .LBB50_598
; %bb.597:                              ;   in Loop: Header=BB50_418 Depth=1
	s_waitcnt lgkmcnt(0)
	v_div_scale_f32 v8, s[10:11], s74, s74, v12
	v_rcp_f32_e32 v9, v8
	v_div_scale_f32 v19, vcc, v12, s74, v12
	v_fma_f32 v22, -v8, v9, 1.0
	v_fmac_f32_e32 v9, v22, v9
	v_mul_f32_e32 v22, v19, v9
	v_fma_f32 v23, -v8, v22, v19
	v_fmac_f32_e32 v22, v23, v9
	v_fma_f32 v8, -v8, v22, v19
	v_div_scale_f32 v19, s[10:11], s74, s74, v13
	v_rcp_f32_e32 v23, v19
	v_div_fmas_f32 v8, v8, v9, v22
	v_div_fixup_f32 v22, v8, s74, v12
	v_fma_f32 v8, -v19, v23, 1.0
	v_fmac_f32_e32 v23, v8, v23
	v_div_scale_f32 v8, vcc, v13, s74, v13
	v_mul_f32_e32 v9, v8, v23
	v_fma_f32 v24, -v19, v9, v8
	v_fmac_f32_e32 v9, v24, v23
	v_fma_f32 v8, -v19, v9, v8
	v_div_fmas_f32 v8, v8, v23, v9
	v_div_fixup_f32 v19, v8, s74, v13
	v_max_f32_e64 v23, |v22|, |v19|
	v_cvt_f64_f32_e32 v[8:9], v23
	v_frexp_exp_i32_f64_e32 v8, v[8:9]
	v_sub_u32_e32 v9, 0, v8
	v_ldexp_f32 v22, |v22|, v9
	v_ldexp_f32 v9, |v19|, v9
	v_mul_f32_e32 v9, v9, v9
	v_fmac_f32_e32 v9, v22, v22
	v_sqrt_f32_e32 v9, v9
	v_cmp_neq_f32_e32 vcc, s56, v23
	v_ldexp_f32 v8, v9, v8
	v_cndmask_b32_e32 v8, v41, v8, vcc
	v_cmp_gt_f32_e32 vcc, s60, v8
	v_cndmask_b32_e32 v9, 1.0, v42, vcc
	v_mul_f32_e32 v8, v8, v9
	v_log_f32_e32 v8, v8
	v_mul_f32_e32 v9, 0x3f317217, v8
	v_fma_f32 v19, v8, s61, -v9
	v_fmac_f32_e32 v19, 0x3377d1cf, v8
	v_add_f32_e32 v9, v9, v19
	v_cmp_lt_f32_e64 s[10:11], |v8|, s56
	v_cndmask_b32_e64 v8, v8, v9, s[10:11]
	v_cndmask_b32_e32 v9, 0, v43, vcc
	v_sub_f32_e32 v8, v8, v9
	v_add_f32_e32 v9, 1.0, v8
	v_min_f32_e32 v8, v11, v17
	v_frexp_mant_f32_e32 v11, v10
	v_rcp_f32_e32 v11, v11
	v_frexp_exp_i32_f32_e32 v10, v10
	v_frexp_exp_i32_f32_e32 v17, v8
	v_frexp_mant_f32_e32 v8, v8
	v_mul_f32_e32 v8, v8, v11
	v_sub_u32_e32 v10, v17, v10
	v_ldexp_f32 v8, v8, v10
	v_mul_f32_e32 v10, v8, v8
	v_mov_b32_e32 v11, 0xbc7a590c
	v_fmac_f32_e32 v11, 0x3b2d2a58, v10
	v_fma_f32 v11, v10, v11, v35
	v_fma_f32 v11, v10, v11, v36
	;; [unrolled: 1-line block ×6, first 2 shown]
	v_mul_f32_e32 v10, v10, v11
	v_fmac_f32_e32 v8, v8, v10
.LBB50_598:                             ;   in Loop: Header=BB50_418 Depth=1
	s_or_b64 exec, exec, s[38:39]
	s_waitcnt lgkmcnt(0)
	v_sub_f32_e32 v10, 0x3fc90fdb, v8
	v_cndmask_b32_e64 v8, v8, v10, s[8:9]
	v_sub_f32_e32 v10, 0x40490fdb, v8
	v_cmp_gt_f32_e32 vcc, 0, v12
	v_cndmask_b32_e32 v8, v8, v10, vcc
	v_cndmask_b32_e64 v10, 0, v47, s[6:7]
	v_cmp_eq_f32_e64 s[6:7], 0, v13
	v_cndmask_b32_e64 v8, v8, v10, s[6:7]
	v_cmp_class_f32_e64 s[6:7], v12, s70
	v_cmp_class_f32_e64 s[8:9], v13, s70
	v_cndmask_b32_e32 v10, v46, v48, vcc
	s_and_b64 vcc, s[6:7], s[8:9]
	v_cndmask_b32_e32 v8, v8, v10, vcc
	v_cmp_o_f32_e32 vcc, v12, v13
	v_add_f32_e32 v9, 0x3f317218, v9
	v_cndmask_b32_e64 v8, v44, |v8|, vcc
	v_cndmask_b32_e64 v9, -v9, v9, s[4:5]
.LBB50_599:                             ;   in Loop: Header=BB50_418 Depth=1
	s_or_b64 exec, exec, s[36:37]
                                        ; implicit-def: $vgpr10_vgpr11_vgpr12_vgpr13
.LBB50_600:                             ;   in Loop: Header=BB50_418 Depth=1
	s_andn2_saveexec_b64 s[4:5], s[34:35]
	s_cbranch_execz .LBB50_614
; %bb.601:                              ;   in Loop: Header=BB50_418 Depth=1
	v_cmp_neq_f32_e64 s[6:7], |v12|, s56
	s_and_saveexec_b64 s[8:9], s[6:7]
	s_xor_b64 s[6:7], exec, s[8:9]
	s_cbranch_execz .LBB50_611
; %bb.602:                              ;   in Loop: Header=BB50_418 Depth=1
	v_cmp_neq_f32_e64 s[8:9], |v13|, s56
	s_and_saveexec_b64 s[10:11], s[8:9]
	s_xor_b64 s[8:9], exec, s[10:11]
	s_cbranch_execz .LBB50_608
; %bb.603:                              ;   in Loop: Header=BB50_418 Depth=1
	v_cmp_neq_f32_e32 vcc, 0, v12
	s_and_saveexec_b64 s[10:11], vcc
	s_xor_b64 s[10:11], exec, s[10:11]
	s_cbranch_execz .LBB50_605
; %bb.604:                              ;   in Loop: Header=BB50_418 Depth=1
	s_waitcnt lgkmcnt(0)
	v_add_f32_e32 v8, 0, v13
	v_add_f32_e32 v9, v12, v8
                                        ; implicit-def: $vgpr10_vgpr11_vgpr12_vgpr13
.LBB50_605:                             ;   in Loop: Header=BB50_418 Depth=1
	s_or_saveexec_b64 s[10:11], s[10:11]
	s_waitcnt lgkmcnt(0)
	v_mov_b32_e32 v8, v9
	s_xor_b64 exec, exec, s[10:11]
	s_cbranch_execz .LBB50_607
; %bb.606:                              ;   in Loop: Header=BB50_418 Depth=1
	v_pk_mov_b32 v[8:9], s[14:15], s[14:15] op_sel:[0,1]
	flat_load_dword v8, v[8:9] glc
	s_waitcnt vmcnt(0)
	v_add_f32_e32 v9, v13, v13
	s_waitcnt lgkmcnt(0)
	v_add_f32_e32 v8, 0x3fc90fdb, v8
.LBB50_607:                             ;   in Loop: Header=BB50_418 Depth=1
	s_or_b64 exec, exec, s[10:11]
                                        ; implicit-def: $vgpr10_vgpr11_vgpr12_vgpr13
.LBB50_608:                             ;   in Loop: Header=BB50_418 Depth=1
	s_andn2_saveexec_b64 s[8:9], s[8:9]
	s_cbranch_execz .LBB50_610
; %bb.609:                              ;   in Loop: Header=BB50_418 Depth=1
	s_waitcnt lgkmcnt(0)
	v_add_f32_e32 v8, v12, v12
	v_xor_b32_e32 v9, 0x80000000, v13
.LBB50_610:                             ;   in Loop: Header=BB50_418 Depth=1
	s_or_b64 exec, exec, s[8:9]
                                        ; implicit-def: $vgpr10_vgpr11_vgpr12_vgpr13
.LBB50_611:                             ;   in Loop: Header=BB50_418 Depth=1
	s_andn2_saveexec_b64 s[6:7], s[6:7]
	s_cbranch_execz .LBB50_613
; %bb.612:                              ;   in Loop: Header=BB50_418 Depth=1
	s_waitcnt lgkmcnt(0)
	v_add_f32_e32 v8, v13, v13
	v_mov_b32_e32 v9, 0xff800000
.LBB50_613:                             ;   in Loop: Header=BB50_418 Depth=1
	s_or_b64 exec, exec, s[6:7]
.LBB50_614:                             ;   in Loop: Header=BB50_418 Depth=1
	s_or_b64 exec, exec, s[4:5]
	v_cmp_o_f32_e32 vcc, v2, v2
	v_cmp_o_f32_e64 s[4:5], v3, v3
	v_pk_mov_b32 v[10:11], s[14:15], s[14:15] op_sel:[0,1]
	s_and_b64 s[4:5], vcc, s[4:5]
	flat_store_dword v[10:11], v27
	s_waitcnt vmcnt(0)
                                        ; implicit-def: $vgpr11
	s_and_saveexec_b64 s[6:7], s[4:5]
	s_xor_b64 s[34:35], exec, s[6:7]
	s_cbranch_execz .LBB50_698
; %bb.615:                              ;   in Loop: Header=BB50_418 Depth=1
	v_max_f32_e64 v13, |v3|, |v3|
	v_max_f32_e64 v17, |v2|, |v2|
	v_max_f32_e32 v12, v17, v13
	v_cmp_gt_i32_e64 s[6:7], 0, v2
	v_cmp_lt_i32_e64 s[8:9], -1, v2
	v_cmp_gt_i32_e64 s[4:5], 0, v3
	v_cmp_nlt_f32_e32 vcc, s23, v12
                                        ; implicit-def: $vgpr11
	s_and_saveexec_b64 s[10:11], vcc
	s_xor_b64 s[36:37], exec, s[10:11]
	s_cbranch_execz .LBB50_687
; %bb.616:                              ;   in Loop: Header=BB50_418 Depth=1
	v_cmp_neq_f32_e32 vcc, 1.0, v2
	v_cmp_neq_f32_e64 s[10:11], 0, v3
	s_or_b64 s[10:11], vcc, s[10:11]
                                        ; implicit-def: $vgpr11
	s_and_saveexec_b64 s[38:39], s[10:11]
	s_xor_b64 s[38:39], exec, s[38:39]
	s_cbranch_execz .LBB50_684
; %bb.617:                              ;   in Loop: Header=BB50_418 Depth=1
	v_pk_mov_b32 v[10:11], s[16:17], s[16:17] op_sel:[0,1]
	flat_store_dword v[10:11], v28
	s_waitcnt vmcnt(0)
	flat_load_dword v10, v[10:11] glc
	s_waitcnt vmcnt(0)
	v_cmp_nlt_f32_e64 s[10:11], |v2|, s29
	v_cmp_nlt_f32_e64 s[40:41], |v3|, s29
	s_or_b64 s[10:11], s[10:11], s[40:41]
	s_waitcnt lgkmcnt(0)
	v_add_f32_e32 v12, 1.0, v10
	v_pk_mov_b32 v[10:11], s[18:19], s[18:19] op_sel:[0,1]
	flat_store_dword v[10:11], v12
	s_waitcnt vmcnt(0)
	flat_load_dword v10, v[10:11] glc
	s_waitcnt vmcnt(0)
                                        ; implicit-def: $vgpr11
	s_and_saveexec_b64 s[40:41], s[10:11]
	s_xor_b64 s[40:41], exec, s[40:41]
	s_cbranch_execz .LBB50_681
; %bb.618:                              ;   in Loop: Header=BB50_418 Depth=1
	v_and_b32_e32 v12, 0x7fffffff, v2
	v_pk_add_f32 v[22:23], v[12:13], s[26:27] op_sel_hi:[0,1]
	v_max_f32_e64 v19, v13, |v22|
	s_waitcnt vmcnt(0) lgkmcnt(0)
	v_cvt_f64_f32_e32 v[10:11], v19
	v_max_f32_e64 v17, v13, |v23|
	v_frexp_exp_i32_f64_e32 v13, v[10:11]
	v_sub_u32_e32 v10, 0, v13
	v_ldexp_f32 v11, |v3|, v10
	v_ldexp_f32 v10, |v22|, v10
	v_mul_f32_e32 v10, v10, v10
	v_fmac_f32_e32 v10, v11, v11
	v_sqrt_f32_e32 v24, v10
	v_cvt_f64_f32_e32 v[10:11], v17
	v_frexp_exp_i32_f64_e32 v10, v[10:11]
	v_sub_u32_e32 v11, 0, v10
	v_ldexp_f32 v25, |v3|, v11
	v_ldexp_f32 v11, |v23|, v11
	v_mul_f32_e32 v11, v11, v11
	v_fmac_f32_e32 v11, v25, v25
	v_sqrt_f32_e32 v11, v11
	v_cmp_neq_f32_e32 vcc, s56, v17
	v_ldexp_f32 v24, v24, v13
                                        ; implicit-def: $vgpr17
	v_ldexp_f32 v10, v11, v10
	v_cndmask_b32_e32 v13, v41, v10, vcc
	v_cmp_neq_f32_e32 vcc, s56, v19
	v_cndmask_b32_e32 v49, v41, v24, vcc
	v_add_f32_e32 v10, v49, v13
	v_mul_f32_e32 v10, 0.5, v10
	v_cmp_ngt_f32_e32 vcc, 1.0, v10
	v_cndmask_b32_e32 v10, 1.0, v10, vcc
	v_cmp_ngt_f32_e32 vcc, s57, v10
	s_and_saveexec_b64 s[10:11], vcc
	s_xor_b64 s[42:43], exec, s[10:11]
	s_cbranch_execz .LBB50_620
; %bb.619:                              ;   in Loop: Header=BB50_418 Depth=1
	v_fma_f32 v11, v10, v10, -1.0
	v_mul_f32_e32 v17, 0x4f800000, v11
	v_cmp_gt_f32_e32 vcc, s58, v11
	v_cndmask_b32_e32 v11, v11, v17, vcc
	v_sqrt_f32_e32 v17, v11
	v_add_u32_e32 v19, -1, v17
	v_fma_f32 v25, -v19, v17, v11
	v_add_u32_e32 v24, 1, v17
	v_cmp_ge_f32_e64 s[10:11], 0, v25
	v_cndmask_b32_e64 v19, v17, v19, s[10:11]
	v_fma_f32 v17, -v24, v17, v11
	v_cmp_lt_f32_e64 s[10:11], 0, v17
	v_cndmask_b32_e64 v17, v19, v24, s[10:11]
	v_mul_f32_e32 v19, 0x37800000, v17
	v_cndmask_b32_e32 v17, v17, v19, vcc
	v_cmp_class_f32_e32 vcc, v11, v29
	v_cndmask_b32_e32 v11, v17, v11, vcc
	v_add_f32_e32 v11, v10, v11
	v_cmp_gt_f32_e32 vcc, s60, v11
	v_cndmask_b32_e32 v17, 1.0, v42, vcc
	v_mul_f32_e32 v11, v11, v17
	v_log_f32_e32 v11, v11
	v_mul_f32_e32 v17, 0x3f317217, v11
	v_fma_f32 v19, v11, s61, -v17
	v_fmac_f32_e32 v19, 0x3377d1cf, v11
	v_add_f32_e32 v17, v17, v19
	v_cmp_lt_f32_e64 s[10:11], |v11|, s56
	v_cndmask_b32_e64 v11, v11, v17, s[10:11]
	v_cndmask_b32_e32 v17, 0, v43, vcc
	v_sub_f32_e32 v17, v11, v17
.LBB50_620:                             ;   in Loop: Header=BB50_418 Depth=1
	s_or_saveexec_b64 s[42:43], s[42:43]
	v_and_b32_e32 v25, 0x7fffffff, v3
	v_and_b32_e32 v50, 0x7fffffff, v23
	s_xor_b64 exec, exec, s[42:43]
	s_cbranch_execz .LBB50_642
; %bb.621:                              ;   in Loop: Header=BB50_418 Depth=1
	v_cmp_neq_f32_e64 s[10:11], |v2|, 1.0
	v_cmp_nlt_f32_e64 s[44:45], |v3|, s62
	s_or_b64 s[10:11], s[10:11], s[44:45]
                                        ; implicit-def: $vgpr17
	s_and_saveexec_b64 s[44:45], s[10:11]
	s_xor_b64 s[44:45], exec, s[44:45]
	s_cbranch_execz .LBB50_639
; %bb.622:                              ;   in Loop: Header=BB50_418 Depth=1
	v_mul_f32_e32 v11, 0x34000000, v50
	v_cmp_le_f32_e64 s[10:11], v11, |v3|
                                        ; implicit-def: $vgpr17
	s_and_saveexec_b64 s[46:47], s[10:11]
	s_xor_b64 s[46:47], exec, s[46:47]
	s_cbranch_execz .LBB50_632
; %bb.623:                              ;   in Loop: Header=BB50_418 Depth=1
	v_cmp_neq_f32_e32 vcc, 0, v22
	v_mov_b32_e32 v11, v25
	s_and_saveexec_b64 s[10:11], vcc
	s_cbranch_execz .LBB50_625
; %bb.624:                              ;   in Loop: Header=BB50_418 Depth=1
	v_mul_f32_e32 v11, v3, v3
	v_add_f32_e32 v17, v22, v49
	v_div_scale_f32 v19, s[48:49], v17, v17, v11
	v_rcp_f32_e32 v24, v19
	v_fma_f32 v51, -v19, v24, 1.0
	v_fmac_f32_e32 v24, v51, v24
	v_div_scale_f32 v51, vcc, v11, v17, v11
	v_mul_f32_e32 v52, v51, v24
	v_fma_f32 v53, -v19, v52, v51
	v_fmac_f32_e32 v52, v53, v24
	v_fma_f32 v19, -v19, v52, v51
	v_div_fmas_f32 v19, v19, v24, v52
	v_div_fixup_f32 v11, v19, v17, v11
.LBB50_625:                             ;   in Loop: Header=BB50_418 Depth=1
	s_or_b64 exec, exec, s[10:11]
	v_sub_f32_e64 v19, 1.0, |v2|
	v_cmp_ngt_f32_e32 vcc, 0, v19
                                        ; implicit-def: $vgpr17
	s_and_saveexec_b64 s[10:11], vcc
	s_xor_b64 s[10:11], exec, s[10:11]
	s_cbranch_execz .LBB50_629
; %bb.626:                              ;   in Loop: Header=BB50_418 Depth=1
	v_cmp_neq_f32_e32 vcc, 0, v19
	v_mov_b32_e32 v17, v25
	s_and_saveexec_b64 s[48:49], vcc
	s_cbranch_execz .LBB50_628
; %bb.627:                              ;   in Loop: Header=BB50_418 Depth=1
	v_mul_f32_e32 v17, v3, v3
	v_add_f32_e32 v19, v19, v13
	v_div_scale_f32 v24, s[50:51], v19, v19, v17
	v_rcp_f32_e32 v51, v24
	v_fma_f32 v52, -v24, v51, 1.0
	v_fmac_f32_e32 v51, v52, v51
	v_div_scale_f32 v52, vcc, v17, v19, v17
	v_mul_f32_e32 v53, v52, v51
	v_fma_f32 v54, -v24, v53, v52
	v_fmac_f32_e32 v53, v54, v51
	v_fma_f32 v24, -v24, v53, v52
	v_div_fmas_f32 v24, v24, v51, v53
	v_div_fixup_f32 v17, v24, v19, v17
.LBB50_628:                             ;   in Loop: Header=BB50_418 Depth=1
	s_or_b64 exec, exec, s[48:49]
                                        ; implicit-def: $vgpr19
.LBB50_629:                             ;   in Loop: Header=BB50_418 Depth=1
	s_andn2_saveexec_b64 s[10:11], s[10:11]
; %bb.630:                              ;   in Loop: Header=BB50_418 Depth=1
	v_sub_f32_e32 v17, v13, v19
; %bb.631:                              ;   in Loop: Header=BB50_418 Depth=1
	s_or_b64 exec, exec, s[10:11]
	v_mul_f32_e32 v11, 0.5, v11
	v_mul_f32_e32 v17, 0.5, v17
	v_pk_add_f32 v[52:53], v[10:11], v[16:17]
	v_mul_f32_e32 v11, v52, v53
	v_mul_f32_e32 v17, 0x4f800000, v11
	v_cmp_gt_f32_e32 vcc, s58, v11
	v_cndmask_b32_e32 v11, v11, v17, vcc
	v_sqrt_f32_e32 v17, v11
	v_add_u32_e32 v19, -1, v17
	v_fma_f32 v24, -v19, v17, v11
	v_cmp_ge_f32_e64 s[10:11], 0, v24
	v_add_u32_e32 v24, 1, v17
	v_cndmask_b32_e64 v19, v17, v19, s[10:11]
	v_fma_f32 v17, -v24, v17, v11
	v_cmp_lt_f32_e64 s[10:11], 0, v17
	v_cndmask_b32_e64 v17, v19, v24, s[10:11]
	v_mul_f32_e32 v19, 0x37800000, v17
	v_cndmask_b32_e32 v17, v17, v19, vcc
	v_cmp_class_f32_e32 vcc, v11, v29
	v_cndmask_b32_e32 v11, v17, v11, vcc
	v_add_f32_e32 v52, v53, v11
	v_add_f32_e32 v55, 1.0, v52
	v_add_f32_e32 v53, -1.0, v55
	v_mov_b32_e32 v54, v53
	v_pk_add_f32 v[56:57], v[52:53], v[54:55] neg_lo:[0,1] neg_hi:[0,1]
	v_add_f32_e32 v11, 1.0, v57
	v_add_f32_e32 v11, v56, v11
	v_frexp_mant_f32_e32 v17, v55
	v_cvt_f64_f32_e32 v[56:57], v55
	v_frexp_exp_i32_f64_e32 v19, v[56:57]
	v_cmp_gt_f32_e32 vcc, s63, v17
	v_subbrev_co_u32_e32 v17, vcc, 0, v19, vcc
	v_sub_u32_e32 v19, 0, v17
	v_ldexp_f32 v24, v55, v19
	v_ldexp_f32 v11, v11, v19
	v_add_f32_e32 v19, -1.0, v24
	v_add_f32_e32 v53, 1.0, v24
	v_add_f32_e32 v51, 1.0, v19
	v_add_f32_e32 v54, -1.0, v53
	v_sub_f32_e32 v51, v24, v51
	v_sub_f32_e32 v24, v24, v54
	v_add_f32_e32 v51, v11, v51
	v_add_f32_e32 v11, v11, v24
	;; [unrolled: 1-line block ×3, first 2 shown]
	v_sub_f32_e32 v53, v24, v53
	v_sub_f32_e32 v11, v11, v53
	v_rcp_f32_e32 v53, v24
	v_add_f32_e32 v55, v19, v51
	v_sub_f32_e32 v19, v55, v19
	v_sub_f32_e32 v19, v51, v19
	v_mul_f32_e32 v51, v55, v53
	v_mul_f32_e32 v56, v24, v51
	v_fma_f32 v58, v51, v24, -v56
	v_fmac_f32_e32 v58, v51, v11
	v_add_f32_e32 v54, v56, v58
	v_sub_f32_e32 v57, v55, v54
	v_pk_add_f32 v[60:61], v[54:55], v[56:57] neg_lo:[0,1] neg_hi:[0,1]
	v_mov_b32_e32 v59, v54
	v_pk_add_f32 v[54:55], v[60:61], v[58:59] neg_lo:[0,1] neg_hi:[0,1]
	v_add_f32_e32 v19, v19, v55
	v_add_f32_e32 v19, v54, v19
	;; [unrolled: 1-line block ×3, first 2 shown]
	v_mul_f32_e32 v62, v53, v55
	v_mul_f32_e32 v56, v24, v62
	v_fma_f32 v58, v62, v24, -v56
	v_fmac_f32_e32 v58, v62, v11
	v_add_f32_e32 v54, v56, v58
	v_sub_f32_e32 v11, v57, v55
	v_sub_f32_e32 v57, v55, v54
	v_pk_add_f32 v[60:61], v[54:55], v[56:57] neg_lo:[0,1] neg_hi:[0,1]
	v_mov_b32_e32 v59, v54
	v_add_f32_e32 v11, v19, v11
	v_pk_add_f32 v[54:55], v[60:61], v[58:59] neg_lo:[0,1] neg_hi:[0,1]
	v_add_f32_e32 v11, v11, v55
	v_add_f32_e32 v11, v54, v11
	;; [unrolled: 1-line block ×4, first 2 shown]
	v_sub_f32_e32 v19, v24, v51
	v_mul_f32_e32 v11, v53, v11
	v_sub_f32_e32 v19, v62, v19
	v_add_f32_e32 v11, v19, v11
	v_add_f32_e32 v51, v24, v11
	v_cvt_f32_i32_e32 v54, v17
	v_mul_f32_e32 v53, v51, v51
	v_mov_b32_e32 v19, 0x3ecc95a3
	v_fmac_f32_e32 v19, 0x3e9b6dac, v53
	v_fma_f32 v19, v53, v19, v30
	v_mul_f32_e32 v55, v51, v53
	v_pk_mul_f32 v[58:59], v[54:55], v[18:19]
	v_fma_f32 v56, v54, s64, -v58
	v_ldexp_f32 v57, v51, 1
	v_fmac_f32_e32 v56, 0xb102e308, v54
	v_sub_f32_e32 v17, v51, v24
	v_pk_add_f32 v[54:55], v[58:59], v[56:57]
	v_sub_f32_e32 v11, v11, v17
	v_sub_f32_e32 v17, v55, v57
	v_ldexp_f32 v11, v11, 1
	v_sub_f32_e32 v17, v59, v17
	v_add_f32_e32 v61, v11, v17
	v_mov_b32_e32 v60, v58
	v_pk_add_f32 v[58:59], v[54:55], v[58:59] neg_lo:[0,1] neg_hi:[0,1]
	v_pk_add_f32 v[62:63], v[54:55], v[60:61]
	v_mov_b32_e32 v59, v63
	v_mov_b32_e32 v57, v54
	v_pk_add_f32 v[64:65], v[56:57], v[58:59] neg_lo:[0,1] neg_hi:[0,1]
	v_pk_add_f32 v[56:57], v[56:57], v[58:59]
	v_mov_b32_e32 v24, v57
	v_pk_add_f32 v[58:59], v[24:25], v[54:55] neg_lo:[0,1] neg_hi:[0,1]
	v_mov_b32_e32 v11, v58
	v_pk_add_f32 v[66:67], v[62:63], v[10:11] neg_lo:[0,1] neg_hi:[0,1]
	v_mov_b32_e32 v56, v63
	v_mov_b32_e32 v62, v55
	;; [unrolled: 1-line block ×4, first 2 shown]
	v_pk_add_f32 v[56:57], v[56:57], v[62:63] neg_lo:[0,1] neg_hi:[0,1]
	v_mov_b32_e32 v58, v61
	v_mov_b32_e32 v59, v54
	v_pk_add_f32 v[54:55], v[58:59], v[56:57] neg_lo:[0,1] neg_hi:[0,1]
	v_mov_b32_e32 v66, v64
	v_pk_add_f32 v[56:57], v[66:67], v[54:55]
	v_mov_b32_e32 v58, v57
	v_pk_add_f32 v[58:59], v[56:57], v[58:59]
	v_pk_add_f32 v[60:61], v[24:25], v[58:59]
	v_mov_b32_e32 v57, v60
	v_pk_add_f32 v[62:63], v[56:57], v[64:65] neg_lo:[0,1] neg_hi:[0,1]
	v_mov_b32_e32 v55, v58
	v_sub_f32_e32 v11, v56, v62
	v_pk_add_f32 v[54:55], v[54:55], v[62:63] neg_lo:[0,1] neg_hi:[0,1]
	v_sub_f32_e32 v11, v64, v11
	v_add_f32_e32 v11, v54, v11
	v_add_f32_e32 v11, v11, v55
	;; [unrolled: 1-line block ×3, first 2 shown]
	v_cmp_eq_f32_e32 vcc, s56, v52
	v_cndmask_b32_e32 v11, v11, v52, vcc
	v_cmp_ngt_f32_e32 vcc, -1.0, v52
	v_cndmask_b32_e32 v11, v44, v11, vcc
	v_cmp_neq_f32_e32 vcc, -1.0, v52
	v_cndmask_b32_e32 v11, v45, v11, vcc
	v_cmp_lt_f32_e64 vcc, |v52|, s65
	v_cndmask_b32_e32 v17, v11, v52, vcc
.LBB50_632:                             ;   in Loop: Header=BB50_418 Depth=1
	s_andn2_saveexec_b64 s[46:47], s[46:47]
	s_cbranch_execz .LBB50_638
; %bb.633:                              ;   in Loop: Header=BB50_418 Depth=1
	v_cmp_nlt_f32_e64 s[10:11], |v2|, 1.0
                                        ; implicit-def: $vgpr17
	s_and_saveexec_b64 s[48:49], s[10:11]
	s_xor_b64 s[48:49], exec, s[48:49]
	s_cbranch_execz .LBB50_635
; %bb.634:                              ;   in Loop: Header=BB50_418 Depth=1
	v_mul_f32_e32 v11, v23, v22
	v_mul_f32_e32 v17, 0x4f800000, v11
	v_cmp_gt_f32_e32 vcc, s58, v11
	v_cndmask_b32_e32 v11, v11, v17, vcc
	v_sqrt_f32_e32 v17, v11
	v_add_u32_e32 v19, -1, v17
	v_fma_f32 v51, -v19, v17, v11
	v_add_u32_e32 v24, 1, v17
	v_cmp_ge_f32_e64 s[10:11], 0, v51
	v_cndmask_b32_e64 v19, v17, v19, s[10:11]
	v_fma_f32 v17, -v24, v17, v11
	v_cmp_lt_f32_e64 s[10:11], 0, v17
	v_cndmask_b32_e64 v17, v19, v24, s[10:11]
	v_mul_f32_e32 v19, 0x37800000, v17
	v_cndmask_b32_e32 v17, v17, v19, vcc
	v_cmp_class_f32_e32 vcc, v11, v29
	v_cndmask_b32_e32 v11, v17, v11, vcc
	v_add_f32_e32 v52, v23, v11
	v_add_f32_e32 v55, 1.0, v52
	v_add_f32_e32 v53, -1.0, v55
	v_mov_b32_e32 v54, v53
	v_pk_add_f32 v[56:57], v[52:53], v[54:55] neg_lo:[0,1] neg_hi:[0,1]
	v_add_f32_e32 v11, 1.0, v57
	v_add_f32_e32 v11, v56, v11
	v_frexp_mant_f32_e32 v17, v55
	v_cvt_f64_f32_e32 v[56:57], v55
	v_frexp_exp_i32_f64_e32 v19, v[56:57]
	v_cmp_gt_f32_e32 vcc, s63, v17
	v_subbrev_co_u32_e32 v17, vcc, 0, v19, vcc
	v_sub_u32_e32 v19, 0, v17
	v_ldexp_f32 v24, v55, v19
	v_ldexp_f32 v11, v11, v19
	v_add_f32_e32 v19, -1.0, v24
	v_add_f32_e32 v53, 1.0, v24
	v_add_f32_e32 v51, 1.0, v19
	v_add_f32_e32 v54, -1.0, v53
	v_sub_f32_e32 v51, v24, v51
	v_sub_f32_e32 v24, v24, v54
	v_add_f32_e32 v51, v11, v51
	v_add_f32_e32 v11, v11, v24
	;; [unrolled: 1-line block ×3, first 2 shown]
	v_sub_f32_e32 v53, v24, v53
	v_sub_f32_e32 v11, v11, v53
	v_rcp_f32_e32 v53, v24
	v_add_f32_e32 v55, v19, v51
	v_sub_f32_e32 v19, v55, v19
	v_sub_f32_e32 v19, v51, v19
	v_mul_f32_e32 v51, v55, v53
	v_mul_f32_e32 v56, v24, v51
	v_fma_f32 v58, v51, v24, -v56
	v_fmac_f32_e32 v58, v51, v11
	v_add_f32_e32 v54, v56, v58
	v_sub_f32_e32 v57, v55, v54
	v_pk_add_f32 v[60:61], v[54:55], v[56:57] neg_lo:[0,1] neg_hi:[0,1]
	v_mov_b32_e32 v59, v54
	v_pk_add_f32 v[54:55], v[60:61], v[58:59] neg_lo:[0,1] neg_hi:[0,1]
	v_add_f32_e32 v19, v19, v55
	v_add_f32_e32 v19, v54, v19
	;; [unrolled: 1-line block ×3, first 2 shown]
	v_mul_f32_e32 v62, v53, v55
	v_mul_f32_e32 v56, v24, v62
	v_fma_f32 v58, v62, v24, -v56
	v_fmac_f32_e32 v58, v62, v11
	v_add_f32_e32 v54, v56, v58
	v_sub_f32_e32 v11, v57, v55
	v_sub_f32_e32 v57, v55, v54
	v_pk_add_f32 v[60:61], v[54:55], v[56:57] neg_lo:[0,1] neg_hi:[0,1]
	v_mov_b32_e32 v59, v54
	v_add_f32_e32 v11, v19, v11
	v_pk_add_f32 v[54:55], v[60:61], v[58:59] neg_lo:[0,1] neg_hi:[0,1]
	v_add_f32_e32 v11, v11, v55
	v_add_f32_e32 v11, v54, v11
	;; [unrolled: 1-line block ×4, first 2 shown]
	v_sub_f32_e32 v19, v24, v51
	v_mul_f32_e32 v11, v53, v11
	v_sub_f32_e32 v19, v62, v19
	v_add_f32_e32 v11, v19, v11
	v_add_f32_e32 v51, v24, v11
	v_cvt_f32_i32_e32 v54, v17
	v_mul_f32_e32 v53, v51, v51
	v_mov_b32_e32 v19, 0x3ecc95a3
	v_fmac_f32_e32 v19, 0x3e9b6dac, v53
	v_fma_f32 v19, v53, v19, v30
	v_mul_f32_e32 v55, v51, v53
	v_pk_mul_f32 v[58:59], v[54:55], v[18:19]
	v_fma_f32 v56, v54, s64, -v58
	v_ldexp_f32 v57, v51, 1
	v_fmac_f32_e32 v56, 0xb102e308, v54
	v_sub_f32_e32 v17, v51, v24
	v_pk_add_f32 v[54:55], v[58:59], v[56:57]
	v_sub_f32_e32 v11, v11, v17
	v_sub_f32_e32 v17, v55, v57
	v_ldexp_f32 v11, v11, 1
	v_sub_f32_e32 v17, v59, v17
	v_add_f32_e32 v61, v11, v17
	v_mov_b32_e32 v60, v58
	v_pk_add_f32 v[58:59], v[54:55], v[58:59] neg_lo:[0,1] neg_hi:[0,1]
	v_pk_add_f32 v[62:63], v[54:55], v[60:61]
	v_mov_b32_e32 v59, v63
	v_mov_b32_e32 v57, v54
	v_pk_add_f32 v[64:65], v[56:57], v[58:59] neg_lo:[0,1] neg_hi:[0,1]
	v_pk_add_f32 v[56:57], v[56:57], v[58:59]
	v_mov_b32_e32 v24, v57
	v_pk_add_f32 v[58:59], v[24:25], v[54:55] neg_lo:[0,1] neg_hi:[0,1]
	v_mov_b32_e32 v11, v58
	v_pk_add_f32 v[66:67], v[62:63], v[10:11] neg_lo:[0,1] neg_hi:[0,1]
	v_mov_b32_e32 v56, v63
	v_mov_b32_e32 v62, v55
	;; [unrolled: 1-line block ×4, first 2 shown]
	v_pk_add_f32 v[56:57], v[56:57], v[62:63] neg_lo:[0,1] neg_hi:[0,1]
	v_mov_b32_e32 v58, v61
	v_mov_b32_e32 v59, v54
	v_pk_add_f32 v[54:55], v[58:59], v[56:57] neg_lo:[0,1] neg_hi:[0,1]
	v_mov_b32_e32 v66, v64
	v_pk_add_f32 v[56:57], v[66:67], v[54:55]
	v_mov_b32_e32 v58, v57
	v_pk_add_f32 v[58:59], v[56:57], v[58:59]
	v_pk_add_f32 v[60:61], v[24:25], v[58:59]
	v_mov_b32_e32 v57, v60
	v_pk_add_f32 v[62:63], v[56:57], v[64:65] neg_lo:[0,1] neg_hi:[0,1]
	v_mov_b32_e32 v55, v58
	v_sub_f32_e32 v11, v56, v62
	v_pk_add_f32 v[54:55], v[54:55], v[62:63] neg_lo:[0,1] neg_hi:[0,1]
	v_sub_f32_e32 v11, v64, v11
	v_add_f32_e32 v11, v54, v11
	v_add_f32_e32 v11, v11, v55
	;; [unrolled: 1-line block ×3, first 2 shown]
	v_cmp_eq_f32_e32 vcc, s56, v52
	v_cndmask_b32_e32 v11, v11, v52, vcc
	v_cmp_ngt_f32_e32 vcc, -1.0, v52
	v_cndmask_b32_e32 v11, v44, v11, vcc
	v_cmp_neq_f32_e32 vcc, -1.0, v52
	v_cndmask_b32_e32 v11, v45, v11, vcc
	v_cmp_lt_f32_e64 vcc, |v52|, s65
	v_cndmask_b32_e32 v17, v11, v52, vcc
.LBB50_635:                             ;   in Loop: Header=BB50_418 Depth=1
	s_andn2_saveexec_b64 s[48:49], s[48:49]
	s_cbranch_execz .LBB50_637
; %bb.636:                              ;   in Loop: Header=BB50_418 Depth=1
	v_sub_f32_e64 v11, 1.0, |v2|
	v_mul_f32_e32 v11, v11, v22
	v_mul_f32_e32 v17, 0x4f800000, v11
	v_cmp_gt_f32_e32 vcc, s58, v11
	v_cndmask_b32_e32 v11, v11, v17, vcc
	v_sqrt_f32_e32 v17, v11
	v_add_u32_e32 v19, -1, v17
	v_fma_f32 v51, -v19, v17, v11
	v_add_u32_e32 v24, 1, v17
	v_cmp_ge_f32_e64 s[10:11], 0, v51
	v_cndmask_b32_e64 v19, v17, v19, s[10:11]
	v_fma_f32 v17, -v24, v17, v11
	v_cmp_lt_f32_e64 s[10:11], 0, v17
	v_cndmask_b32_e64 v17, v19, v24, s[10:11]
	v_mul_f32_e32 v19, 0x37800000, v17
	v_cndmask_b32_e32 v17, v17, v19, vcc
	v_cmp_class_f32_e32 vcc, v11, v29
	v_cndmask_b32_e32 v11, v17, v11, vcc
	v_and_b32_e32 v17, 0x7fffffff, v3
	v_div_scale_f32 v19, s[10:11], v11, v11, v17
	v_rcp_f32_e32 v24, v19
	v_div_scale_f32 v17, vcc, v17, v11, v17
	v_fma_f32 v51, -v19, v24, 1.0
	v_fmac_f32_e32 v24, v51, v24
	v_mul_f32_e32 v51, v17, v24
	v_fma_f32 v52, -v19, v51, v17
	v_fmac_f32_e32 v51, v52, v24
	v_fma_f32 v17, -v19, v51, v17
	v_div_fmas_f32 v17, v17, v24, v51
	v_div_fixup_f32 v17, v17, v11, |v3|
.LBB50_637:                             ;   in Loop: Header=BB50_418 Depth=1
	s_or_b64 exec, exec, s[48:49]
.LBB50_638:                             ;   in Loop: Header=BB50_418 Depth=1
	s_or_b64 exec, exec, s[46:47]
.LBB50_639:                             ;   in Loop: Header=BB50_418 Depth=1
	s_andn2_saveexec_b64 s[44:45], s[44:45]
	s_cbranch_execz .LBB50_641
; %bb.640:                              ;   in Loop: Header=BB50_418 Depth=1
	v_mul_f32_e64 v11, |v3|, s59
	v_cmp_lt_f32_e64 vcc, |v3|, s58
	v_cndmask_b32_e64 v11, |v3|, v11, vcc
	v_sqrt_f32_e32 v17, v11
	v_add_u32_e32 v19, -1, v17
	v_fma_f32 v51, -v19, v17, v11
	v_add_u32_e32 v24, 1, v17
	v_cmp_ge_f32_e64 s[10:11], 0, v51
	v_cndmask_b32_e64 v19, v17, v19, s[10:11]
	v_fma_f32 v17, -v24, v17, v11
	v_cmp_lt_f32_e64 s[10:11], 0, v17
	v_cndmask_b32_e64 v17, v19, v24, s[10:11]
	v_mul_f32_e32 v19, 0x37800000, v17
	v_cndmask_b32_e32 v17, v17, v19, vcc
	v_cmp_class_f32_e32 vcc, v11, v29
	v_cndmask_b32_e32 v17, v17, v11, vcc
.LBB50_641:                             ;   in Loop: Header=BB50_418 Depth=1
	s_or_b64 exec, exec, s[44:45]
.LBB50_642:                             ;   in Loop: Header=BB50_418 Depth=1
	s_or_b64 exec, exec, s[42:43]
	v_cmp_nlt_f32_e64 s[42:43], |v2|, s66
                                        ; implicit-def: $sgpr10_sgpr11
                                        ; implicit-def: $vgpr24
                                        ; implicit-def: $vgpr19
	s_and_saveexec_b64 s[44:45], s[42:43]
	s_xor_b64 s[42:43], exec, s[44:45]
	s_cbranch_execz .LBB50_666
; %bb.643:                              ;   in Loop: Header=BB50_418 Depth=1
	v_div_scale_f32 v11, s[10:11], v10, v10, v12
	v_rcp_f32_e32 v19, v11
	v_div_scale_f32 v24, vcc, v12, v10, v12
	s_mov_b64 s[10:11], 0
	v_fma_f32 v51, -v11, v19, 1.0
	v_fmac_f32_e32 v19, v51, v19
	v_mul_f32_e32 v51, v24, v19
	v_fma_f32 v52, -v11, v51, v24
	v_fmac_f32_e32 v51, v52, v19
	v_fma_f32 v11, -v11, v51, v24
	v_div_fmas_f32 v11, v11, v19, v51
	v_div_fixup_f32 v19, v11, v10, |v2|
	v_cmp_lt_f32_e32 vcc, s67, v19
                                        ; implicit-def: $vgpr24
	s_and_saveexec_b64 s[44:45], vcc
	s_cbranch_execz .LBB50_665
; %bb.644:                              ;   in Loop: Header=BB50_418 Depth=1
	v_cmp_neq_f32_e64 s[10:11], |v2|, 1.0
	v_cmp_nlt_f32_e64 s[46:47], |v3|, s68
	s_or_b64 s[10:11], s[10:11], s[46:47]
                                        ; implicit-def: $sgpr48_sgpr49
                                        ; implicit-def: $vgpr24
	s_and_saveexec_b64 s[46:47], s[10:11]
	s_xor_b64 s[46:47], exec, s[46:47]
	s_cbranch_execz .LBB50_662
; %bb.645:                              ;   in Loop: Header=BB50_418 Depth=1
	v_mul_f32_e32 v11, 0x34000000, v50
	v_cmp_le_f32_e64 s[10:11], v11, |v3|
                                        ; implicit-def: $vgpr24
                                        ; implicit-def: $sgpr48_sgpr49
	s_and_saveexec_b64 s[50:51], s[10:11]
	s_xor_b64 s[50:51], exec, s[50:51]
	s_cbranch_execz .LBB50_655
; %bb.646:                              ;   in Loop: Header=BB50_418 Depth=1
	v_cmp_neq_f32_e32 vcc, 0, v22
	v_mov_b32_e32 v11, v25
	s_and_saveexec_b64 s[10:11], vcc
	s_cbranch_execz .LBB50_648
; %bb.647:                              ;   in Loop: Header=BB50_418 Depth=1
	v_mul_f32_e32 v11, v3, v3
	v_add_f32_e32 v22, v22, v49
	v_div_scale_f32 v24, s[48:49], v22, v22, v11
	v_rcp_f32_e32 v49, v24
	v_fma_f32 v50, -v24, v49, 1.0
	v_fmac_f32_e32 v49, v50, v49
	v_div_scale_f32 v50, vcc, v11, v22, v11
	v_mul_f32_e32 v51, v50, v49
	v_fma_f32 v52, -v24, v51, v50
	v_fmac_f32_e32 v51, v52, v49
	v_fma_f32 v24, -v24, v51, v50
	v_div_fmas_f32 v24, v24, v49, v51
	v_div_fixup_f32 v11, v24, v22, v11
.LBB50_648:                             ;   in Loop: Header=BB50_418 Depth=1
	s_or_b64 exec, exec, s[10:11]
	v_cmp_ngt_f32_e32 vcc, 0, v23
	s_and_saveexec_b64 s[10:11], vcc
	s_xor_b64 s[10:11], exec, s[10:11]
	s_cbranch_execz .LBB50_652
; %bb.649:                              ;   in Loop: Header=BB50_418 Depth=1
	v_cmp_neq_f32_e32 vcc, 0, v23
	s_and_saveexec_b64 s[48:49], vcc
	s_cbranch_execz .LBB50_651
; %bb.650:                              ;   in Loop: Header=BB50_418 Depth=1
	v_mul_f32_e32 v22, v3, v3
	v_add_f32_e32 v13, v23, v13
	v_div_scale_f32 v23, s[52:53], v13, v13, v22
	v_rcp_f32_e32 v24, v23
	v_fma_f32 v25, -v23, v24, 1.0
	v_fmac_f32_e32 v24, v25, v24
	v_div_scale_f32 v25, vcc, v22, v13, v22
	v_mul_f32_e32 v49, v25, v24
	v_fma_f32 v50, -v23, v49, v25
	v_fmac_f32_e32 v49, v50, v24
	v_fma_f32 v23, -v23, v49, v25
	v_div_fmas_f32 v23, v23, v24, v49
	v_div_fixup_f32 v25, v23, v13, v22
.LBB50_651:                             ;   in Loop: Header=BB50_418 Depth=1
	s_or_b64 exec, exec, s[48:49]
                                        ; implicit-def: $vgpr13
                                        ; implicit-def: $vgpr22_vgpr23
.LBB50_652:                             ;   in Loop: Header=BB50_418 Depth=1
	s_andn2_saveexec_b64 s[10:11], s[10:11]
; %bb.653:                              ;   in Loop: Header=BB50_418 Depth=1
	v_sub_f32_e32 v25, v13, v23
; %bb.654:                              ;   in Loop: Header=BB50_418 Depth=1
	s_or_b64 exec, exec, s[10:11]
	v_mul_f32_e32 v13, 0.5, v11
	v_mul_f32_e32 v11, 0.5, v25
	v_pk_add_f32 v[10:11], v[12:13], v[10:11]
	v_mul_f32_e32 v10, v10, v11
	v_mul_f32_e32 v11, 0x4f800000, v10
	v_cmp_gt_f32_e32 vcc, s58, v10
	v_cndmask_b32_e32 v10, v10, v11, vcc
	v_sqrt_f32_e32 v11, v10
	s_mov_b64 s[48:49], -1
	v_add_u32_e32 v13, -1, v11
	v_fma_f32 v22, -v13, v11, v10
	v_cmp_ge_f32_e64 s[10:11], 0, v22
	v_add_u32_e32 v22, 1, v11
	v_cndmask_b32_e64 v13, v11, v13, s[10:11]
	v_fma_f32 v11, -v22, v11, v10
	v_cmp_lt_f32_e64 s[10:11], 0, v11
	v_cndmask_b32_e64 v11, v13, v22, s[10:11]
	v_mul_f32_e32 v13, 0x37800000, v11
	v_cndmask_b32_e32 v11, v11, v13, vcc
	v_cmp_class_f32_e32 vcc, v10, v29
	v_cndmask_b32_e32 v24, v11, v10, vcc
                                        ; implicit-def: $vgpr22_vgpr23
.LBB50_655:                             ;   in Loop: Header=BB50_418 Depth=1
	s_andn2_saveexec_b64 s[50:51], s[50:51]
	s_cbranch_execz .LBB50_661
; %bb.656:                              ;   in Loop: Header=BB50_418 Depth=1
	v_cmp_ngt_f32_e64 s[10:11], |v2|, 1.0
                                        ; implicit-def: $vgpr24
                                        ; implicit-def: $sgpr52_sgpr53
	s_and_saveexec_b64 s[54:55], s[10:11]
	s_xor_b64 s[54:55], exec, s[54:55]
	s_cbranch_execz .LBB50_658
; %bb.657:                              ;   in Loop: Header=BB50_418 Depth=1
	v_sub_f32_e64 v10, 1.0, |v2|
	v_mul_f32_e32 v10, v10, v22
	v_mul_f32_e32 v11, 0x4f800000, v10
	v_cmp_gt_f32_e32 vcc, s58, v10
	v_cndmask_b32_e32 v10, v10, v11, vcc
	v_sqrt_f32_e32 v11, v10
	s_mov_b64 s[52:53], -1
	v_add_u32_e32 v13, -1, v11
	v_fma_f32 v23, -v13, v11, v10
	v_add_u32_e32 v22, 1, v11
	v_cmp_ge_f32_e64 s[10:11], 0, v23
	v_cndmask_b32_e64 v13, v11, v13, s[10:11]
	v_fma_f32 v11, -v22, v11, v10
	v_cmp_lt_f32_e64 s[10:11], 0, v11
	v_cndmask_b32_e64 v11, v13, v22, s[10:11]
	v_mul_f32_e32 v13, 0x37800000, v11
	v_cndmask_b32_e32 v11, v11, v13, vcc
	v_cmp_class_f32_e32 vcc, v10, v29
	v_cndmask_b32_e32 v24, v11, v10, vcc
                                        ; implicit-def: $vgpr22_vgpr23
.LBB50_658:                             ;   in Loop: Header=BB50_418 Depth=1
	s_andn2_saveexec_b64 s[54:55], s[54:55]
	s_cbranch_execz .LBB50_660
; %bb.659:                              ;   in Loop: Header=BB50_418 Depth=1
	v_mul_f32_e32 v10, v22, v23
	v_mul_f32_e32 v11, 0x4f800000, v10
	v_cmp_gt_f32_e32 vcc, s58, v10
	v_cndmask_b32_e32 v10, v10, v11, vcc
	v_sqrt_f32_e32 v11, v10
	v_mul_f32_e64 v12, |v3|, s69
	v_mul_f32_e64 v12, |v2|, v12
	s_or_b64 s[52:53], s[52:53], exec
	v_add_u32_e32 v13, -1, v11
	v_fma_f32 v22, -v13, v11, v10
	v_cmp_ge_f32_e64 s[10:11], 0, v22
	v_add_u32_e32 v22, 1, v11
	v_cndmask_b32_e64 v13, v11, v13, s[10:11]
	v_fma_f32 v11, -v22, v11, v10
	v_cmp_lt_f32_e64 s[10:11], 0, v11
	v_cndmask_b32_e64 v11, v13, v22, s[10:11]
	v_mul_f32_e32 v13, 0x37800000, v11
	v_cndmask_b32_e32 v11, v11, v13, vcc
	v_cmp_class_f32_e32 vcc, v10, v29
	v_cndmask_b32_e32 v10, v11, v10, vcc
	v_div_scale_f32 v11, s[10:11], v10, v10, v12
	v_rcp_f32_e32 v13, v11
	v_fma_f32 v22, -v11, v13, 1.0
	v_fmac_f32_e32 v13, v22, v13
	v_div_scale_f32 v22, vcc, v12, v10, v12
	v_mul_f32_e32 v23, v22, v13
	v_fma_f32 v24, -v11, v23, v22
	v_fmac_f32_e32 v23, v24, v13
	v_fma_f32 v11, -v11, v23, v22
	v_div_fmas_f32 v11, v11, v13, v23
	v_div_fixup_f32 v24, v11, v10, v12
	v_mul_f32_e64 v12, |v2|, s69
.LBB50_660:                             ;   in Loop: Header=BB50_418 Depth=1
	s_or_b64 exec, exec, s[54:55]
	s_andn2_b64 s[10:11], s[48:49], exec
	s_and_b64 s[48:49], s[52:53], exec
	s_or_b64 s[48:49], s[10:11], s[48:49]
.LBB50_661:                             ;   in Loop: Header=BB50_418 Depth=1
	s_or_b64 exec, exec, s[50:51]
	s_and_b64 s[48:49], s[48:49], exec
                                        ; implicit-def: $vgpr10
.LBB50_662:                             ;   in Loop: Header=BB50_418 Depth=1
	s_andn2_saveexec_b64 s[46:47], s[46:47]
	s_cbranch_execz .LBB50_664
; %bb.663:                              ;   in Loop: Header=BB50_418 Depth=1
	v_mul_f32_e64 v11, |v3|, s59
	v_cmp_lt_f32_e64 vcc, |v3|, s58
	v_cndmask_b32_e64 v11, |v3|, v11, vcc
	v_sqrt_f32_e32 v12, v11
	v_add_f32_e32 v10, 1.0, v10
	v_mul_f32_e32 v10, 0.5, v10
	s_or_b64 s[48:49], s[48:49], exec
	v_add_u32_e32 v13, -1, v12
	v_fma_f32 v23, -v13, v12, v11
	v_add_u32_e32 v22, 1, v12
	v_cmp_ge_f32_e64 s[10:11], 0, v23
	v_cndmask_b32_e64 v13, v12, v13, s[10:11]
	v_fma_f32 v12, -v22, v12, v11
	v_cmp_lt_f32_e64 s[10:11], 0, v12
	v_cndmask_b32_e64 v12, v13, v22, s[10:11]
	v_mul_f32_e32 v22, 0x4f800000, v10
	v_cmp_gt_f32_e64 s[10:11], s58, v10
	v_cndmask_b32_e64 v10, v10, v22, s[10:11]
	v_sqrt_f32_e32 v22, v10
	v_mul_f32_e32 v13, 0x37800000, v12
	v_cndmask_b32_e32 v12, v12, v13, vcc
	v_cmp_class_f32_e32 vcc, v11, v29
	v_cndmask_b32_e32 v11, v12, v11, vcc
	v_add_u32_e32 v12, -1, v22
	v_fma_f32 v13, -v12, v22, v10
	v_cmp_ge_f32_e32 vcc, 0, v13
	v_add_u32_e32 v13, 1, v22
	v_cndmask_b32_e32 v12, v22, v12, vcc
	v_fma_f32 v22, -v13, v22, v10
	v_cmp_lt_f32_e32 vcc, 0, v22
	v_cndmask_b32_e32 v12, v12, v13, vcc
	v_mul_f32_e32 v13, 0x37800000, v12
	v_cndmask_b32_e64 v12, v12, v13, s[10:11]
	v_cmp_class_f32_e32 vcc, v10, v29
	v_cndmask_b32_e32 v10, v12, v10, vcc
	v_mul_f32_e32 v24, v11, v10
	v_mov_b32_e32 v12, 1.0
.LBB50_664:                             ;   in Loop: Header=BB50_418 Depth=1
	s_or_b64 exec, exec, s[46:47]
	s_and_b64 s[10:11], s[48:49], exec
.LBB50_665:                             ;   in Loop: Header=BB50_418 Depth=1
	s_or_b64 exec, exec, s[44:45]
	s_and_b64 s[10:11], s[10:11], exec
                                        ; implicit-def: $vgpr10
.LBB50_666:                             ;   in Loop: Header=BB50_418 Depth=1
	s_andn2_saveexec_b64 s[42:43], s[42:43]
; %bb.667:                              ;   in Loop: Header=BB50_418 Depth=1
	v_mov_b32_e32 v11, v12
	v_pk_mul_f32 v[24:25], v[10:11], s[28:29] op_sel_hi:[1,0]
	s_or_b64 s[10:11], s[10:11], exec
	v_mov_b32_e32 v12, v25
                                        ; implicit-def: $vgpr19
; %bb.668:                              ;   in Loop: Header=BB50_418 Depth=1
	s_or_b64 exec, exec, s[42:43]
	s_xor_b64 s[10:11], s[10:11], -1
                                        ; implicit-def: $vgpr10
	s_and_saveexec_b64 s[42:43], s[10:11]
	s_xor_b64 s[42:43], exec, s[42:43]
	s_cbranch_execz .LBB50_674
; %bb.669:                              ;   in Loop: Header=BB50_418 Depth=1
                                        ; implicit-def: $vgpr10
	s_and_saveexec_b64 s[10:11], s[8:9]
	s_xor_b64 s[10:11], exec, s[10:11]
	s_cbranch_execz .LBB50_671
; %bb.670:                              ;   in Loop: Header=BB50_418 Depth=1
	v_fma_f32 v10, |v19|, -0.5, 0.5
	v_mul_f32_e32 v11, v19, v19
	v_cmp_gt_f32_e64 vcc, |v19|, 0.5
	v_cndmask_b32_e32 v10, v11, v10, vcc
	v_mov_b32_e32 v11, 0x3c5fc5da
	v_fmac_f32_e32 v11, 0x3d1c21a7, v10
	v_fma_f32 v11, v10, v11, v31
	v_fma_f32 v11, v10, v11, v32
	v_sqrt_f32_e32 v12, v10
	v_fma_f32 v11, v10, v11, v33
	v_fma_f32 v11, v10, v11, v34
	v_mul_f32_e32 v10, v10, v11
	v_fmac_f32_e32 v12, v12, v10
	v_fmac_f32_e32 v19, v19, v10
	v_add_f32_e32 v11, v12, v12
	v_sub_f32_e32 v10, 0x3fc90fdb, v19
	v_cndmask_b32_e32 v10, v10, v11, vcc
                                        ; implicit-def: $vgpr19
.LBB50_671:                             ;   in Loop: Header=BB50_418 Depth=1
	s_andn2_saveexec_b64 s[44:45], s[10:11]
	s_cbranch_execz .LBB50_673
; %bb.672:                              ;   in Loop: Header=BB50_418 Depth=1
	v_fma_f32 v10, |v19|, -0.5, 0.5
	v_mul_f32_e32 v11, v19, v19
	v_cmp_gt_f32_e64 vcc, |v19|, 0.5
	v_cndmask_b32_e32 v10, v11, v10, vcc
	v_mov_b32_e32 v11, 0x3c5fc5da
	v_fmac_f32_e32 v11, 0x3d1c21a7, v10
	v_fma_f32 v11, v10, v11, v31
	v_fma_f32 v11, v10, v11, v32
	v_sqrt_f32_e32 v12, v10
	v_fma_f32 v11, v10, v11, v33
	v_fma_f32 v11, v10, v11, v34
	v_mul_f32_e32 v10, v10, v11
	v_fmac_f32_e32 v12, v12, v10
	v_add_f32_e32 v11, v12, v12
	v_sub_f32_e32 v12, 0x40490fdb, v11
	v_cmp_lt_f32_e64 s[10:11], 0, v19
	v_fma_f32 v10, -v19, v10, -v19
	v_cndmask_b32_e64 v11, v11, v12, s[10:11]
	v_sub_f32_e32 v10, 0x3fc90fdb, v10
	v_cndmask_b32_e32 v10, v10, v11, vcc
.LBB50_673:                             ;   in Loop: Header=BB50_418 Depth=1
	s_or_b64 exec, exec, s[44:45]
                                        ; implicit-def: $vgpr24
                                        ; implicit-def: $vgpr12
.LBB50_674:                             ;   in Loop: Header=BB50_418 Depth=1
	s_andn2_saveexec_b64 s[10:11], s[42:43]
	s_cbranch_execz .LBB50_680
; %bb.675:                              ;   in Loop: Header=BB50_418 Depth=1
                                        ; implicit-def: $vgpr10
	s_and_saveexec_b64 s[42:43], s[8:9]
	s_xor_b64 s[8:9], exec, s[42:43]
	s_cbranch_execz .LBB50_677
; %bb.676:                              ;   in Loop: Header=BB50_418 Depth=1
	v_max_f32_e64 v10, |v24|, |v24|
	v_max_f32_e32 v11, v12, v12
	v_min_f32_e32 v13, v11, v10
	v_max_f32_e32 v10, v11, v10
	v_frexp_mant_f32_e32 v11, v10
	v_rcp_f32_e32 v11, v11
	v_frexp_exp_i32_f32_e32 v10, v10
	v_frexp_exp_i32_f32_e32 v19, v13
	v_frexp_mant_f32_e32 v13, v13
	v_mul_f32_e32 v11, v13, v11
	v_sub_u32_e32 v10, v19, v10
	v_ldexp_f32 v10, v11, v10
	v_mul_f32_e32 v11, v10, v10
	v_mov_b32_e32 v13, 0xbc7a590c
	v_fmac_f32_e32 v13, 0x3b2d2a58, v11
	v_fma_f32 v13, v11, v13, v35
	v_fma_f32 v13, v11, v13, v36
	;; [unrolled: 1-line block ×6, first 2 shown]
	v_mul_f32_e32 v11, v11, v13
	v_fmac_f32_e32 v10, v10, v11
	v_sub_f32_e32 v11, 0x3fc90fdb, v10
	v_cmp_gt_f32_e64 vcc, |v24|, v12
	v_cndmask_b32_e32 v10, v10, v11, vcc
	v_cmp_neq_f32_e32 vcc, 0, v24
	v_cndmask_b32_e32 v10, 0, v10, vcc
	v_cmp_eq_f32_e32 vcc, s56, v12
	v_cmp_class_f32_e64 s[42:43], v24, s70
	s_and_b64 vcc, vcc, s[42:43]
	v_cndmask_b32_e32 v10, v10, v46, vcc
	v_cmp_o_f32_e32 vcc, v12, v24
	v_cndmask_b32_e32 v10, v44, v10, vcc
	v_bfi_b32 v10, s33, v10, v24
                                        ; implicit-def: $vgpr24
                                        ; implicit-def: $vgpr12
.LBB50_677:                             ;   in Loop: Header=BB50_418 Depth=1
	s_andn2_saveexec_b64 s[42:43], s[8:9]
	s_cbranch_execz .LBB50_679
; %bb.678:                              ;   in Loop: Header=BB50_418 Depth=1
	v_max_f32_e64 v10, |v24|, |v24|
	v_max_f32_e32 v11, v12, v12
	v_min_f32_e32 v13, v11, v10
	v_max_f32_e32 v10, v11, v10
	v_frexp_mant_f32_e32 v11, v10
	v_rcp_f32_e32 v11, v11
	v_frexp_exp_i32_f32_e32 v10, v10
	v_frexp_exp_i32_f32_e32 v19, v13
	v_frexp_mant_f32_e32 v13, v13
	v_mul_f32_e32 v11, v13, v11
	v_sub_u32_e32 v10, v19, v10
	v_ldexp_f32 v10, v11, v10
	v_mul_f32_e32 v11, v10, v10
	v_mov_b32_e32 v13, 0xbc7a590c
	v_fmac_f32_e32 v13, 0x3b2d2a58, v11
	v_fma_f32 v13, v11, v13, v35
	v_fma_f32 v13, v11, v13, v36
	;; [unrolled: 1-line block ×6, first 2 shown]
	v_mul_f32_e32 v11, v11, v13
	v_fmac_f32_e32 v10, v10, v11
	v_sub_f32_e32 v11, 0x3fc90fdb, v10
	v_cmp_gt_f32_e64 vcc, |v24|, v12
	v_cndmask_b32_e32 v10, v10, v11, vcc
	v_sub_f32_e32 v11, 0x40490fdb, v10
	v_cmp_lt_f32_e32 vcc, 0, v12
	v_cndmask_b32_e32 v10, v10, v11, vcc
	v_cmp_neq_f32_e64 s[8:9], 0, v24
	v_cndmask_b32_e64 v10, v47, v10, s[8:9]
	v_cndmask_b32_e32 v11, v46, v48, vcc
	v_cmp_eq_f32_e32 vcc, s56, v12
	v_cmp_class_f32_e64 s[8:9], v24, s70
	s_and_b64 vcc, vcc, s[8:9]
	v_cndmask_b32_e32 v10, v10, v11, vcc
	v_cmp_o_f32_e64 vcc, v24, -v12
	v_cndmask_b32_e32 v10, v44, v10, vcc
	v_bfi_b32 v10, s33, v10, v24
.LBB50_679:                             ;   in Loop: Header=BB50_418 Depth=1
	s_or_b64 exec, exec, s[42:43]
.LBB50_680:                             ;   in Loop: Header=BB50_418 Depth=1
	s_or_b64 exec, exec, s[10:11]
	v_cndmask_b32_e64 v11, -v17, v17, s[4:5]
.LBB50_681:                             ;   in Loop: Header=BB50_418 Depth=1
	s_andn2_saveexec_b64 s[8:9], s[40:41]
	s_cbranch_execz .LBB50_683
; %bb.682:                              ;   in Loop: Header=BB50_418 Depth=1
	s_waitcnt vmcnt(0) lgkmcnt(0)
	v_pk_mov_b32 v[10:11], s[14:15], s[14:15] op_sel:[0,1]
	flat_load_dword v10, v[10:11] glc
	s_waitcnt vmcnt(0)
	v_xor_b32_e32 v11, 0x80000000, v3
	s_waitcnt lgkmcnt(0)
	v_sub_f32_e32 v10, v10, v2
	v_add_f32_e32 v10, 0x3fc90fdb, v10
.LBB50_683:                             ;   in Loop: Header=BB50_418 Depth=1
	s_or_b64 exec, exec, s[8:9]
.LBB50_684:                             ;   in Loop: Header=BB50_418 Depth=1
	s_andn2_saveexec_b64 s[8:9], s[38:39]
	s_cbranch_execz .LBB50_686
; %bb.685:                              ;   in Loop: Header=BB50_418 Depth=1
	v_xor_b32_e32 v11, 0x80000000, v3
	s_waitcnt vmcnt(0) lgkmcnt(0)
	v_mov_b32_e32 v10, 0
.LBB50_686:                             ;   in Loop: Header=BB50_418 Depth=1
	s_or_b64 exec, exec, s[8:9]
                                        ; implicit-def: $vgpr17
                                        ; implicit-def: $vgpr13
                                        ; implicit-def: $vgpr12
.LBB50_687:                             ;   in Loop: Header=BB50_418 Depth=1
	s_andn2_saveexec_b64 s[36:37], s[36:37]
	s_cbranch_execz .LBB50_697
; %bb.688:                              ;   in Loop: Header=BB50_418 Depth=1
	v_cmp_lt_f32_e64 s[8:9], |v2|, |v3|
	v_cndmask_b32_e64 v19, |v2|, |v3|, s[8:9]
	v_cmp_nlt_f32_e32 vcc, s71, v19
                                        ; implicit-def: $vgpr11
                                        ; implicit-def: $vgpr10
	s_and_saveexec_b64 s[10:11], vcc
	s_xor_b64 s[38:39], exec, s[10:11]
	s_cbranch_execz .LBB50_694
; %bb.689:                              ;   in Loop: Header=BB50_418 Depth=1
	v_cndmask_b32_e64 v22, |v3|, |v2|, s[8:9]
	v_cmp_nlt_f32_e32 vcc, s72, v19
	v_cmp_ngt_f32_e64 s[10:11], s73, v22
	s_and_b64 s[10:11], vcc, s[10:11]
                                        ; implicit-def: $vgpr11
                                        ; implicit-def: $vgpr10
	s_and_saveexec_b64 s[40:41], s[10:11]
	s_xor_b64 s[10:11], exec, s[40:41]
	s_cbranch_execz .LBB50_691
; %bb.690:                              ;   in Loop: Header=BB50_418 Depth=1
	s_waitcnt vmcnt(0) lgkmcnt(0)
	v_mul_f32_e32 v10, v22, v22
	v_fmac_f32_e32 v10, v19, v19
	v_cmp_gt_f32_e32 vcc, s60, v10
	v_cndmask_b32_e32 v11, 1.0, v42, vcc
	v_mul_f32_e32 v10, v10, v11
	v_log_f32_e32 v10, v10
	v_cndmask_b32_e32 v11, 0, v43, vcc
	v_mul_f32_e32 v19, 0x3f317217, v10
	v_fma_f32 v22, v10, s61, -v19
	v_fmac_f32_e32 v22, 0x3377d1cf, v10
	v_add_f32_e32 v19, v19, v22
	v_cmp_lt_f32_e64 vcc, |v10|, s56
	v_cndmask_b32_e32 v10, v10, v19, vcc
	v_sub_f32_e32 v10, v10, v11
	v_mul_f32_e32 v11, 0.5, v10
	v_min_f32_e32 v10, v17, v13
	v_frexp_mant_f32_e32 v13, v12
	v_rcp_f32_e32 v13, v13
	v_frexp_exp_i32_f32_e32 v12, v12
	v_frexp_exp_i32_f32_e32 v17, v10
	v_frexp_mant_f32_e32 v10, v10
	v_mul_f32_e32 v10, v10, v13
	v_sub_u32_e32 v12, v17, v12
	v_ldexp_f32 v10, v10, v12
	v_mul_f32_e32 v12, v10, v10
	v_mov_b32_e32 v13, 0xbc7a590c
	v_fmac_f32_e32 v13, 0x3b2d2a58, v12
	v_fma_f32 v13, v12, v13, v35
	v_fma_f32 v13, v12, v13, v36
	;; [unrolled: 1-line block ×6, first 2 shown]
	v_mul_f32_e32 v12, v12, v13
	v_fmac_f32_e32 v10, v10, v12
                                        ; implicit-def: $vgpr12
                                        ; implicit-def: $vgpr17
                                        ; implicit-def: $vgpr13
.LBB50_691:                             ;   in Loop: Header=BB50_418 Depth=1
	s_andn2_saveexec_b64 s[10:11], s[10:11]
	s_cbranch_execz .LBB50_693
; %bb.692:                              ;   in Loop: Header=BB50_418 Depth=1
	s_waitcnt vmcnt(0) lgkmcnt(0)
	v_cvt_f64_f32_e32 v[10:11], v12
	v_frexp_exp_i32_f64_e32 v10, v[10:11]
	v_sub_u32_e32 v11, 0, v10
	v_ldexp_f32 v19, |v2|, v11
	v_ldexp_f32 v11, |v3|, v11
	v_mul_f32_e32 v11, v11, v11
	v_fmac_f32_e32 v11, v19, v19
	v_sqrt_f32_e32 v11, v11
	v_cmp_neq_f32_e32 vcc, s56, v12
	v_min_f32_e32 v13, v17, v13
	v_ldexp_f32 v10, v11, v10
	v_cndmask_b32_e32 v10, v41, v10, vcc
	v_cmp_gt_f32_e32 vcc, s60, v10
	v_cndmask_b32_e32 v11, 1.0, v42, vcc
	v_mul_f32_e32 v10, v10, v11
	v_log_f32_e32 v10, v10
	v_cndmask_b32_e32 v11, 0, v43, vcc
	v_mul_f32_e32 v17, 0x3f317217, v10
	v_fma_f32 v19, v10, s61, -v17
	v_fmac_f32_e32 v19, 0x3377d1cf, v10
	v_add_f32_e32 v17, v17, v19
	v_cmp_lt_f32_e64 vcc, |v10|, s56
	v_cndmask_b32_e32 v10, v10, v17, vcc
	v_sub_f32_e32 v11, v10, v11
	v_frexp_mant_f32_e32 v10, v12
	v_rcp_f32_e32 v10, v10
	v_frexp_exp_i32_f32_e32 v12, v12
	v_frexp_exp_i32_f32_e32 v17, v13
	v_frexp_mant_f32_e32 v13, v13
	v_mul_f32_e32 v10, v13, v10
	v_sub_u32_e32 v12, v17, v12
	v_ldexp_f32 v10, v10, v12
	v_mul_f32_e32 v12, v10, v10
	v_mov_b32_e32 v13, 0xbc7a590c
	v_fmac_f32_e32 v13, 0x3b2d2a58, v12
	v_fma_f32 v13, v12, v13, v35
	v_fma_f32 v13, v12, v13, v36
	v_fma_f32 v13, v12, v13, v37
	v_fma_f32 v13, v12, v13, v38
	v_fma_f32 v13, v12, v13, v39
	v_fma_f32 v13, v12, v13, v40
	v_mul_f32_e32 v12, v12, v13
	v_fmac_f32_e32 v10, v10, v12
.LBB50_693:                             ;   in Loop: Header=BB50_418 Depth=1
	s_or_b64 exec, exec, s[10:11]
                                        ; implicit-def: $vgpr17
                                        ; implicit-def: $vgpr13
                                        ; implicit-def: $vgpr12
.LBB50_694:                             ;   in Loop: Header=BB50_418 Depth=1
	s_andn2_saveexec_b64 s[38:39], s[38:39]
	s_cbranch_execz .LBB50_696
; %bb.695:                              ;   in Loop: Header=BB50_418 Depth=1
	s_waitcnt vmcnt(0) lgkmcnt(0)
	v_div_scale_f32 v10, s[10:11], s74, s74, v2
	v_rcp_f32_e32 v11, v10
	v_div_scale_f32 v19, vcc, v2, s74, v2
	v_fma_f32 v22, -v10, v11, 1.0
	v_fmac_f32_e32 v11, v22, v11
	v_mul_f32_e32 v22, v19, v11
	v_fma_f32 v23, -v10, v22, v19
	v_fmac_f32_e32 v22, v23, v11
	v_fma_f32 v10, -v10, v22, v19
	v_div_scale_f32 v19, s[10:11], s74, s74, v3
	v_rcp_f32_e32 v23, v19
	v_div_fmas_f32 v10, v10, v11, v22
	v_div_fixup_f32 v22, v10, s74, v2
	v_fma_f32 v10, -v19, v23, 1.0
	v_fmac_f32_e32 v23, v10, v23
	v_div_scale_f32 v10, vcc, v3, s74, v3
	v_mul_f32_e32 v11, v10, v23
	v_fma_f32 v24, -v19, v11, v10
	v_fmac_f32_e32 v11, v24, v23
	v_fma_f32 v10, -v19, v11, v10
	v_div_fmas_f32 v10, v10, v23, v11
	v_div_fixup_f32 v19, v10, s74, v3
	v_max_f32_e64 v23, |v22|, |v19|
	v_cvt_f64_f32_e32 v[10:11], v23
	v_frexp_exp_i32_f64_e32 v10, v[10:11]
	v_sub_u32_e32 v11, 0, v10
	v_ldexp_f32 v22, |v22|, v11
	v_ldexp_f32 v11, |v19|, v11
	v_mul_f32_e32 v11, v11, v11
	v_fmac_f32_e32 v11, v22, v22
	v_sqrt_f32_e32 v11, v11
	v_cmp_neq_f32_e32 vcc, s56, v23
	v_ldexp_f32 v10, v11, v10
	v_cndmask_b32_e32 v10, v41, v10, vcc
	v_cmp_gt_f32_e32 vcc, s60, v10
	v_cndmask_b32_e32 v11, 1.0, v42, vcc
	v_mul_f32_e32 v10, v10, v11
	v_log_f32_e32 v10, v10
	v_mul_f32_e32 v11, 0x3f317217, v10
	v_fma_f32 v19, v10, s61, -v11
	v_fmac_f32_e32 v19, 0x3377d1cf, v10
	v_add_f32_e32 v11, v11, v19
	v_cmp_lt_f32_e64 s[10:11], |v10|, s56
	v_cndmask_b32_e64 v10, v10, v11, s[10:11]
	v_cndmask_b32_e32 v11, 0, v43, vcc
	v_sub_f32_e32 v10, v10, v11
	v_add_f32_e32 v11, 1.0, v10
	v_min_f32_e32 v10, v17, v13
	v_frexp_mant_f32_e32 v13, v12
	v_rcp_f32_e32 v13, v13
	v_frexp_exp_i32_f32_e32 v12, v12
	v_frexp_exp_i32_f32_e32 v17, v10
	v_frexp_mant_f32_e32 v10, v10
	v_mul_f32_e32 v10, v10, v13
	v_sub_u32_e32 v12, v17, v12
	v_ldexp_f32 v10, v10, v12
	v_mul_f32_e32 v12, v10, v10
	v_mov_b32_e32 v13, 0xbc7a590c
	v_fmac_f32_e32 v13, 0x3b2d2a58, v12
	v_fma_f32 v13, v12, v13, v35
	v_fma_f32 v13, v12, v13, v36
	;; [unrolled: 1-line block ×6, first 2 shown]
	v_mul_f32_e32 v12, v12, v13
	v_fmac_f32_e32 v10, v10, v12
.LBB50_696:                             ;   in Loop: Header=BB50_418 Depth=1
	s_or_b64 exec, exec, s[38:39]
	s_waitcnt vmcnt(0) lgkmcnt(0)
	v_sub_f32_e32 v12, 0x3fc90fdb, v10
	v_cndmask_b32_e64 v10, v10, v12, s[8:9]
	v_sub_f32_e32 v12, 0x40490fdb, v10
	v_cmp_gt_f32_e32 vcc, 0, v2
	v_cndmask_b32_e32 v10, v10, v12, vcc
	v_cndmask_b32_e64 v12, 0, v47, s[6:7]
	v_cmp_eq_f32_e64 s[6:7], 0, v3
	v_cndmask_b32_e64 v10, v10, v12, s[6:7]
	v_cmp_class_f32_e64 s[6:7], v2, s70
	v_cmp_class_f32_e64 s[8:9], v3, s70
	v_cndmask_b32_e32 v12, v46, v48, vcc
	s_and_b64 vcc, s[6:7], s[8:9]
	v_cndmask_b32_e32 v10, v10, v12, vcc
	v_cmp_o_f32_e32 vcc, v2, v3
	v_add_f32_e32 v11, 0x3f317218, v11
	v_cndmask_b32_e64 v10, v44, |v10|, vcc
	v_cndmask_b32_e64 v11, -v11, v11, s[4:5]
.LBB50_697:                             ;   in Loop: Header=BB50_418 Depth=1
	s_or_b64 exec, exec, s[36:37]
.LBB50_698:                             ;   in Loop: Header=BB50_418 Depth=1
	s_andn2_saveexec_b64 s[4:5], s[34:35]
	s_cbranch_execz .LBB50_712
; %bb.699:                              ;   in Loop: Header=BB50_418 Depth=1
	v_cmp_neq_f32_e64 s[6:7], |v2|, s56
                                        ; implicit-def: $vgpr11
	s_and_saveexec_b64 s[8:9], s[6:7]
	s_xor_b64 s[6:7], exec, s[8:9]
	s_cbranch_execz .LBB50_709
; %bb.700:                              ;   in Loop: Header=BB50_418 Depth=1
	v_cmp_neq_f32_e64 s[8:9], |v3|, s56
                                        ; implicit-def: $vgpr11
	s_and_saveexec_b64 s[10:11], s[8:9]
	s_xor_b64 s[8:9], exec, s[10:11]
	s_cbranch_execz .LBB50_706
; %bb.701:                              ;   in Loop: Header=BB50_418 Depth=1
	v_cmp_neq_f32_e32 vcc, 0, v2
                                        ; implicit-def: $vgpr11
	s_and_saveexec_b64 s[10:11], vcc
	s_xor_b64 s[10:11], exec, s[10:11]
	s_cbranch_execz .LBB50_703
; %bb.702:                              ;   in Loop: Header=BB50_418 Depth=1
	s_waitcnt vmcnt(0) lgkmcnt(0)
	v_add_f32_e32 v10, 0, v3
	v_add_f32_e32 v11, v2, v10
.LBB50_703:                             ;   in Loop: Header=BB50_418 Depth=1
	s_or_saveexec_b64 s[10:11], s[10:11]
	s_waitcnt vmcnt(0) lgkmcnt(0)
	v_mov_b32_e32 v10, v11
	s_xor_b64 exec, exec, s[10:11]
	s_cbranch_execz .LBB50_705
; %bb.704:                              ;   in Loop: Header=BB50_418 Depth=1
	v_pk_mov_b32 v[10:11], s[14:15], s[14:15] op_sel:[0,1]
	flat_load_dword v10, v[10:11] glc
	s_waitcnt vmcnt(0)
	v_add_f32_e32 v11, v3, v3
	s_waitcnt lgkmcnt(0)
	v_add_f32_e32 v10, 0x3fc90fdb, v10
.LBB50_705:                             ;   in Loop: Header=BB50_418 Depth=1
	s_or_b64 exec, exec, s[10:11]
.LBB50_706:                             ;   in Loop: Header=BB50_418 Depth=1
	s_andn2_saveexec_b64 s[8:9], s[8:9]
	s_cbranch_execz .LBB50_708
; %bb.707:                              ;   in Loop: Header=BB50_418 Depth=1
	s_waitcnt vmcnt(0) lgkmcnt(0)
	v_add_f32_e32 v10, v2, v2
	v_xor_b32_e32 v11, 0x80000000, v3
.LBB50_708:                             ;   in Loop: Header=BB50_418 Depth=1
	s_or_b64 exec, exec, s[8:9]
.LBB50_709:                             ;   in Loop: Header=BB50_418 Depth=1
	s_andn2_saveexec_b64 s[6:7], s[6:7]
	s_cbranch_execz .LBB50_711
; %bb.710:                              ;   in Loop: Header=BB50_418 Depth=1
	s_waitcnt vmcnt(0) lgkmcnt(0)
	v_add_f32_e32 v10, v3, v3
	v_mov_b32_e32 v11, 0xff800000
.LBB50_711:                             ;   in Loop: Header=BB50_418 Depth=1
	s_or_b64 exec, exec, s[6:7]
.LBB50_712:                             ;   in Loop: Header=BB50_418 Depth=1
	s_or_b64 exec, exec, s[4:5]
	v_cmp_o_f32_e32 vcc, v4, v4
	v_cmp_o_f32_e64 s[4:5], v5, v5
	v_pk_mov_b32 v[2:3], s[14:15], s[14:15] op_sel:[0,1]
	s_and_b64 s[4:5], vcc, s[4:5]
	flat_store_dword v[2:3], v27
	s_waitcnt vmcnt(0)
	s_and_saveexec_b64 s[6:7], s[4:5]
	s_xor_b64 s[34:35], exec, s[6:7]
	s_cbranch_execz .LBB50_796
; %bb.713:                              ;   in Loop: Header=BB50_418 Depth=1
	v_max_f32_e64 v2, |v5|, |v5|
	v_max_f32_e64 v17, |v4|, |v4|
	v_max_f32_e32 v3, v17, v2
	v_cmp_gt_i32_e64 s[6:7], 0, v4
	v_cmp_lt_i32_e64 s[8:9], -1, v4
	v_cmp_gt_i32_e64 s[4:5], 0, v5
	v_cmp_nlt_f32_e32 vcc, s23, v3
	s_and_saveexec_b64 s[10:11], vcc
	s_xor_b64 s[36:37], exec, s[10:11]
	s_cbranch_execz .LBB50_785
; %bb.714:                              ;   in Loop: Header=BB50_418 Depth=1
	v_cmp_neq_f32_e32 vcc, 1.0, v4
	v_cmp_neq_f32_e64 s[10:11], 0, v5
	s_or_b64 s[10:11], vcc, s[10:11]
	s_and_saveexec_b64 s[38:39], s[10:11]
	s_xor_b64 s[38:39], exec, s[38:39]
	s_cbranch_execz .LBB50_782
; %bb.715:                              ;   in Loop: Header=BB50_418 Depth=1
	v_pk_mov_b32 v[12:13], s[16:17], s[16:17] op_sel:[0,1]
	flat_store_dword v[12:13], v28
	s_waitcnt vmcnt(0)
	flat_load_dword v3, v[12:13] glc
	s_waitcnt vmcnt(0)
	v_pk_mov_b32 v[12:13], s[18:19], s[18:19] op_sel:[0,1]
	v_cmp_nlt_f32_e64 s[10:11], |v4|, s29
	v_cmp_nlt_f32_e64 s[40:41], |v5|, s29
	s_or_b64 s[10:11], s[10:11], s[40:41]
	s_waitcnt lgkmcnt(0)
	v_add_f32_e32 v3, 1.0, v3
	flat_store_dword v[12:13], v3
	s_waitcnt vmcnt(0)
	flat_load_dword v3, v[12:13] glc
	s_waitcnt vmcnt(0)
	s_and_saveexec_b64 s[40:41], s[10:11]
	s_xor_b64 s[40:41], exec, s[40:41]
	s_cbranch_execz .LBB50_779
; %bb.716:                              ;   in Loop: Header=BB50_418 Depth=1
	v_and_b32_e32 v22, 0x7fffffff, v4
	v_pk_add_f32 v[12:13], v[22:23], s[26:27] op_sel_hi:[0,1]
	v_max_f32_e64 v19, v2, |v12|
	v_max_f32_e64 v17, v2, |v13|
	s_waitcnt lgkmcnt(0)
	v_cvt_f64_f32_e32 v[2:3], v19
	v_frexp_exp_i32_f64_e32 v23, v[2:3]
	v_sub_u32_e32 v2, 0, v23
	v_ldexp_f32 v3, |v5|, v2
	v_ldexp_f32 v2, |v12|, v2
	v_mul_f32_e32 v2, v2, v2
	v_fmac_f32_e32 v2, v3, v3
	v_sqrt_f32_e32 v24, v2
	v_cvt_f64_f32_e32 v[2:3], v17
	v_frexp_exp_i32_f64_e32 v2, v[2:3]
	v_sub_u32_e32 v3, 0, v2
	v_ldexp_f32 v25, |v5|, v3
	v_ldexp_f32 v3, |v13|, v3
	v_mul_f32_e32 v3, v3, v3
	v_fmac_f32_e32 v3, v25, v25
	v_sqrt_f32_e32 v3, v3
	v_cmp_neq_f32_e32 vcc, s56, v17
	v_ldexp_f32 v24, v24, v23
                                        ; implicit-def: $vgpr17
	v_ldexp_f32 v2, v3, v2
	v_cndmask_b32_e32 v23, v41, v2, vcc
	v_cmp_neq_f32_e32 vcc, s56, v19
	v_cndmask_b32_e32 v49, v41, v24, vcc
	v_add_f32_e32 v2, v49, v23
	v_mul_f32_e32 v2, 0.5, v2
	v_cmp_ngt_f32_e32 vcc, 1.0, v2
	v_cndmask_b32_e32 v2, 1.0, v2, vcc
	v_cmp_ngt_f32_e32 vcc, s57, v2
	s_and_saveexec_b64 s[10:11], vcc
	s_xor_b64 s[42:43], exec, s[10:11]
	s_cbranch_execz .LBB50_718
; %bb.717:                              ;   in Loop: Header=BB50_418 Depth=1
	v_fma_f32 v3, v2, v2, -1.0
	v_mul_f32_e32 v17, 0x4f800000, v3
	v_cmp_gt_f32_e32 vcc, s58, v3
	v_cndmask_b32_e32 v3, v3, v17, vcc
	v_sqrt_f32_e32 v17, v3
	v_add_u32_e32 v19, -1, v17
	v_fma_f32 v25, -v19, v17, v3
	v_add_u32_e32 v24, 1, v17
	v_cmp_ge_f32_e64 s[10:11], 0, v25
	v_cndmask_b32_e64 v19, v17, v19, s[10:11]
	v_fma_f32 v17, -v24, v17, v3
	v_cmp_lt_f32_e64 s[10:11], 0, v17
	v_cndmask_b32_e64 v17, v19, v24, s[10:11]
	v_mul_f32_e32 v19, 0x37800000, v17
	v_cndmask_b32_e32 v17, v17, v19, vcc
	v_cmp_class_f32_e32 vcc, v3, v29
	v_cndmask_b32_e32 v3, v17, v3, vcc
	v_add_f32_e32 v3, v2, v3
	v_cmp_gt_f32_e32 vcc, s60, v3
	v_cndmask_b32_e32 v17, 1.0, v42, vcc
	v_mul_f32_e32 v3, v3, v17
	v_log_f32_e32 v3, v3
	v_mul_f32_e32 v17, 0x3f317217, v3
	v_fma_f32 v19, v3, s61, -v17
	v_fmac_f32_e32 v19, 0x3377d1cf, v3
	v_add_f32_e32 v17, v17, v19
	v_cmp_lt_f32_e64 s[10:11], |v3|, s56
	v_cndmask_b32_e64 v3, v3, v17, s[10:11]
	v_cndmask_b32_e32 v17, 0, v43, vcc
	v_sub_f32_e32 v17, v3, v17
.LBB50_718:                             ;   in Loop: Header=BB50_418 Depth=1
	s_or_saveexec_b64 s[42:43], s[42:43]
	v_and_b32_e32 v25, 0x7fffffff, v5
	v_and_b32_e32 v50, 0x7fffffff, v13
	s_xor_b64 exec, exec, s[42:43]
	s_cbranch_execz .LBB50_740
; %bb.719:                              ;   in Loop: Header=BB50_418 Depth=1
	v_cmp_neq_f32_e64 s[10:11], |v4|, 1.0
	v_cmp_nlt_f32_e64 s[44:45], |v5|, s62
	s_or_b64 s[10:11], s[10:11], s[44:45]
                                        ; implicit-def: $vgpr17
	s_and_saveexec_b64 s[44:45], s[10:11]
	s_xor_b64 s[44:45], exec, s[44:45]
	s_cbranch_execz .LBB50_737
; %bb.720:                              ;   in Loop: Header=BB50_418 Depth=1
	v_mul_f32_e32 v3, 0x34000000, v50
	v_cmp_le_f32_e64 s[10:11], v3, |v5|
                                        ; implicit-def: $vgpr17
	s_and_saveexec_b64 s[46:47], s[10:11]
	s_xor_b64 s[46:47], exec, s[46:47]
	s_cbranch_execz .LBB50_730
; %bb.721:                              ;   in Loop: Header=BB50_418 Depth=1
	v_cmp_neq_f32_e32 vcc, 0, v12
	v_mov_b32_e32 v3, v25
	s_and_saveexec_b64 s[10:11], vcc
	s_cbranch_execz .LBB50_723
; %bb.722:                              ;   in Loop: Header=BB50_418 Depth=1
	v_mul_f32_e32 v3, v5, v5
	v_add_f32_e32 v17, v12, v49
	v_div_scale_f32 v19, s[48:49], v17, v17, v3
	v_rcp_f32_e32 v24, v19
	v_fma_f32 v51, -v19, v24, 1.0
	v_fmac_f32_e32 v24, v51, v24
	v_div_scale_f32 v51, vcc, v3, v17, v3
	v_mul_f32_e32 v52, v51, v24
	v_fma_f32 v53, -v19, v52, v51
	v_fmac_f32_e32 v52, v53, v24
	v_fma_f32 v19, -v19, v52, v51
	v_div_fmas_f32 v19, v19, v24, v52
	v_div_fixup_f32 v3, v19, v17, v3
.LBB50_723:                             ;   in Loop: Header=BB50_418 Depth=1
	s_or_b64 exec, exec, s[10:11]
	v_sub_f32_e64 v19, 1.0, |v4|
	v_cmp_ngt_f32_e32 vcc, 0, v19
                                        ; implicit-def: $vgpr17
	s_and_saveexec_b64 s[10:11], vcc
	s_xor_b64 s[10:11], exec, s[10:11]
	s_cbranch_execz .LBB50_727
; %bb.724:                              ;   in Loop: Header=BB50_418 Depth=1
	v_cmp_neq_f32_e32 vcc, 0, v19
	v_mov_b32_e32 v17, v25
	s_and_saveexec_b64 s[48:49], vcc
	s_cbranch_execz .LBB50_726
; %bb.725:                              ;   in Loop: Header=BB50_418 Depth=1
	v_mul_f32_e32 v17, v5, v5
	v_add_f32_e32 v19, v19, v23
	v_div_scale_f32 v24, s[50:51], v19, v19, v17
	v_rcp_f32_e32 v51, v24
	v_fma_f32 v52, -v24, v51, 1.0
	v_fmac_f32_e32 v51, v52, v51
	v_div_scale_f32 v52, vcc, v17, v19, v17
	v_mul_f32_e32 v53, v52, v51
	v_fma_f32 v54, -v24, v53, v52
	v_fmac_f32_e32 v53, v54, v51
	v_fma_f32 v24, -v24, v53, v52
	v_div_fmas_f32 v24, v24, v51, v53
	v_div_fixup_f32 v17, v24, v19, v17
.LBB50_726:                             ;   in Loop: Header=BB50_418 Depth=1
	s_or_b64 exec, exec, s[48:49]
                                        ; implicit-def: $vgpr19
.LBB50_727:                             ;   in Loop: Header=BB50_418 Depth=1
	s_andn2_saveexec_b64 s[10:11], s[10:11]
; %bb.728:                              ;   in Loop: Header=BB50_418 Depth=1
	v_sub_f32_e32 v17, v23, v19
; %bb.729:                              ;   in Loop: Header=BB50_418 Depth=1
	s_or_b64 exec, exec, s[10:11]
	v_mul_f32_e32 v3, 0.5, v3
	v_mul_f32_e32 v17, 0.5, v17
	v_pk_add_f32 v[52:53], v[2:3], v[16:17]
	v_mul_f32_e32 v3, v52, v53
	v_mul_f32_e32 v17, 0x4f800000, v3
	v_cmp_gt_f32_e32 vcc, s58, v3
	v_cndmask_b32_e32 v3, v3, v17, vcc
	v_sqrt_f32_e32 v17, v3
	v_add_u32_e32 v19, -1, v17
	v_fma_f32 v24, -v19, v17, v3
	v_cmp_ge_f32_e64 s[10:11], 0, v24
	v_add_u32_e32 v24, 1, v17
	v_cndmask_b32_e64 v19, v17, v19, s[10:11]
	v_fma_f32 v17, -v24, v17, v3
	v_cmp_lt_f32_e64 s[10:11], 0, v17
	v_cndmask_b32_e64 v17, v19, v24, s[10:11]
	v_mul_f32_e32 v19, 0x37800000, v17
	v_cndmask_b32_e32 v17, v17, v19, vcc
	v_cmp_class_f32_e32 vcc, v3, v29
	v_cndmask_b32_e32 v3, v17, v3, vcc
	v_add_f32_e32 v52, v53, v3
	v_add_f32_e32 v55, 1.0, v52
	v_add_f32_e32 v53, -1.0, v55
	v_mov_b32_e32 v54, v53
	v_pk_add_f32 v[56:57], v[52:53], v[54:55] neg_lo:[0,1] neg_hi:[0,1]
	v_add_f32_e32 v3, 1.0, v57
	v_add_f32_e32 v3, v56, v3
	v_frexp_mant_f32_e32 v17, v55
	v_cvt_f64_f32_e32 v[56:57], v55
	v_frexp_exp_i32_f64_e32 v19, v[56:57]
	v_cmp_gt_f32_e32 vcc, s63, v17
	v_subbrev_co_u32_e32 v17, vcc, 0, v19, vcc
	v_sub_u32_e32 v19, 0, v17
	v_ldexp_f32 v24, v55, v19
	v_ldexp_f32 v3, v3, v19
	v_add_f32_e32 v19, -1.0, v24
	v_add_f32_e32 v53, 1.0, v24
	v_add_f32_e32 v51, 1.0, v19
	v_add_f32_e32 v54, -1.0, v53
	v_sub_f32_e32 v51, v24, v51
	v_sub_f32_e32 v24, v24, v54
	v_add_f32_e32 v51, v3, v51
	v_add_f32_e32 v3, v3, v24
	;; [unrolled: 1-line block ×3, first 2 shown]
	v_sub_f32_e32 v53, v24, v53
	v_sub_f32_e32 v3, v3, v53
	v_rcp_f32_e32 v53, v24
	v_add_f32_e32 v55, v19, v51
	v_sub_f32_e32 v19, v55, v19
	v_sub_f32_e32 v19, v51, v19
	v_mul_f32_e32 v51, v55, v53
	v_mul_f32_e32 v56, v24, v51
	v_fma_f32 v58, v51, v24, -v56
	v_fmac_f32_e32 v58, v51, v3
	v_add_f32_e32 v54, v56, v58
	v_sub_f32_e32 v57, v55, v54
	v_pk_add_f32 v[60:61], v[54:55], v[56:57] neg_lo:[0,1] neg_hi:[0,1]
	v_mov_b32_e32 v59, v54
	v_pk_add_f32 v[54:55], v[60:61], v[58:59] neg_lo:[0,1] neg_hi:[0,1]
	v_add_f32_e32 v19, v19, v55
	v_add_f32_e32 v19, v54, v19
	;; [unrolled: 1-line block ×3, first 2 shown]
	v_mul_f32_e32 v62, v53, v55
	v_mul_f32_e32 v56, v24, v62
	v_fma_f32 v58, v62, v24, -v56
	v_fmac_f32_e32 v58, v62, v3
	v_add_f32_e32 v54, v56, v58
	v_sub_f32_e32 v3, v57, v55
	v_sub_f32_e32 v57, v55, v54
	v_pk_add_f32 v[60:61], v[54:55], v[56:57] neg_lo:[0,1] neg_hi:[0,1]
	v_mov_b32_e32 v59, v54
	v_add_f32_e32 v3, v19, v3
	v_pk_add_f32 v[54:55], v[60:61], v[58:59] neg_lo:[0,1] neg_hi:[0,1]
	v_add_f32_e32 v3, v3, v55
	v_add_f32_e32 v3, v54, v3
	;; [unrolled: 1-line block ×4, first 2 shown]
	v_sub_f32_e32 v19, v24, v51
	v_mul_f32_e32 v3, v53, v3
	v_sub_f32_e32 v19, v62, v19
	v_add_f32_e32 v3, v19, v3
	v_add_f32_e32 v51, v24, v3
	v_cvt_f32_i32_e32 v54, v17
	v_mul_f32_e32 v53, v51, v51
	v_mov_b32_e32 v19, 0x3ecc95a3
	v_fmac_f32_e32 v19, 0x3e9b6dac, v53
	v_fma_f32 v19, v53, v19, v30
	v_mul_f32_e32 v55, v51, v53
	v_pk_mul_f32 v[58:59], v[54:55], v[18:19]
	v_fma_f32 v56, v54, s64, -v58
	v_ldexp_f32 v57, v51, 1
	v_fmac_f32_e32 v56, 0xb102e308, v54
	v_sub_f32_e32 v17, v51, v24
	v_pk_add_f32 v[54:55], v[58:59], v[56:57]
	v_sub_f32_e32 v3, v3, v17
	v_sub_f32_e32 v17, v55, v57
	v_ldexp_f32 v3, v3, 1
	v_sub_f32_e32 v17, v59, v17
	v_add_f32_e32 v61, v3, v17
	v_mov_b32_e32 v60, v58
	v_pk_add_f32 v[58:59], v[54:55], v[58:59] neg_lo:[0,1] neg_hi:[0,1]
	v_pk_add_f32 v[62:63], v[54:55], v[60:61]
	v_mov_b32_e32 v59, v63
	v_mov_b32_e32 v57, v54
	v_pk_add_f32 v[64:65], v[56:57], v[58:59] neg_lo:[0,1] neg_hi:[0,1]
	v_pk_add_f32 v[56:57], v[56:57], v[58:59]
	v_mov_b32_e32 v24, v57
	v_pk_add_f32 v[58:59], v[24:25], v[54:55] neg_lo:[0,1] neg_hi:[0,1]
	v_mov_b32_e32 v3, v58
	v_pk_add_f32 v[66:67], v[62:63], v[2:3] neg_lo:[0,1] neg_hi:[0,1]
	v_mov_b32_e32 v56, v63
	v_mov_b32_e32 v62, v55
	;; [unrolled: 1-line block ×4, first 2 shown]
	v_pk_add_f32 v[56:57], v[56:57], v[62:63] neg_lo:[0,1] neg_hi:[0,1]
	v_mov_b32_e32 v58, v61
	v_mov_b32_e32 v59, v54
	v_pk_add_f32 v[54:55], v[58:59], v[56:57] neg_lo:[0,1] neg_hi:[0,1]
	v_mov_b32_e32 v66, v64
	v_pk_add_f32 v[56:57], v[66:67], v[54:55]
	v_mov_b32_e32 v58, v57
	v_pk_add_f32 v[58:59], v[56:57], v[58:59]
	v_pk_add_f32 v[60:61], v[24:25], v[58:59]
	v_mov_b32_e32 v57, v60
	v_pk_add_f32 v[62:63], v[56:57], v[64:65] neg_lo:[0,1] neg_hi:[0,1]
	v_mov_b32_e32 v55, v58
	v_sub_f32_e32 v3, v56, v62
	v_pk_add_f32 v[54:55], v[54:55], v[62:63] neg_lo:[0,1] neg_hi:[0,1]
	v_sub_f32_e32 v3, v64, v3
	v_add_f32_e32 v3, v54, v3
	v_add_f32_e32 v3, v3, v55
	;; [unrolled: 1-line block ×3, first 2 shown]
	v_cmp_eq_f32_e32 vcc, s56, v52
	v_cndmask_b32_e32 v3, v3, v52, vcc
	v_cmp_ngt_f32_e32 vcc, -1.0, v52
	v_cndmask_b32_e32 v3, v44, v3, vcc
	v_cmp_neq_f32_e32 vcc, -1.0, v52
	v_cndmask_b32_e32 v3, v45, v3, vcc
	v_cmp_lt_f32_e64 vcc, |v52|, s65
	v_cndmask_b32_e32 v17, v3, v52, vcc
.LBB50_730:                             ;   in Loop: Header=BB50_418 Depth=1
	s_andn2_saveexec_b64 s[46:47], s[46:47]
	s_cbranch_execz .LBB50_736
; %bb.731:                              ;   in Loop: Header=BB50_418 Depth=1
	v_cmp_nlt_f32_e64 s[10:11], |v4|, 1.0
                                        ; implicit-def: $vgpr17
	s_and_saveexec_b64 s[48:49], s[10:11]
	s_xor_b64 s[48:49], exec, s[48:49]
	s_cbranch_execz .LBB50_733
; %bb.732:                              ;   in Loop: Header=BB50_418 Depth=1
	v_mul_f32_e32 v3, v13, v12
	v_mul_f32_e32 v17, 0x4f800000, v3
	v_cmp_gt_f32_e32 vcc, s58, v3
	v_cndmask_b32_e32 v3, v3, v17, vcc
	v_sqrt_f32_e32 v17, v3
	v_add_u32_e32 v19, -1, v17
	v_fma_f32 v51, -v19, v17, v3
	v_add_u32_e32 v24, 1, v17
	v_cmp_ge_f32_e64 s[10:11], 0, v51
	v_cndmask_b32_e64 v19, v17, v19, s[10:11]
	v_fma_f32 v17, -v24, v17, v3
	v_cmp_lt_f32_e64 s[10:11], 0, v17
	v_cndmask_b32_e64 v17, v19, v24, s[10:11]
	v_mul_f32_e32 v19, 0x37800000, v17
	v_cndmask_b32_e32 v17, v17, v19, vcc
	v_cmp_class_f32_e32 vcc, v3, v29
	v_cndmask_b32_e32 v3, v17, v3, vcc
	v_add_f32_e32 v52, v13, v3
	v_add_f32_e32 v55, 1.0, v52
	v_add_f32_e32 v53, -1.0, v55
	v_mov_b32_e32 v54, v53
	v_pk_add_f32 v[56:57], v[52:53], v[54:55] neg_lo:[0,1] neg_hi:[0,1]
	v_add_f32_e32 v3, 1.0, v57
	v_add_f32_e32 v3, v56, v3
	v_frexp_mant_f32_e32 v17, v55
	v_cvt_f64_f32_e32 v[56:57], v55
	v_frexp_exp_i32_f64_e32 v19, v[56:57]
	v_cmp_gt_f32_e32 vcc, s63, v17
	v_subbrev_co_u32_e32 v17, vcc, 0, v19, vcc
	v_sub_u32_e32 v19, 0, v17
	v_ldexp_f32 v24, v55, v19
	v_ldexp_f32 v3, v3, v19
	v_add_f32_e32 v19, -1.0, v24
	v_add_f32_e32 v53, 1.0, v24
	v_add_f32_e32 v51, 1.0, v19
	v_add_f32_e32 v54, -1.0, v53
	v_sub_f32_e32 v51, v24, v51
	v_sub_f32_e32 v24, v24, v54
	v_add_f32_e32 v51, v3, v51
	v_add_f32_e32 v3, v3, v24
	;; [unrolled: 1-line block ×3, first 2 shown]
	v_sub_f32_e32 v53, v24, v53
	v_sub_f32_e32 v3, v3, v53
	v_rcp_f32_e32 v53, v24
	v_add_f32_e32 v55, v19, v51
	v_sub_f32_e32 v19, v55, v19
	v_sub_f32_e32 v19, v51, v19
	v_mul_f32_e32 v51, v55, v53
	v_mul_f32_e32 v56, v24, v51
	v_fma_f32 v58, v51, v24, -v56
	v_fmac_f32_e32 v58, v51, v3
	v_add_f32_e32 v54, v56, v58
	v_sub_f32_e32 v57, v55, v54
	v_pk_add_f32 v[60:61], v[54:55], v[56:57] neg_lo:[0,1] neg_hi:[0,1]
	v_mov_b32_e32 v59, v54
	v_pk_add_f32 v[54:55], v[60:61], v[58:59] neg_lo:[0,1] neg_hi:[0,1]
	v_add_f32_e32 v19, v19, v55
	v_add_f32_e32 v19, v54, v19
	;; [unrolled: 1-line block ×3, first 2 shown]
	v_mul_f32_e32 v62, v53, v55
	v_mul_f32_e32 v56, v24, v62
	v_fma_f32 v58, v62, v24, -v56
	v_fmac_f32_e32 v58, v62, v3
	v_add_f32_e32 v54, v56, v58
	v_sub_f32_e32 v3, v57, v55
	v_sub_f32_e32 v57, v55, v54
	v_pk_add_f32 v[60:61], v[54:55], v[56:57] neg_lo:[0,1] neg_hi:[0,1]
	v_mov_b32_e32 v59, v54
	v_add_f32_e32 v3, v19, v3
	v_pk_add_f32 v[54:55], v[60:61], v[58:59] neg_lo:[0,1] neg_hi:[0,1]
	v_add_f32_e32 v3, v3, v55
	v_add_f32_e32 v3, v54, v3
	;; [unrolled: 1-line block ×4, first 2 shown]
	v_sub_f32_e32 v19, v24, v51
	v_mul_f32_e32 v3, v53, v3
	v_sub_f32_e32 v19, v62, v19
	v_add_f32_e32 v3, v19, v3
	v_add_f32_e32 v51, v24, v3
	v_cvt_f32_i32_e32 v54, v17
	v_mul_f32_e32 v53, v51, v51
	v_mov_b32_e32 v19, 0x3ecc95a3
	v_fmac_f32_e32 v19, 0x3e9b6dac, v53
	v_fma_f32 v19, v53, v19, v30
	v_mul_f32_e32 v55, v51, v53
	v_pk_mul_f32 v[58:59], v[54:55], v[18:19]
	v_fma_f32 v56, v54, s64, -v58
	v_ldexp_f32 v57, v51, 1
	v_fmac_f32_e32 v56, 0xb102e308, v54
	v_sub_f32_e32 v17, v51, v24
	v_pk_add_f32 v[54:55], v[58:59], v[56:57]
	v_sub_f32_e32 v3, v3, v17
	v_sub_f32_e32 v17, v55, v57
	v_ldexp_f32 v3, v3, 1
	v_sub_f32_e32 v17, v59, v17
	v_add_f32_e32 v61, v3, v17
	v_mov_b32_e32 v60, v58
	v_pk_add_f32 v[58:59], v[54:55], v[58:59] neg_lo:[0,1] neg_hi:[0,1]
	v_pk_add_f32 v[62:63], v[54:55], v[60:61]
	v_mov_b32_e32 v59, v63
	v_mov_b32_e32 v57, v54
	v_pk_add_f32 v[64:65], v[56:57], v[58:59] neg_lo:[0,1] neg_hi:[0,1]
	v_pk_add_f32 v[56:57], v[56:57], v[58:59]
	v_mov_b32_e32 v24, v57
	v_pk_add_f32 v[58:59], v[24:25], v[54:55] neg_lo:[0,1] neg_hi:[0,1]
	v_mov_b32_e32 v3, v58
	v_pk_add_f32 v[66:67], v[62:63], v[2:3] neg_lo:[0,1] neg_hi:[0,1]
	v_mov_b32_e32 v56, v63
	v_mov_b32_e32 v62, v55
	;; [unrolled: 1-line block ×4, first 2 shown]
	v_pk_add_f32 v[56:57], v[56:57], v[62:63] neg_lo:[0,1] neg_hi:[0,1]
	v_mov_b32_e32 v58, v61
	v_mov_b32_e32 v59, v54
	v_pk_add_f32 v[54:55], v[58:59], v[56:57] neg_lo:[0,1] neg_hi:[0,1]
	v_mov_b32_e32 v66, v64
	v_pk_add_f32 v[56:57], v[66:67], v[54:55]
	v_mov_b32_e32 v58, v57
	v_pk_add_f32 v[58:59], v[56:57], v[58:59]
	v_pk_add_f32 v[60:61], v[24:25], v[58:59]
	v_mov_b32_e32 v57, v60
	v_pk_add_f32 v[62:63], v[56:57], v[64:65] neg_lo:[0,1] neg_hi:[0,1]
	v_mov_b32_e32 v55, v58
	v_sub_f32_e32 v3, v56, v62
	v_pk_add_f32 v[54:55], v[54:55], v[62:63] neg_lo:[0,1] neg_hi:[0,1]
	v_sub_f32_e32 v3, v64, v3
	v_add_f32_e32 v3, v54, v3
	v_add_f32_e32 v3, v3, v55
	;; [unrolled: 1-line block ×3, first 2 shown]
	v_cmp_eq_f32_e32 vcc, s56, v52
	v_cndmask_b32_e32 v3, v3, v52, vcc
	v_cmp_ngt_f32_e32 vcc, -1.0, v52
	v_cndmask_b32_e32 v3, v44, v3, vcc
	v_cmp_neq_f32_e32 vcc, -1.0, v52
	v_cndmask_b32_e32 v3, v45, v3, vcc
	v_cmp_lt_f32_e64 vcc, |v52|, s65
	v_cndmask_b32_e32 v17, v3, v52, vcc
.LBB50_733:                             ;   in Loop: Header=BB50_418 Depth=1
	s_andn2_saveexec_b64 s[48:49], s[48:49]
	s_cbranch_execz .LBB50_735
; %bb.734:                              ;   in Loop: Header=BB50_418 Depth=1
	v_sub_f32_e64 v3, 1.0, |v4|
	v_mul_f32_e32 v3, v3, v12
	v_mul_f32_e32 v17, 0x4f800000, v3
	v_cmp_gt_f32_e32 vcc, s58, v3
	v_cndmask_b32_e32 v3, v3, v17, vcc
	v_sqrt_f32_e32 v17, v3
	v_add_u32_e32 v19, -1, v17
	v_fma_f32 v51, -v19, v17, v3
	v_add_u32_e32 v24, 1, v17
	v_cmp_ge_f32_e64 s[10:11], 0, v51
	v_cndmask_b32_e64 v19, v17, v19, s[10:11]
	v_fma_f32 v17, -v24, v17, v3
	v_cmp_lt_f32_e64 s[10:11], 0, v17
	v_cndmask_b32_e64 v17, v19, v24, s[10:11]
	v_mul_f32_e32 v19, 0x37800000, v17
	v_cndmask_b32_e32 v17, v17, v19, vcc
	v_cmp_class_f32_e32 vcc, v3, v29
	v_cndmask_b32_e32 v3, v17, v3, vcc
	v_and_b32_e32 v17, 0x7fffffff, v5
	v_div_scale_f32 v19, s[10:11], v3, v3, v17
	v_rcp_f32_e32 v24, v19
	v_div_scale_f32 v17, vcc, v17, v3, v17
	v_fma_f32 v51, -v19, v24, 1.0
	v_fmac_f32_e32 v24, v51, v24
	v_mul_f32_e32 v51, v17, v24
	v_fma_f32 v52, -v19, v51, v17
	v_fmac_f32_e32 v51, v52, v24
	v_fma_f32 v17, -v19, v51, v17
	v_div_fmas_f32 v17, v17, v24, v51
	v_div_fixup_f32 v17, v17, v3, |v5|
.LBB50_735:                             ;   in Loop: Header=BB50_418 Depth=1
	s_or_b64 exec, exec, s[48:49]
.LBB50_736:                             ;   in Loop: Header=BB50_418 Depth=1
	s_or_b64 exec, exec, s[46:47]
.LBB50_737:                             ;   in Loop: Header=BB50_418 Depth=1
	s_andn2_saveexec_b64 s[44:45], s[44:45]
	s_cbranch_execz .LBB50_739
; %bb.738:                              ;   in Loop: Header=BB50_418 Depth=1
	v_mul_f32_e64 v3, |v5|, s59
	v_cmp_lt_f32_e64 vcc, |v5|, s58
	v_cndmask_b32_e64 v3, |v5|, v3, vcc
	v_sqrt_f32_e32 v17, v3
	v_add_u32_e32 v19, -1, v17
	v_fma_f32 v51, -v19, v17, v3
	v_add_u32_e32 v24, 1, v17
	v_cmp_ge_f32_e64 s[10:11], 0, v51
	v_cndmask_b32_e64 v19, v17, v19, s[10:11]
	v_fma_f32 v17, -v24, v17, v3
	v_cmp_lt_f32_e64 s[10:11], 0, v17
	v_cndmask_b32_e64 v17, v19, v24, s[10:11]
	v_mul_f32_e32 v19, 0x37800000, v17
	v_cndmask_b32_e32 v17, v17, v19, vcc
	v_cmp_class_f32_e32 vcc, v3, v29
	v_cndmask_b32_e32 v17, v17, v3, vcc
.LBB50_739:                             ;   in Loop: Header=BB50_418 Depth=1
	s_or_b64 exec, exec, s[44:45]
.LBB50_740:                             ;   in Loop: Header=BB50_418 Depth=1
	s_or_b64 exec, exec, s[42:43]
	v_cmp_nlt_f32_e64 s[42:43], |v4|, s66
                                        ; implicit-def: $sgpr10_sgpr11
                                        ; implicit-def: $vgpr24
                                        ; implicit-def: $vgpr19
	s_and_saveexec_b64 s[44:45], s[42:43]
	s_xor_b64 s[42:43], exec, s[44:45]
	s_cbranch_execz .LBB50_764
; %bb.741:                              ;   in Loop: Header=BB50_418 Depth=1
	v_div_scale_f32 v3, s[10:11], v2, v2, v22
	v_rcp_f32_e32 v19, v3
	v_div_scale_f32 v24, vcc, v22, v2, v22
	s_mov_b64 s[10:11], 0
	v_fma_f32 v51, -v3, v19, 1.0
	v_fmac_f32_e32 v19, v51, v19
	v_mul_f32_e32 v51, v24, v19
	v_fma_f32 v52, -v3, v51, v24
	v_fmac_f32_e32 v51, v52, v19
	v_fma_f32 v3, -v3, v51, v24
	v_div_fmas_f32 v3, v3, v19, v51
	v_div_fixup_f32 v19, v3, v2, |v4|
	v_cmp_lt_f32_e32 vcc, s67, v19
                                        ; implicit-def: $vgpr24
	s_and_saveexec_b64 s[44:45], vcc
	s_cbranch_execz .LBB50_763
; %bb.742:                              ;   in Loop: Header=BB50_418 Depth=1
	v_cmp_neq_f32_e64 s[10:11], |v4|, 1.0
	v_cmp_nlt_f32_e64 s[46:47], |v5|, s68
	s_or_b64 s[10:11], s[10:11], s[46:47]
                                        ; implicit-def: $sgpr48_sgpr49
                                        ; implicit-def: $vgpr24
	s_and_saveexec_b64 s[46:47], s[10:11]
	s_xor_b64 s[46:47], exec, s[46:47]
	s_cbranch_execz .LBB50_760
; %bb.743:                              ;   in Loop: Header=BB50_418 Depth=1
	v_mul_f32_e32 v3, 0x34000000, v50
	v_cmp_le_f32_e64 s[10:11], v3, |v5|
                                        ; implicit-def: $vgpr24
                                        ; implicit-def: $sgpr48_sgpr49
	s_and_saveexec_b64 s[50:51], s[10:11]
	s_xor_b64 s[50:51], exec, s[50:51]
	s_cbranch_execz .LBB50_753
; %bb.744:                              ;   in Loop: Header=BB50_418 Depth=1
	v_cmp_neq_f32_e32 vcc, 0, v12
	v_mov_b32_e32 v3, v25
	s_and_saveexec_b64 s[10:11], vcc
	s_cbranch_execz .LBB50_746
; %bb.745:                              ;   in Loop: Header=BB50_418 Depth=1
	v_mul_f32_e32 v3, v5, v5
	v_add_f32_e32 v4, v12, v49
	v_div_scale_f32 v12, s[48:49], v4, v4, v3
	v_rcp_f32_e32 v24, v12
	v_fma_f32 v49, -v12, v24, 1.0
	v_fmac_f32_e32 v24, v49, v24
	v_div_scale_f32 v49, vcc, v3, v4, v3
	v_mul_f32_e32 v50, v49, v24
	v_fma_f32 v51, -v12, v50, v49
	v_fmac_f32_e32 v50, v51, v24
	v_fma_f32 v12, -v12, v50, v49
	v_div_fmas_f32 v12, v12, v24, v50
	v_div_fixup_f32 v3, v12, v4, v3
.LBB50_746:                             ;   in Loop: Header=BB50_418 Depth=1
	s_or_b64 exec, exec, s[10:11]
	v_cmp_ngt_f32_e32 vcc, 0, v13
	s_and_saveexec_b64 s[10:11], vcc
	s_xor_b64 s[10:11], exec, s[10:11]
	s_cbranch_execz .LBB50_750
; %bb.747:                              ;   in Loop: Header=BB50_418 Depth=1
	v_cmp_neq_f32_e32 vcc, 0, v13
	s_and_saveexec_b64 s[48:49], vcc
	s_cbranch_execz .LBB50_749
; %bb.748:                              ;   in Loop: Header=BB50_418 Depth=1
	v_mul_f32_e32 v4, v5, v5
	v_add_f32_e32 v5, v13, v23
	v_div_scale_f32 v12, s[52:53], v5, v5, v4
	v_rcp_f32_e32 v13, v12
	v_fma_f32 v23, -v12, v13, 1.0
	v_fmac_f32_e32 v13, v23, v13
	v_div_scale_f32 v23, vcc, v4, v5, v4
	v_mul_f32_e32 v24, v23, v13
	v_fma_f32 v25, -v12, v24, v23
	v_fmac_f32_e32 v24, v25, v13
	v_fma_f32 v12, -v12, v24, v23
	v_div_fmas_f32 v12, v12, v13, v24
	v_div_fixup_f32 v25, v12, v5, v4
.LBB50_749:                             ;   in Loop: Header=BB50_418 Depth=1
	s_or_b64 exec, exec, s[48:49]
                                        ; implicit-def: $vgpr23
                                        ; implicit-def: $vgpr12_vgpr13
.LBB50_750:                             ;   in Loop: Header=BB50_418 Depth=1
	s_andn2_saveexec_b64 s[10:11], s[10:11]
; %bb.751:                              ;   in Loop: Header=BB50_418 Depth=1
	v_sub_f32_e32 v25, v23, v13
; %bb.752:                              ;   in Loop: Header=BB50_418 Depth=1
	s_or_b64 exec, exec, s[10:11]
	v_mul_f32_e32 v23, 0.5, v3
	v_mul_f32_e32 v3, 0.5, v25
	v_pk_add_f32 v[2:3], v[22:23], v[2:3]
	v_mul_f32_e32 v2, v2, v3
	v_mul_f32_e32 v3, 0x4f800000, v2
	v_cmp_gt_f32_e32 vcc, s58, v2
	v_cndmask_b32_e32 v2, v2, v3, vcc
	v_sqrt_f32_e32 v3, v2
	s_mov_b64 s[48:49], -1
                                        ; implicit-def: $vgpr12_vgpr13
	v_add_u32_e32 v4, -1, v3
	v_fma_f32 v5, -v4, v3, v2
	v_cmp_ge_f32_e64 s[10:11], 0, v5
	v_add_u32_e32 v5, 1, v3
	v_cndmask_b32_e64 v4, v3, v4, s[10:11]
	v_fma_f32 v3, -v5, v3, v2
	v_cmp_lt_f32_e64 s[10:11], 0, v3
	v_cndmask_b32_e64 v3, v4, v5, s[10:11]
	v_mul_f32_e32 v4, 0x37800000, v3
	v_cndmask_b32_e32 v3, v3, v4, vcc
	v_cmp_class_f32_e32 vcc, v2, v29
	v_cndmask_b32_e32 v24, v3, v2, vcc
                                        ; implicit-def: $vgpr2_vgpr3_vgpr4_vgpr5
.LBB50_753:                             ;   in Loop: Header=BB50_418 Depth=1
	s_andn2_saveexec_b64 s[50:51], s[50:51]
	s_cbranch_execz .LBB50_759
; %bb.754:                              ;   in Loop: Header=BB50_418 Depth=1
	v_cmp_ngt_f32_e64 s[10:11], |v4|, 1.0
                                        ; implicit-def: $vgpr24
                                        ; implicit-def: $sgpr52_sgpr53
	s_and_saveexec_b64 s[54:55], s[10:11]
	s_xor_b64 s[54:55], exec, s[54:55]
	s_cbranch_execz .LBB50_756
; %bb.755:                              ;   in Loop: Header=BB50_418 Depth=1
	v_sub_f32_e64 v2, 1.0, |v4|
	v_mul_f32_e32 v2, v2, v12
	v_mul_f32_e32 v3, 0x4f800000, v2
	v_cmp_gt_f32_e32 vcc, s58, v2
	v_cndmask_b32_e32 v2, v2, v3, vcc
	v_sqrt_f32_e32 v3, v2
	s_mov_b64 s[52:53], -1
	v_add_u32_e32 v4, -1, v3
	v_fma_f32 v12, -v4, v3, v2
	v_add_u32_e32 v5, 1, v3
	v_cmp_ge_f32_e64 s[10:11], 0, v12
	v_cndmask_b32_e64 v4, v3, v4, s[10:11]
	v_fma_f32 v3, -v5, v3, v2
	v_cmp_lt_f32_e64 s[10:11], 0, v3
	v_cndmask_b32_e64 v3, v4, v5, s[10:11]
	v_mul_f32_e32 v4, 0x37800000, v3
	v_cndmask_b32_e32 v3, v3, v4, vcc
	v_cmp_class_f32_e32 vcc, v2, v29
	v_cndmask_b32_e32 v24, v3, v2, vcc
                                        ; implicit-def: $vgpr2_vgpr3_vgpr4_vgpr5
                                        ; implicit-def: $vgpr12_vgpr13
.LBB50_756:                             ;   in Loop: Header=BB50_418 Depth=1
	s_andn2_saveexec_b64 s[54:55], s[54:55]
	s_cbranch_execz .LBB50_758
; %bb.757:                              ;   in Loop: Header=BB50_418 Depth=1
	v_mul_f32_e32 v2, v12, v13
	v_mul_f32_e32 v3, 0x4f800000, v2
	v_cmp_gt_f32_e32 vcc, s58, v2
	v_cndmask_b32_e32 v2, v2, v3, vcc
	v_sqrt_f32_e32 v3, v2
	v_mul_f32_e64 v5, |v5|, s69
	v_mul_f32_e64 v5, |v4|, v5
	s_or_b64 s[52:53], s[52:53], exec
	v_add_u32_e32 v12, -1, v3
	v_fma_f32 v13, -v12, v3, v2
	v_cmp_ge_f32_e64 s[10:11], 0, v13
	v_add_u32_e32 v13, 1, v3
	v_cndmask_b32_e64 v12, v3, v12, s[10:11]
	v_fma_f32 v3, -v13, v3, v2
	v_cmp_lt_f32_e64 s[10:11], 0, v3
	v_cndmask_b32_e64 v3, v12, v13, s[10:11]
	v_mul_f32_e32 v12, 0x37800000, v3
	v_cndmask_b32_e32 v3, v3, v12, vcc
	v_cmp_class_f32_e32 vcc, v2, v29
	v_cndmask_b32_e32 v2, v3, v2, vcc
	v_div_scale_f32 v3, s[10:11], v2, v2, v5
	v_rcp_f32_e32 v12, v3
	v_fma_f32 v13, -v3, v12, 1.0
	v_fmac_f32_e32 v12, v13, v12
	v_div_scale_f32 v13, vcc, v5, v2, v5
	v_mul_f32_e32 v22, v13, v12
	v_fma_f32 v23, -v3, v22, v13
	v_fmac_f32_e32 v22, v23, v12
	v_fma_f32 v3, -v3, v22, v13
	v_div_fmas_f32 v3, v3, v12, v22
	v_div_fixup_f32 v24, v3, v2, v5
	v_mul_f32_e64 v22, |v4|, s69
.LBB50_758:                             ;   in Loop: Header=BB50_418 Depth=1
	s_or_b64 exec, exec, s[54:55]
	s_andn2_b64 s[10:11], s[48:49], exec
	s_and_b64 s[48:49], s[52:53], exec
	s_or_b64 s[48:49], s[10:11], s[48:49]
.LBB50_759:                             ;   in Loop: Header=BB50_418 Depth=1
	s_or_b64 exec, exec, s[50:51]
	s_and_b64 s[48:49], s[48:49], exec
                                        ; implicit-def: $vgpr2_vgpr3_vgpr4_vgpr5
                                        ; implicit-def: $vgpr2
.LBB50_760:                             ;   in Loop: Header=BB50_418 Depth=1
	s_andn2_saveexec_b64 s[46:47], s[46:47]
	s_cbranch_execz .LBB50_762
; %bb.761:                              ;   in Loop: Header=BB50_418 Depth=1
	v_mul_f32_e64 v3, |v5|, s59
	v_cmp_lt_f32_e64 vcc, |v5|, s58
	v_cndmask_b32_e64 v3, |v5|, v3, vcc
	v_sqrt_f32_e32 v4, v3
	v_add_f32_e32 v2, 1.0, v2
	v_mul_f32_e32 v2, 0.5, v2
	v_mov_b32_e32 v22, 1.0
	v_add_u32_e32 v5, -1, v4
	v_fma_f32 v13, -v5, v4, v3
	v_add_u32_e32 v12, 1, v4
	v_cmp_ge_f32_e64 s[10:11], 0, v13
	v_cndmask_b32_e64 v5, v4, v5, s[10:11]
	v_fma_f32 v4, -v12, v4, v3
	v_cmp_lt_f32_e64 s[10:11], 0, v4
	v_cndmask_b32_e64 v4, v5, v12, s[10:11]
	v_mul_f32_e32 v12, 0x4f800000, v2
	v_cmp_gt_f32_e64 s[10:11], s58, v2
	v_cndmask_b32_e64 v2, v2, v12, s[10:11]
	v_sqrt_f32_e32 v12, v2
	v_mul_f32_e32 v5, 0x37800000, v4
	v_cndmask_b32_e32 v4, v4, v5, vcc
	v_cmp_class_f32_e32 vcc, v3, v29
	v_cndmask_b32_e32 v3, v4, v3, vcc
	v_add_u32_e32 v4, -1, v12
	v_fma_f32 v5, -v4, v12, v2
	v_cmp_ge_f32_e32 vcc, 0, v5
	v_add_u32_e32 v5, 1, v12
	v_cndmask_b32_e32 v4, v12, v4, vcc
	v_fma_f32 v12, -v5, v12, v2
	v_cmp_lt_f32_e32 vcc, 0, v12
	v_cndmask_b32_e32 v4, v4, v5, vcc
	v_mul_f32_e32 v5, 0x37800000, v4
	v_cndmask_b32_e64 v4, v4, v5, s[10:11]
	v_cmp_class_f32_e32 vcc, v2, v29
	v_cndmask_b32_e32 v2, v4, v2, vcc
	v_mul_f32_e32 v24, v3, v2
	s_or_b64 s[48:49], s[48:49], exec
.LBB50_762:                             ;   in Loop: Header=BB50_418 Depth=1
	s_or_b64 exec, exec, s[46:47]
	s_and_b64 s[10:11], s[48:49], exec
.LBB50_763:                             ;   in Loop: Header=BB50_418 Depth=1
	s_or_b64 exec, exec, s[44:45]
	s_and_b64 s[10:11], s[10:11], exec
                                        ; implicit-def: $vgpr2
.LBB50_764:                             ;   in Loop: Header=BB50_418 Depth=1
	s_andn2_saveexec_b64 s[42:43], s[42:43]
; %bb.765:                              ;   in Loop: Header=BB50_418 Depth=1
	v_mov_b32_e32 v3, v22
	v_pk_mul_f32 v[24:25], v[2:3], s[28:29] op_sel_hi:[1,0]
	s_or_b64 s[10:11], s[10:11], exec
	v_mov_b32_e32 v22, v25
                                        ; implicit-def: $vgpr19
; %bb.766:                              ;   in Loop: Header=BB50_418 Depth=1
	s_or_b64 exec, exec, s[42:43]
	s_xor_b64 s[10:11], s[10:11], -1
	s_and_saveexec_b64 s[42:43], s[10:11]
	s_xor_b64 s[42:43], exec, s[42:43]
	s_cbranch_execz .LBB50_772
; %bb.767:                              ;   in Loop: Header=BB50_418 Depth=1
	s_and_saveexec_b64 s[10:11], s[8:9]
	s_xor_b64 s[10:11], exec, s[10:11]
	s_cbranch_execz .LBB50_769
; %bb.768:                              ;   in Loop: Header=BB50_418 Depth=1
	v_fma_f32 v2, |v19|, -0.5, 0.5
	v_mul_f32_e32 v3, v19, v19
	v_cmp_gt_f32_e64 vcc, |v19|, 0.5
	v_cndmask_b32_e32 v2, v3, v2, vcc
	v_mov_b32_e32 v3, 0x3c5fc5da
	v_fmac_f32_e32 v3, 0x3d1c21a7, v2
	v_fma_f32 v3, v2, v3, v31
	v_fma_f32 v3, v2, v3, v32
	v_sqrt_f32_e32 v4, v2
	v_fma_f32 v3, v2, v3, v33
	v_fma_f32 v3, v2, v3, v34
	v_mul_f32_e32 v2, v2, v3
	v_fmac_f32_e32 v4, v4, v2
	v_fmac_f32_e32 v19, v19, v2
	v_add_f32_e32 v3, v4, v4
	v_sub_f32_e32 v2, 0x3fc90fdb, v19
	v_cndmask_b32_e32 v12, v2, v3, vcc
                                        ; implicit-def: $vgpr19
.LBB50_769:                             ;   in Loop: Header=BB50_418 Depth=1
	s_andn2_saveexec_b64 s[44:45], s[10:11]
	s_cbranch_execz .LBB50_771
; %bb.770:                              ;   in Loop: Header=BB50_418 Depth=1
	v_fma_f32 v2, |v19|, -0.5, 0.5
	v_mul_f32_e32 v3, v19, v19
	v_cmp_gt_f32_e64 vcc, |v19|, 0.5
	v_cndmask_b32_e32 v2, v3, v2, vcc
	v_mov_b32_e32 v3, 0x3c5fc5da
	v_fmac_f32_e32 v3, 0x3d1c21a7, v2
	v_fma_f32 v3, v2, v3, v31
	v_fma_f32 v3, v2, v3, v32
	v_sqrt_f32_e32 v4, v2
	v_fma_f32 v3, v2, v3, v33
	v_fma_f32 v3, v2, v3, v34
	v_mul_f32_e32 v2, v2, v3
	v_fmac_f32_e32 v4, v4, v2
	v_add_f32_e32 v3, v4, v4
	v_sub_f32_e32 v4, 0x40490fdb, v3
	v_cmp_lt_f32_e64 s[10:11], 0, v19
	v_fma_f32 v2, -v19, v2, -v19
	v_cndmask_b32_e64 v3, v3, v4, s[10:11]
	v_sub_f32_e32 v2, 0x3fc90fdb, v2
	v_cndmask_b32_e32 v12, v2, v3, vcc
.LBB50_771:                             ;   in Loop: Header=BB50_418 Depth=1
	s_or_b64 exec, exec, s[44:45]
                                        ; implicit-def: $vgpr24
                                        ; implicit-def: $vgpr22
.LBB50_772:                             ;   in Loop: Header=BB50_418 Depth=1
	s_andn2_saveexec_b64 s[10:11], s[42:43]
	s_cbranch_execz .LBB50_778
; %bb.773:                              ;   in Loop: Header=BB50_418 Depth=1
	s_and_saveexec_b64 s[42:43], s[8:9]
	s_xor_b64 s[8:9], exec, s[42:43]
	s_cbranch_execz .LBB50_775
; %bb.774:                              ;   in Loop: Header=BB50_418 Depth=1
	v_max_f32_e64 v2, |v24|, |v24|
	v_max_f32_e32 v3, v22, v22
	v_min_f32_e32 v4, v3, v2
	v_max_f32_e32 v2, v3, v2
	v_frexp_mant_f32_e32 v3, v2
	v_rcp_f32_e32 v3, v3
	v_frexp_exp_i32_f32_e32 v2, v2
	v_frexp_exp_i32_f32_e32 v5, v4
	v_frexp_mant_f32_e32 v4, v4
	v_mul_f32_e32 v3, v4, v3
	v_sub_u32_e32 v2, v5, v2
	v_ldexp_f32 v2, v3, v2
	v_mul_f32_e32 v3, v2, v2
	v_mov_b32_e32 v4, 0xbc7a590c
	v_fmac_f32_e32 v4, 0x3b2d2a58, v3
	v_fma_f32 v4, v3, v4, v35
	v_fma_f32 v4, v3, v4, v36
	;; [unrolled: 1-line block ×6, first 2 shown]
	v_mul_f32_e32 v3, v3, v4
	v_fmac_f32_e32 v2, v2, v3
	v_sub_f32_e32 v3, 0x3fc90fdb, v2
	v_cmp_gt_f32_e64 vcc, |v24|, v22
	v_cndmask_b32_e32 v2, v2, v3, vcc
	v_cmp_neq_f32_e32 vcc, 0, v24
	v_cndmask_b32_e32 v2, 0, v2, vcc
	v_cmp_eq_f32_e32 vcc, s56, v22
	v_cmp_class_f32_e64 s[42:43], v24, s70
	s_and_b64 vcc, vcc, s[42:43]
	v_cndmask_b32_e32 v2, v2, v46, vcc
	v_cmp_o_f32_e32 vcc, v22, v24
	v_cndmask_b32_e32 v2, v44, v2, vcc
	v_bfi_b32 v12, s33, v2, v24
                                        ; implicit-def: $vgpr24
                                        ; implicit-def: $vgpr22
.LBB50_775:                             ;   in Loop: Header=BB50_418 Depth=1
	s_andn2_saveexec_b64 s[42:43], s[8:9]
	s_cbranch_execz .LBB50_777
; %bb.776:                              ;   in Loop: Header=BB50_418 Depth=1
	v_max_f32_e64 v2, |v24|, |v24|
	v_max_f32_e32 v3, v22, v22
	v_min_f32_e32 v4, v3, v2
	v_max_f32_e32 v2, v3, v2
	v_frexp_mant_f32_e32 v3, v2
	v_rcp_f32_e32 v3, v3
	v_frexp_exp_i32_f32_e32 v2, v2
	v_frexp_exp_i32_f32_e32 v5, v4
	v_frexp_mant_f32_e32 v4, v4
	v_mul_f32_e32 v3, v4, v3
	v_sub_u32_e32 v2, v5, v2
	v_ldexp_f32 v2, v3, v2
	v_mul_f32_e32 v3, v2, v2
	v_mov_b32_e32 v4, 0xbc7a590c
	v_fmac_f32_e32 v4, 0x3b2d2a58, v3
	v_fma_f32 v4, v3, v4, v35
	v_fma_f32 v4, v3, v4, v36
	;; [unrolled: 1-line block ×6, first 2 shown]
	v_mul_f32_e32 v3, v3, v4
	v_fmac_f32_e32 v2, v2, v3
	v_sub_f32_e32 v3, 0x3fc90fdb, v2
	v_cmp_gt_f32_e64 vcc, |v24|, v22
	v_cndmask_b32_e32 v2, v2, v3, vcc
	v_sub_f32_e32 v3, 0x40490fdb, v2
	v_cmp_lt_f32_e32 vcc, 0, v22
	v_cndmask_b32_e32 v2, v2, v3, vcc
	v_cmp_neq_f32_e64 s[8:9], 0, v24
	v_cndmask_b32_e64 v2, v47, v2, s[8:9]
	v_cndmask_b32_e32 v3, v46, v48, vcc
	v_cmp_eq_f32_e32 vcc, s56, v22
	v_cmp_class_f32_e64 s[8:9], v24, s70
	s_and_b64 vcc, vcc, s[8:9]
	v_cndmask_b32_e32 v2, v2, v3, vcc
	v_cmp_o_f32_e64 vcc, v24, -v22
	v_cndmask_b32_e32 v2, v44, v2, vcc
	v_bfi_b32 v12, s33, v2, v24
.LBB50_777:                             ;   in Loop: Header=BB50_418 Depth=1
	s_or_b64 exec, exec, s[42:43]
.LBB50_778:                             ;   in Loop: Header=BB50_418 Depth=1
	s_or_b64 exec, exec, s[10:11]
	v_cndmask_b32_e64 v13, -v17, v17, s[4:5]
                                        ; implicit-def: $vgpr2_vgpr3_vgpr4_vgpr5
.LBB50_779:                             ;   in Loop: Header=BB50_418 Depth=1
	s_andn2_saveexec_b64 s[8:9], s[40:41]
	s_cbranch_execz .LBB50_781
; %bb.780:                              ;   in Loop: Header=BB50_418 Depth=1
	s_waitcnt lgkmcnt(0)
	v_pk_mov_b32 v[2:3], s[14:15], s[14:15] op_sel:[0,1]
	flat_load_dword v2, v[2:3] glc
	s_waitcnt vmcnt(0)
	v_xor_b32_e32 v13, 0x80000000, v5
	s_waitcnt lgkmcnt(0)
	v_sub_f32_e32 v2, v2, v4
	v_add_f32_e32 v12, 0x3fc90fdb, v2
.LBB50_781:                             ;   in Loop: Header=BB50_418 Depth=1
	s_or_b64 exec, exec, s[8:9]
                                        ; implicit-def: $vgpr2_vgpr3_vgpr4_vgpr5
.LBB50_782:                             ;   in Loop: Header=BB50_418 Depth=1
	s_andn2_saveexec_b64 s[8:9], s[38:39]
; %bb.783:                              ;   in Loop: Header=BB50_418 Depth=1
	v_xor_b32_e32 v13, 0x80000000, v5
	v_mov_b32_e32 v12, 0
; %bb.784:                              ;   in Loop: Header=BB50_418 Depth=1
	s_or_b64 exec, exec, s[8:9]
                                        ; implicit-def: $vgpr2_vgpr3_vgpr4_vgpr5
                                        ; implicit-def: $vgpr17
                                        ; implicit-def: $vgpr2
                                        ; implicit-def: $vgpr3
.LBB50_785:                             ;   in Loop: Header=BB50_418 Depth=1
	s_andn2_saveexec_b64 s[36:37], s[36:37]
	s_cbranch_execz .LBB50_795
; %bb.786:                              ;   in Loop: Header=BB50_418 Depth=1
	v_cmp_lt_f32_e64 s[8:9], |v4|, |v5|
	v_cndmask_b32_e64 v19, |v4|, |v5|, s[8:9]
	v_cmp_nlt_f32_e32 vcc, s71, v19
                                        ; implicit-def: $vgpr13
                                        ; implicit-def: $vgpr12
	s_and_saveexec_b64 s[10:11], vcc
	s_xor_b64 s[38:39], exec, s[10:11]
	s_cbranch_execz .LBB50_792
; %bb.787:                              ;   in Loop: Header=BB50_418 Depth=1
	v_cndmask_b32_e64 v22, |v5|, |v4|, s[8:9]
	v_cmp_nlt_f32_e32 vcc, s72, v19
	v_cmp_ngt_f32_e64 s[10:11], s73, v22
	s_and_b64 s[10:11], vcc, s[10:11]
                                        ; implicit-def: $vgpr13
                                        ; implicit-def: $vgpr12
	s_and_saveexec_b64 s[40:41], s[10:11]
	s_xor_b64 s[10:11], exec, s[40:41]
	s_cbranch_execz .LBB50_789
; %bb.788:                              ;   in Loop: Header=BB50_418 Depth=1
	v_mul_f32_e32 v12, v22, v22
	v_fmac_f32_e32 v12, v19, v19
	v_cmp_gt_f32_e32 vcc, s60, v12
	v_cndmask_b32_e32 v13, 1.0, v42, vcc
	v_mul_f32_e32 v12, v12, v13
	v_log_f32_e32 v12, v12
	v_cndmask_b32_e32 v13, 0, v43, vcc
	v_min_f32_e32 v2, v17, v2
	v_frexp_exp_i32_f32_e32 v17, v2
	v_mul_f32_e32 v19, 0x3f317217, v12
	v_fma_f32 v22, v12, s61, -v19
	v_fmac_f32_e32 v22, 0x3377d1cf, v12
	v_add_f32_e32 v19, v19, v22
	v_cmp_lt_f32_e64 vcc, |v12|, s56
	v_cndmask_b32_e32 v12, v12, v19, vcc
	v_sub_f32_e32 v12, v12, v13
	v_mul_f32_e32 v13, 0.5, v12
	s_waitcnt lgkmcnt(0)
	v_frexp_mant_f32_e32 v12, v3
	v_rcp_f32_e32 v12, v12
	v_frexp_exp_i32_f32_e32 v3, v3
	v_frexp_mant_f32_e32 v2, v2
	v_sub_u32_e32 v3, v17, v3
	v_mul_f32_e32 v2, v2, v12
	v_ldexp_f32 v12, v2, v3
	v_mul_f32_e32 v2, v12, v12
	v_mov_b32_e32 v3, 0xbc7a590c
	v_fmac_f32_e32 v3, 0x3b2d2a58, v2
	v_fma_f32 v3, v2, v3, v35
	v_fma_f32 v3, v2, v3, v36
	;; [unrolled: 1-line block ×6, first 2 shown]
	v_mul_f32_e32 v2, v2, v3
	v_fmac_f32_e32 v12, v12, v2
                                        ; implicit-def: $vgpr3
                                        ; implicit-def: $vgpr17
                                        ; implicit-def: $vgpr2
.LBB50_789:                             ;   in Loop: Header=BB50_418 Depth=1
	s_andn2_saveexec_b64 s[10:11], s[10:11]
	s_cbranch_execz .LBB50_791
; %bb.790:                              ;   in Loop: Header=BB50_418 Depth=1
	s_waitcnt lgkmcnt(0)
	v_cvt_f64_f32_e32 v[12:13], v3
	v_frexp_exp_i32_f64_e32 v12, v[12:13]
	v_sub_u32_e32 v13, 0, v12
	v_ldexp_f32 v19, |v4|, v13
	v_ldexp_f32 v13, |v5|, v13
	v_mul_f32_e32 v13, v13, v13
	v_fmac_f32_e32 v13, v19, v19
	v_sqrt_f32_e32 v13, v13
	v_cmp_neq_f32_e32 vcc, s56, v3
	v_min_f32_e32 v2, v17, v2
	v_ldexp_f32 v12, v13, v12
	v_cndmask_b32_e32 v12, v41, v12, vcc
	v_cmp_gt_f32_e32 vcc, s60, v12
	v_cndmask_b32_e32 v13, 1.0, v42, vcc
	v_mul_f32_e32 v12, v12, v13
	v_log_f32_e32 v12, v12
	v_cndmask_b32_e32 v13, 0, v43, vcc
	v_mul_f32_e32 v17, 0x3f317217, v12
	v_fma_f32 v19, v12, s61, -v17
	v_fmac_f32_e32 v19, 0x3377d1cf, v12
	v_add_f32_e32 v17, v17, v19
	v_cmp_lt_f32_e64 vcc, |v12|, s56
	v_cndmask_b32_e32 v12, v12, v17, vcc
	v_sub_f32_e32 v13, v12, v13
	v_frexp_mant_f32_e32 v12, v3
	v_rcp_f32_e32 v12, v12
	v_frexp_exp_i32_f32_e32 v3, v3
	v_frexp_exp_i32_f32_e32 v17, v2
	v_frexp_mant_f32_e32 v2, v2
	v_mul_f32_e32 v2, v2, v12
	v_sub_u32_e32 v3, v17, v3
	v_ldexp_f32 v12, v2, v3
	v_mul_f32_e32 v2, v12, v12
	v_mov_b32_e32 v3, 0xbc7a590c
	v_fmac_f32_e32 v3, 0x3b2d2a58, v2
	v_fma_f32 v3, v2, v3, v35
	v_fma_f32 v3, v2, v3, v36
	v_fma_f32 v3, v2, v3, v37
	v_fma_f32 v3, v2, v3, v38
	v_fma_f32 v3, v2, v3, v39
	v_fma_f32 v3, v2, v3, v40
	v_mul_f32_e32 v2, v2, v3
	v_fmac_f32_e32 v12, v12, v2
.LBB50_791:                             ;   in Loop: Header=BB50_418 Depth=1
	s_or_b64 exec, exec, s[10:11]
                                        ; implicit-def: $vgpr17
                                        ; implicit-def: $vgpr2
                                        ; implicit-def: $vgpr3
.LBB50_792:                             ;   in Loop: Header=BB50_418 Depth=1
	s_andn2_saveexec_b64 s[38:39], s[38:39]
	s_cbranch_execz .LBB50_794
; %bb.793:                              ;   in Loop: Header=BB50_418 Depth=1
	v_div_scale_f32 v12, s[10:11], s74, s74, v4
	v_rcp_f32_e32 v13, v12
	v_div_scale_f32 v19, vcc, v4, s74, v4
	v_min_f32_e32 v2, v17, v2
	v_fma_f32 v22, -v12, v13, 1.0
	v_fmac_f32_e32 v13, v22, v13
	v_mul_f32_e32 v22, v19, v13
	v_fma_f32 v23, -v12, v22, v19
	v_fmac_f32_e32 v22, v23, v13
	v_fma_f32 v12, -v12, v22, v19
	v_div_scale_f32 v19, s[10:11], s74, s74, v5
	v_rcp_f32_e32 v23, v19
	v_div_fmas_f32 v12, v12, v13, v22
	v_div_fixup_f32 v22, v12, s74, v4
	v_frexp_exp_i32_f32_e32 v17, v2
	v_fma_f32 v12, -v19, v23, 1.0
	v_fmac_f32_e32 v23, v12, v23
	v_div_scale_f32 v12, vcc, v5, s74, v5
	v_mul_f32_e32 v13, v12, v23
	v_fma_f32 v24, -v19, v13, v12
	v_fmac_f32_e32 v13, v24, v23
	v_fma_f32 v12, -v19, v13, v12
	v_div_fmas_f32 v12, v12, v23, v13
	v_div_fixup_f32 v19, v12, s74, v5
	v_max_f32_e64 v23, |v22|, |v19|
	v_cvt_f64_f32_e32 v[12:13], v23
	v_frexp_exp_i32_f64_e32 v12, v[12:13]
	v_sub_u32_e32 v13, 0, v12
	v_ldexp_f32 v22, |v22|, v13
	v_ldexp_f32 v13, |v19|, v13
	v_mul_f32_e32 v13, v13, v13
	v_fmac_f32_e32 v13, v22, v22
	v_sqrt_f32_e32 v13, v13
	v_cmp_neq_f32_e32 vcc, s56, v23
	v_frexp_mant_f32_e32 v2, v2
	v_ldexp_f32 v12, v13, v12
	v_cndmask_b32_e32 v12, v41, v12, vcc
	v_cmp_gt_f32_e32 vcc, s60, v12
	v_cndmask_b32_e32 v13, 1.0, v42, vcc
	v_mul_f32_e32 v12, v12, v13
	v_log_f32_e32 v12, v12
	v_mul_f32_e32 v13, 0x3f317217, v12
	v_fma_f32 v19, v12, s61, -v13
	v_fmac_f32_e32 v19, 0x3377d1cf, v12
	v_add_f32_e32 v13, v13, v19
	v_cmp_lt_f32_e64 s[10:11], |v12|, s56
	v_cndmask_b32_e64 v12, v12, v13, s[10:11]
	v_cndmask_b32_e32 v13, 0, v43, vcc
	v_sub_f32_e32 v12, v12, v13
	v_add_f32_e32 v13, 1.0, v12
	s_waitcnt lgkmcnt(0)
	v_frexp_mant_f32_e32 v12, v3
	v_rcp_f32_e32 v12, v12
	v_frexp_exp_i32_f32_e32 v3, v3
	v_sub_u32_e32 v3, v17, v3
	v_mul_f32_e32 v2, v2, v12
	v_ldexp_f32 v12, v2, v3
	v_mul_f32_e32 v2, v12, v12
	v_mov_b32_e32 v3, 0xbc7a590c
	v_fmac_f32_e32 v3, 0x3b2d2a58, v2
	v_fma_f32 v3, v2, v3, v35
	v_fma_f32 v3, v2, v3, v36
	;; [unrolled: 1-line block ×6, first 2 shown]
	v_mul_f32_e32 v2, v2, v3
	v_fmac_f32_e32 v12, v12, v2
.LBB50_794:                             ;   in Loop: Header=BB50_418 Depth=1
	s_or_b64 exec, exec, s[38:39]
	v_sub_f32_e32 v2, 0x3fc90fdb, v12
	v_cndmask_b32_e64 v2, v12, v2, s[8:9]
	s_waitcnt lgkmcnt(0)
	v_sub_f32_e32 v3, 0x40490fdb, v2
	v_cmp_gt_f32_e32 vcc, 0, v4
	v_cndmask_b32_e32 v2, v2, v3, vcc
	v_cndmask_b32_e64 v3, 0, v47, s[6:7]
	v_cmp_eq_f32_e64 s[6:7], 0, v5
	v_cndmask_b32_e64 v2, v2, v3, s[6:7]
	v_cmp_class_f32_e64 s[6:7], v4, s70
	v_cmp_class_f32_e64 s[8:9], v5, s70
	v_cndmask_b32_e32 v3, v46, v48, vcc
	s_and_b64 vcc, s[6:7], s[8:9]
	v_cndmask_b32_e32 v2, v2, v3, vcc
	v_cmp_o_f32_e32 vcc, v4, v5
	v_cndmask_b32_e64 v12, v44, |v2|, vcc
	v_add_f32_e32 v2, 0x3f317218, v13
	v_cndmask_b32_e64 v13, -v2, v2, s[4:5]
.LBB50_795:                             ;   in Loop: Header=BB50_418 Depth=1
	s_or_b64 exec, exec, s[36:37]
                                        ; implicit-def: $vgpr2_vgpr3_vgpr4_vgpr5
.LBB50_796:                             ;   in Loop: Header=BB50_418 Depth=1
	s_andn2_saveexec_b64 s[4:5], s[34:35]
	s_cbranch_execz .LBB50_417
; %bb.797:                              ;   in Loop: Header=BB50_418 Depth=1
	v_cmp_neq_f32_e64 s[6:7], |v4|, s56
	s_and_saveexec_b64 s[8:9], s[6:7]
	s_xor_b64 s[6:7], exec, s[8:9]
	s_cbranch_execz .LBB50_807
; %bb.798:                              ;   in Loop: Header=BB50_418 Depth=1
	v_cmp_neq_f32_e64 s[8:9], |v5|, s56
	s_and_saveexec_b64 s[10:11], s[8:9]
	s_xor_b64 s[8:9], exec, s[10:11]
	s_cbranch_execz .LBB50_804
; %bb.799:                              ;   in Loop: Header=BB50_418 Depth=1
	v_cmp_neq_f32_e32 vcc, 0, v4
	s_and_saveexec_b64 s[10:11], vcc
	s_xor_b64 s[10:11], exec, s[10:11]
; %bb.800:                              ;   in Loop: Header=BB50_418 Depth=1
	v_add_f32_e32 v2, 0, v5
	v_add_f32_e32 v13, v4, v2
                                        ; implicit-def: $vgpr2_vgpr3_vgpr4_vgpr5
; %bb.801:                              ;   in Loop: Header=BB50_418 Depth=1
	s_or_saveexec_b64 s[10:11], s[10:11]
	v_mov_b32_e32 v12, v13
	s_xor_b64 exec, exec, s[10:11]
	s_cbranch_execz .LBB50_803
; %bb.802:                              ;   in Loop: Header=BB50_418 Depth=1
	s_waitcnt lgkmcnt(0)
	v_pk_mov_b32 v[2:3], s[14:15], s[14:15] op_sel:[0,1]
	flat_load_dword v2, v[2:3] glc
	s_waitcnt vmcnt(0)
	v_add_f32_e32 v13, v5, v5
	s_waitcnt lgkmcnt(0)
	v_add_f32_e32 v12, 0x3fc90fdb, v2
.LBB50_803:                             ;   in Loop: Header=BB50_418 Depth=1
	s_or_b64 exec, exec, s[10:11]
                                        ; implicit-def: $vgpr2_vgpr3_vgpr4_vgpr5
.LBB50_804:                             ;   in Loop: Header=BB50_418 Depth=1
	s_andn2_saveexec_b64 s[8:9], s[8:9]
; %bb.805:                              ;   in Loop: Header=BB50_418 Depth=1
	v_add_f32_e32 v12, v4, v4
	v_xor_b32_e32 v13, 0x80000000, v5
; %bb.806:                              ;   in Loop: Header=BB50_418 Depth=1
	s_or_b64 exec, exec, s[8:9]
                                        ; implicit-def: $vgpr2_vgpr3_vgpr4_vgpr5
.LBB50_807:                             ;   in Loop: Header=BB50_418 Depth=1
	s_andn2_saveexec_b64 s[6:7], s[6:7]
	s_cbranch_execz .LBB50_416
; %bb.808:                              ;   in Loop: Header=BB50_418 Depth=1
	v_add_f32_e32 v12, v5, v5
	v_mov_b32_e32 v13, 0xff800000
	s_branch .LBB50_416
.LBB50_809:
	s_endpgm
	.section	.rodata,"a",@progbits
	.p2align	6, 0x0
	.amdhsa_kernel _ZN2at6native12_GLOBAL__N_125multi_tensor_apply_kernelINS1_18TensorListMetadataILi1EEENS1_14UnaryOpFunctorIN3c107complexIfEELi1ELi1ELi0EEEJNS0_4AcosIS8_EEEEEvT_T0_DpT1_
		.amdhsa_group_segment_fixed_size 0
		.amdhsa_private_segment_fixed_size 16
		.amdhsa_kernarg_size 3632
		.amdhsa_user_sgpr_count 8
		.amdhsa_user_sgpr_private_segment_buffer 1
		.amdhsa_user_sgpr_dispatch_ptr 0
		.amdhsa_user_sgpr_queue_ptr 0
		.amdhsa_user_sgpr_kernarg_segment_ptr 1
		.amdhsa_user_sgpr_dispatch_id 0
		.amdhsa_user_sgpr_flat_scratch_init 1
		.amdhsa_user_sgpr_kernarg_preload_length 0
		.amdhsa_user_sgpr_kernarg_preload_offset 0
		.amdhsa_user_sgpr_private_segment_size 0
		.amdhsa_uses_dynamic_stack 0
		.amdhsa_system_sgpr_private_segment_wavefront_offset 1
		.amdhsa_system_sgpr_workgroup_id_x 1
		.amdhsa_system_sgpr_workgroup_id_y 0
		.amdhsa_system_sgpr_workgroup_id_z 0
		.amdhsa_system_sgpr_workgroup_info 0
		.amdhsa_system_vgpr_workitem_id 0
		.amdhsa_next_free_vgpr 74
		.amdhsa_next_free_sgpr 88
		.amdhsa_accum_offset 76
		.amdhsa_reserve_vcc 1
		.amdhsa_reserve_flat_scratch 1
		.amdhsa_float_round_mode_32 0
		.amdhsa_float_round_mode_16_64 0
		.amdhsa_float_denorm_mode_32 3
		.amdhsa_float_denorm_mode_16_64 3
		.amdhsa_dx10_clamp 1
		.amdhsa_ieee_mode 1
		.amdhsa_fp16_overflow 0
		.amdhsa_tg_split 0
		.amdhsa_exception_fp_ieee_invalid_op 0
		.amdhsa_exception_fp_denorm_src 0
		.amdhsa_exception_fp_ieee_div_zero 0
		.amdhsa_exception_fp_ieee_overflow 0
		.amdhsa_exception_fp_ieee_underflow 0
		.amdhsa_exception_fp_ieee_inexact 0
		.amdhsa_exception_int_div_zero 0
	.end_amdhsa_kernel
	.section	.text._ZN2at6native12_GLOBAL__N_125multi_tensor_apply_kernelINS1_18TensorListMetadataILi1EEENS1_14UnaryOpFunctorIN3c107complexIfEELi1ELi1ELi0EEEJNS0_4AcosIS8_EEEEEvT_T0_DpT1_,"axG",@progbits,_ZN2at6native12_GLOBAL__N_125multi_tensor_apply_kernelINS1_18TensorListMetadataILi1EEENS1_14UnaryOpFunctorIN3c107complexIfEELi1ELi1ELi0EEEJNS0_4AcosIS8_EEEEEvT_T0_DpT1_,comdat
.Lfunc_end50:
	.size	_ZN2at6native12_GLOBAL__N_125multi_tensor_apply_kernelINS1_18TensorListMetadataILi1EEENS1_14UnaryOpFunctorIN3c107complexIfEELi1ELi1ELi0EEEJNS0_4AcosIS8_EEEEEvT_T0_DpT1_, .Lfunc_end50-_ZN2at6native12_GLOBAL__N_125multi_tensor_apply_kernelINS1_18TensorListMetadataILi1EEENS1_14UnaryOpFunctorIN3c107complexIfEELi1ELi1ELi0EEEJNS0_4AcosIS8_EEEEEvT_T0_DpT1_
                                        ; -- End function
	.section	.AMDGPU.csdata,"",@progbits
; Kernel info:
; codeLenInByte = 48992
; NumSgprs: 94
; NumVgprs: 74
; NumAgprs: 0
; TotalNumVgprs: 74
; ScratchSize: 16
; MemoryBound: 0
; FloatMode: 240
; IeeeMode: 1
; LDSByteSize: 0 bytes/workgroup (compile time only)
; SGPRBlocks: 11
; VGPRBlocks: 9
; NumSGPRsForWavesPerEU: 94
; NumVGPRsForWavesPerEU: 74
; AccumOffset: 76
; Occupancy: 6
; WaveLimiterHint : 0
; COMPUTE_PGM_RSRC2:SCRATCH_EN: 1
; COMPUTE_PGM_RSRC2:USER_SGPR: 8
; COMPUTE_PGM_RSRC2:TRAP_HANDLER: 0
; COMPUTE_PGM_RSRC2:TGID_X_EN: 1
; COMPUTE_PGM_RSRC2:TGID_Y_EN: 0
; COMPUTE_PGM_RSRC2:TGID_Z_EN: 0
; COMPUTE_PGM_RSRC2:TIDIG_COMP_CNT: 0
; COMPUTE_PGM_RSRC3_GFX90A:ACCUM_OFFSET: 18
; COMPUTE_PGM_RSRC3_GFX90A:TG_SPLIT: 0
	.section	.text._ZN2at6native12_GLOBAL__N_125multi_tensor_apply_kernelINS1_18TensorListMetadataILi1EEENS1_14UnaryOpFunctorIN3c104HalfELi1ELi1ELi0EEEJNS0_4AcosIfEEEEEvT_T0_DpT1_,"axG",@progbits,_ZN2at6native12_GLOBAL__N_125multi_tensor_apply_kernelINS1_18TensorListMetadataILi1EEENS1_14UnaryOpFunctorIN3c104HalfELi1ELi1ELi0EEEJNS0_4AcosIfEEEEEvT_T0_DpT1_,comdat
	.globl	_ZN2at6native12_GLOBAL__N_125multi_tensor_apply_kernelINS1_18TensorListMetadataILi1EEENS1_14UnaryOpFunctorIN3c104HalfELi1ELi1ELi0EEEJNS0_4AcosIfEEEEEvT_T0_DpT1_ ; -- Begin function _ZN2at6native12_GLOBAL__N_125multi_tensor_apply_kernelINS1_18TensorListMetadataILi1EEENS1_14UnaryOpFunctorIN3c104HalfELi1ELi1ELi0EEEJNS0_4AcosIfEEEEEvT_T0_DpT1_
	.p2align	8
	.type	_ZN2at6native12_GLOBAL__N_125multi_tensor_apply_kernelINS1_18TensorListMetadataILi1EEENS1_14UnaryOpFunctorIN3c104HalfELi1ELi1ELi0EEEJNS0_4AcosIfEEEEEvT_T0_DpT1_,@function
_ZN2at6native12_GLOBAL__N_125multi_tensor_apply_kernelINS1_18TensorListMetadataILi1EEENS1_14UnaryOpFunctorIN3c104HalfELi1ELi1ELi0EEEJNS0_4AcosIfEEEEEvT_T0_DpT1_: ; @_ZN2at6native12_GLOBAL__N_125multi_tensor_apply_kernelINS1_18TensorListMetadataILi1EEENS1_14UnaryOpFunctorIN3c104HalfELi1ELi1ELi0EEEJNS0_4AcosIfEEEEEvT_T0_DpT1_
; %bb.0:
	v_mov_b32_e32 v1, s6
	global_load_ubyte v1, v1, s[4:5] offset:1760
	s_add_u32 s0, s4, s6
	s_mul_hi_u32 s1, s6, 3
	s_mul_i32 s6, s6, 3
	s_addc_u32 s2, s5, 0
	s_add_u32 s0, s0, s6
	s_addc_u32 s1, s2, s1
	s_load_dword s0, s[0:1], 0x820
	s_mov_b32 s7, 0
	s_waitcnt vmcnt(0)
	v_readfirstlane_b32 s2, v1
	s_lshl_b32 s1, s2, 3
	s_load_dwordx2 s[2:3], s[4:5], s1 offset:0x370
	s_load_dwordx2 s[12:13], s[4:5], s1 offset:0x0
	s_waitcnt lgkmcnt(0)
	s_ashr_i32 s1, s0, 31
	s_lshl_b64 s[14:15], s[0:1], 17
	s_lshl_b64 s[0:1], s[0:1], 16
	s_and_b32 s6, s12, 7
	s_sub_u32 s10, s2, s0
	s_subb_u32 s11, s3, s1
	s_and_b32 s0, s2, 3
	s_mov_b32 s1, s7
	s_or_b64 s[0:1], s[6:7], s[0:1]
	s_cmp_eq_u64 s[0:1], 0
	s_cbranch_scc1 .LBB51_21
; %bb.1:
	v_cmp_lt_i64_e64 s[0:1], s[10:11], 1
	s_and_b64 vcc, exec, s[0:1]
	s_cbranch_vccnz .LBB51_20
; %bb.2:
	s_load_dword s0, s[4:5], 0xd3c
	v_mov_b32_e32 v2, 0x10000
	v_mov_b32_e32 v3, 0
	v_cmp_lt_u64_e32 vcc, s[10:11], v[2:3]
	v_lshlrev_b32_e32 v1, 1, v0
	s_waitcnt lgkmcnt(0)
	s_and_b32 s2, s0, 0xffff
	s_and_b64 s[0:1], vcc, exec
	s_cselect_b32 s17, s11, 0
	s_cselect_b32 s16, s10, 0x10000
	s_lshl_b32 s3, s2, 1
	s_lshl_b32 s23, s2, 2
	s_add_u32 s6, s12, s14
	s_addc_u32 s7, s13, s15
	v_mov_b32_e32 v3, s7
	v_add_co_u32_e32 v2, vcc, s6, v1
	s_mul_i32 s0, s2, 3
	v_addc_co_u32_e32 v3, vcc, 0, v3, vcc
	v_add_co_u32_e32 v1, vcc, s0, v0
	v_addc_co_u32_e64 v6, s[0:1], 0, 0, vcc
	v_add_co_u32_e32 v7, vcc, s3, v0
	v_addc_co_u32_e64 v8, s[0:1], 0, 0, vcc
	v_add_co_u32_e32 v9, vcc, s2, v0
	v_lshlrev_b32_e32 v4, 1, v9
	s_mov_b32 s22, 0
	v_addc_co_u32_e64 v10, s[0:1], 0, 0, vcc
	v_mov_b32_e32 v5, s7
	v_add_co_u32_e32 v4, vcc, s6, v4
	s_lshl_b32 s24, s2, 3
	s_mul_i32 s25, s2, 6
	s_mov_b32 s26, s22
	v_addc_co_u32_e32 v5, vcc, 0, v5, vcc
	s_mov_b64 s[18:19], 0
	s_mov_b32 s27, -0.5
	v_mov_b32_e32 v11, 0x3d034c3c
	v_mov_b32_e32 v12, 0x3d3641b1
	;; [unrolled: 1-line block ×4, first 2 shown]
	v_mov_b32_e32 v15, 0.5
	v_mov_b32_e32 v16, s22
	s_branch .LBB51_4
.LBB51_3:                               ;   in Loop: Header=BB51_4 Depth=1
	s_or_b64 exec, exec, s[2:3]
	s_add_u32 s18, s18, s23
	s_addc_u32 s19, s19, 0
	s_waitcnt vmcnt(0)
	v_pk_mov_b32 v[18:19], s[10:11], s[10:11] op_sel:[0,1]
	v_cmp_lt_i64_e32 vcc, s[18:19], v[18:19]
	v_mov_b32_e32 v18, 0x10000
	v_mov_b32_e32 v19, 0
	v_cmp_lt_u64_e64 s[0:1], s[18:19], v[18:19]
	s_and_b64 s[0:1], vcc, s[0:1]
	v_add_co_u32_e32 v2, vcc, s24, v2
	v_addc_co_u32_e32 v3, vcc, v3, v16, vcc
	v_add_co_u32_e32 v4, vcc, s24, v4
	v_addc_co_u32_e32 v5, vcc, v5, v16, vcc
	s_and_b64 vcc, exec, s[0:1]
	s_cbranch_vccz .LBB51_20
.LBB51_4:                               ; =>This Inner Loop Header: Depth=1
	v_mov_b32_e32 v17, s19
	v_add_co_u32_e32 v18, vcc, s18, v0
	v_addc_co_u32_e32 v19, vcc, 0, v17, vcc
	v_cmp_gt_u64_e64 s[6:7], s[16:17], v[18:19]
	v_mov_b32_e32 v20, 0
	s_and_saveexec_b64 s[0:1], s[6:7]
	s_cbranch_execz .LBB51_6
; %bb.5:                                ;   in Loop: Header=BB51_4 Depth=1
	global_load_ushort v20, v[2:3], off
.LBB51_6:                               ;   in Loop: Header=BB51_4 Depth=1
	s_or_b64 exec, exec, s[0:1]
	v_mov_b32_e32 v17, s19
	v_add_co_u32_e32 v18, vcc, s18, v9
	v_addc_co_u32_e32 v19, vcc, v10, v17, vcc
	v_cmp_gt_u64_e64 s[2:3], s[16:17], v[18:19]
	v_mov_b32_e32 v19, 0
	s_and_saveexec_b64 s[0:1], s[2:3]
	s_cbranch_execz .LBB51_8
; %bb.7:                                ;   in Loop: Header=BB51_4 Depth=1
	global_load_ushort v19, v[4:5], off
.LBB51_8:                               ;   in Loop: Header=BB51_4 Depth=1
	s_or_b64 exec, exec, s[0:1]
	v_mov_b32_e32 v17, s19
	v_add_co_u32_e32 v22, vcc, s18, v7
	v_addc_co_u32_e32 v23, vcc, v8, v17, vcc
	v_cmp_gt_u64_e64 s[0:1], s[16:17], v[22:23]
	v_mov_b32_e32 v17, 0
	v_mov_b32_e32 v18, 0
	s_and_saveexec_b64 s[8:9], s[0:1]
	s_cbranch_execz .LBB51_10
; %bb.9:                                ;   in Loop: Header=BB51_4 Depth=1
	v_mov_b32_e32 v18, s22
	v_add_co_u32_e32 v22, vcc, s23, v2
	v_addc_co_u32_e32 v23, vcc, v3, v18, vcc
	global_load_ushort v18, v[22:23], off
.LBB51_10:                              ;   in Loop: Header=BB51_4 Depth=1
	s_or_b64 exec, exec, s[8:9]
	v_mov_b32_e32 v21, s19
	v_add_co_u32_e32 v22, vcc, s18, v1
	v_addc_co_u32_e32 v23, vcc, v6, v21, vcc
	v_cmp_gt_u64_e32 vcc, s[16:17], v[22:23]
	s_and_saveexec_b64 s[20:21], vcc
	s_cbranch_execnz .LBB51_15
; %bb.11:                               ;   in Loop: Header=BB51_4 Depth=1
	s_or_b64 exec, exec, s[20:21]
	s_and_saveexec_b64 s[20:21], s[6:7]
	s_cbranch_execnz .LBB51_16
.LBB51_12:                              ;   in Loop: Header=BB51_4 Depth=1
	s_or_b64 exec, exec, s[20:21]
	s_and_saveexec_b64 s[8:9], s[2:3]
	s_cbranch_execnz .LBB51_17
.LBB51_13:                              ;   in Loop: Header=BB51_4 Depth=1
	s_or_b64 exec, exec, s[8:9]
	s_and_saveexec_b64 s[6:7], s[0:1]
	s_cbranch_execnz .LBB51_18
.LBB51_14:                              ;   in Loop: Header=BB51_4 Depth=1
	s_or_b64 exec, exec, s[6:7]
	s_and_saveexec_b64 s[2:3], vcc
	s_cbranch_execz .LBB51_3
	s_branch .LBB51_19
.LBB51_15:                              ;   in Loop: Header=BB51_4 Depth=1
	v_mov_b32_e32 v17, s26
	v_add_co_u32_e64 v22, s[8:9], s25, v2
	v_addc_co_u32_e64 v23, s[8:9], v3, v17, s[8:9]
	global_load_ushort v17, v[22:23], off
	s_or_b64 exec, exec, s[20:21]
	s_and_saveexec_b64 s[20:21], s[6:7]
	s_cbranch_execz .LBB51_12
.LBB51_16:                              ;   in Loop: Header=BB51_4 Depth=1
	s_waitcnt vmcnt(0)
	v_cvt_f32_f16_e32 v21, v20
	v_fma_mix_f32 v22, |v20|, s27, v15 op_sel_hi:[1,0,0]
	v_mov_b32_e32 v23, 0x3c5fc5da
	v_cmp_gt_f16_e64 s[8:9], 0, v20
	v_mul_f32_e32 v24, v21, v21
	v_cmp_gt_f32_e64 s[6:7], |v21|, 0.5
	v_cndmask_b32_e64 v21, v24, v22, s[6:7]
	v_fmac_f32_e32 v23, 0x3d1c21a7, v21
	v_fma_f32 v23, v21, v23, v11
	v_sqrt_f32_e32 v22, v21
	v_fma_f32 v23, v21, v23, v12
	v_fma_f32 v23, v21, v23, v13
	;; [unrolled: 1-line block ×3, first 2 shown]
	v_mul_f32_e32 v21, v21, v23
	v_fmac_f32_e32 v22, v22, v21
	v_add_f32_e32 v22, v22, v22
	v_sub_f32_e32 v23, 0x40490fdb, v22
	v_fma_mix_f32 v20, v20, v21, v20 op_sel_hi:[1,0,1]
	v_cndmask_b32_e64 v22, v22, v23, s[8:9]
	v_sub_f32_e32 v20, 0x3fc90fdb, v20
	v_cndmask_b32_e64 v20, v20, v22, s[6:7]
	v_cvt_f16_f32_e32 v20, v20
	global_store_short v[2:3], v20, off
	s_or_b64 exec, exec, s[20:21]
	s_and_saveexec_b64 s[8:9], s[2:3]
	s_cbranch_execz .LBB51_13
.LBB51_17:                              ;   in Loop: Header=BB51_4 Depth=1
	s_waitcnt vmcnt(0)
	v_cvt_f32_f16_e32 v20, v19
	v_fma_mix_f32 v21, |v19|, s27, v15 op_sel_hi:[1,0,0]
	v_mov_b32_e32 v22, 0x3c5fc5da
	v_cmp_gt_f16_e64 s[6:7], 0, v19
	v_mul_f32_e32 v23, v20, v20
	v_cmp_gt_f32_e64 s[2:3], |v20|, 0.5
	v_cndmask_b32_e64 v20, v23, v21, s[2:3]
	v_fmac_f32_e32 v22, 0x3d1c21a7, v20
	v_fma_f32 v21, v20, v22, v11
	v_fma_f32 v21, v20, v21, v12
	v_sqrt_f32_e32 v22, v20
	v_fma_f32 v21, v20, v21, v13
	v_fma_f32 v21, v20, v21, v14
	v_mul_f32_e32 v20, v20, v21
	v_fmac_f32_e32 v22, v22, v20
	v_add_f32_e32 v21, v22, v22
	v_sub_f32_e32 v22, 0x40490fdb, v21
	v_fma_mix_f32 v19, v19, v20, v19 op_sel_hi:[1,0,1]
	v_cndmask_b32_e64 v21, v21, v22, s[6:7]
	v_sub_f32_e32 v19, 0x3fc90fdb, v19
	v_cndmask_b32_e64 v19, v19, v21, s[2:3]
	v_cvt_f16_f32_e32 v19, v19
	global_store_short v[4:5], v19, off
	s_or_b64 exec, exec, s[8:9]
	s_and_saveexec_b64 s[6:7], s[0:1]
	s_cbranch_execz .LBB51_14
.LBB51_18:                              ;   in Loop: Header=BB51_4 Depth=1
	s_waitcnt vmcnt(0)
	v_cvt_f32_f16_e32 v19, v18
	v_fma_mix_f32 v20, |v18|, s27, v15 op_sel_hi:[1,0,0]
	v_mov_b32_e32 v21, 0x3c5fc5da
	v_cmp_gt_f16_e64 s[2:3], 0, v18
	v_mul_f32_e32 v22, v19, v19
	v_cmp_gt_f32_e64 s[0:1], |v19|, 0.5
	v_cndmask_b32_e64 v19, v22, v20, s[0:1]
	v_fmac_f32_e32 v21, 0x3d1c21a7, v19
	v_fma_f32 v20, v19, v21, v11
	v_fma_f32 v20, v19, v20, v12
	v_sqrt_f32_e32 v21, v19
	v_fma_f32 v20, v19, v20, v13
	v_fma_f32 v20, v19, v20, v14
	v_mul_f32_e32 v19, v19, v20
	v_fmac_f32_e32 v21, v21, v19
	v_add_f32_e32 v20, v21, v21
	v_sub_f32_e32 v21, 0x40490fdb, v20
	v_fma_mix_f32 v18, v18, v19, v18 op_sel_hi:[1,0,1]
	v_cndmask_b32_e64 v20, v20, v21, s[2:3]
	v_sub_f32_e32 v18, 0x3fc90fdb, v18
	v_cndmask_b32_e64 v18, v18, v20, s[0:1]
	v_cvt_f16_f32_e32 v20, v18
	v_mov_b32_e32 v19, s22
	v_add_co_u32_e64 v18, s[0:1], s23, v2
	v_addc_co_u32_e64 v19, s[0:1], v3, v19, s[0:1]
	global_store_short v[18:19], v20, off
	s_or_b64 exec, exec, s[6:7]
	s_and_saveexec_b64 s[2:3], vcc
	s_cbranch_execz .LBB51_3
.LBB51_19:                              ;   in Loop: Header=BB51_4 Depth=1
	s_waitcnt vmcnt(0)
	v_cvt_f32_f16_e32 v18, v17
	v_fma_mix_f32 v19, |v17|, s27, v15 op_sel_hi:[1,0,0]
	v_mov_b32_e32 v20, 0x3c5fc5da
	v_cmp_gt_f16_e64 s[0:1], 0, v17
	v_mul_f32_e32 v21, v18, v18
	v_cmp_gt_f32_e64 vcc, |v18|, 0.5
	v_cndmask_b32_e32 v18, v21, v19, vcc
	v_fmac_f32_e32 v20, 0x3d1c21a7, v18
	v_fma_f32 v19, v18, v20, v11
	v_fma_f32 v19, v18, v19, v12
	v_sqrt_f32_e32 v20, v18
	v_fma_f32 v19, v18, v19, v13
	v_fma_f32 v19, v18, v19, v14
	v_mul_f32_e32 v18, v18, v19
	v_fmac_f32_e32 v20, v20, v18
	v_add_f32_e32 v19, v20, v20
	v_sub_f32_e32 v20, 0x40490fdb, v19
	v_fma_mix_f32 v17, v17, v18, v17 op_sel_hi:[1,0,1]
	v_cndmask_b32_e64 v19, v19, v20, s[0:1]
	v_sub_f32_e32 v17, 0x3fc90fdb, v17
	v_cndmask_b32_e32 v17, v17, v19, vcc
	v_cvt_f16_f32_e32 v17, v17
	v_mov_b32_e32 v19, s26
	v_add_co_u32_e32 v18, vcc, s25, v2
	v_addc_co_u32_e32 v19, vcc, v3, v19, vcc
	global_store_short v[18:19], v17, off
	s_branch .LBB51_3
.LBB51_20:
	s_cbranch_execz .LBB51_22
	s_branch .LBB51_25
.LBB51_21:
.LBB51_22:
	v_mov_b32_e32 v3, 0
	v_lshlrev_b32_e32 v2, 2, v0
	s_mov_b32 s0, 0
	v_cmp_gt_i64_e32 vcc, s[10:11], v[2:3]
	s_and_saveexec_b64 s[2:3], vcc
	s_cbranch_execz .LBB51_25
; %bb.23:
	s_load_dword s1, s[4:5], 0xd3c
	v_lshlrev_b32_e32 v1, 3, v0
	s_mov_b64 s[8:9], 0
	s_mov_b32 s16, 0x3d3641b1
	s_mov_b32 s18, 0x3d999bc8
	s_waitcnt lgkmcnt(0)
	s_and_b32 s1, s1, 0xffff
	s_add_u32 s2, s12, s14
	s_addc_u32 s3, s13, s15
	v_mov_b32_e32 v2, s3
	v_add_co_u32_e32 v4, vcc, s2, v1
	v_addc_co_u32_e32 v5, vcc, 0, v2, vcc
	v_add_lshl_u32 v2, v0, s1, 2
	s_mov_b32 s2, 0x3c5fc5da
	s_lshl_b32 s13, s1, 3
	s_lshl_b32 s15, s1, 2
	s_mov_b32 s12, 0x3d1c21a7
	v_pk_mov_b32 v[0:1], s[2:3], s[2:3] op_sel:[0,1]
	s_mov_b32 s14, 0x3d034c3c
	s_mov_b32 s20, 0x3e2aaaac
	s_mov_b64 s[22:23], 0xffff
	v_mov_b32_e32 v8, s0
	v_mov_b32_e32 v9, s0
	v_pk_mov_b32 v[6:7], v[2:3], v[2:3] op_sel:[0,1]
.LBB51_24:                              ; =>This Inner Loop Header: Depth=1
	global_load_dwordx2 v[10:11], v[4:5], off
	v_cmp_le_i64_e32 vcc, s[10:11], v[6:7]
	v_cmp_lt_u64_e64 s[0:1], s[22:23], v[6:7]
	s_or_b64 s[24:25], vcc, s[0:1]
	s_waitcnt vmcnt(0)
	v_cvt_f32_f16_e32 v12, v11
	v_cvt_f32_f16_sdwa v13, v11 dst_sel:DWORD dst_unused:UNUSED_PAD src0_sel:WORD_1
	v_cvt_f32_f16_e32 v14, v10
	v_cvt_f32_f16_sdwa v15, v10 dst_sel:DWORD dst_unused:UNUSED_PAD src0_sel:WORD_1
	v_and_b32_e32 v16, 0x7fffffff, v12
	v_and_b32_e32 v17, 0x7fffffff, v13
	v_pk_mul_f32 v[22:23], v[12:13], v[12:13]
	v_pk_fma_f32 v[16:17], -0.5, v[16:17], 0.5 op_sel_hi:[0,1,0]
	v_cmp_gt_f32_e64 vcc, |v13|, 0.5
	v_cmp_gt_f32_e64 s[0:1], |v12|, 0.5
	v_and_b32_e32 v18, 0x7fffffff, v14
	v_and_b32_e32 v19, 0x7fffffff, v15
	v_cndmask_b32_e32 v17, v23, v17, vcc
	v_cndmask_b32_e64 v16, v22, v16, s[0:1]
	v_pk_mul_f32 v[20:21], v[14:15], v[14:15]
	v_pk_fma_f32 v[18:19], -0.5, v[18:19], 0.5 op_sel_hi:[0,1,0]
	v_cmp_gt_f32_e64 s[2:3], |v15|, 0.5
	v_cmp_gt_f32_e64 s[4:5], |v14|, 0.5
	v_pk_fma_f32 v[24:25], v[16:17], s[12:13], v[0:1] op_sel_hi:[1,0,0]
	v_cndmask_b32_e64 v19, v21, v19, s[2:3]
	v_cndmask_b32_e64 v18, v20, v18, s[4:5]
	v_pk_fma_f32 v[24:25], v[16:17], v[24:25], s[14:15] op_sel_hi:[1,1,0]
	v_sqrt_f32_e32 v22, v16
	v_pk_fma_f32 v[26:27], v[18:19], s[12:13], v[0:1] op_sel_hi:[1,0,0]
	v_sqrt_f32_e32 v23, v17
	v_pk_fma_f32 v[24:25], v[16:17], v[24:25], s[16:17] op_sel_hi:[1,1,0]
	v_pk_fma_f32 v[26:27], v[18:19], v[26:27], s[14:15] op_sel_hi:[1,1,0]
	;; [unrolled: 1-line block ×3, first 2 shown]
	v_sqrt_f32_e32 v20, v18
	v_sqrt_f32_e32 v21, v19
	v_pk_fma_f32 v[26:27], v[18:19], v[26:27], s[16:17] op_sel_hi:[1,1,0]
	v_pk_fma_f32 v[24:25], v[16:17], v[24:25], s[20:21] op_sel_hi:[1,1,0]
	;; [unrolled: 1-line block ×3, first 2 shown]
	v_pk_mul_f32 v[16:17], v[16:17], v[24:25]
	v_pk_fma_f32 v[26:27], v[18:19], v[26:27], s[20:21] op_sel_hi:[1,1,0]
	v_pk_fma_f32 v[22:23], v[22:23], v[16:17], v[22:23]
	v_pk_mul_f32 v[18:19], v[18:19], v[26:27]
	v_pk_fma_f32 v[12:13], v[12:13], v[16:17], v[12:13]
	v_pk_add_f32 v[16:17], v[22:23], v[22:23]
	v_pk_fma_f32 v[20:21], v[20:21], v[18:19], v[20:21]
	v_sub_f32_e32 v22, 0x40490fdb, v17
	v_cmp_lt_f16_sdwa s[6:7], v11, v3 src0_sel:WORD_1 src1_sel:DWORD
	v_pk_fma_f32 v[14:15], v[14:15], v[18:19], v[14:15]
	v_pk_add_f32 v[18:19], v[20:21], v[20:21]
	v_sub_f32_e32 v21, 0x40490fdb, v16
	v_cndmask_b32_e64 v17, v17, v22, s[6:7]
	v_cmp_gt_f16_e64 s[6:7], 0, v11
	v_sub_f32_e32 v20, 0x40490fdb, v19
	v_cndmask_b32_e64 v11, v16, v21, s[6:7]
	v_cmp_lt_f16_sdwa s[6:7], v10, v3 src0_sel:WORD_1 src1_sel:DWORD
	v_sub_f32_e32 v2, 0x3fc90fdb, v13
	v_sub_f32_e32 v13, 0x3fc90fdb, v15
	v_sub_f32_e32 v15, 0x40490fdb, v18
	v_cndmask_b32_e64 v16, v19, v20, s[6:7]
	v_cmp_gt_f16_e64 s[6:7], 0, v10
	v_sub_f32_e32 v12, 0x3fc90fdb, v12
	v_sub_f32_e32 v14, 0x3fc90fdb, v14
	v_cndmask_b32_e64 v10, v18, v15, s[6:7]
	v_cndmask_b32_e64 v10, v14, v10, s[4:5]
	;; [unrolled: 1-line block ×4, first 2 shown]
	v_cndmask_b32_e32 v2, v2, v17, vcc
	v_cvt_f16_f32_e32 v2, v2
	v_cvt_f16_f32_e32 v11, v11
	v_cvt_f16_f32_e32 v12, v13
	v_cvt_f16_f32_e32 v10, v10
	s_and_b64 s[0:1], exec, s[24:25]
	v_pack_b32_f16 v11, v11, v2
	s_or_b64 s[8:9], s[0:1], s[8:9]
	v_pack_b32_f16 v10, v10, v12
	global_store_dwordx2 v[4:5], v[10:11], off
	v_add_co_u32_e32 v4, vcc, s13, v4
	v_addc_co_u32_e32 v5, vcc, v5, v8, vcc
	v_add_co_u32_e32 v6, vcc, s15, v6
	v_addc_co_u32_e32 v7, vcc, v7, v9, vcc
	s_andn2_b64 exec, exec, s[8:9]
	s_cbranch_execnz .LBB51_24
.LBB51_25:
	s_endpgm
	.section	.rodata,"a",@progbits
	.p2align	6, 0x0
	.amdhsa_kernel _ZN2at6native12_GLOBAL__N_125multi_tensor_apply_kernelINS1_18TensorListMetadataILi1EEENS1_14UnaryOpFunctorIN3c104HalfELi1ELi1ELi0EEEJNS0_4AcosIfEEEEEvT_T0_DpT1_
		.amdhsa_group_segment_fixed_size 0
		.amdhsa_private_segment_fixed_size 0
		.amdhsa_kernarg_size 3632
		.amdhsa_user_sgpr_count 6
		.amdhsa_user_sgpr_private_segment_buffer 1
		.amdhsa_user_sgpr_dispatch_ptr 0
		.amdhsa_user_sgpr_queue_ptr 0
		.amdhsa_user_sgpr_kernarg_segment_ptr 1
		.amdhsa_user_sgpr_dispatch_id 0
		.amdhsa_user_sgpr_flat_scratch_init 0
		.amdhsa_user_sgpr_kernarg_preload_length 0
		.amdhsa_user_sgpr_kernarg_preload_offset 0
		.amdhsa_user_sgpr_private_segment_size 0
		.amdhsa_uses_dynamic_stack 0
		.amdhsa_system_sgpr_private_segment_wavefront_offset 0
		.amdhsa_system_sgpr_workgroup_id_x 1
		.amdhsa_system_sgpr_workgroup_id_y 0
		.amdhsa_system_sgpr_workgroup_id_z 0
		.amdhsa_system_sgpr_workgroup_info 0
		.amdhsa_system_vgpr_workitem_id 0
		.amdhsa_next_free_vgpr 28
		.amdhsa_next_free_sgpr 28
		.amdhsa_accum_offset 28
		.amdhsa_reserve_vcc 1
		.amdhsa_reserve_flat_scratch 0
		.amdhsa_float_round_mode_32 0
		.amdhsa_float_round_mode_16_64 0
		.amdhsa_float_denorm_mode_32 3
		.amdhsa_float_denorm_mode_16_64 3
		.amdhsa_dx10_clamp 1
		.amdhsa_ieee_mode 1
		.amdhsa_fp16_overflow 0
		.amdhsa_tg_split 0
		.amdhsa_exception_fp_ieee_invalid_op 0
		.amdhsa_exception_fp_denorm_src 0
		.amdhsa_exception_fp_ieee_div_zero 0
		.amdhsa_exception_fp_ieee_overflow 0
		.amdhsa_exception_fp_ieee_underflow 0
		.amdhsa_exception_fp_ieee_inexact 0
		.amdhsa_exception_int_div_zero 0
	.end_amdhsa_kernel
	.section	.text._ZN2at6native12_GLOBAL__N_125multi_tensor_apply_kernelINS1_18TensorListMetadataILi1EEENS1_14UnaryOpFunctorIN3c104HalfELi1ELi1ELi0EEEJNS0_4AcosIfEEEEEvT_T0_DpT1_,"axG",@progbits,_ZN2at6native12_GLOBAL__N_125multi_tensor_apply_kernelINS1_18TensorListMetadataILi1EEENS1_14UnaryOpFunctorIN3c104HalfELi1ELi1ELi0EEEJNS0_4AcosIfEEEEEvT_T0_DpT1_,comdat
.Lfunc_end51:
	.size	_ZN2at6native12_GLOBAL__N_125multi_tensor_apply_kernelINS1_18TensorListMetadataILi1EEENS1_14UnaryOpFunctorIN3c104HalfELi1ELi1ELi0EEEJNS0_4AcosIfEEEEEvT_T0_DpT1_, .Lfunc_end51-_ZN2at6native12_GLOBAL__N_125multi_tensor_apply_kernelINS1_18TensorListMetadataILi1EEENS1_14UnaryOpFunctorIN3c104HalfELi1ELi1ELi0EEEJNS0_4AcosIfEEEEEvT_T0_DpT1_
                                        ; -- End function
	.section	.AMDGPU.csdata,"",@progbits
; Kernel info:
; codeLenInByte = 2136
; NumSgprs: 32
; NumVgprs: 28
; NumAgprs: 0
; TotalNumVgprs: 28
; ScratchSize: 0
; MemoryBound: 0
; FloatMode: 240
; IeeeMode: 1
; LDSByteSize: 0 bytes/workgroup (compile time only)
; SGPRBlocks: 3
; VGPRBlocks: 3
; NumSGPRsForWavesPerEU: 32
; NumVGPRsForWavesPerEU: 28
; AccumOffset: 28
; Occupancy: 8
; WaveLimiterHint : 0
; COMPUTE_PGM_RSRC2:SCRATCH_EN: 0
; COMPUTE_PGM_RSRC2:USER_SGPR: 6
; COMPUTE_PGM_RSRC2:TRAP_HANDLER: 0
; COMPUTE_PGM_RSRC2:TGID_X_EN: 1
; COMPUTE_PGM_RSRC2:TGID_Y_EN: 0
; COMPUTE_PGM_RSRC2:TGID_Z_EN: 0
; COMPUTE_PGM_RSRC2:TIDIG_COMP_CNT: 0
; COMPUTE_PGM_RSRC3_GFX90A:ACCUM_OFFSET: 6
; COMPUTE_PGM_RSRC3_GFX90A:TG_SPLIT: 0
	.section	.text._ZN2at6native12_GLOBAL__N_125multi_tensor_apply_kernelINS1_18TensorListMetadataILi1EEENS1_14UnaryOpFunctorIN3c108BFloat16ELi1ELi1ELi0EEEJNS0_4AcosIfEEEEEvT_T0_DpT1_,"axG",@progbits,_ZN2at6native12_GLOBAL__N_125multi_tensor_apply_kernelINS1_18TensorListMetadataILi1EEENS1_14UnaryOpFunctorIN3c108BFloat16ELi1ELi1ELi0EEEJNS0_4AcosIfEEEEEvT_T0_DpT1_,comdat
	.globl	_ZN2at6native12_GLOBAL__N_125multi_tensor_apply_kernelINS1_18TensorListMetadataILi1EEENS1_14UnaryOpFunctorIN3c108BFloat16ELi1ELi1ELi0EEEJNS0_4AcosIfEEEEEvT_T0_DpT1_ ; -- Begin function _ZN2at6native12_GLOBAL__N_125multi_tensor_apply_kernelINS1_18TensorListMetadataILi1EEENS1_14UnaryOpFunctorIN3c108BFloat16ELi1ELi1ELi0EEEJNS0_4AcosIfEEEEEvT_T0_DpT1_
	.p2align	8
	.type	_ZN2at6native12_GLOBAL__N_125multi_tensor_apply_kernelINS1_18TensorListMetadataILi1EEENS1_14UnaryOpFunctorIN3c108BFloat16ELi1ELi1ELi0EEEJNS0_4AcosIfEEEEEvT_T0_DpT1_,@function
_ZN2at6native12_GLOBAL__N_125multi_tensor_apply_kernelINS1_18TensorListMetadataILi1EEENS1_14UnaryOpFunctorIN3c108BFloat16ELi1ELi1ELi0EEEJNS0_4AcosIfEEEEEvT_T0_DpT1_: ; @_ZN2at6native12_GLOBAL__N_125multi_tensor_apply_kernelINS1_18TensorListMetadataILi1EEENS1_14UnaryOpFunctorIN3c108BFloat16ELi1ELi1ELi0EEEJNS0_4AcosIfEEEEEvT_T0_DpT1_
; %bb.0:
	v_mov_b32_e32 v1, s6
	global_load_ubyte v1, v1, s[4:5] offset:1760
	s_add_u32 s0, s4, s6
	s_mul_hi_u32 s1, s6, 3
	s_mul_i32 s6, s6, 3
	s_addc_u32 s2, s5, 0
	s_add_u32 s0, s0, s6
	s_addc_u32 s1, s2, s1
	s_load_dword s0, s[0:1], 0x820
	s_mov_b32 s7, 0
	s_waitcnt vmcnt(0)
	v_readfirstlane_b32 s2, v1
	s_lshl_b32 s1, s2, 3
	s_load_dwordx2 s[2:3], s[4:5], s1 offset:0x370
	s_load_dwordx2 s[12:13], s[4:5], s1 offset:0x0
	s_waitcnt lgkmcnt(0)
	s_ashr_i32 s1, s0, 31
	s_lshl_b64 s[14:15], s[0:1], 17
	s_lshl_b64 s[0:1], s[0:1], 16
	s_and_b32 s6, s12, 7
	s_sub_u32 s10, s2, s0
	s_subb_u32 s11, s3, s1
	s_and_b32 s0, s2, 3
	s_mov_b32 s1, s7
	s_or_b64 s[0:1], s[6:7], s[0:1]
	s_cmp_eq_u64 s[0:1], 0
	s_cbranch_scc1 .LBB52_21
; %bb.1:
	v_cmp_lt_i64_e64 s[0:1], s[10:11], 1
	s_and_b64 vcc, exec, s[0:1]
	s_cbranch_vccnz .LBB52_20
; %bb.2:
	s_load_dword s0, s[4:5], 0xd3c
	v_mov_b32_e32 v2, 0x10000
	v_mov_b32_e32 v3, 0
	v_cmp_lt_u64_e32 vcc, s[10:11], v[2:3]
	v_lshlrev_b32_e32 v1, 1, v0
	s_waitcnt lgkmcnt(0)
	s_and_b32 s2, s0, 0xffff
	s_and_b64 s[0:1], vcc, exec
	s_cselect_b32 s17, s11, 0
	s_cselect_b32 s16, s10, 0x10000
	s_lshl_b32 s3, s2, 1
	s_lshl_b32 s23, s2, 2
	s_add_u32 s6, s12, s14
	s_addc_u32 s7, s13, s15
	v_mov_b32_e32 v3, s7
	v_add_co_u32_e32 v2, vcc, s6, v1
	s_mul_i32 s0, s2, 3
	v_addc_co_u32_e32 v3, vcc, 0, v3, vcc
	v_add_co_u32_e32 v1, vcc, s0, v0
	v_addc_co_u32_e64 v6, s[0:1], 0, 0, vcc
	v_add_co_u32_e32 v7, vcc, s3, v0
	v_addc_co_u32_e64 v8, s[0:1], 0, 0, vcc
	v_add_co_u32_e32 v9, vcc, s2, v0
	v_lshlrev_b32_e32 v4, 1, v9
	s_mov_b32 s22, 0
	v_addc_co_u32_e64 v10, s[0:1], 0, 0, vcc
	v_mov_b32_e32 v5, s7
	v_add_co_u32_e32 v4, vcc, s6, v4
	s_lshl_b32 s24, s2, 3
	s_mul_i32 s25, s2, 6
	s_mov_b32 s26, s22
	v_addc_co_u32_e32 v5, vcc, 0, v5, vcc
	s_mov_b64 s[18:19], 0
	v_mov_b32_e32 v11, 0x3d034c3c
	v_mov_b32_e32 v12, 0x3d3641b1
	;; [unrolled: 1-line block ×4, first 2 shown]
	s_movk_i32 s27, 0x7fff
	v_mov_b32_e32 v15, 0x7fc0
	v_mov_b32_e32 v16, s22
	s_branch .LBB52_4
.LBB52_3:                               ;   in Loop: Header=BB52_4 Depth=1
	s_or_b64 exec, exec, s[2:3]
	s_add_u32 s18, s18, s23
	s_addc_u32 s19, s19, 0
	s_waitcnt vmcnt(0)
	v_pk_mov_b32 v[18:19], s[10:11], s[10:11] op_sel:[0,1]
	v_cmp_lt_i64_e32 vcc, s[18:19], v[18:19]
	v_mov_b32_e32 v18, 0x10000
	v_mov_b32_e32 v19, 0
	v_cmp_lt_u64_e64 s[0:1], s[18:19], v[18:19]
	s_and_b64 s[0:1], vcc, s[0:1]
	v_add_co_u32_e32 v2, vcc, s24, v2
	v_addc_co_u32_e32 v3, vcc, v3, v16, vcc
	v_add_co_u32_e32 v4, vcc, s24, v4
	v_addc_co_u32_e32 v5, vcc, v5, v16, vcc
	s_and_b64 vcc, exec, s[0:1]
	s_cbranch_vccz .LBB52_20
.LBB52_4:                               ; =>This Inner Loop Header: Depth=1
	v_mov_b32_e32 v17, s19
	v_add_co_u32_e32 v18, vcc, s18, v0
	v_addc_co_u32_e32 v19, vcc, 0, v17, vcc
	v_cmp_gt_u64_e64 s[6:7], s[16:17], v[18:19]
	v_mov_b32_e32 v20, 0
	s_and_saveexec_b64 s[0:1], s[6:7]
	s_cbranch_execz .LBB52_6
; %bb.5:                                ;   in Loop: Header=BB52_4 Depth=1
	global_load_ushort v20, v[2:3], off
.LBB52_6:                               ;   in Loop: Header=BB52_4 Depth=1
	s_or_b64 exec, exec, s[0:1]
	v_mov_b32_e32 v17, s19
	v_add_co_u32_e32 v18, vcc, s18, v9
	v_addc_co_u32_e32 v19, vcc, v10, v17, vcc
	v_cmp_gt_u64_e64 s[2:3], s[16:17], v[18:19]
	v_mov_b32_e32 v19, 0
	s_and_saveexec_b64 s[0:1], s[2:3]
	s_cbranch_execz .LBB52_8
; %bb.7:                                ;   in Loop: Header=BB52_4 Depth=1
	global_load_ushort v19, v[4:5], off
.LBB52_8:                               ;   in Loop: Header=BB52_4 Depth=1
	s_or_b64 exec, exec, s[0:1]
	v_mov_b32_e32 v17, s19
	v_add_co_u32_e32 v22, vcc, s18, v7
	v_addc_co_u32_e32 v23, vcc, v8, v17, vcc
	v_cmp_gt_u64_e64 s[0:1], s[16:17], v[22:23]
	v_mov_b32_e32 v17, 0
	v_mov_b32_e32 v18, 0
	s_and_saveexec_b64 s[8:9], s[0:1]
	s_cbranch_execz .LBB52_10
; %bb.9:                                ;   in Loop: Header=BB52_4 Depth=1
	v_mov_b32_e32 v18, s22
	v_add_co_u32_e32 v22, vcc, s23, v2
	v_addc_co_u32_e32 v23, vcc, v3, v18, vcc
	global_load_ushort v18, v[22:23], off
.LBB52_10:                              ;   in Loop: Header=BB52_4 Depth=1
	s_or_b64 exec, exec, s[8:9]
	v_mov_b32_e32 v21, s19
	v_add_co_u32_e32 v22, vcc, s18, v1
	v_addc_co_u32_e32 v23, vcc, v6, v21, vcc
	v_cmp_gt_u64_e32 vcc, s[16:17], v[22:23]
	s_and_saveexec_b64 s[20:21], vcc
	s_cbranch_execnz .LBB52_15
; %bb.11:                               ;   in Loop: Header=BB52_4 Depth=1
	s_or_b64 exec, exec, s[20:21]
	s_and_saveexec_b64 s[20:21], s[6:7]
	s_cbranch_execnz .LBB52_16
.LBB52_12:                              ;   in Loop: Header=BB52_4 Depth=1
	s_or_b64 exec, exec, s[20:21]
	s_and_saveexec_b64 s[8:9], s[2:3]
	s_cbranch_execnz .LBB52_17
.LBB52_13:                              ;   in Loop: Header=BB52_4 Depth=1
	s_or_b64 exec, exec, s[8:9]
	s_and_saveexec_b64 s[6:7], s[0:1]
	s_cbranch_execnz .LBB52_18
.LBB52_14:                              ;   in Loop: Header=BB52_4 Depth=1
	s_or_b64 exec, exec, s[6:7]
	s_and_saveexec_b64 s[2:3], vcc
	s_cbranch_execz .LBB52_3
	s_branch .LBB52_19
.LBB52_15:                              ;   in Loop: Header=BB52_4 Depth=1
	v_mov_b32_e32 v17, s26
	v_add_co_u32_e64 v22, s[8:9], s25, v2
	v_addc_co_u32_e64 v23, s[8:9], v3, v17, s[8:9]
	global_load_ushort v17, v[22:23], off
	s_or_b64 exec, exec, s[20:21]
	s_and_saveexec_b64 s[20:21], s[6:7]
	s_cbranch_execz .LBB52_12
.LBB52_16:                              ;   in Loop: Header=BB52_4 Depth=1
	s_waitcnt vmcnt(0)
	v_lshlrev_b32_e32 v20, 16, v20
	v_fma_f32 v21, |v20|, -0.5, 0.5
	v_mul_f32_e32 v22, v20, v20
	v_cmp_gt_f32_e64 s[6:7], |v20|, 0.5
	v_cndmask_b32_e64 v21, v22, v21, s[6:7]
	v_mov_b32_e32 v23, 0x3c5fc5da
	v_fmac_f32_e32 v23, 0x3d1c21a7, v21
	v_fma_f32 v23, v21, v23, v11
	v_sqrt_f32_e32 v22, v21
	v_fma_f32 v23, v21, v23, v12
	v_fma_f32 v23, v21, v23, v13
	;; [unrolled: 1-line block ×3, first 2 shown]
	v_mul_f32_e32 v21, v21, v23
	v_fmac_f32_e32 v22, v22, v21
	v_add_f32_e32 v22, v22, v22
	v_sub_f32_e32 v23, 0x40490fdb, v22
	v_cmp_gt_f32_e64 s[8:9], 0, v20
	v_fmac_f32_e32 v20, v20, v21
	v_cndmask_b32_e64 v22, v22, v23, s[8:9]
	v_sub_f32_e32 v20, 0x3fc90fdb, v20
	v_cndmask_b32_e64 v20, v20, v22, s[6:7]
	v_bfe_u32 v21, v20, 16, 1
	v_add3_u32 v21, v20, v21, s27
	v_lshrrev_b32_e32 v21, 16, v21
	v_cmp_o_f32_e64 s[6:7], v20, v20
	v_cndmask_b32_e64 v20, v15, v21, s[6:7]
	global_store_short v[2:3], v20, off
	s_or_b64 exec, exec, s[20:21]
	s_and_saveexec_b64 s[8:9], s[2:3]
	s_cbranch_execz .LBB52_13
.LBB52_17:                              ;   in Loop: Header=BB52_4 Depth=1
	s_waitcnt vmcnt(0)
	v_lshlrev_b32_e32 v19, 16, v19
	v_fma_f32 v20, |v19|, -0.5, 0.5
	v_mul_f32_e32 v21, v19, v19
	v_cmp_gt_f32_e64 s[2:3], |v19|, 0.5
	v_cndmask_b32_e64 v20, v21, v20, s[2:3]
	v_mov_b32_e32 v21, 0x3c5fc5da
	v_fmac_f32_e32 v21, 0x3d1c21a7, v20
	v_fma_f32 v21, v20, v21, v11
	v_fma_f32 v21, v20, v21, v12
	v_sqrt_f32_e32 v22, v20
	v_fma_f32 v21, v20, v21, v13
	v_fma_f32 v21, v20, v21, v14
	v_mul_f32_e32 v20, v20, v21
	v_fmac_f32_e32 v22, v22, v20
	v_add_f32_e32 v21, v22, v22
	v_sub_f32_e32 v22, 0x40490fdb, v21
	v_cmp_gt_f32_e64 s[6:7], 0, v19
	v_fmac_f32_e32 v19, v19, v20
	v_cndmask_b32_e64 v21, v21, v22, s[6:7]
	v_sub_f32_e32 v19, 0x3fc90fdb, v19
	v_cndmask_b32_e64 v19, v19, v21, s[2:3]
	v_bfe_u32 v20, v19, 16, 1
	v_add3_u32 v20, v19, v20, s27
	v_lshrrev_b32_e32 v20, 16, v20
	v_cmp_o_f32_e64 s[2:3], v19, v19
	v_cndmask_b32_e64 v19, v15, v20, s[2:3]
	global_store_short v[4:5], v19, off
	s_or_b64 exec, exec, s[8:9]
	s_and_saveexec_b64 s[6:7], s[0:1]
	s_cbranch_execz .LBB52_14
.LBB52_18:                              ;   in Loop: Header=BB52_4 Depth=1
	s_waitcnt vmcnt(0)
	v_lshlrev_b32_e32 v18, 16, v18
	v_fma_f32 v19, |v18|, -0.5, 0.5
	v_mul_f32_e32 v20, v18, v18
	v_cmp_gt_f32_e64 s[0:1], |v18|, 0.5
	v_cndmask_b32_e64 v19, v20, v19, s[0:1]
	v_mov_b32_e32 v20, 0x3c5fc5da
	v_fmac_f32_e32 v20, 0x3d1c21a7, v19
	v_fma_f32 v20, v19, v20, v11
	v_fma_f32 v20, v19, v20, v12
	v_sqrt_f32_e32 v21, v19
	v_fma_f32 v20, v19, v20, v13
	v_fma_f32 v20, v19, v20, v14
	v_mul_f32_e32 v19, v19, v20
	v_fmac_f32_e32 v21, v21, v19
	v_add_f32_e32 v20, v21, v21
	v_sub_f32_e32 v21, 0x40490fdb, v20
	v_cmp_gt_f32_e64 s[2:3], 0, v18
	v_fmac_f32_e32 v18, v18, v19
	v_cndmask_b32_e64 v20, v20, v21, s[2:3]
	v_sub_f32_e32 v18, 0x3fc90fdb, v18
	v_cndmask_b32_e64 v18, v18, v20, s[0:1]
	v_bfe_u32 v19, v18, 16, 1
	v_add3_u32 v19, v18, v19, s27
	v_lshrrev_b32_e32 v19, 16, v19
	v_cmp_o_f32_e64 s[0:1], v18, v18
	v_cndmask_b32_e64 v20, v15, v19, s[0:1]
	v_mov_b32_e32 v19, s22
	v_add_co_u32_e64 v18, s[0:1], s23, v2
	v_addc_co_u32_e64 v19, s[0:1], v3, v19, s[0:1]
	global_store_short v[18:19], v20, off
	s_or_b64 exec, exec, s[6:7]
	s_and_saveexec_b64 s[2:3], vcc
	s_cbranch_execz .LBB52_3
.LBB52_19:                              ;   in Loop: Header=BB52_4 Depth=1
	s_waitcnt vmcnt(0)
	v_lshlrev_b32_e32 v17, 16, v17
	v_fma_f32 v18, |v17|, -0.5, 0.5
	v_mul_f32_e32 v19, v17, v17
	v_cmp_gt_f32_e64 vcc, |v17|, 0.5
	v_cndmask_b32_e32 v18, v19, v18, vcc
	v_mov_b32_e32 v19, 0x3c5fc5da
	v_fmac_f32_e32 v19, 0x3d1c21a7, v18
	v_fma_f32 v19, v18, v19, v11
	v_fma_f32 v19, v18, v19, v12
	v_sqrt_f32_e32 v20, v18
	v_fma_f32 v19, v18, v19, v13
	v_fma_f32 v19, v18, v19, v14
	v_mul_f32_e32 v18, v18, v19
	v_fmac_f32_e32 v20, v20, v18
	v_add_f32_e32 v19, v20, v20
	v_sub_f32_e32 v20, 0x40490fdb, v19
	v_cmp_gt_f32_e64 s[0:1], 0, v17
	v_fmac_f32_e32 v17, v17, v18
	v_cndmask_b32_e64 v19, v19, v20, s[0:1]
	v_sub_f32_e32 v17, 0x3fc90fdb, v17
	v_cndmask_b32_e32 v17, v17, v19, vcc
	v_bfe_u32 v18, v17, 16, 1
	v_add3_u32 v18, v17, v18, s27
	v_lshrrev_b32_e32 v18, 16, v18
	v_cmp_o_f32_e32 vcc, v17, v17
	v_cndmask_b32_e32 v17, v15, v18, vcc
	v_mov_b32_e32 v19, s26
	v_add_co_u32_e32 v18, vcc, s25, v2
	v_addc_co_u32_e32 v19, vcc, v3, v19, vcc
	global_store_short v[18:19], v17, off
	s_branch .LBB52_3
.LBB52_20:
	s_cbranch_execz .LBB52_22
	s_branch .LBB52_25
.LBB52_21:
.LBB52_22:
	v_mov_b32_e32 v3, 0
	v_lshlrev_b32_e32 v2, 2, v0
	s_mov_b32 s0, 0
	v_cmp_gt_i64_e32 vcc, s[10:11], v[2:3]
	s_and_saveexec_b64 s[2:3], vcc
	s_cbranch_execz .LBB52_25
; %bb.23:
	s_load_dword s1, s[4:5], 0xd3c
	v_lshlrev_b32_e32 v1, 3, v0
	s_mov_b64 s[8:9], 0
	s_mov_b32 s16, 0x3d3641b1
	s_mov_b32 s18, 0x3d999bc8
	s_waitcnt lgkmcnt(0)
	s_and_b32 s1, s1, 0xffff
	s_add_u32 s2, s12, s14
	s_addc_u32 s3, s13, s15
	v_mov_b32_e32 v2, s3
	v_add_co_u32_e32 v4, vcc, s2, v1
	s_mov_b32 s2, 0x3c5fc5da
	v_addc_co_u32_e32 v5, vcc, 0, v2, vcc
	s_lshl_b32 s13, s1, 3
	v_add_lshl_u32 v2, v0, s1, 2
	s_lshl_b32 s15, s1, 2
	s_mov_b32 s12, 0x3d1c21a7
	v_pk_mov_b32 v[0:1], s[2:3], s[2:3] op_sel:[0,1]
	s_mov_b32 s14, 0x3d034c3c
	s_mov_b32 s20, 0x3e2aaaac
	s_movk_i32 s17, 0x7fff
	v_mov_b32_e32 v6, 0x7fc0
	v_mov_b32_e32 v7, 0x7fc00000
	s_mov_b64 s[22:23], 0xffff
	v_mov_b32_e32 v8, s0
	v_mov_b32_e32 v9, s0
.LBB52_24:                              ; =>This Inner Loop Header: Depth=1
	global_load_dwordx2 v[10:11], v[4:5], off
	v_cmp_le_i64_e32 vcc, s[10:11], v[2:3]
	v_cmp_lt_u64_e64 s[0:1], s[22:23], v[2:3]
	s_or_b64 s[0:1], vcc, s[0:1]
	s_and_b64 s[0:1], exec, s[0:1]
	s_or_b64 s[8:9], s[0:1], s[8:9]
	s_waitcnt vmcnt(0)
	v_alignbit_b32 v14, v11, v10, 16
	v_lshlrev_b32_e32 v12, 16, v10
	v_and_b32_e32 v13, 0xffff0000, v10
	v_and_b32_e32 v11, 0xffff0000, v11
	;; [unrolled: 1-line block ×6, first 2 shown]
	v_pk_mul_f32 v[18:19], v[12:13], v[12:13]
	v_and_b32_e32 v14, 0x7fffffff, v10
	v_pk_fma_f32 v[16:17], -0.5, v[16:17], 0.5 op_sel_hi:[0,1,0]
	v_cmp_gt_f32_e64 vcc, |v13|, 0.5
	v_cmp_gt_f32_e64 s[0:1], |v12|, 0.5
	v_pk_mul_f32 v[20:21], v[10:11], v[10:11]
	v_pk_fma_f32 v[14:15], -0.5, v[14:15], 0.5 op_sel_hi:[0,1,0]
	v_cndmask_b32_e32 v17, v19, v17, vcc
	v_cndmask_b32_e64 v16, v18, v16, s[0:1]
	v_cmp_gt_f32_e64 s[2:3], |v10|, 0.5
	v_cmp_gt_f32_e64 s[4:5], |v11|, 0.5
	v_cndmask_b32_e64 v14, v20, v14, s[2:3]
	v_cndmask_b32_e64 v15, v21, v15, s[4:5]
	v_pk_fma_f32 v[20:21], v[16:17], s[12:13], v[0:1] op_sel_hi:[1,0,0]
	v_pk_fma_f32 v[24:25], v[14:15], s[12:13], v[0:1] op_sel_hi:[1,0,0]
	;; [unrolled: 1-line block ×3, first 2 shown]
	v_sqrt_f32_e32 v18, v16
	v_sqrt_f32_e32 v19, v17
	v_pk_fma_f32 v[24:25], v[14:15], v[24:25], s[14:15] op_sel_hi:[1,1,0]
	v_pk_fma_f32 v[20:21], v[16:17], v[20:21], s[16:17] op_sel_hi:[1,1,0]
	v_sqrt_f32_e32 v22, v14
	v_sqrt_f32_e32 v23, v15
	v_pk_fma_f32 v[24:25], v[14:15], v[24:25], s[16:17] op_sel_hi:[1,1,0]
	v_pk_fma_f32 v[20:21], v[16:17], v[20:21], s[18:19] op_sel_hi:[1,1,0]
	;; [unrolled: 1-line block ×5, first 2 shown]
	v_pk_mul_f32 v[16:17], v[16:17], v[20:21]
	v_pk_mul_f32 v[14:15], v[14:15], v[24:25]
	v_pk_fma_f32 v[18:19], v[18:19], v[16:17], v[18:19]
	v_pk_fma_f32 v[16:17], v[12:13], v[16:17], v[12:13]
	;; [unrolled: 1-line block ×3, first 2 shown]
	v_pk_add_f32 v[18:19], v[18:19], v[18:19]
	v_sub_f32_e32 v22, 0x3fc90fdb, v16
	v_sub_f32_e32 v23, 0x3fc90fdb, v17
	v_pk_add_f32 v[16:17], v[20:21], v[20:21]
	v_sub_f32_e32 v21, 0x40490fdb, v18
	v_cmp_gt_f32_e64 s[6:7], 0, v12
	v_sub_f32_e32 v20, 0x40490fdb, v19
	v_cndmask_b32_e64 v12, v18, v21, s[6:7]
	v_cmp_gt_f32_e64 s[6:7], 0, v13
	v_pk_fma_f32 v[14:15], v[10:11], v[14:15], v[10:11]
	v_sub_f32_e32 v25, 0x40490fdb, v16
	v_cndmask_b32_e64 v13, v19, v20, s[6:7]
	v_cmp_gt_f32_e64 s[6:7], 0, v10
	v_sub_f32_e32 v14, 0x3fc90fdb, v14
	v_sub_f32_e32 v24, 0x40490fdb, v17
	v_cndmask_b32_e64 v10, v16, v25, s[6:7]
	v_cmp_gt_f32_e64 s[6:7], 0, v11
	v_cndmask_b32_e64 v12, v22, v12, s[0:1]
	v_sub_f32_e32 v15, 0x3fc90fdb, v15
	v_cndmask_b32_e64 v11, v17, v24, s[6:7]
	v_cndmask_b32_e32 v13, v23, v13, vcc
	v_cndmask_b32_e64 v10, v14, v10, s[2:3]
	v_bfe_u32 v14, v12, 16, 1
	v_cndmask_b32_e64 v11, v15, v11, s[4:5]
	v_bfe_u32 v15, v13, 16, 1
	v_add3_u32 v14, v12, v14, s17
	v_add3_u32 v15, v13, v15, s17
	v_bfe_u32 v16, v10, 16, 1
	v_lshrrev_b32_e32 v14, 16, v14
	v_cmp_o_f32_e32 vcc, v12, v12
	v_bfe_u32 v17, v11, 16, 1
	v_and_b32_e32 v15, 0xffff0000, v15
	v_add3_u32 v16, v10, v16, s17
	v_cndmask_b32_e32 v12, v6, v14, vcc
	v_cmp_o_f32_e32 vcc, v13, v13
	v_add3_u32 v17, v11, v17, s17
	v_lshrrev_b32_e32 v16, 16, v16
	v_cndmask_b32_e32 v13, v7, v15, vcc
	v_cmp_o_f32_e32 vcc, v10, v10
	v_and_b32_e32 v17, 0xffff0000, v17
	v_cndmask_b32_e32 v14, v6, v16, vcc
	v_cmp_o_f32_e32 vcc, v11, v11
	v_cndmask_b32_e32 v11, v7, v17, vcc
	v_or3_b32 v10, v12, 0, v13
	v_or3_b32 v11, 0, v14, v11
	global_store_dwordx2 v[4:5], v[10:11], off
	v_add_co_u32_e32 v4, vcc, s13, v4
	v_addc_co_u32_e32 v5, vcc, v5, v8, vcc
	v_add_co_u32_e32 v2, vcc, s15, v2
	v_addc_co_u32_e32 v3, vcc, v3, v9, vcc
	s_andn2_b64 exec, exec, s[8:9]
	s_cbranch_execnz .LBB52_24
.LBB52_25:
	s_endpgm
	.section	.rodata,"a",@progbits
	.p2align	6, 0x0
	.amdhsa_kernel _ZN2at6native12_GLOBAL__N_125multi_tensor_apply_kernelINS1_18TensorListMetadataILi1EEENS1_14UnaryOpFunctorIN3c108BFloat16ELi1ELi1ELi0EEEJNS0_4AcosIfEEEEEvT_T0_DpT1_
		.amdhsa_group_segment_fixed_size 0
		.amdhsa_private_segment_fixed_size 0
		.amdhsa_kernarg_size 3632
		.amdhsa_user_sgpr_count 6
		.amdhsa_user_sgpr_private_segment_buffer 1
		.amdhsa_user_sgpr_dispatch_ptr 0
		.amdhsa_user_sgpr_queue_ptr 0
		.amdhsa_user_sgpr_kernarg_segment_ptr 1
		.amdhsa_user_sgpr_dispatch_id 0
		.amdhsa_user_sgpr_flat_scratch_init 0
		.amdhsa_user_sgpr_kernarg_preload_length 0
		.amdhsa_user_sgpr_kernarg_preload_offset 0
		.amdhsa_user_sgpr_private_segment_size 0
		.amdhsa_uses_dynamic_stack 0
		.amdhsa_system_sgpr_private_segment_wavefront_offset 0
		.amdhsa_system_sgpr_workgroup_id_x 1
		.amdhsa_system_sgpr_workgroup_id_y 0
		.amdhsa_system_sgpr_workgroup_id_z 0
		.amdhsa_system_sgpr_workgroup_info 0
		.amdhsa_system_vgpr_workitem_id 0
		.amdhsa_next_free_vgpr 26
		.amdhsa_next_free_sgpr 28
		.amdhsa_accum_offset 28
		.amdhsa_reserve_vcc 1
		.amdhsa_reserve_flat_scratch 0
		.amdhsa_float_round_mode_32 0
		.amdhsa_float_round_mode_16_64 0
		.amdhsa_float_denorm_mode_32 3
		.amdhsa_float_denorm_mode_16_64 3
		.amdhsa_dx10_clamp 1
		.amdhsa_ieee_mode 1
		.amdhsa_fp16_overflow 0
		.amdhsa_tg_split 0
		.amdhsa_exception_fp_ieee_invalid_op 0
		.amdhsa_exception_fp_denorm_src 0
		.amdhsa_exception_fp_ieee_div_zero 0
		.amdhsa_exception_fp_ieee_overflow 0
		.amdhsa_exception_fp_ieee_underflow 0
		.amdhsa_exception_fp_ieee_inexact 0
		.amdhsa_exception_int_div_zero 0
	.end_amdhsa_kernel
	.section	.text._ZN2at6native12_GLOBAL__N_125multi_tensor_apply_kernelINS1_18TensorListMetadataILi1EEENS1_14UnaryOpFunctorIN3c108BFloat16ELi1ELi1ELi0EEEJNS0_4AcosIfEEEEEvT_T0_DpT1_,"axG",@progbits,_ZN2at6native12_GLOBAL__N_125multi_tensor_apply_kernelINS1_18TensorListMetadataILi1EEENS1_14UnaryOpFunctorIN3c108BFloat16ELi1ELi1ELi0EEEJNS0_4AcosIfEEEEEvT_T0_DpT1_,comdat
.Lfunc_end52:
	.size	_ZN2at6native12_GLOBAL__N_125multi_tensor_apply_kernelINS1_18TensorListMetadataILi1EEENS1_14UnaryOpFunctorIN3c108BFloat16ELi1ELi1ELi0EEEJNS0_4AcosIfEEEEEvT_T0_DpT1_, .Lfunc_end52-_ZN2at6native12_GLOBAL__N_125multi_tensor_apply_kernelINS1_18TensorListMetadataILi1EEENS1_14UnaryOpFunctorIN3c108BFloat16ELi1ELi1ELi0EEEJNS0_4AcosIfEEEEEvT_T0_DpT1_
                                        ; -- End function
	.section	.AMDGPU.csdata,"",@progbits
; Kernel info:
; codeLenInByte = 2372
; NumSgprs: 32
; NumVgprs: 26
; NumAgprs: 0
; TotalNumVgprs: 26
; ScratchSize: 0
; MemoryBound: 0
; FloatMode: 240
; IeeeMode: 1
; LDSByteSize: 0 bytes/workgroup (compile time only)
; SGPRBlocks: 3
; VGPRBlocks: 3
; NumSGPRsForWavesPerEU: 32
; NumVGPRsForWavesPerEU: 26
; AccumOffset: 28
; Occupancy: 8
; WaveLimiterHint : 0
; COMPUTE_PGM_RSRC2:SCRATCH_EN: 0
; COMPUTE_PGM_RSRC2:USER_SGPR: 6
; COMPUTE_PGM_RSRC2:TRAP_HANDLER: 0
; COMPUTE_PGM_RSRC2:TGID_X_EN: 1
; COMPUTE_PGM_RSRC2:TGID_Y_EN: 0
; COMPUTE_PGM_RSRC2:TGID_Z_EN: 0
; COMPUTE_PGM_RSRC2:TIDIG_COMP_CNT: 0
; COMPUTE_PGM_RSRC3_GFX90A:ACCUM_OFFSET: 6
; COMPUTE_PGM_RSRC3_GFX90A:TG_SPLIT: 0
	.section	.text._ZN2at6native12_GLOBAL__N_125multi_tensor_apply_kernelINS1_18TensorListMetadataILi2EEENS1_14UnaryOpFunctorIdLi2ELi1ELi1EEEJNS0_4AsinIdEEEEEvT_T0_DpT1_,"axG",@progbits,_ZN2at6native12_GLOBAL__N_125multi_tensor_apply_kernelINS1_18TensorListMetadataILi2EEENS1_14UnaryOpFunctorIdLi2ELi1ELi1EEEJNS0_4AsinIdEEEEEvT_T0_DpT1_,comdat
	.globl	_ZN2at6native12_GLOBAL__N_125multi_tensor_apply_kernelINS1_18TensorListMetadataILi2EEENS1_14UnaryOpFunctorIdLi2ELi1ELi1EEEJNS0_4AsinIdEEEEEvT_T0_DpT1_ ; -- Begin function _ZN2at6native12_GLOBAL__N_125multi_tensor_apply_kernelINS1_18TensorListMetadataILi2EEENS1_14UnaryOpFunctorIdLi2ELi1ELi1EEEJNS0_4AsinIdEEEEEvT_T0_DpT1_
	.p2align	8
	.type	_ZN2at6native12_GLOBAL__N_125multi_tensor_apply_kernelINS1_18TensorListMetadataILi2EEENS1_14UnaryOpFunctorIdLi2ELi1ELi1EEEJNS0_4AsinIdEEEEEvT_T0_DpT1_,@function
_ZN2at6native12_GLOBAL__N_125multi_tensor_apply_kernelINS1_18TensorListMetadataILi2EEENS1_14UnaryOpFunctorIdLi2ELi1ELi1EEEJNS0_4AsinIdEEEEEvT_T0_DpT1_: ; @_ZN2at6native12_GLOBAL__N_125multi_tensor_apply_kernelINS1_18TensorListMetadataILi2EEENS1_14UnaryOpFunctorIdLi2ELi1ELi1EEEJNS0_4AsinIdEEEEEvT_T0_DpT1_
; %bb.0:
	v_mov_b32_e32 v1, s6
	global_load_ubyte v1, v1, s[4:5] offset:1536
	s_add_u32 s0, s4, s6
	s_mul_hi_u32 s3, s6, 3
	s_mul_i32 s6, s6, 3
	s_addc_u32 s7, s5, 0
	s_add_u32 s2, s0, s6
	s_addc_u32 s3, s7, s3
	s_load_dword s14, s[2:3], 0x740
	s_mov_b32 s13, 0
	s_mov_b32 s11, s13
	;; [unrolled: 1-line block ×3, first 2 shown]
	s_waitcnt lgkmcnt(0)
	s_ashr_i32 s15, s14, 31
	s_lshl_b64 s[8:9], s[14:15], 19
	s_waitcnt vmcnt(0)
	v_readfirstlane_b32 s0, v1
	s_lshl_b32 s0, s0, 3
	s_load_dwordx2 s[6:7], s[4:5], s0 offset:0x0
	s_load_dwordx2 s[16:17], s[4:5], s0 offset:0x400
	;; [unrolled: 1-line block ×3, first 2 shown]
	s_waitcnt lgkmcnt(0)
	s_add_u32 s26, s6, s8
	s_addc_u32 s27, s7, s9
	s_and_b32 s12, s26, 31
	s_add_u32 s28, s2, s8
	s_addc_u32 s29, s3, s9
	s_and_b32 s10, s16, 3
	s_and_b32 s0, s28, 31
	s_or_b64 s[10:11], s[12:13], s[10:11]
	s_or_b64 s[0:1], s[0:1], s[10:11]
	s_lshl_b64 s[10:11], s[14:15], 16
	s_sub_u32 s10, s16, s10
	s_subb_u32 s11, s17, s11
	s_cmp_eq_u64 s[0:1], 0
	s_mov_b64 s[0:1], -1
	s_cbranch_scc0 .LBB53_13
; %bb.1:
	v_mov_b32_e32 v19, 0
	v_lshlrev_b32_e32 v18, 2, v0
	v_cmp_gt_i64_e32 vcc, s[10:11], v[18:19]
	s_and_saveexec_b64 s[14:15], vcc
	s_cbranch_execz .LBB53_12
; %bb.2:
	s_load_dword s0, s[4:5], 0xc5c
	s_mov_b32 s18, 0x9fea6a70
	s_mov_b32 s20, 0x54442d18
	s_mov_b32 s22, 0x33145c07
	v_lshlrev_b32_e32 v20, 5, v0
	s_waitcnt lgkmcnt(0)
	s_and_b32 s0, s0, 0xffff
	s_mov_b64 s[16:17], 0
	v_add_lshl_u32 v18, v0, s0, 2
	s_lshl_b32 s12, s0, 2
	s_lshl_b32 s30, s0, 5
	v_mov_b32_e32 v22, 0x78a05eaf
	v_mov_b32_e32 v23, 0xbf90a5a3
	s_mov_b32 s19, 0x3fa05985
	v_mov_b32_e32 v24, 0x37024d6a
	v_mov_b32_e32 v25, 0x3f940521
	;; [unrolled: 1-line block ×20, first 2 shown]
	s_mov_b32 s21, 0x3fe921fb
	s_mov_b32 s23, 0x3c81a626
	s_brev_b32 s31, -2
	s_mov_b64 s[24:25], 0xffff
	v_mov_b32_e32 v1, 0x3ff921fb
	v_mov_b32_e32 v21, 0x54442d18
	s_branch .LBB53_4
.LBB53_3:                               ;   in Loop: Header=BB53_4 Depth=1
	s_or_b64 exec, exec, s[0:1]
	v_bfi_b32 v15, s31, v15, v3
	v_mov_b32_e32 v3, s29
	v_add_co_u32_e32 v2, vcc, s28, v20
	v_addc_co_u32_e32 v3, vcc, 0, v3, vcc
	v_cmp_le_i64_e32 vcc, s[10:11], v[18:19]
	v_cmp_lt_u64_e64 s[0:1], s[24:25], v[18:19]
	s_or_b64 s[0:1], vcc, s[0:1]
	s_add_u32 s26, s26, s30
	s_addc_u32 s27, s27, 0
	s_add_u32 s28, s28, s30
	v_bfi_b32 v13, s31, v13, v9
	v_bfi_b32 v11, s31, v11, v7
	s_addc_u32 s29, s29, 0
	v_bfi_b32 v17, s31, v17, v5
	global_store_dwordx4 v[2:3], v[10:13], off
	global_store_dwordx4 v[2:3], v[14:17], off offset:16
	v_mov_b32_e32 v2, s13
	s_and_b64 s[0:1], exec, s[0:1]
	v_add_co_u32_e32 v18, vcc, s12, v18
	s_or_b64 s[16:17], s[0:1], s[16:17]
	v_addc_co_u32_e32 v19, vcc, v19, v2, vcc
	s_andn2_b64 exec, exec, s[16:17]
	s_cbranch_execz .LBB53_12
.LBB53_4:                               ; =>This Inner Loop Header: Depth=1
	v_mov_b32_e32 v2, s27
	v_add_co_u32_e32 v10, vcc, s26, v20
	v_addc_co_u32_e32 v11, vcc, 0, v2, vcc
	global_load_dwordx4 v[6:9], v[10:11], off
	global_load_dwordx4 v[2:5], v[10:11], off offset:16
	s_waitcnt vmcnt(1)
	v_fma_f64 v[14:15], |v[6:7]|, -0.5, 0.5
	v_mul_f64 v[10:11], v[6:7], v[6:7]
	v_cmp_ge_f64_e64 vcc, |v[6:7]|, 0.5
	v_cndmask_b32_e32 v11, v11, v15, vcc
	v_cndmask_b32_e32 v10, v10, v14, vcc
	v_fma_f64 v[12:13], s[18:19], v[10:11], v[22:23]
	v_fma_f64 v[12:13], v[10:11], v[12:13], v[24:25]
	;; [unrolled: 1-line block ×11, first 2 shown]
	v_mul_f64 v[12:13], v[10:11], v[12:13]
	v_fma_f64 v[10:11], |v[6:7]|, v[12:13], |v[6:7]|
	s_and_saveexec_b64 s[0:1], vcc
	s_cbranch_execz .LBB53_6
; %bb.5:                                ;   in Loop: Header=BB53_4 Depth=1
	v_rsq_f64_e32 v[10:11], v[14:15]
	v_cmp_eq_f64_e32 vcc, 0, v[14:15]
	v_mul_f64 v[16:17], v[14:15], v[10:11]
	v_mul_f64 v[10:11], v[10:11], 0.5
	v_fma_f64 v[44:45], -v[10:11], v[16:17], 0.5
	v_fmac_f64_e32 v[16:17], v[16:17], v[44:45]
	v_fmac_f64_e32 v[10:11], v[10:11], v[44:45]
	v_fma_f64 v[44:45], -v[16:17], v[16:17], v[14:15]
	v_fmac_f64_e32 v[16:17], v[44:45], v[10:11]
	v_cndmask_b32_e32 v11, v17, v15, vcc
	v_cndmask_b32_e32 v10, v16, v14, vcc
	v_add_f64 v[48:49], v[10:11], v[10:11]
	v_rcp_f64_e32 v[50:51], v[48:49]
	v_mul_f64 v[16:17], v[10:11], v[10:11]
	v_add_f64 v[46:47], v[14:15], -v[16:17]
	v_add_f64 v[14:15], v[14:15], -v[46:47]
	v_fma_f64 v[44:45], v[10:11], v[10:11], -v[16:17]
	v_add_f64 v[14:15], v[14:15], -v[16:17]
	v_fma_f64 v[16:17], -v[48:49], v[50:51], 1.0
	v_fmac_f64_e32 v[50:51], v[16:17], v[50:51]
	v_add_f64 v[14:15], v[14:15], -v[44:45]
	v_fma_f64 v[16:17], -v[48:49], v[50:51], 1.0
	v_add_f64 v[14:15], v[46:47], v[14:15]
	v_fmac_f64_e32 v[50:51], v[16:17], v[50:51]
	v_mul_f64 v[16:17], v[14:15], v[50:51]
	v_fma_f64 v[14:15], -v[48:49], v[16:17], v[14:15]
	v_fmac_f64_e32 v[16:17], v[14:15], v[50:51]
	v_cndmask_b32_e64 v15, v17, 0, vcc
	v_cndmask_b32_e64 v14, v16, 0, vcc
	v_add_f64 v[16:17], v[10:11], v[14:15]
	v_add_f64 v[10:11], v[16:17], -v[10:11]
	v_add_f64 v[10:11], v[14:15], -v[10:11]
	v_mul_f64 v[14:15], v[12:13], v[16:17]
	v_fma_f64 v[44:45], v[16:17], v[12:13], -v[14:15]
	v_fmac_f64_e32 v[44:45], v[10:11], v[12:13]
	v_add_f64 v[12:13], v[14:15], v[44:45]
	v_add_f64 v[14:15], v[12:13], -v[14:15]
	v_add_f64 v[14:15], v[44:45], -v[14:15]
	v_add_f64 v[44:45], v[16:17], v[12:13]
	v_add_f64 v[16:17], v[44:45], -v[16:17]
	v_add_f64 v[12:13], v[12:13], -v[16:17]
	v_add_f64 v[10:11], v[10:11], v[14:15]
	v_add_f64 v[10:11], v[10:11], v[12:13]
	;; [unrolled: 1-line block ×3, first 2 shown]
	v_add_f64 v[16:17], -v[12:13], s[20:21]
	v_add_f64 v[14:15], v[12:13], -v[44:45]
	v_add_f64 v[44:45], -v[16:17], s[20:21]
	v_add_f64 v[12:13], v[44:45], -v[12:13]
	v_add_f64 v[12:13], v[12:13], s[22:23]
	v_add_f64 v[10:11], v[14:15], -v[10:11]
	v_add_f64 v[10:11], v[10:11], v[12:13]
	v_add_f64 v[10:11], v[16:17], v[10:11]
	;; [unrolled: 1-line block ×3, first 2 shown]
	v_cmp_neq_f64_e64 vcc, |v[6:7]|, 1.0
	v_cndmask_b32_e32 v11, v1, v11, vcc
	v_cndmask_b32_e32 v10, v21, v10, vcc
.LBB53_6:                               ;   in Loop: Header=BB53_4 Depth=1
	s_or_b64 exec, exec, s[0:1]
	v_fma_f64 v[14:15], |v[8:9]|, -0.5, 0.5
	v_mul_f64 v[12:13], v[8:9], v[8:9]
	v_cmp_ge_f64_e64 vcc, |v[8:9]|, 0.5
	v_cndmask_b32_e32 v13, v13, v15, vcc
	v_cndmask_b32_e32 v12, v12, v14, vcc
	v_fma_f64 v[16:17], s[18:19], v[12:13], v[22:23]
	v_fma_f64 v[16:17], v[12:13], v[16:17], v[24:25]
	;; [unrolled: 1-line block ×11, first 2 shown]
	v_mul_f64 v[16:17], v[12:13], v[16:17]
	v_fma_f64 v[12:13], |v[8:9]|, v[16:17], |v[8:9]|
	s_and_saveexec_b64 s[0:1], vcc
	s_cbranch_execz .LBB53_8
; %bb.7:                                ;   in Loop: Header=BB53_4 Depth=1
	v_rsq_f64_e32 v[12:13], v[14:15]
	v_cmp_eq_f64_e32 vcc, 0, v[14:15]
	v_mul_f64 v[44:45], v[14:15], v[12:13]
	v_mul_f64 v[12:13], v[12:13], 0.5
	v_fma_f64 v[46:47], -v[12:13], v[44:45], 0.5
	v_fmac_f64_e32 v[44:45], v[44:45], v[46:47]
	v_fmac_f64_e32 v[12:13], v[12:13], v[46:47]
	v_fma_f64 v[46:47], -v[44:45], v[44:45], v[14:15]
	v_fmac_f64_e32 v[44:45], v[46:47], v[12:13]
	v_cndmask_b32_e32 v13, v45, v15, vcc
	v_cndmask_b32_e32 v12, v44, v14, vcc
	v_add_f64 v[50:51], v[12:13], v[12:13]
	v_rcp_f64_e32 v[52:53], v[50:51]
	v_mul_f64 v[44:45], v[12:13], v[12:13]
	v_add_f64 v[48:49], v[14:15], -v[44:45]
	v_add_f64 v[14:15], v[14:15], -v[48:49]
	v_fma_f64 v[46:47], v[12:13], v[12:13], -v[44:45]
	v_add_f64 v[14:15], v[14:15], -v[44:45]
	v_fma_f64 v[44:45], -v[50:51], v[52:53], 1.0
	v_fmac_f64_e32 v[52:53], v[44:45], v[52:53]
	v_add_f64 v[14:15], v[14:15], -v[46:47]
	v_fma_f64 v[44:45], -v[50:51], v[52:53], 1.0
	v_add_f64 v[14:15], v[48:49], v[14:15]
	v_fmac_f64_e32 v[52:53], v[44:45], v[52:53]
	v_mul_f64 v[44:45], v[14:15], v[52:53]
	v_fma_f64 v[14:15], -v[50:51], v[44:45], v[14:15]
	v_fmac_f64_e32 v[44:45], v[14:15], v[52:53]
	v_cndmask_b32_e64 v15, v45, 0, vcc
	v_cndmask_b32_e64 v14, v44, 0, vcc
	v_add_f64 v[44:45], v[12:13], v[14:15]
	v_add_f64 v[12:13], v[44:45], -v[12:13]
	v_add_f64 v[12:13], v[14:15], -v[12:13]
	v_mul_f64 v[14:15], v[16:17], v[44:45]
	v_fma_f64 v[46:47], v[44:45], v[16:17], -v[14:15]
	v_fmac_f64_e32 v[46:47], v[12:13], v[16:17]
	v_add_f64 v[16:17], v[14:15], v[46:47]
	v_add_f64 v[14:15], v[16:17], -v[14:15]
	v_add_f64 v[14:15], v[46:47], -v[14:15]
	v_add_f64 v[46:47], v[44:45], v[16:17]
	v_add_f64 v[44:45], v[46:47], -v[44:45]
	v_add_f64 v[16:17], v[16:17], -v[44:45]
	v_add_f64 v[12:13], v[12:13], v[14:15]
	v_add_f64 v[12:13], v[12:13], v[16:17]
	;; [unrolled: 1-line block ×3, first 2 shown]
	v_add_f64 v[44:45], -v[14:15], s[20:21]
	v_add_f64 v[16:17], v[14:15], -v[46:47]
	v_add_f64 v[46:47], -v[44:45], s[20:21]
	v_add_f64 v[14:15], v[46:47], -v[14:15]
	v_add_f64 v[14:15], v[14:15], s[22:23]
	v_add_f64 v[12:13], v[16:17], -v[12:13]
	v_add_f64 v[12:13], v[12:13], v[14:15]
	v_add_f64 v[12:13], v[44:45], v[12:13]
	;; [unrolled: 1-line block ×3, first 2 shown]
	v_cmp_neq_f64_e64 vcc, |v[8:9]|, 1.0
	v_cndmask_b32_e32 v13, v1, v13, vcc
	v_cndmask_b32_e32 v12, v21, v12, vcc
.LBB53_8:                               ;   in Loop: Header=BB53_4 Depth=1
	s_or_b64 exec, exec, s[0:1]
	s_waitcnt vmcnt(0)
	v_fma_f64 v[16:17], |v[2:3]|, -0.5, 0.5
	v_mul_f64 v[14:15], v[2:3], v[2:3]
	v_cmp_ge_f64_e64 vcc, |v[2:3]|, 0.5
	v_cndmask_b32_e32 v15, v15, v17, vcc
	v_cndmask_b32_e32 v14, v14, v16, vcc
	v_pk_mov_b32 v[44:45], v[22:23], v[22:23] op_sel:[0,1]
	v_fmac_f64_e32 v[44:45], s[18:19], v[14:15]
	v_pk_mov_b32 v[46:47], v[24:25], v[24:25] op_sel:[0,1]
	v_fmac_f64_e32 v[46:47], v[14:15], v[44:45]
	;; [unrolled: 2-line block ×11, first 2 shown]
	v_mul_f64 v[44:45], v[14:15], v[44:45]
	v_fma_f64 v[14:15], |v[2:3]|, v[44:45], |v[2:3]|
	s_and_saveexec_b64 s[0:1], vcc
	s_cbranch_execz .LBB53_10
; %bb.9:                                ;   in Loop: Header=BB53_4 Depth=1
	v_rsq_f64_e32 v[14:15], v[16:17]
	v_cmp_eq_f64_e32 vcc, 0, v[16:17]
	v_mul_f64 v[46:47], v[16:17], v[14:15]
	v_mul_f64 v[14:15], v[14:15], 0.5
	v_fma_f64 v[48:49], -v[14:15], v[46:47], 0.5
	v_fmac_f64_e32 v[46:47], v[46:47], v[48:49]
	v_fmac_f64_e32 v[14:15], v[14:15], v[48:49]
	v_fma_f64 v[48:49], -v[46:47], v[46:47], v[16:17]
	v_fmac_f64_e32 v[46:47], v[48:49], v[14:15]
	v_cndmask_b32_e32 v15, v47, v17, vcc
	v_cndmask_b32_e32 v14, v46, v16, vcc
	v_add_f64 v[52:53], v[14:15], v[14:15]
	v_rcp_f64_e32 v[54:55], v[52:53]
	v_mul_f64 v[46:47], v[14:15], v[14:15]
	v_add_f64 v[50:51], v[16:17], -v[46:47]
	v_add_f64 v[16:17], v[16:17], -v[50:51]
	v_fma_f64 v[48:49], v[14:15], v[14:15], -v[46:47]
	v_add_f64 v[16:17], v[16:17], -v[46:47]
	v_fma_f64 v[46:47], -v[52:53], v[54:55], 1.0
	v_fmac_f64_e32 v[54:55], v[46:47], v[54:55]
	v_add_f64 v[16:17], v[16:17], -v[48:49]
	v_fma_f64 v[46:47], -v[52:53], v[54:55], 1.0
	v_add_f64 v[16:17], v[50:51], v[16:17]
	v_fmac_f64_e32 v[54:55], v[46:47], v[54:55]
	v_mul_f64 v[46:47], v[16:17], v[54:55]
	v_fma_f64 v[16:17], -v[52:53], v[46:47], v[16:17]
	v_fmac_f64_e32 v[46:47], v[16:17], v[54:55]
	v_cndmask_b32_e64 v17, v47, 0, vcc
	v_cndmask_b32_e64 v16, v46, 0, vcc
	v_add_f64 v[46:47], v[14:15], v[16:17]
	v_add_f64 v[14:15], v[46:47], -v[14:15]
	v_add_f64 v[14:15], v[16:17], -v[14:15]
	v_mul_f64 v[16:17], v[44:45], v[46:47]
	v_fma_f64 v[48:49], v[46:47], v[44:45], -v[16:17]
	v_fmac_f64_e32 v[48:49], v[14:15], v[44:45]
	v_add_f64 v[44:45], v[16:17], v[48:49]
	v_add_f64 v[16:17], v[44:45], -v[16:17]
	v_add_f64 v[16:17], v[48:49], -v[16:17]
	v_add_f64 v[48:49], v[46:47], v[44:45]
	v_add_f64 v[46:47], v[48:49], -v[46:47]
	v_add_f64 v[44:45], v[44:45], -v[46:47]
	v_add_f64 v[14:15], v[14:15], v[16:17]
	v_add_f64 v[14:15], v[14:15], v[44:45]
	;; [unrolled: 1-line block ×3, first 2 shown]
	v_add_f64 v[46:47], -v[16:17], s[20:21]
	v_add_f64 v[44:45], v[16:17], -v[48:49]
	v_add_f64 v[48:49], -v[46:47], s[20:21]
	v_add_f64 v[16:17], v[48:49], -v[16:17]
	v_add_f64 v[16:17], v[16:17], s[22:23]
	v_add_f64 v[14:15], v[44:45], -v[14:15]
	v_add_f64 v[14:15], v[14:15], v[16:17]
	v_add_f64 v[14:15], v[46:47], v[14:15]
	;; [unrolled: 1-line block ×3, first 2 shown]
	v_cmp_neq_f64_e64 vcc, |v[2:3]|, 1.0
	v_cndmask_b32_e32 v15, v1, v15, vcc
	v_cndmask_b32_e32 v14, v21, v14, vcc
.LBB53_10:                              ;   in Loop: Header=BB53_4 Depth=1
	s_or_b64 exec, exec, s[0:1]
	v_fma_f64 v[44:45], |v[4:5]|, -0.5, 0.5
	v_mul_f64 v[16:17], v[4:5], v[4:5]
	v_cmp_ge_f64_e64 vcc, |v[4:5]|, 0.5
	v_cndmask_b32_e32 v17, v17, v45, vcc
	v_cndmask_b32_e32 v16, v16, v44, vcc
	v_pk_mov_b32 v[46:47], v[22:23], v[22:23] op_sel:[0,1]
	v_fmac_f64_e32 v[46:47], s[18:19], v[16:17]
	v_pk_mov_b32 v[48:49], v[24:25], v[24:25] op_sel:[0,1]
	v_fmac_f64_e32 v[48:49], v[16:17], v[46:47]
	;; [unrolled: 2-line block ×11, first 2 shown]
	v_mul_f64 v[46:47], v[16:17], v[46:47]
	v_fma_f64 v[16:17], |v[4:5]|, v[46:47], |v[4:5]|
	s_and_saveexec_b64 s[0:1], vcc
	s_cbranch_execz .LBB53_3
; %bb.11:                               ;   in Loop: Header=BB53_4 Depth=1
	v_rsq_f64_e32 v[16:17], v[44:45]
	v_cmp_eq_f64_e32 vcc, 0, v[44:45]
	v_mul_f64 v[48:49], v[44:45], v[16:17]
	v_mul_f64 v[16:17], v[16:17], 0.5
	v_fma_f64 v[50:51], -v[16:17], v[48:49], 0.5
	v_fmac_f64_e32 v[48:49], v[48:49], v[50:51]
	v_fmac_f64_e32 v[16:17], v[16:17], v[50:51]
	v_fma_f64 v[50:51], -v[48:49], v[48:49], v[44:45]
	v_fmac_f64_e32 v[48:49], v[50:51], v[16:17]
	v_cndmask_b32_e32 v17, v49, v45, vcc
	v_cndmask_b32_e32 v16, v48, v44, vcc
	v_add_f64 v[54:55], v[16:17], v[16:17]
	v_rcp_f64_e32 v[56:57], v[54:55]
	v_mul_f64 v[48:49], v[16:17], v[16:17]
	v_add_f64 v[52:53], v[44:45], -v[48:49]
	v_add_f64 v[44:45], v[44:45], -v[52:53]
	v_fma_f64 v[50:51], v[16:17], v[16:17], -v[48:49]
	v_add_f64 v[44:45], v[44:45], -v[48:49]
	v_fma_f64 v[48:49], -v[54:55], v[56:57], 1.0
	v_fmac_f64_e32 v[56:57], v[48:49], v[56:57]
	v_add_f64 v[44:45], v[44:45], -v[50:51]
	v_fma_f64 v[48:49], -v[54:55], v[56:57], 1.0
	v_add_f64 v[44:45], v[52:53], v[44:45]
	v_fmac_f64_e32 v[56:57], v[48:49], v[56:57]
	v_mul_f64 v[48:49], v[44:45], v[56:57]
	v_fma_f64 v[44:45], -v[54:55], v[48:49], v[44:45]
	v_fmac_f64_e32 v[48:49], v[44:45], v[56:57]
	v_cndmask_b32_e64 v45, v49, 0, vcc
	v_cndmask_b32_e64 v44, v48, 0, vcc
	v_add_f64 v[48:49], v[16:17], v[44:45]
	v_add_f64 v[16:17], v[48:49], -v[16:17]
	v_add_f64 v[16:17], v[44:45], -v[16:17]
	v_mul_f64 v[44:45], v[46:47], v[48:49]
	v_fma_f64 v[50:51], v[48:49], v[46:47], -v[44:45]
	v_fmac_f64_e32 v[50:51], v[16:17], v[46:47]
	v_add_f64 v[46:47], v[44:45], v[50:51]
	v_add_f64 v[44:45], v[46:47], -v[44:45]
	v_add_f64 v[44:45], v[50:51], -v[44:45]
	v_add_f64 v[50:51], v[48:49], v[46:47]
	v_add_f64 v[48:49], v[50:51], -v[48:49]
	v_add_f64 v[46:47], v[46:47], -v[48:49]
	v_add_f64 v[16:17], v[16:17], v[44:45]
	v_add_f64 v[16:17], v[16:17], v[46:47]
	;; [unrolled: 1-line block ×3, first 2 shown]
	v_add_f64 v[48:49], -v[44:45], s[20:21]
	v_add_f64 v[46:47], v[44:45], -v[50:51]
	v_add_f64 v[50:51], -v[48:49], s[20:21]
	v_add_f64 v[44:45], v[50:51], -v[44:45]
	v_add_f64 v[44:45], v[44:45], s[22:23]
	v_add_f64 v[16:17], v[46:47], -v[16:17]
	v_add_f64 v[16:17], v[16:17], v[44:45]
	v_add_f64 v[16:17], v[48:49], v[16:17]
	;; [unrolled: 1-line block ×3, first 2 shown]
	v_cmp_neq_f64_e64 vcc, |v[4:5]|, 1.0
	v_cndmask_b32_e32 v17, v1, v17, vcc
	v_cndmask_b32_e32 v16, v21, v16, vcc
	s_branch .LBB53_3
.LBB53_12:
	s_or_b64 exec, exec, s[14:15]
	s_mov_b64 s[0:1], 0
.LBB53_13:
	s_andn2_b64 vcc, exec, s[0:1]
	s_cbranch_vccnz .LBB53_41
; %bb.14:
	v_cmp_lt_i64_e64 s[0:1], s[10:11], 1
	s_and_b64 vcc, exec, s[0:1]
	s_cbranch_vccnz .LBB53_41
; %bb.15:
	s_load_dword s0, s[4:5], 0xc5c
	v_mov_b32_e32 v2, 0x10000
	v_mov_b32_e32 v3, 0
	v_cmp_lt_u64_e32 vcc, s[10:11], v[2:3]
	v_lshlrev_b32_e32 v10, 3, v0
	s_waitcnt lgkmcnt(0)
	s_and_b32 s4, s0, 0xffff
	s_and_b64 s[0:1], vcc, exec
	v_mov_b32_e32 v13, s7
	v_add_co_u32_e32 v2, vcc, s6, v10
	v_addc_co_u32_e32 v1, vcc, 0, v13, vcc
	v_mov_b32_e32 v11, 0
	v_mov_b32_e32 v15, s3
	v_add_co_u32_e32 v4, vcc, s2, v10
	v_addc_co_u32_e32 v3, vcc, 0, v15, vcc
	v_mad_u64_u32 v[8:9], s[0:1], s4, 24, v[10:11]
	v_add_co_u32_e32 v6, vcc, s6, v8
	v_addc_co_u32_e32 v5, vcc, v13, v9, vcc
	v_add_co_u32_e32 v8, vcc, s2, v8
	s_mul_i32 s14, s4, 3
	v_addc_co_u32_e32 v7, vcc, v15, v9, vcc
	v_add_co_u32_e32 v39, vcc, s14, v0
	v_addc_co_u32_e64 v60, s[0:1], 0, 0, vcc
	s_cselect_b32 s13, s11, 0
	s_cselect_b32 s12, s10, 0x10000
	s_lshl_b32 s0, s4, 4
	v_add_co_u32_e32 v11, vcc, s0, v10
	v_addc_co_u32_e64 v14, s[0:1], 0, 0, vcc
	v_add_co_u32_e32 v10, vcc, s6, v11
	v_addc_co_u32_e32 v9, vcc, v13, v14, vcc
	v_add_co_u32_e32 v12, vcc, s2, v11
	s_lshl_b32 s5, s4, 1
	v_addc_co_u32_e32 v11, vcc, v15, v14, vcc
	v_add_co_u32_e32 v61, vcc, s5, v0
	v_addc_co_u32_e64 v62, s[0:1], 0, 0, vcc
	v_add_co_u32_e32 v63, vcc, s4, v0
	v_lshlrev_b32_e32 v38, 3, v63
	v_addc_co_u32_e64 v64, s[0:1], 0, 0, vcc
	v_add_co_u32_e32 v14, vcc, s6, v38
	v_addc_co_u32_e32 v13, vcc, 0, v13, vcc
	s_mov_b32 s16, 0x9fea6a70
	s_mov_b32 s18, 0x54442d18
	;; [unrolled: 1-line block ×3, first 2 shown]
	v_add_co_u32_e32 v38, vcc, s2, v38
	s_mov_b32 s24, 0
	s_lshl_b32 s25, s4, 2
	s_lshl_b32 s26, s4, 5
	s_mov_b64 s[14:15], 0
	s_mov_b32 s17, 0x3fa05985
	s_mov_b32 s19, 0x3fe921fb
	s_mov_b32 s21, 0x3c81a626
	s_brev_b32 s27, -2
	v_mov_b32_e32 v16, 0x78a05eaf
	v_mov_b32_e32 v17, 0xbf90a5a3
	;; [unrolled: 1-line block ×22, first 2 shown]
	v_addc_co_u32_e32 v15, vcc, 0, v15, vcc
	v_mov_b32_e32 v65, 0x3ff921fb
	v_mov_b32_e32 v66, 0x54442d18
	s_branch .LBB53_17
.LBB53_16:                              ;   in Loop: Header=BB53_17 Depth=1
	s_or_b64 exec, exec, s[0:1]
	s_add_u32 s14, s14, s25
	s_addc_u32 s15, s15, 0
	v_pk_mov_b32 v[40:41], s[10:11], s[10:11] op_sel:[0,1]
	v_cmp_ge_i64_e32 vcc, s[14:15], v[40:41]
	v_mov_b32_e32 v40, 0xffff
	v_mov_b32_e32 v41, 0
	v_cmp_gt_u64_e64 s[0:1], s[14:15], v[40:41]
	s_or_b64 s[0:1], vcc, s[0:1]
	v_mov_b32_e32 v40, s24
	v_add_co_u32_e32 v2, vcc, s26, v2
	v_addc_co_u32_e32 v1, vcc, v1, v40, vcc
	v_add_co_u32_e32 v4, vcc, s26, v4
	v_addc_co_u32_e32 v3, vcc, v3, v40, vcc
	;; [unrolled: 2-line block ×8, first 2 shown]
	s_and_b64 vcc, exec, s[0:1]
	s_cbranch_vccnz .LBB53_41
.LBB53_17:                              ; =>This Inner Loop Header: Depth=1
	v_mov_b32_e32 v41, s15
	v_add_co_u32_e32 v40, vcc, s14, v0
	v_addc_co_u32_e32 v41, vcc, 0, v41, vcc
	v_cmp_gt_u64_e32 vcc, s[12:13], v[40:41]
	v_pk_mov_b32 v[40:41], 0, 0
	v_pk_mov_b32 v[44:45], v[40:41], v[40:41] op_sel:[0,1]
	s_and_saveexec_b64 s[2:3], vcc
	s_cbranch_execz .LBB53_19
; %bb.18:                               ;   in Loop: Header=BB53_17 Depth=1
	v_mov_b32_e32 v43, s9
	v_add_co_u32_e64 v42, s[0:1], s8, v2
	v_addc_co_u32_e64 v43, s[0:1], v1, v43, s[0:1]
	global_load_dwordx2 v[44:45], v[42:43], off
.LBB53_19:                              ;   in Loop: Header=BB53_17 Depth=1
	s_or_b64 exec, exec, s[2:3]
	v_mov_b32_e32 v43, s15
	v_add_co_u32_e64 v42, s[0:1], s14, v63
	v_addc_co_u32_e64 v43, s[0:1], v64, v43, s[0:1]
	v_cmp_gt_u64_e64 s[0:1], s[12:13], v[42:43]
	s_and_saveexec_b64 s[4:5], s[0:1]
	s_cbranch_execz .LBB53_21
; %bb.20:                               ;   in Loop: Header=BB53_17 Depth=1
	v_mov_b32_e32 v41, s9
	v_add_co_u32_e64 v40, s[2:3], s8, v14
	v_addc_co_u32_e64 v41, s[2:3], v13, v41, s[2:3]
	global_load_dwordx2 v[40:41], v[40:41], off
.LBB53_21:                              ;   in Loop: Header=BB53_17 Depth=1
	s_or_b64 exec, exec, s[4:5]
	v_mov_b32_e32 v43, s15
	v_add_co_u32_e64 v42, s[2:3], s14, v61
	v_addc_co_u32_e64 v43, s[2:3], v62, v43, s[2:3]
	v_cmp_gt_u64_e64 s[2:3], s[12:13], v[42:43]
	v_pk_mov_b32 v[42:43], 0, 0
	v_pk_mov_b32 v[46:47], v[42:43], v[42:43] op_sel:[0,1]
	s_and_saveexec_b64 s[6:7], s[2:3]
	s_cbranch_execz .LBB53_23
; %bb.22:                               ;   in Loop: Header=BB53_17 Depth=1
	v_mov_b32_e32 v47, s9
	v_add_co_u32_e64 v46, s[4:5], s8, v10
	v_addc_co_u32_e64 v47, s[4:5], v9, v47, s[4:5]
	global_load_dwordx2 v[46:47], v[46:47], off
.LBB53_23:                              ;   in Loop: Header=BB53_17 Depth=1
	s_or_b64 exec, exec, s[6:7]
	v_mov_b32_e32 v49, s15
	v_add_co_u32_e64 v48, s[4:5], s14, v39
	v_addc_co_u32_e64 v49, s[4:5], v60, v49, s[4:5]
	v_cmp_gt_u64_e64 s[4:5], s[12:13], v[48:49]
	s_and_saveexec_b64 s[22:23], s[4:5]
	s_cbranch_execz .LBB53_25
; %bb.24:                               ;   in Loop: Header=BB53_17 Depth=1
	v_mov_b32_e32 v43, s9
	v_add_co_u32_e64 v42, s[6:7], s8, v6
	v_addc_co_u32_e64 v43, s[6:7], v5, v43, s[6:7]
	global_load_dwordx2 v[42:43], v[42:43], off
.LBB53_25:                              ;   in Loop: Header=BB53_17 Depth=1
	s_or_b64 exec, exec, s[22:23]
	s_waitcnt vmcnt(0)
	v_fma_f64 v[50:51], |v[44:45]|, -0.5, 0.5
	v_mul_f64 v[48:49], v[44:45], v[44:45]
	v_cmp_ge_f64_e64 s[6:7], |v[44:45]|, 0.5
	v_cndmask_b32_e64 v49, v49, v51, s[6:7]
	v_cndmask_b32_e64 v48, v48, v50, s[6:7]
	v_fma_f64 v[52:53], s[16:17], v[48:49], v[16:17]
	v_fma_f64 v[52:53], v[48:49], v[52:53], v[18:19]
	;; [unrolled: 1-line block ×11, first 2 shown]
	v_mul_f64 v[52:53], v[48:49], v[52:53]
	v_fma_f64 v[48:49], |v[44:45]|, v[52:53], |v[44:45]|
	s_and_saveexec_b64 s[22:23], s[6:7]
	s_cbranch_execz .LBB53_27
; %bb.26:                               ;   in Loop: Header=BB53_17 Depth=1
	v_rsq_f64_e32 v[48:49], v[50:51]
	v_cmp_eq_f64_e64 s[6:7], 0, v[50:51]
	v_mul_f64 v[54:55], v[50:51], v[48:49]
	v_mul_f64 v[48:49], v[48:49], 0.5
	v_fma_f64 v[56:57], -v[48:49], v[54:55], 0.5
	v_fmac_f64_e32 v[54:55], v[54:55], v[56:57]
	v_fmac_f64_e32 v[48:49], v[48:49], v[56:57]
	v_fma_f64 v[56:57], -v[54:55], v[54:55], v[50:51]
	v_fmac_f64_e32 v[54:55], v[56:57], v[48:49]
	v_cndmask_b32_e64 v49, v55, v51, s[6:7]
	v_cndmask_b32_e64 v48, v54, v50, s[6:7]
	v_mul_f64 v[54:55], v[48:49], v[48:49]
	v_add_f64 v[58:59], v[50:51], -v[54:55]
	v_add_f64 v[50:51], v[50:51], -v[58:59]
	v_fma_f64 v[56:57], v[48:49], v[48:49], -v[54:55]
	v_add_f64 v[50:51], v[50:51], -v[54:55]
	v_add_f64 v[54:55], v[48:49], v[48:49]
	v_add_f64 v[50:51], v[50:51], -v[56:57]
	v_rcp_f64_e32 v[56:57], v[54:55]
	v_add_f64 v[50:51], v[58:59], v[50:51]
	v_fma_f64 v[58:59], -v[54:55], v[56:57], 1.0
	v_fmac_f64_e32 v[56:57], v[58:59], v[56:57]
	v_fma_f64 v[58:59], -v[54:55], v[56:57], 1.0
	v_fmac_f64_e32 v[56:57], v[58:59], v[56:57]
	v_mul_f64 v[58:59], v[50:51], v[56:57]
	v_fma_f64 v[50:51], -v[54:55], v[58:59], v[50:51]
	v_fmac_f64_e32 v[58:59], v[50:51], v[56:57]
	v_cndmask_b32_e64 v51, v59, 0, s[6:7]
	v_cndmask_b32_e64 v50, v58, 0, s[6:7]
	v_add_f64 v[54:55], v[48:49], v[50:51]
	v_add_f64 v[48:49], v[54:55], -v[48:49]
	v_add_f64 v[48:49], v[50:51], -v[48:49]
	v_mul_f64 v[50:51], v[52:53], v[54:55]
	v_fma_f64 v[56:57], v[54:55], v[52:53], -v[50:51]
	v_fmac_f64_e32 v[56:57], v[48:49], v[52:53]
	v_add_f64 v[52:53], v[50:51], v[56:57]
	v_add_f64 v[50:51], v[52:53], -v[50:51]
	v_add_f64 v[50:51], v[56:57], -v[50:51]
	v_add_f64 v[56:57], v[54:55], v[52:53]
	v_add_f64 v[54:55], v[56:57], -v[54:55]
	v_add_f64 v[52:53], v[52:53], -v[54:55]
	v_add_f64 v[48:49], v[48:49], v[50:51]
	v_add_f64 v[48:49], v[48:49], v[52:53]
	;; [unrolled: 1-line block ×3, first 2 shown]
	v_add_f64 v[54:55], -v[50:51], s[18:19]
	v_add_f64 v[52:53], v[50:51], -v[56:57]
	v_add_f64 v[56:57], -v[54:55], s[18:19]
	v_add_f64 v[50:51], v[56:57], -v[50:51]
	v_add_f64 v[50:51], v[50:51], s[20:21]
	v_add_f64 v[48:49], v[52:53], -v[48:49]
	v_add_f64 v[48:49], v[48:49], v[50:51]
	v_add_f64 v[48:49], v[54:55], v[48:49]
	;; [unrolled: 1-line block ×3, first 2 shown]
	v_cmp_neq_f64_e64 s[6:7], |v[44:45]|, 1.0
	v_cndmask_b32_e64 v49, v65, v49, s[6:7]
	v_cndmask_b32_e64 v48, v66, v48, s[6:7]
.LBB53_27:                              ;   in Loop: Header=BB53_17 Depth=1
	s_or_b64 exec, exec, s[22:23]
	v_fma_f64 v[54:55], |v[40:41]|, -0.5, 0.5
	v_mul_f64 v[50:51], v[40:41], v[40:41]
	v_cmp_ge_f64_e64 s[6:7], |v[40:41]|, 0.5
	v_cndmask_b32_e64 v51, v51, v55, s[6:7]
	v_cndmask_b32_e64 v50, v50, v54, s[6:7]
	v_pk_mov_b32 v[52:53], v[16:17], v[16:17] op_sel:[0,1]
	v_fmac_f64_e32 v[52:53], s[16:17], v[50:51]
	v_pk_mov_b32 v[56:57], v[18:19], v[18:19] op_sel:[0,1]
	v_fmac_f64_e32 v[56:57], v[50:51], v[52:53]
	;; [unrolled: 2-line block ×11, first 2 shown]
	v_mul_f64 v[52:53], v[50:51], v[52:53]
	v_fma_f64 v[50:51], |v[40:41]|, v[52:53], |v[40:41]|
	s_and_saveexec_b64 s[22:23], s[6:7]
	s_cbranch_execz .LBB53_29
; %bb.28:                               ;   in Loop: Header=BB53_17 Depth=1
	v_rsq_f64_e32 v[50:51], v[54:55]
	v_cmp_eq_f64_e64 s[6:7], 0, v[54:55]
	v_mul_f64 v[56:57], v[54:55], v[50:51]
	v_mul_f64 v[50:51], v[50:51], 0.5
	v_fma_f64 v[58:59], -v[50:51], v[56:57], 0.5
	v_fmac_f64_e32 v[56:57], v[56:57], v[58:59]
	v_fmac_f64_e32 v[50:51], v[50:51], v[58:59]
	v_fma_f64 v[58:59], -v[56:57], v[56:57], v[54:55]
	v_fmac_f64_e32 v[56:57], v[58:59], v[50:51]
	v_cndmask_b32_e64 v51, v57, v55, s[6:7]
	v_cndmask_b32_e64 v50, v56, v54, s[6:7]
	v_mul_f64 v[56:57], v[50:51], v[50:51]
	v_add_f64 v[68:69], v[54:55], -v[56:57]
	v_add_f64 v[54:55], v[54:55], -v[68:69]
	v_fma_f64 v[58:59], v[50:51], v[50:51], -v[56:57]
	v_add_f64 v[54:55], v[54:55], -v[56:57]
	v_add_f64 v[56:57], v[50:51], v[50:51]
	v_add_f64 v[54:55], v[54:55], -v[58:59]
	v_rcp_f64_e32 v[58:59], v[56:57]
	v_add_f64 v[54:55], v[68:69], v[54:55]
	v_fma_f64 v[68:69], -v[56:57], v[58:59], 1.0
	v_fmac_f64_e32 v[58:59], v[68:69], v[58:59]
	v_fma_f64 v[68:69], -v[56:57], v[58:59], 1.0
	v_fmac_f64_e32 v[58:59], v[68:69], v[58:59]
	v_mul_f64 v[68:69], v[54:55], v[58:59]
	v_fma_f64 v[54:55], -v[56:57], v[68:69], v[54:55]
	v_fmac_f64_e32 v[68:69], v[54:55], v[58:59]
	v_cndmask_b32_e64 v55, v69, 0, s[6:7]
	v_cndmask_b32_e64 v54, v68, 0, s[6:7]
	v_add_f64 v[56:57], v[50:51], v[54:55]
	v_add_f64 v[50:51], v[56:57], -v[50:51]
	v_add_f64 v[50:51], v[54:55], -v[50:51]
	v_mul_f64 v[54:55], v[52:53], v[56:57]
	v_fma_f64 v[58:59], v[56:57], v[52:53], -v[54:55]
	v_fmac_f64_e32 v[58:59], v[50:51], v[52:53]
	v_add_f64 v[52:53], v[54:55], v[58:59]
	v_add_f64 v[54:55], v[52:53], -v[54:55]
	v_add_f64 v[54:55], v[58:59], -v[54:55]
	v_add_f64 v[58:59], v[56:57], v[52:53]
	v_add_f64 v[56:57], v[58:59], -v[56:57]
	v_add_f64 v[52:53], v[52:53], -v[56:57]
	v_add_f64 v[50:51], v[50:51], v[54:55]
	v_add_f64 v[50:51], v[50:51], v[52:53]
	;; [unrolled: 1-line block ×3, first 2 shown]
	v_add_f64 v[56:57], -v[52:53], s[18:19]
	v_add_f64 v[54:55], v[52:53], -v[58:59]
	v_add_f64 v[58:59], -v[56:57], s[18:19]
	v_add_f64 v[52:53], v[58:59], -v[52:53]
	v_add_f64 v[52:53], v[52:53], s[20:21]
	v_add_f64 v[50:51], v[54:55], -v[50:51]
	v_add_f64 v[50:51], v[50:51], v[52:53]
	v_add_f64 v[50:51], v[56:57], v[50:51]
	;; [unrolled: 1-line block ×3, first 2 shown]
	v_cmp_neq_f64_e64 s[6:7], |v[40:41]|, 1.0
	v_cndmask_b32_e64 v51, v65, v51, s[6:7]
	v_cndmask_b32_e64 v50, v66, v50, s[6:7]
.LBB53_29:                              ;   in Loop: Header=BB53_17 Depth=1
	s_or_b64 exec, exec, s[22:23]
	v_fma_f64 v[54:55], |v[46:47]|, -0.5, 0.5
	v_mul_f64 v[52:53], v[46:47], v[46:47]
	v_cmp_ge_f64_e64 s[6:7], |v[46:47]|, 0.5
	v_cndmask_b32_e64 v53, v53, v55, s[6:7]
	v_cndmask_b32_e64 v52, v52, v54, s[6:7]
	v_fma_f64 v[56:57], s[16:17], v[52:53], v[16:17]
	v_fma_f64 v[56:57], v[52:53], v[56:57], v[18:19]
	;; [unrolled: 1-line block ×11, first 2 shown]
	v_mul_f64 v[56:57], v[52:53], v[56:57]
	v_fma_f64 v[52:53], |v[46:47]|, v[56:57], |v[46:47]|
	s_and_saveexec_b64 s[22:23], s[6:7]
	s_cbranch_execz .LBB53_31
; %bb.30:                               ;   in Loop: Header=BB53_17 Depth=1
	v_rsq_f64_e32 v[52:53], v[54:55]
	v_cmp_eq_f64_e64 s[6:7], 0, v[54:55]
	v_mul_f64 v[58:59], v[54:55], v[52:53]
	v_mul_f64 v[52:53], v[52:53], 0.5
	v_fma_f64 v[68:69], -v[52:53], v[58:59], 0.5
	v_fmac_f64_e32 v[58:59], v[58:59], v[68:69]
	v_fmac_f64_e32 v[52:53], v[52:53], v[68:69]
	v_fma_f64 v[68:69], -v[58:59], v[58:59], v[54:55]
	v_fmac_f64_e32 v[58:59], v[68:69], v[52:53]
	v_cndmask_b32_e64 v53, v59, v55, s[6:7]
	v_cndmask_b32_e64 v52, v58, v54, s[6:7]
	v_mul_f64 v[58:59], v[52:53], v[52:53]
	v_add_f64 v[70:71], v[54:55], -v[58:59]
	v_add_f64 v[54:55], v[54:55], -v[70:71]
	v_fma_f64 v[68:69], v[52:53], v[52:53], -v[58:59]
	v_add_f64 v[54:55], v[54:55], -v[58:59]
	v_add_f64 v[58:59], v[52:53], v[52:53]
	v_add_f64 v[54:55], v[54:55], -v[68:69]
	v_rcp_f64_e32 v[68:69], v[58:59]
	v_add_f64 v[54:55], v[70:71], v[54:55]
	v_fma_f64 v[70:71], -v[58:59], v[68:69], 1.0
	v_fmac_f64_e32 v[68:69], v[70:71], v[68:69]
	v_fma_f64 v[70:71], -v[58:59], v[68:69], 1.0
	v_fmac_f64_e32 v[68:69], v[70:71], v[68:69]
	v_mul_f64 v[70:71], v[54:55], v[68:69]
	v_fma_f64 v[54:55], -v[58:59], v[70:71], v[54:55]
	v_fmac_f64_e32 v[70:71], v[54:55], v[68:69]
	v_cndmask_b32_e64 v55, v71, 0, s[6:7]
	v_cndmask_b32_e64 v54, v70, 0, s[6:7]
	v_add_f64 v[58:59], v[52:53], v[54:55]
	v_add_f64 v[52:53], v[58:59], -v[52:53]
	v_add_f64 v[52:53], v[54:55], -v[52:53]
	v_mul_f64 v[54:55], v[56:57], v[58:59]
	v_fma_f64 v[68:69], v[58:59], v[56:57], -v[54:55]
	v_fmac_f64_e32 v[68:69], v[52:53], v[56:57]
	v_add_f64 v[56:57], v[54:55], v[68:69]
	v_add_f64 v[54:55], v[56:57], -v[54:55]
	v_add_f64 v[54:55], v[68:69], -v[54:55]
	v_add_f64 v[68:69], v[58:59], v[56:57]
	v_add_f64 v[58:59], v[68:69], -v[58:59]
	v_add_f64 v[56:57], v[56:57], -v[58:59]
	v_add_f64 v[52:53], v[52:53], v[54:55]
	v_add_f64 v[52:53], v[52:53], v[56:57]
	;; [unrolled: 1-line block ×3, first 2 shown]
	v_add_f64 v[58:59], -v[54:55], s[18:19]
	v_add_f64 v[56:57], v[54:55], -v[68:69]
	v_add_f64 v[68:69], -v[58:59], s[18:19]
	v_add_f64 v[54:55], v[68:69], -v[54:55]
	v_add_f64 v[54:55], v[54:55], s[20:21]
	v_add_f64 v[52:53], v[56:57], -v[52:53]
	v_add_f64 v[52:53], v[52:53], v[54:55]
	v_add_f64 v[52:53], v[58:59], v[52:53]
	v_add_f64 v[52:53], v[52:53], v[52:53]
	v_cmp_neq_f64_e64 s[6:7], |v[46:47]|, 1.0
	v_cndmask_b32_e64 v53, v65, v53, s[6:7]
	v_cndmask_b32_e64 v52, v66, v52, s[6:7]
.LBB53_31:                              ;   in Loop: Header=BB53_17 Depth=1
	s_or_b64 exec, exec, s[22:23]
	v_fma_f64 v[58:59], |v[42:43]|, -0.5, 0.5
	v_mul_f64 v[54:55], v[42:43], v[42:43]
	v_cmp_ge_f64_e64 s[6:7], |v[42:43]|, 0.5
	v_cndmask_b32_e64 v55, v55, v59, s[6:7]
	v_cndmask_b32_e64 v54, v54, v58, s[6:7]
	v_pk_mov_b32 v[56:57], v[16:17], v[16:17] op_sel:[0,1]
	v_fmac_f64_e32 v[56:57], s[16:17], v[54:55]
	v_pk_mov_b32 v[68:69], v[18:19], v[18:19] op_sel:[0,1]
	v_fmac_f64_e32 v[68:69], v[54:55], v[56:57]
	;; [unrolled: 2-line block ×11, first 2 shown]
	v_mul_f64 v[56:57], v[54:55], v[56:57]
	v_fma_f64 v[54:55], |v[42:43]|, v[56:57], |v[42:43]|
	s_and_saveexec_b64 s[22:23], s[6:7]
	s_cbranch_execnz .LBB53_36
; %bb.32:                               ;   in Loop: Header=BB53_17 Depth=1
	s_or_b64 exec, exec, s[22:23]
	s_and_saveexec_b64 s[6:7], vcc
	s_xor_b64 s[6:7], exec, s[6:7]
	s_cbranch_execnz .LBB53_37
.LBB53_33:                              ;   in Loop: Header=BB53_17 Depth=1
	s_or_b64 exec, exec, s[6:7]
	s_and_saveexec_b64 s[6:7], s[0:1]
	s_cbranch_execnz .LBB53_38
.LBB53_34:                              ;   in Loop: Header=BB53_17 Depth=1
	s_or_b64 exec, exec, s[6:7]
	s_and_saveexec_b64 s[0:1], s[2:3]
	s_cbranch_execnz .LBB53_39
.LBB53_35:                              ;   in Loop: Header=BB53_17 Depth=1
	s_or_b64 exec, exec, s[0:1]
	s_and_saveexec_b64 s[0:1], s[4:5]
	s_cbranch_execz .LBB53_16
	s_branch .LBB53_40
.LBB53_36:                              ;   in Loop: Header=BB53_17 Depth=1
	v_rsq_f64_e32 v[54:55], v[58:59]
	v_cmp_eq_f64_e64 s[6:7], 0, v[58:59]
	v_mul_f64 v[68:69], v[58:59], v[54:55]
	v_mul_f64 v[54:55], v[54:55], 0.5
	v_fma_f64 v[70:71], -v[54:55], v[68:69], 0.5
	v_fmac_f64_e32 v[68:69], v[68:69], v[70:71]
	v_fmac_f64_e32 v[54:55], v[54:55], v[70:71]
	v_fma_f64 v[70:71], -v[68:69], v[68:69], v[58:59]
	v_fmac_f64_e32 v[68:69], v[70:71], v[54:55]
	v_cndmask_b32_e64 v55, v69, v59, s[6:7]
	v_cndmask_b32_e64 v54, v68, v58, s[6:7]
	v_mul_f64 v[68:69], v[54:55], v[54:55]
	v_add_f64 v[72:73], v[58:59], -v[68:69]
	v_add_f64 v[58:59], v[58:59], -v[72:73]
	v_fma_f64 v[70:71], v[54:55], v[54:55], -v[68:69]
	v_add_f64 v[58:59], v[58:59], -v[68:69]
	v_add_f64 v[68:69], v[54:55], v[54:55]
	v_add_f64 v[58:59], v[58:59], -v[70:71]
	v_rcp_f64_e32 v[70:71], v[68:69]
	v_add_f64 v[58:59], v[72:73], v[58:59]
	v_fma_f64 v[72:73], -v[68:69], v[70:71], 1.0
	v_fmac_f64_e32 v[70:71], v[72:73], v[70:71]
	v_fma_f64 v[72:73], -v[68:69], v[70:71], 1.0
	v_fmac_f64_e32 v[70:71], v[72:73], v[70:71]
	v_mul_f64 v[72:73], v[58:59], v[70:71]
	v_fma_f64 v[58:59], -v[68:69], v[72:73], v[58:59]
	v_fmac_f64_e32 v[72:73], v[58:59], v[70:71]
	v_cndmask_b32_e64 v59, v73, 0, s[6:7]
	v_cndmask_b32_e64 v58, v72, 0, s[6:7]
	v_add_f64 v[68:69], v[54:55], v[58:59]
	v_add_f64 v[54:55], v[68:69], -v[54:55]
	v_add_f64 v[54:55], v[58:59], -v[54:55]
	v_mul_f64 v[58:59], v[56:57], v[68:69]
	v_fma_f64 v[70:71], v[68:69], v[56:57], -v[58:59]
	v_fmac_f64_e32 v[70:71], v[54:55], v[56:57]
	v_add_f64 v[56:57], v[58:59], v[70:71]
	v_add_f64 v[58:59], v[56:57], -v[58:59]
	v_add_f64 v[58:59], v[70:71], -v[58:59]
	v_add_f64 v[70:71], v[68:69], v[56:57]
	v_add_f64 v[68:69], v[70:71], -v[68:69]
	v_add_f64 v[56:57], v[56:57], -v[68:69]
	v_add_f64 v[54:55], v[54:55], v[58:59]
	v_add_f64 v[54:55], v[54:55], v[56:57]
	v_add_f64 v[56:57], v[70:71], v[54:55]
	v_add_f64 v[68:69], -v[56:57], s[18:19]
	v_add_f64 v[58:59], v[56:57], -v[70:71]
	v_add_f64 v[70:71], -v[68:69], s[18:19]
	v_add_f64 v[56:57], v[70:71], -v[56:57]
	v_add_f64 v[56:57], v[56:57], s[20:21]
	v_add_f64 v[54:55], v[58:59], -v[54:55]
	v_add_f64 v[54:55], v[54:55], v[56:57]
	v_add_f64 v[54:55], v[68:69], v[54:55]
	;; [unrolled: 1-line block ×3, first 2 shown]
	v_cmp_neq_f64_e64 s[6:7], |v[42:43]|, 1.0
	v_cndmask_b32_e64 v55, v65, v55, s[6:7]
	v_cndmask_b32_e64 v54, v66, v54, s[6:7]
	s_or_b64 exec, exec, s[22:23]
	s_and_saveexec_b64 s[6:7], vcc
	s_xor_b64 s[6:7], exec, s[6:7]
	s_cbranch_execz .LBB53_33
.LBB53_37:                              ;   in Loop: Header=BB53_17 Depth=1
	v_mov_b32_e32 v40, s9
	v_add_co_u32_e32 v44, vcc, s8, v4
	v_bfi_b32 v49, s27, v49, v45
	v_addc_co_u32_e32 v45, vcc, v3, v40, vcc
	global_store_dwordx2 v[44:45], v[48:49], off
	s_or_b64 exec, exec, s[6:7]
	s_and_saveexec_b64 s[6:7], s[0:1]
	s_cbranch_execz .LBB53_34
.LBB53_38:                              ;   in Loop: Header=BB53_17 Depth=1
	v_bfi_b32 v51, s27, v51, v41
	v_mov_b32_e32 v41, s9
	v_add_co_u32_e32 v40, vcc, s8, v38
	v_addc_co_u32_e32 v41, vcc, v15, v41, vcc
	global_store_dwordx2 v[40:41], v[50:51], off
	s_or_b64 exec, exec, s[6:7]
	s_and_saveexec_b64 s[0:1], s[2:3]
	s_cbranch_execz .LBB53_35
.LBB53_39:                              ;   in Loop: Header=BB53_17 Depth=1
	v_mov_b32_e32 v41, s9
	v_add_co_u32_e32 v40, vcc, s8, v12
	v_bfi_b32 v53, s27, v53, v47
	v_addc_co_u32_e32 v41, vcc, v11, v41, vcc
	global_store_dwordx2 v[40:41], v[52:53], off
	s_or_b64 exec, exec, s[0:1]
	s_and_saveexec_b64 s[0:1], s[4:5]
	s_cbranch_execz .LBB53_16
.LBB53_40:                              ;   in Loop: Header=BB53_17 Depth=1
	v_mov_b32_e32 v41, s9
	v_add_co_u32_e32 v40, vcc, s8, v8
	v_bfi_b32 v55, s27, v55, v43
	v_addc_co_u32_e32 v41, vcc, v7, v41, vcc
	global_store_dwordx2 v[40:41], v[54:55], off
	s_branch .LBB53_16
.LBB53_41:
	s_endpgm
	.section	.rodata,"a",@progbits
	.p2align	6, 0x0
	.amdhsa_kernel _ZN2at6native12_GLOBAL__N_125multi_tensor_apply_kernelINS1_18TensorListMetadataILi2EEENS1_14UnaryOpFunctorIdLi2ELi1ELi1EEEJNS0_4AsinIdEEEEEvT_T0_DpT1_
		.amdhsa_group_segment_fixed_size 0
		.amdhsa_private_segment_fixed_size 0
		.amdhsa_kernarg_size 3408
		.amdhsa_user_sgpr_count 6
		.amdhsa_user_sgpr_private_segment_buffer 1
		.amdhsa_user_sgpr_dispatch_ptr 0
		.amdhsa_user_sgpr_queue_ptr 0
		.amdhsa_user_sgpr_kernarg_segment_ptr 1
		.amdhsa_user_sgpr_dispatch_id 0
		.amdhsa_user_sgpr_flat_scratch_init 0
		.amdhsa_user_sgpr_kernarg_preload_length 0
		.amdhsa_user_sgpr_kernarg_preload_offset 0
		.amdhsa_user_sgpr_private_segment_size 0
		.amdhsa_uses_dynamic_stack 0
		.amdhsa_system_sgpr_private_segment_wavefront_offset 0
		.amdhsa_system_sgpr_workgroup_id_x 1
		.amdhsa_system_sgpr_workgroup_id_y 0
		.amdhsa_system_sgpr_workgroup_id_z 0
		.amdhsa_system_sgpr_workgroup_info 0
		.amdhsa_system_vgpr_workitem_id 0
		.amdhsa_next_free_vgpr 74
		.amdhsa_next_free_sgpr 32
		.amdhsa_accum_offset 76
		.amdhsa_reserve_vcc 1
		.amdhsa_reserve_flat_scratch 0
		.amdhsa_float_round_mode_32 0
		.amdhsa_float_round_mode_16_64 0
		.amdhsa_float_denorm_mode_32 3
		.amdhsa_float_denorm_mode_16_64 3
		.amdhsa_dx10_clamp 1
		.amdhsa_ieee_mode 1
		.amdhsa_fp16_overflow 0
		.amdhsa_tg_split 0
		.amdhsa_exception_fp_ieee_invalid_op 0
		.amdhsa_exception_fp_denorm_src 0
		.amdhsa_exception_fp_ieee_div_zero 0
		.amdhsa_exception_fp_ieee_overflow 0
		.amdhsa_exception_fp_ieee_underflow 0
		.amdhsa_exception_fp_ieee_inexact 0
		.amdhsa_exception_int_div_zero 0
	.end_amdhsa_kernel
	.section	.text._ZN2at6native12_GLOBAL__N_125multi_tensor_apply_kernelINS1_18TensorListMetadataILi2EEENS1_14UnaryOpFunctorIdLi2ELi1ELi1EEEJNS0_4AsinIdEEEEEvT_T0_DpT1_,"axG",@progbits,_ZN2at6native12_GLOBAL__N_125multi_tensor_apply_kernelINS1_18TensorListMetadataILi2EEENS1_14UnaryOpFunctorIdLi2ELi1ELi1EEEJNS0_4AsinIdEEEEEvT_T0_DpT1_,comdat
.Lfunc_end53:
	.size	_ZN2at6native12_GLOBAL__N_125multi_tensor_apply_kernelINS1_18TensorListMetadataILi2EEENS1_14UnaryOpFunctorIdLi2ELi1ELi1EEEJNS0_4AsinIdEEEEEvT_T0_DpT1_, .Lfunc_end53-_ZN2at6native12_GLOBAL__N_125multi_tensor_apply_kernelINS1_18TensorListMetadataILi2EEENS1_14UnaryOpFunctorIdLi2ELi1ELi1EEEJNS0_4AsinIdEEEEEvT_T0_DpT1_
                                        ; -- End function
	.section	.AMDGPU.csdata,"",@progbits
; Kernel info:
; codeLenInByte = 6400
; NumSgprs: 36
; NumVgprs: 74
; NumAgprs: 0
; TotalNumVgprs: 74
; ScratchSize: 0
; MemoryBound: 0
; FloatMode: 240
; IeeeMode: 1
; LDSByteSize: 0 bytes/workgroup (compile time only)
; SGPRBlocks: 4
; VGPRBlocks: 9
; NumSGPRsForWavesPerEU: 36
; NumVGPRsForWavesPerEU: 74
; AccumOffset: 76
; Occupancy: 6
; WaveLimiterHint : 0
; COMPUTE_PGM_RSRC2:SCRATCH_EN: 0
; COMPUTE_PGM_RSRC2:USER_SGPR: 6
; COMPUTE_PGM_RSRC2:TRAP_HANDLER: 0
; COMPUTE_PGM_RSRC2:TGID_X_EN: 1
; COMPUTE_PGM_RSRC2:TGID_Y_EN: 0
; COMPUTE_PGM_RSRC2:TGID_Z_EN: 0
; COMPUTE_PGM_RSRC2:TIDIG_COMP_CNT: 0
; COMPUTE_PGM_RSRC3_GFX90A:ACCUM_OFFSET: 18
; COMPUTE_PGM_RSRC3_GFX90A:TG_SPLIT: 0
	.section	.text._ZN2at6native12_GLOBAL__N_125multi_tensor_apply_kernelINS1_18TensorListMetadataILi2EEENS1_14UnaryOpFunctorIfLi2ELi1ELi1EEEJNS0_4AsinIfEEEEEvT_T0_DpT1_,"axG",@progbits,_ZN2at6native12_GLOBAL__N_125multi_tensor_apply_kernelINS1_18TensorListMetadataILi2EEENS1_14UnaryOpFunctorIfLi2ELi1ELi1EEEJNS0_4AsinIfEEEEEvT_T0_DpT1_,comdat
	.globl	_ZN2at6native12_GLOBAL__N_125multi_tensor_apply_kernelINS1_18TensorListMetadataILi2EEENS1_14UnaryOpFunctorIfLi2ELi1ELi1EEEJNS0_4AsinIfEEEEEvT_T0_DpT1_ ; -- Begin function _ZN2at6native12_GLOBAL__N_125multi_tensor_apply_kernelINS1_18TensorListMetadataILi2EEENS1_14UnaryOpFunctorIfLi2ELi1ELi1EEEJNS0_4AsinIfEEEEEvT_T0_DpT1_
	.p2align	8
	.type	_ZN2at6native12_GLOBAL__N_125multi_tensor_apply_kernelINS1_18TensorListMetadataILi2EEENS1_14UnaryOpFunctorIfLi2ELi1ELi1EEEJNS0_4AsinIfEEEEEvT_T0_DpT1_,@function
_ZN2at6native12_GLOBAL__N_125multi_tensor_apply_kernelINS1_18TensorListMetadataILi2EEENS1_14UnaryOpFunctorIfLi2ELi1ELi1EEEJNS0_4AsinIfEEEEEvT_T0_DpT1_: ; @_ZN2at6native12_GLOBAL__N_125multi_tensor_apply_kernelINS1_18TensorListMetadataILi2EEENS1_14UnaryOpFunctorIfLi2ELi1ELi1EEEJNS0_4AsinIfEEEEEvT_T0_DpT1_
; %bb.0:
	v_mov_b32_e32 v1, s6
	global_load_ubyte v1, v1, s[4:5] offset:1536
	s_add_u32 s0, s4, s6
	s_mul_hi_u32 s2, s6, 3
	s_mul_i32 s6, s6, 3
	s_addc_u32 s7, s5, 0
	s_add_u32 s6, s0, s6
	s_addc_u32 s7, s7, s2
	s_mov_b32 s1, 0
	s_mov_b32 s3, s1
	s_waitcnt vmcnt(0)
	v_readfirstlane_b32 s0, v1
	s_lshl_b32 s0, s0, 3
	s_load_dword s10, s[6:7], 0x740
	s_load_dwordx2 s[16:17], s[4:5], s0 offset:0x0
	s_load_dwordx2 s[12:13], s[4:5], s0 offset:0x400
	;; [unrolled: 1-line block ×3, first 2 shown]
	s_mov_b32 s7, s1
	s_waitcnt lgkmcnt(0)
	s_ashr_i32 s11, s10, 31
	s_and_b32 s0, s16, 15
	s_and_b32 s6, s12, 3
	s_and_b32 s2, s14, 15
	s_or_b64 s[6:7], s[0:1], s[6:7]
	s_lshl_b64 s[8:9], s[10:11], 18
	s_or_b64 s[2:3], s[2:3], s[6:7]
	s_lshl_b64 s[6:7], s[10:11], 16
	s_sub_u32 s10, s12, s6
	s_subb_u32 s11, s13, s7
	s_cmp_eq_u64 s[2:3], 0
	s_mov_b64 s[2:3], -1
	s_cbranch_scc0 .LBB54_5
; %bb.1:
	v_mov_b32_e32 v3, 0
	v_lshlrev_b32_e32 v2, 2, v0
	v_cmp_gt_i64_e32 vcc, s[10:11], v[2:3]
	s_and_saveexec_b64 s[12:13], vcc
	s_cbranch_execz .LBB54_4
; %bb.2:
	s_load_dword s0, s[4:5], 0xc5c
	v_lshlrev_b32_e32 v1, 4, v0
	v_mov_b32_e32 v4, s9
	v_add_co_u32_e32 v1, vcc, s8, v1
	s_waitcnt lgkmcnt(0)
	s_and_b32 s0, s0, 0xffff
	v_addc_co_u32_e32 v5, vcc, 0, v4, vcc
	v_add_lshl_u32 v2, v0, s0, 2
	s_lshl_b32 s21, s0, 2
	v_add_co_u32_e32 v4, vcc, 8, v1
	s_lshl_b32 s23, s0, 4
	s_mov_b32 s0, 0x3c5fc5da
	v_addc_co_u32_e32 v1, vcc, 0, v5, vcc
	s_mov_b64 s[18:19], 0
	v_mov_b32_e32 v5, s17
	v_mov_b32_e32 v8, s15
	s_brev_b32 s25, -2
	s_mov_b32 s20, 0x3d1c21a7
	v_pk_mov_b32 v[6:7], s[0:1], s[0:1] op_sel:[0,1]
	s_mov_b32 s22, 0x3d034c3c
	s_mov_b32 s24, 0x3d3641b1
	;; [unrolled: 1-line block ×5, first 2 shown]
	s_mov_b64 s[34:35], 0xffff
	v_mov_b32_e32 v9, s1
	v_mov_b32_e32 v10, s1
.LBB54_3:                               ; =>This Inner Loop Header: Depth=1
	v_add_co_u32_e32 v12, vcc, s16, v4
	v_addc_co_u32_e32 v13, vcc, v5, v1, vcc
	global_load_dwordx4 v[12:15], v[12:13], off offset:-8
	v_add_co_u32_e32 v16, vcc, s14, v4
	v_addc_co_u32_e32 v17, vcc, v8, v1, vcc
	v_cmp_le_i64_e32 vcc, s[10:11], v[2:3]
	v_cmp_lt_u64_e64 s[0:1], s[34:35], v[2:3]
	v_add_co_u32_e64 v2, s[2:3], s21, v2
	v_addc_co_u32_e64 v3, s[2:3], v3, v9, s[2:3]
	v_add_co_u32_e64 v4, s[2:3], s23, v4
	s_or_b64 s[0:1], vcc, s[0:1]
	v_addc_co_u32_e64 v1, s[2:3], v1, v10, s[2:3]
	s_and_b64 s[0:1], exec, s[0:1]
	s_or_b64 s[18:19], s[0:1], s[18:19]
	s_waitcnt vmcnt(0)
	v_and_b32_e32 v19, 0x7fffffff, v13
	v_and_b32_e32 v18, 0x7fffffff, v12
	;; [unrolled: 1-line block ×4, first 2 shown]
	v_pk_mul_f32 v[20:21], v[12:13], v[12:13]
	v_pk_mul_f32 v[24:25], v[14:15], v[14:15]
	v_pk_fma_f32 v[26:27], -0.5, v[18:19], 0.5 op_sel_hi:[0,1,0]
	v_cmp_ge_f32_e64 vcc, |v12|, 0.5
	v_pk_fma_f32 v[28:29], -0.5, v[22:23], 0.5 op_sel_hi:[0,1,0]
	v_cmp_ge_f32_e64 s[0:1], |v14|, 0.5
	v_cmp_ge_f32_e64 s[2:3], |v15|, 0.5
	;; [unrolled: 1-line block ×3, first 2 shown]
	v_cndmask_b32_e64 v21, v21, v27, s[6:7]
	v_cndmask_b32_e32 v20, v20, v26, vcc
	v_cndmask_b32_e64 v25, v25, v29, s[2:3]
	v_cndmask_b32_e64 v24, v24, v28, s[0:1]
	v_pk_fma_f32 v[28:29], v[20:21], s[20:21], v[6:7] op_sel_hi:[1,0,0]
	v_pk_fma_f32 v[32:33], v[24:25], s[20:21], v[6:7] op_sel_hi:[1,0,0]
	;; [unrolled: 1-line block ×4, first 2 shown]
	v_sqrt_f32_e32 v26, v20
	v_sqrt_f32_e32 v27, v21
	;; [unrolled: 1-line block ×4, first 2 shown]
	v_pk_fma_f32 v[28:29], v[20:21], v[28:29], s[24:25] op_sel_hi:[1,1,0]
	v_pk_fma_f32 v[32:33], v[24:25], v[32:33], s[24:25] op_sel_hi:[1,1,0]
	v_pk_fma_f32 v[28:29], v[20:21], v[28:29], s[26:27] op_sel_hi:[1,1,0]
	v_pk_fma_f32 v[32:33], v[24:25], v[32:33], s[26:27] op_sel_hi:[1,1,0]
	v_pk_fma_f32 v[28:29], v[20:21], v[28:29], s[28:29] op_sel_hi:[1,1,0]
	v_pk_fma_f32 v[32:33], v[24:25], v[32:33], s[28:29] op_sel_hi:[1,1,0]
	v_pk_mul_f32 v[20:21], v[20:21], v[28:29]
	v_pk_mul_f32 v[24:25], v[24:25], v[32:33]
	v_pk_fma_f32 v[26:27], v[26:27], v[20:21], v[26:27]
	v_pk_fma_f32 v[18:19], v[18:19], v[20:21], v[18:19]
	;; [unrolled: 1-line block ×4, first 2 shown]
	v_pk_add_f32 v[24:25], v[26:27], v[26:27]
	v_pk_add_f32 v[20:21], v[20:21], v[20:21]
	v_pk_add_f32 v[24:25], v[24:25], s[30:31] op_sel_hi:[1,0] neg_lo:[1,0] neg_hi:[1,0]
	v_cmp_lt_f32_e64 vcc, |v13|, 0.5
	v_pk_add_f32 v[20:21], v[20:21], s[30:31] op_sel_hi:[1,0] neg_lo:[1,0] neg_hi:[1,0]
	v_cmp_lt_f32_e64 s[0:1], |v15|, 0.5
	v_cmp_lt_f32_e64 s[2:3], |v14|, 0.5
	v_cmp_lt_f32_e64 s[6:7], |v12|, 0.5
	v_cndmask_b32_e64 v11, v24, v18, s[6:7]
	v_cndmask_b32_e32 v18, v25, v19, vcc
	v_cndmask_b32_e64 v19, v20, v22, s[2:3]
	v_cndmask_b32_e64 v20, v21, v23, s[0:1]
	v_bfi_b32 v13, s25, v18, v13
	v_bfi_b32 v12, s25, v11, v12
	;; [unrolled: 1-line block ×4, first 2 shown]
	global_store_dwordx4 v[16:17], v[12:15], off offset:-8
	s_andn2_b64 exec, exec, s[18:19]
	s_cbranch_execnz .LBB54_3
.LBB54_4:
	s_or_b64 exec, exec, s[12:13]
	s_mov_b64 s[2:3], 0
.LBB54_5:
	s_andn2_b64 vcc, exec, s[2:3]
	s_cbranch_vccnz .LBB54_25
; %bb.6:
	v_cmp_lt_i64_e64 s[0:1], s[10:11], 1
	s_and_b64 vcc, exec, s[0:1]
	s_cbranch_vccnz .LBB54_25
; %bb.7:
	s_load_dword s0, s[4:5], 0xc5c
	v_mov_b32_e32 v2, 0x10000
	v_mov_b32_e32 v3, 0
	v_cmp_lt_u64_e32 vcc, s[10:11], v[2:3]
	v_lshlrev_b32_e32 v10, 2, v0
	s_waitcnt lgkmcnt(0)
	s_and_b32 s2, s0, 0xffff
	s_and_b64 s[0:1], vcc, exec
	v_mov_b32_e32 v13, s17
	v_add_co_u32_e32 v2, vcc, s16, v10
	v_addc_co_u32_e32 v1, vcc, 0, v13, vcc
	v_mov_b32_e32 v11, 0
	v_mov_b32_e32 v15, s15
	v_add_co_u32_e32 v4, vcc, s14, v10
	v_addc_co_u32_e32 v3, vcc, 0, v15, vcc
	v_mad_u64_u32 v[8:9], s[0:1], s2, 12, v[10:11]
	v_add_co_u32_e32 v6, vcc, s16, v8
	v_addc_co_u32_e32 v5, vcc, v13, v9, vcc
	v_add_co_u32_e32 v8, vcc, s14, v8
	s_mul_i32 s4, s2, 3
	v_addc_co_u32_e32 v7, vcc, v15, v9, vcc
	v_add_co_u32_e32 v17, vcc, s4, v0
	v_addc_co_u32_e64 v18, s[0:1], 0, 0, vcc
	s_cselect_b32 s13, s11, 0
	s_cselect_b32 s12, s10, 0x10000
	s_lshl_b32 s0, s2, 3
	v_add_co_u32_e32 v11, vcc, s0, v10
	v_addc_co_u32_e64 v14, s[0:1], 0, 0, vcc
	v_add_co_u32_e32 v10, vcc, s16, v11
	v_addc_co_u32_e32 v9, vcc, v13, v14, vcc
	v_add_co_u32_e32 v12, vcc, s14, v11
	s_lshl_b32 s3, s2, 1
	v_addc_co_u32_e32 v11, vcc, v15, v14, vcc
	v_add_co_u32_e32 v19, vcc, s3, v0
	v_addc_co_u32_e64 v20, s[0:1], 0, 0, vcc
	v_add_co_u32_e32 v21, vcc, s2, v0
	v_lshlrev_b32_e32 v16, 2, v21
	v_addc_co_u32_e64 v22, s[0:1], 0, 0, vcc
	v_add_co_u32_e32 v14, vcc, s16, v16
	v_addc_co_u32_e32 v13, vcc, 0, v13, vcc
	v_add_co_u32_e32 v16, vcc, s14, v16
	s_mov_b32 s18, 0
	s_lshl_b32 s19, s2, 2
	s_lshl_b32 s20, s2, 4
	v_addc_co_u32_e32 v15, vcc, 0, v15, vcc
	s_mov_b64 s[14:15], 0
	v_mov_b32_e32 v23, 0x3d034c3c
	v_mov_b32_e32 v24, 0x3d3641b1
	;; [unrolled: 1-line block ×4, first 2 shown]
	s_brev_b32 s21, -2
	s_branch .LBB54_9
.LBB54_8:                               ;   in Loop: Header=BB54_9 Depth=1
	s_or_b64 exec, exec, s[0:1]
	s_add_u32 s14, s14, s19
	s_addc_u32 s15, s15, 0
	s_waitcnt vmcnt(0)
	v_pk_mov_b32 v[28:29], s[10:11], s[10:11] op_sel:[0,1]
	v_cmp_ge_i64_e32 vcc, s[14:15], v[28:29]
	v_mov_b32_e32 v28, 0xffff
	v_mov_b32_e32 v29, 0
	v_cmp_gt_u64_e64 s[0:1], s[14:15], v[28:29]
	s_or_b64 s[0:1], vcc, s[0:1]
	v_mov_b32_e32 v27, s18
	v_add_co_u32_e32 v2, vcc, s20, v2
	v_addc_co_u32_e32 v1, vcc, v1, v27, vcc
	v_add_co_u32_e32 v4, vcc, s20, v4
	v_addc_co_u32_e32 v3, vcc, v3, v27, vcc
	;; [unrolled: 2-line block ×8, first 2 shown]
	s_and_b64 vcc, exec, s[0:1]
	s_cbranch_vccnz .LBB54_25
.LBB54_9:                               ; =>This Inner Loop Header: Depth=1
	v_mov_b32_e32 v27, s15
	v_add_co_u32_e32 v28, vcc, s14, v0
	v_addc_co_u32_e32 v29, vcc, 0, v27, vcc
	v_cmp_gt_u64_e64 s[4:5], s[12:13], v[28:29]
	v_mov_b32_e32 v30, 0
	s_and_saveexec_b64 s[0:1], s[4:5]
	s_cbranch_execz .LBB54_11
; %bb.10:                               ;   in Loop: Header=BB54_9 Depth=1
	v_mov_b32_e32 v27, s9
	v_add_co_u32_e32 v28, vcc, s8, v2
	v_addc_co_u32_e32 v29, vcc, v1, v27, vcc
	global_load_dword v30, v[28:29], off
.LBB54_11:                              ;   in Loop: Header=BB54_9 Depth=1
	s_or_b64 exec, exec, s[0:1]
	v_mov_b32_e32 v27, s15
	v_add_co_u32_e32 v28, vcc, s14, v21
	v_addc_co_u32_e32 v29, vcc, v22, v27, vcc
	v_cmp_gt_u64_e64 s[2:3], s[12:13], v[28:29]
	v_mov_b32_e32 v29, 0
	s_and_saveexec_b64 s[0:1], s[2:3]
	s_cbranch_execz .LBB54_13
; %bb.12:                               ;   in Loop: Header=BB54_9 Depth=1
	v_mov_b32_e32 v27, s9
	v_add_co_u32_e32 v28, vcc, s8, v14
	v_addc_co_u32_e32 v29, vcc, v13, v27, vcc
	global_load_dword v29, v[28:29], off
.LBB54_13:                              ;   in Loop: Header=BB54_9 Depth=1
	s_or_b64 exec, exec, s[0:1]
	v_mov_b32_e32 v27, s15
	v_add_co_u32_e32 v32, vcc, s14, v19
	v_addc_co_u32_e32 v33, vcc, v20, v27, vcc
	v_cmp_gt_u64_e64 s[0:1], s[12:13], v[32:33]
	v_mov_b32_e32 v27, 0
	v_mov_b32_e32 v28, 0
	s_and_saveexec_b64 s[6:7], s[0:1]
	s_cbranch_execz .LBB54_15
; %bb.14:                               ;   in Loop: Header=BB54_9 Depth=1
	v_mov_b32_e32 v28, s9
	v_add_co_u32_e32 v32, vcc, s8, v10
	v_addc_co_u32_e32 v33, vcc, v9, v28, vcc
	global_load_dword v28, v[32:33], off
.LBB54_15:                              ;   in Loop: Header=BB54_9 Depth=1
	s_or_b64 exec, exec, s[6:7]
	v_mov_b32_e32 v31, s15
	v_add_co_u32_e32 v32, vcc, s14, v17
	v_addc_co_u32_e32 v33, vcc, v18, v31, vcc
	v_cmp_gt_u64_e32 vcc, s[12:13], v[32:33]
	s_and_saveexec_b64 s[16:17], vcc
	s_cbranch_execnz .LBB54_20
; %bb.16:                               ;   in Loop: Header=BB54_9 Depth=1
	s_or_b64 exec, exec, s[16:17]
	s_and_saveexec_b64 s[6:7], s[4:5]
	s_cbranch_execnz .LBB54_21
.LBB54_17:                              ;   in Loop: Header=BB54_9 Depth=1
	s_or_b64 exec, exec, s[6:7]
	s_and_saveexec_b64 s[4:5], s[2:3]
	s_cbranch_execnz .LBB54_22
.LBB54_18:                              ;   in Loop: Header=BB54_9 Depth=1
	s_or_b64 exec, exec, s[4:5]
	s_and_saveexec_b64 s[2:3], s[0:1]
	s_cbranch_execnz .LBB54_23
.LBB54_19:                              ;   in Loop: Header=BB54_9 Depth=1
	s_or_b64 exec, exec, s[2:3]
	s_and_saveexec_b64 s[0:1], vcc
	s_cbranch_execz .LBB54_8
	s_branch .LBB54_24
.LBB54_20:                              ;   in Loop: Header=BB54_9 Depth=1
	v_mov_b32_e32 v27, s9
	v_add_co_u32_e64 v32, s[6:7], s8, v6
	v_addc_co_u32_e64 v33, s[6:7], v5, v27, s[6:7]
	global_load_dword v27, v[32:33], off
	s_or_b64 exec, exec, s[16:17]
	s_and_saveexec_b64 s[6:7], s[4:5]
	s_cbranch_execz .LBB54_17
.LBB54_21:                              ;   in Loop: Header=BB54_9 Depth=1
	s_waitcnt vmcnt(0)
	v_fma_f32 v31, |v30|, -0.5, 0.5
	v_mul_f32_e32 v32, v30, v30
	v_cmp_ge_f32_e64 s[4:5], |v30|, 0.5
	v_cndmask_b32_e64 v31, v32, v31, s[4:5]
	v_mov_b32_e32 v32, 0x3c5fc5da
	v_fmac_f32_e32 v32, 0x3d1c21a7, v31
	v_fma_f32 v32, v31, v32, v23
	v_fma_f32 v32, v31, v32, v24
	v_sqrt_f32_e32 v33, v31
	v_fma_f32 v32, v31, v32, v25
	v_fma_f32 v32, v31, v32, v26
	v_mul_f32_e32 v31, v31, v32
	v_fmac_f32_e32 v33, v33, v31
	v_fma_f32 v32, |v30|, v31, |v30|
	v_add_f32_e32 v31, v33, v33
	v_sub_f32_e32 v31, 0x3fc90fdb, v31
	v_cmp_lt_f32_e64 s[4:5], |v30|, 0.5
	v_cndmask_b32_e64 v31, v31, v32, s[4:5]
	v_bfi_b32 v32, s21, v31, v30
	v_mov_b32_e32 v31, s9
	v_add_co_u32_e64 v30, s[4:5], s8, v4
	v_addc_co_u32_e64 v31, s[4:5], v3, v31, s[4:5]
	global_store_dword v[30:31], v32, off
	s_or_b64 exec, exec, s[6:7]
	s_and_saveexec_b64 s[4:5], s[2:3]
	s_cbranch_execz .LBB54_18
.LBB54_22:                              ;   in Loop: Header=BB54_9 Depth=1
	s_waitcnt vmcnt(0)
	v_fma_f32 v30, |v29|, -0.5, 0.5
	v_mul_f32_e32 v31, v29, v29
	v_cmp_ge_f32_e64 s[2:3], |v29|, 0.5
	v_cndmask_b32_e64 v30, v31, v30, s[2:3]
	v_mov_b32_e32 v31, 0x3c5fc5da
	v_fmac_f32_e32 v31, 0x3d1c21a7, v30
	v_fma_f32 v31, v30, v31, v23
	v_fma_f32 v31, v30, v31, v24
	v_sqrt_f32_e32 v32, v30
	v_fma_f32 v31, v30, v31, v25
	v_fma_f32 v31, v30, v31, v26
	v_mul_f32_e32 v30, v30, v31
	v_fmac_f32_e32 v32, v32, v30
	v_add_f32_e32 v31, v32, v32
	v_sub_f32_e32 v31, 0x3fc90fdb, v31
	v_fma_f32 v30, |v29|, v30, |v29|
	v_cmp_lt_f32_e64 s[2:3], |v29|, 0.5
	v_cndmask_b32_e64 v30, v31, v30, s[2:3]
	v_bfi_b32 v29, s21, v30, v29
	v_mov_b32_e32 v31, s9
	v_add_co_u32_e64 v30, s[2:3], s8, v16
	v_addc_co_u32_e64 v31, s[2:3], v15, v31, s[2:3]
	global_store_dword v[30:31], v29, off
	s_or_b64 exec, exec, s[4:5]
	s_and_saveexec_b64 s[2:3], s[0:1]
	s_cbranch_execz .LBB54_19
.LBB54_23:                              ;   in Loop: Header=BB54_9 Depth=1
	s_waitcnt vmcnt(0)
	v_fma_f32 v29, |v28|, -0.5, 0.5
	v_mul_f32_e32 v30, v28, v28
	v_cmp_ge_f32_e64 s[0:1], |v28|, 0.5
	v_cndmask_b32_e64 v29, v30, v29, s[0:1]
	v_mov_b32_e32 v30, 0x3c5fc5da
	v_fmac_f32_e32 v30, 0x3d1c21a7, v29
	v_fma_f32 v30, v29, v30, v23
	v_fma_f32 v30, v29, v30, v24
	v_sqrt_f32_e32 v31, v29
	v_fma_f32 v30, v29, v30, v25
	v_fma_f32 v30, v29, v30, v26
	v_mul_f32_e32 v29, v29, v30
	v_fmac_f32_e32 v31, v31, v29
	v_add_f32_e32 v30, v31, v31
	v_sub_f32_e32 v30, 0x3fc90fdb, v30
	v_fma_f32 v29, |v28|, v29, |v28|
	v_cmp_lt_f32_e64 s[0:1], |v28|, 0.5
	v_cndmask_b32_e64 v29, v30, v29, s[0:1]
	v_bfi_b32 v30, s21, v29, v28
	v_mov_b32_e32 v29, s9
	v_add_co_u32_e64 v28, s[0:1], s8, v12
	v_addc_co_u32_e64 v29, s[0:1], v11, v29, s[0:1]
	global_store_dword v[28:29], v30, off
	s_or_b64 exec, exec, s[2:3]
	s_and_saveexec_b64 s[0:1], vcc
	s_cbranch_execz .LBB54_8
.LBB54_24:                              ;   in Loop: Header=BB54_9 Depth=1
	s_waitcnt vmcnt(0)
	v_fma_f32 v28, |v27|, -0.5, 0.5
	v_mul_f32_e32 v29, v27, v27
	v_cmp_ge_f32_e64 vcc, |v27|, 0.5
	v_cndmask_b32_e32 v28, v29, v28, vcc
	v_mov_b32_e32 v29, 0x3c5fc5da
	v_fmac_f32_e32 v29, 0x3d1c21a7, v28
	v_fma_f32 v29, v28, v29, v23
	v_fma_f32 v29, v28, v29, v24
	v_sqrt_f32_e32 v30, v28
	v_fma_f32 v29, v28, v29, v25
	v_fma_f32 v29, v28, v29, v26
	v_mul_f32_e32 v28, v28, v29
	v_fmac_f32_e32 v30, v30, v28
	v_add_f32_e32 v29, v30, v30
	v_sub_f32_e32 v29, 0x3fc90fdb, v29
	v_fma_f32 v28, |v27|, v28, |v27|
	v_cmp_lt_f32_e64 vcc, |v27|, 0.5
	v_cndmask_b32_e32 v28, v29, v28, vcc
	v_bfi_b32 v27, s21, v28, v27
	v_mov_b32_e32 v29, s9
	v_add_co_u32_e32 v28, vcc, s8, v8
	v_addc_co_u32_e32 v29, vcc, v7, v29, vcc
	global_store_dword v[28:29], v27, off
	s_branch .LBB54_8
.LBB54_25:
	s_endpgm
	.section	.rodata,"a",@progbits
	.p2align	6, 0x0
	.amdhsa_kernel _ZN2at6native12_GLOBAL__N_125multi_tensor_apply_kernelINS1_18TensorListMetadataILi2EEENS1_14UnaryOpFunctorIfLi2ELi1ELi1EEEJNS0_4AsinIfEEEEEvT_T0_DpT1_
		.amdhsa_group_segment_fixed_size 0
		.amdhsa_private_segment_fixed_size 0
		.amdhsa_kernarg_size 3408
		.amdhsa_user_sgpr_count 6
		.amdhsa_user_sgpr_private_segment_buffer 1
		.amdhsa_user_sgpr_dispatch_ptr 0
		.amdhsa_user_sgpr_queue_ptr 0
		.amdhsa_user_sgpr_kernarg_segment_ptr 1
		.amdhsa_user_sgpr_dispatch_id 0
		.amdhsa_user_sgpr_flat_scratch_init 0
		.amdhsa_user_sgpr_kernarg_preload_length 0
		.amdhsa_user_sgpr_kernarg_preload_offset 0
		.amdhsa_user_sgpr_private_segment_size 0
		.amdhsa_uses_dynamic_stack 0
		.amdhsa_system_sgpr_private_segment_wavefront_offset 0
		.amdhsa_system_sgpr_workgroup_id_x 1
		.amdhsa_system_sgpr_workgroup_id_y 0
		.amdhsa_system_sgpr_workgroup_id_z 0
		.amdhsa_system_sgpr_workgroup_info 0
		.amdhsa_system_vgpr_workitem_id 0
		.amdhsa_next_free_vgpr 34
		.amdhsa_next_free_sgpr 36
		.amdhsa_accum_offset 36
		.amdhsa_reserve_vcc 1
		.amdhsa_reserve_flat_scratch 0
		.amdhsa_float_round_mode_32 0
		.amdhsa_float_round_mode_16_64 0
		.amdhsa_float_denorm_mode_32 3
		.amdhsa_float_denorm_mode_16_64 3
		.amdhsa_dx10_clamp 1
		.amdhsa_ieee_mode 1
		.amdhsa_fp16_overflow 0
		.amdhsa_tg_split 0
		.amdhsa_exception_fp_ieee_invalid_op 0
		.amdhsa_exception_fp_denorm_src 0
		.amdhsa_exception_fp_ieee_div_zero 0
		.amdhsa_exception_fp_ieee_overflow 0
		.amdhsa_exception_fp_ieee_underflow 0
		.amdhsa_exception_fp_ieee_inexact 0
		.amdhsa_exception_int_div_zero 0
	.end_amdhsa_kernel
	.section	.text._ZN2at6native12_GLOBAL__N_125multi_tensor_apply_kernelINS1_18TensorListMetadataILi2EEENS1_14UnaryOpFunctorIfLi2ELi1ELi1EEEJNS0_4AsinIfEEEEEvT_T0_DpT1_,"axG",@progbits,_ZN2at6native12_GLOBAL__N_125multi_tensor_apply_kernelINS1_18TensorListMetadataILi2EEENS1_14UnaryOpFunctorIfLi2ELi1ELi1EEEJNS0_4AsinIfEEEEEvT_T0_DpT1_,comdat
.Lfunc_end54:
	.size	_ZN2at6native12_GLOBAL__N_125multi_tensor_apply_kernelINS1_18TensorListMetadataILi2EEENS1_14UnaryOpFunctorIfLi2ELi1ELi1EEEJNS0_4AsinIfEEEEEvT_T0_DpT1_, .Lfunc_end54-_ZN2at6native12_GLOBAL__N_125multi_tensor_apply_kernelINS1_18TensorListMetadataILi2EEENS1_14UnaryOpFunctorIfLi2ELi1ELi1EEEJNS0_4AsinIfEEEEEvT_T0_DpT1_
                                        ; -- End function
	.section	.AMDGPU.csdata,"",@progbits
; Kernel info:
; codeLenInByte = 2208
; NumSgprs: 40
; NumVgprs: 34
; NumAgprs: 0
; TotalNumVgprs: 34
; ScratchSize: 0
; MemoryBound: 0
; FloatMode: 240
; IeeeMode: 1
; LDSByteSize: 0 bytes/workgroup (compile time only)
; SGPRBlocks: 4
; VGPRBlocks: 4
; NumSGPRsForWavesPerEU: 40
; NumVGPRsForWavesPerEU: 34
; AccumOffset: 36
; Occupancy: 8
; WaveLimiterHint : 0
; COMPUTE_PGM_RSRC2:SCRATCH_EN: 0
; COMPUTE_PGM_RSRC2:USER_SGPR: 6
; COMPUTE_PGM_RSRC2:TRAP_HANDLER: 0
; COMPUTE_PGM_RSRC2:TGID_X_EN: 1
; COMPUTE_PGM_RSRC2:TGID_Y_EN: 0
; COMPUTE_PGM_RSRC2:TGID_Z_EN: 0
; COMPUTE_PGM_RSRC2:TIDIG_COMP_CNT: 0
; COMPUTE_PGM_RSRC3_GFX90A:ACCUM_OFFSET: 8
; COMPUTE_PGM_RSRC3_GFX90A:TG_SPLIT: 0
	.text
	.p2align	2                               ; -- Begin function _ZNK2at6native4AsinIN3c107complexIdEEEclES4_
	.type	_ZNK2at6native4AsinIN3c107complexIdEEEclES4_,@function
_ZNK2at6native4AsinIN3c107complexIdEEEclES4_: ; @_ZNK2at6native4AsinIN3c107complexIdEEEclES4_
; %bb.0:
	s_waitcnt vmcnt(0) expcnt(0) lgkmcnt(0)
	v_cmp_o_f64_e32 vcc, v[2:3], v[2:3]
	v_cmp_o_f64_e64 s[4:5], v[0:1], v[0:1]
	s_and_b64 s[4:5], vcc, s[4:5]
	s_and_saveexec_b64 s[6:7], s[4:5]
	s_xor_b64 s[12:13], exec, s[6:7]
	s_cbranch_execnz .LBB55_3
; %bb.1:
	s_andn2_saveexec_b64 s[4:5], s[12:13]
	s_cbranch_execnz .LBB55_88
.LBB55_2:
	s_or_b64 exec, exec, s[4:5]
	s_waitcnt lgkmcnt(0)
	s_setpc_b64 s[30:31]
.LBB55_3:
	v_max_f64 v[12:13], |v[2:3]|, |v[2:3]|
	v_max_f64 v[4:5], |v[0:1]|, |v[0:1]|
	s_mov_b32 s4, 0
	v_max_f64 v[8:9], v[4:5], v[12:13]
	s_mov_b32 s5, 0x43300000
	v_cmp_nlt_f64_e32 vcc, s[4:5], v[8:9]
	s_and_saveexec_b64 s[4:5], vcc
	s_xor_b64 s[8:9], exec, s[4:5]
	s_cbranch_execz .LBB55_65
; %bb.4:
	v_cmp_neq_f64_e32 vcc, 0, v[2:3]
	v_cmp_neq_f64_e64 s[4:5], 0, v[0:1]
	s_or_b64 s[4:5], vcc, s[4:5]
	s_and_saveexec_b64 s[10:11], s[4:5]
	s_cbranch_execz .LBB55_64
; %bb.5:
	s_mov_b64 s[4:5], src_private_base
	s_lshr_b32 s4, s32, 6
	v_mov_b32_e32 v6, 0xd800000
	v_pk_mov_b32 v[4:5], s[4:5], s[4:5] op_sel:[0,1]
	flat_store_dword v[4:5], v6
	s_waitcnt vmcnt(0)
	flat_load_dword v4, v[4:5] glc
	s_waitcnt vmcnt(0)
	s_lshr_b32 s4, s32, 6
	s_add_i32 s4, s4, 4
	s_waitcnt lgkmcnt(0)
	v_add_f32_e32 v6, 1.0, v4
	v_pk_mov_b32 v[4:5], s[4:5], s[4:5] op_sel:[0,1]
	flat_store_dword v[4:5], v6
	s_waitcnt vmcnt(0)
	flat_load_dword v4, v[4:5] glc
	s_waitcnt vmcnt(0)
	s_mov_b32 s4, 0x1409212f
	s_mov_b32 s5, 0x3e43988e
	v_cmp_nlt_f64_e64 s[6:7], |v[2:3]|, s[4:5]
	v_cmp_nlt_f64_e64 s[4:5], |v[0:1]|, s[4:5]
	s_or_b64 s[4:5], s[4:5], s[6:7]
	s_and_saveexec_b64 s[14:15], s[4:5]
	s_cbranch_execz .LBB55_63
; %bb.6:
	v_add_f64 v[8:9], |v[0:1]|, 1.0
	s_waitcnt lgkmcnt(0)
	v_max_f64 v[4:5], v[12:13], |v[8:9]|
	v_frexp_exp_i32_f64_e32 v10, v[4:5]
	v_sub_u32_e32 v6, 0, v10
	v_ldexp_f64 v[4:5], |v[2:3]|, v6
	v_ldexp_f64 v[6:7], |v[8:9]|, v6
	v_mul_f64 v[6:7], v[6:7], v[6:7]
	v_fmac_f64_e32 v[6:7], v[4:5], v[4:5]
	v_rsq_f64_e32 v[4:5], v[6:7]
	v_cmp_eq_f64_e32 vcc, 0, v[6:7]
	v_mov_b32_e32 v20, 0x7ff80000
	s_movk_i32 s6, 0x204
	v_mul_f64 v[14:15], v[6:7], v[4:5]
	v_mul_f64 v[4:5], v[4:5], 0.5
	v_fma_f64 v[16:17], -v[4:5], v[14:15], 0.5
	v_fmac_f64_e32 v[14:15], v[14:15], v[16:17]
	v_fmac_f64_e32 v[4:5], v[4:5], v[16:17]
	v_fma_f64 v[16:17], -v[14:15], v[14:15], v[6:7]
	v_fmac_f64_e32 v[14:15], v[16:17], v[4:5]
	v_cndmask_b32_e32 v5, v15, v7, vcc
	v_cndmask_b32_e32 v4, v14, v6, vcc
	v_ldexp_f64 v[4:5], v[4:5], v10
	v_cmp_o_f64_e64 vcc, v[8:9], |v[2:3]|
	v_cndmask_b32_e32 v10, 0, v4, vcc
	v_cndmask_b32_e32 v14, v20, v5, vcc
	v_add_f64 v[4:5], |v[0:1]|, -1.0
	v_max_f64 v[6:7], v[12:13], |v[4:5]|
	v_frexp_exp_i32_f64_e32 v22, v[6:7]
	v_sub_u32_e32 v12, 0, v22
	v_ldexp_f64 v[6:7], |v[2:3]|, v12
	v_ldexp_f64 v[12:13], |v[4:5]|, v12
	v_mul_f64 v[12:13], v[12:13], v[12:13]
	v_fmac_f64_e32 v[12:13], v[6:7], v[6:7]
	v_rsq_f64_e32 v[6:7], v[12:13]
	v_cmp_class_f64_e64 s[4:5], v[2:3], s6
	v_cmp_class_f64_e64 s[16:17], v[8:9], s6
	v_mov_b32_e32 v21, 0x7ff00000
	s_or_b64 vcc, s[4:5], s[16:17]
	v_cndmask_b32_e32 v17, v14, v21, vcc
	v_mul_f64 v[14:15], v[12:13], v[6:7]
	v_mul_f64 v[6:7], v[6:7], 0.5
	v_fma_f64 v[18:19], -v[6:7], v[14:15], 0.5
	v_fmac_f64_e32 v[14:15], v[14:15], v[18:19]
	v_fmac_f64_e32 v[6:7], v[6:7], v[18:19]
	v_fma_f64 v[18:19], -v[14:15], v[14:15], v[12:13]
	v_cndmask_b32_e64 v16, v10, 0, vcc
	v_fmac_f64_e32 v[14:15], v[18:19], v[6:7]
	v_cmp_eq_f64_e32 vcc, 0, v[12:13]
	v_cndmask_b32_e32 v7, v15, v13, vcc
	v_cndmask_b32_e32 v6, v14, v12, vcc
	v_ldexp_f64 v[6:7], v[6:7], v22
	v_cmp_o_f64_e64 vcc, v[4:5], |v[2:3]|
	v_cmp_class_f64_e64 s[16:17], v[4:5], s6
	v_cndmask_b32_e32 v6, 0, v6, vcc
	v_cndmask_b32_e32 v7, v20, v7, vcc
	s_or_b64 vcc, s[4:5], s[16:17]
	v_cndmask_b32_e32 v15, v7, v21, vcc
	v_cndmask_b32_e64 v14, v6, 0, vcc
	v_add_f64 v[6:7], v[16:17], v[14:15]
	v_mul_f64 v[6:7], v[6:7], 0.5
	v_mov_b32_e32 v10, 0x3ff00000
	v_cmp_ngt_f64_e32 vcc, 1.0, v[6:7]
	s_mov_b32 s4, 0
	v_cndmask_b32_e32 v7, v10, v7, vcc
	v_cndmask_b32_e32 v6, 0, v6, vcc
	s_mov_b32 s5, 0x40240000
	v_and_b32_e32 v11, 0x7fffffff, v3
	v_cmp_ngt_f64_e32 vcc, s[4:5], v[6:7]
                                        ; implicit-def: $vgpr12_vgpr13
	s_and_saveexec_b64 s[4:5], vcc
	s_xor_b64 s[4:5], exec, s[4:5]
	s_cbranch_execz .LBB55_8
; %bb.7:
	s_mov_b32 s16, 0
	v_fma_f64 v[12:13], v[6:7], v[6:7], -1.0
	s_brev_b32 s17, 8
	v_cmp_gt_f64_e32 vcc, s[16:17], v[12:13]
	v_cndmask_b32_e64 v18, 0, 1, vcc
	v_lshlrev_b32_e32 v18, 8, v18
	v_ldexp_f64 v[12:13], v[12:13], v18
	v_rsq_f64_e32 v[18:19], v[12:13]
	s_mov_b32 s16, 0x55555555
	s_mov_b32 s17, 0x3fe55555
	v_mul_f64 v[20:21], v[12:13], v[18:19]
	v_mul_f64 v[18:19], v[18:19], 0.5
	v_fma_f64 v[22:23], -v[18:19], v[20:21], 0.5
	v_fmac_f64_e32 v[20:21], v[20:21], v[22:23]
	v_fma_f64 v[24:25], -v[20:21], v[20:21], v[12:13]
	v_fmac_f64_e32 v[18:19], v[18:19], v[22:23]
	v_fmac_f64_e32 v[20:21], v[24:25], v[18:19]
	v_fma_f64 v[22:23], -v[20:21], v[20:21], v[12:13]
	v_fmac_f64_e32 v[20:21], v[22:23], v[18:19]
	v_mov_b32_e32 v19, 0xffffff80
	v_cndmask_b32_e32 v19, 0, v19, vcc
	v_ldexp_f64 v[20:21], v[20:21], v19
	v_mov_b32_e32 v19, 0x260
	v_cmp_class_f64_e32 vcc, v[12:13], v19
	v_cndmask_b32_e32 v13, v21, v13, vcc
	v_cndmask_b32_e32 v12, v20, v12, vcc
	v_add_f64 v[12:13], v[6:7], v[12:13]
	v_frexp_mant_f64_e32 v[20:21], v[12:13]
	v_cmp_gt_f64_e32 vcc, s[16:17], v[20:21]
	v_mov_b32_e32 v18, 0
	v_cndmask_b32_e64 v19, v10, 2.0, vcc
	v_mul_f64 v[18:19], v[20:21], v[18:19]
	v_frexp_exp_i32_f64_e32 v22, v[12:13]
	v_add_f64 v[20:21], v[18:19], 1.0
	v_subbrev_co_u32_e32 v10, vcc, 0, v22, vcc
	v_rcp_f64_e32 v[22:23], v[20:21]
	v_add_f64 v[26:27], v[20:21], -1.0
	v_add_f64 v[24:25], v[18:19], -1.0
	v_add_f64 v[18:19], v[18:19], -v[26:27]
	v_fma_f64 v[26:27], -v[20:21], v[22:23], 1.0
	v_fmac_f64_e32 v[22:23], v[26:27], v[22:23]
	v_fma_f64 v[26:27], -v[20:21], v[22:23], 1.0
	v_fmac_f64_e32 v[22:23], v[26:27], v[22:23]
	v_mul_f64 v[26:27], v[24:25], v[22:23]
	v_mul_f64 v[28:29], v[20:21], v[26:27]
	v_fma_f64 v[20:21], v[26:27], v[20:21], -v[28:29]
	v_fmac_f64_e32 v[20:21], v[26:27], v[18:19]
	v_add_f64 v[18:19], v[28:29], v[20:21]
	v_add_f64 v[30:31], v[24:25], -v[18:19]
	v_add_f64 v[28:29], v[18:19], -v[28:29]
	;; [unrolled: 1-line block ×5, first 2 shown]
	v_add_f64 v[18:19], v[20:21], v[18:19]
	v_add_f64 v[18:19], v[30:31], v[18:19]
	v_mul_f64 v[18:19], v[22:23], v[18:19]
	v_add_f64 v[20:21], v[26:27], v[18:19]
	v_add_f64 v[22:23], v[20:21], -v[26:27]
	s_mov_b32 s16, 0xbf559e2b
	v_add_f64 v[18:19], v[18:19], -v[22:23]
	v_mul_f64 v[22:23], v[20:21], v[20:21]
	v_mov_b32_e32 v24, 0x6b47b09a
	v_mov_b32_e32 v25, 0x3fc38538
	s_mov_b32 s17, 0x3fc3ab76
	v_fmac_f64_e32 v[24:25], s[16:17], v[22:23]
	v_mov_b32_e32 v26, 0xd7f4df2e
	v_mov_b32_e32 v27, 0x3fc7474d
	v_fmac_f64_e32 v[26:27], v[22:23], v[24:25]
	v_mov_b32_e32 v24, 0x16291751
	v_mov_b32_e32 v25, 0x3fcc71c0
	;; [unrolled: 3-line block ×5, first 2 shown]
	v_fmac_f64_e32 v[26:27], v[22:23], v[24:25]
	v_ldexp_f64 v[24:25], v[20:21], 1
	v_mul_f64 v[20:21], v[20:21], v[22:23]
	v_mul_f64 v[20:21], v[20:21], v[26:27]
	v_add_f64 v[22:23], v[24:25], v[20:21]
	v_add_f64 v[24:25], v[22:23], -v[24:25]
	v_ldexp_f64 v[18:19], v[18:19], 1
	v_add_f64 v[20:21], v[20:21], -v[24:25]
	v_add_f64 v[18:19], v[18:19], v[20:21]
	v_add_f64 v[20:21], v[22:23], v[18:19]
	v_add_f64 v[22:23], v[20:21], -v[22:23]
	s_mov_b32 s16, 0xfefa39ef
	v_add_f64 v[18:19], v[18:19], -v[22:23]
	v_cvt_f64_i32_e32 v[22:23], v10
	s_mov_b32 s17, 0x3fe62e42
	v_mul_f64 v[24:25], v[22:23], s[16:17]
	v_fma_f64 v[26:27], v[22:23], s[16:17], -v[24:25]
	s_mov_b32 s16, 0x3b39803f
	s_mov_b32 s17, 0x3c7abc9e
	v_fmac_f64_e32 v[26:27], s[16:17], v[22:23]
	v_add_f64 v[22:23], v[24:25], v[26:27]
	v_add_f64 v[24:25], v[22:23], -v[24:25]
	v_add_f64 v[24:25], v[26:27], -v[24:25]
	v_add_f64 v[26:27], v[22:23], v[20:21]
	v_add_f64 v[28:29], v[26:27], -v[22:23]
	v_add_f64 v[30:31], v[26:27], -v[28:29]
	;; [unrolled: 1-line block ×4, first 2 shown]
	v_add_f64 v[20:21], v[20:21], v[22:23]
	v_add_f64 v[22:23], v[24:25], v[18:19]
	v_add_f64 v[28:29], v[22:23], -v[24:25]
	v_add_f64 v[30:31], v[22:23], -v[28:29]
	v_add_f64 v[20:21], v[22:23], v[20:21]
	v_add_f64 v[24:25], v[24:25], -v[30:31]
	v_add_f64 v[18:19], v[18:19], -v[28:29]
	v_add_f64 v[22:23], v[26:27], v[20:21]
	v_add_f64 v[18:19], v[18:19], v[24:25]
	v_add_f64 v[24:25], v[22:23], -v[26:27]
	v_add_f64 v[20:21], v[20:21], -v[24:25]
	v_add_f64 v[18:19], v[18:19], v[20:21]
	v_add_f64 v[18:19], v[22:23], v[18:19]
	v_cmp_class_f64_e64 vcc, v[12:13], s6
	v_cndmask_b32_e32 v10, v18, v12, vcc
	v_cndmask_b32_e32 v18, v19, v13, vcc
	v_mov_b32_e32 v19, 0xfff00000
	v_cmp_neq_f64_e32 vcc, 0, v[12:13]
	v_cndmask_b32_e32 v13, v19, v18, vcc
	v_cndmask_b32_e32 v12, 0, v10, vcc
.LBB55_8:
	s_or_saveexec_b64 s[4:5], s[4:5]
	v_mov_b32_e32 v10, v2
	s_xor_b64 exec, exec, s[4:5]
	s_cbranch_execz .LBB55_30
; %bb.9:
	s_mov_b32 s16, 0
	s_mov_b32 s17, 0x39000000
	v_cmp_neq_f64_e64 s[6:7], |v[0:1]|, 1.0
	v_cmp_nlt_f64_e64 s[16:17], |v[2:3]|, s[16:17]
	s_or_b64 s[6:7], s[6:7], s[16:17]
                                        ; implicit-def: $vgpr12_vgpr13
	s_and_saveexec_b64 s[16:17], s[6:7]
	s_xor_b64 s[6:7], exec, s[16:17]
	s_cbranch_execz .LBB55_27
; %bb.10:
	s_movk_i32 s16, 0xffcc
	v_ldexp_f64 v[12:13], |v[4:5]|, s16
	v_cmp_le_f64_e64 s[16:17], v[12:13], |v[2:3]|
                                        ; implicit-def: $vgpr12_vgpr13
	s_and_saveexec_b64 s[18:19], s[16:17]
	s_xor_b64 s[16:17], exec, s[18:19]
	s_cbranch_execz .LBB55_20
; %bb.11:
	v_cmp_neq_f64_e32 vcc, 0, v[8:9]
	v_pk_mov_b32 v[12:13], v[10:11], v[10:11] op_sel:[0,1]
	s_and_saveexec_b64 s[18:19], vcc
	s_cbranch_execz .LBB55_13
; %bb.12:
	v_mul_f64 v[12:13], v[2:3], v[2:3]
	v_add_f64 v[18:19], v[8:9], v[16:17]
	v_div_scale_f64 v[20:21], s[20:21], v[18:19], v[18:19], v[12:13]
	v_rcp_f64_e32 v[22:23], v[20:21]
	v_fma_f64 v[24:25], -v[20:21], v[22:23], 1.0
	v_fmac_f64_e32 v[22:23], v[22:23], v[24:25]
	v_fma_f64 v[24:25], -v[20:21], v[22:23], 1.0
	v_fmac_f64_e32 v[22:23], v[22:23], v[24:25]
	v_div_scale_f64 v[24:25], vcc, v[12:13], v[18:19], v[12:13]
	v_mul_f64 v[26:27], v[24:25], v[22:23]
	v_fma_f64 v[20:21], -v[20:21], v[26:27], v[24:25]
	s_nop 1
	v_div_fmas_f64 v[20:21], v[20:21], v[22:23], v[26:27]
	v_div_fixup_f64 v[12:13], v[20:21], v[18:19], v[12:13]
.LBB55_13:
	s_or_b64 exec, exec, s[18:19]
	v_add_f64 v[20:21], -|v[0:1]|, 1.0
	v_cmp_ngt_f64_e32 vcc, 0, v[20:21]
                                        ; implicit-def: $vgpr18_vgpr19
	s_and_saveexec_b64 s[18:19], vcc
	s_xor_b64 s[18:19], exec, s[18:19]
	s_cbranch_execz .LBB55_17
; %bb.14:
	v_cmp_neq_f64_e32 vcc, 0, v[20:21]
	v_pk_mov_b32 v[18:19], v[10:11], v[10:11] op_sel:[0,1]
	s_and_saveexec_b64 s[20:21], vcc
	s_cbranch_execz .LBB55_16
; %bb.15:
	v_mul_f64 v[18:19], v[2:3], v[2:3]
	v_add_f64 v[20:21], v[20:21], v[14:15]
	v_div_scale_f64 v[22:23], s[22:23], v[20:21], v[20:21], v[18:19]
	v_rcp_f64_e32 v[24:25], v[22:23]
	v_fma_f64 v[26:27], -v[22:23], v[24:25], 1.0
	v_fmac_f64_e32 v[24:25], v[24:25], v[26:27]
	v_fma_f64 v[26:27], -v[22:23], v[24:25], 1.0
	v_fmac_f64_e32 v[24:25], v[24:25], v[26:27]
	v_div_scale_f64 v[26:27], vcc, v[18:19], v[20:21], v[18:19]
	v_mul_f64 v[28:29], v[26:27], v[24:25]
	v_fma_f64 v[22:23], -v[22:23], v[28:29], v[26:27]
	s_nop 1
	v_div_fmas_f64 v[22:23], v[22:23], v[24:25], v[28:29]
	v_div_fixup_f64 v[18:19], v[22:23], v[20:21], v[18:19]
.LBB55_16:
	s_or_b64 exec, exec, s[20:21]
                                        ; implicit-def: $vgpr20_vgpr21
.LBB55_17:
	s_andn2_saveexec_b64 s[18:19], s[18:19]
; %bb.18:
	v_add_f64 v[18:19], v[14:15], -v[20:21]
; %bb.19:
	s_or_b64 exec, exec, s[18:19]
	v_mul_f64 v[18:19], v[18:19], 0.5
	v_fmac_f64_e32 v[18:19], 0.5, v[12:13]
	v_add_f64 v[12:13], v[6:7], 1.0
	s_mov_b32 s18, 0
	v_mul_f64 v[12:13], v[12:13], v[18:19]
	s_brev_b32 s19, 8
	v_cmp_gt_f64_e32 vcc, s[18:19], v[12:13]
	v_cndmask_b32_e64 v20, 0, 1, vcc
	v_lshlrev_b32_e32 v20, 8, v20
	v_ldexp_f64 v[12:13], v[12:13], v20
	v_rsq_f64_e32 v[20:21], v[12:13]
	s_mov_b32 s18, 0x55555555
	s_mov_b32 s19, 0x3fe55555
	v_mul_f64 v[22:23], v[12:13], v[20:21]
	v_mul_f64 v[20:21], v[20:21], 0.5
	v_fma_f64 v[24:25], -v[20:21], v[22:23], 0.5
	v_fmac_f64_e32 v[22:23], v[22:23], v[24:25]
	v_fma_f64 v[26:27], -v[22:23], v[22:23], v[12:13]
	v_fmac_f64_e32 v[20:21], v[20:21], v[24:25]
	v_fmac_f64_e32 v[22:23], v[26:27], v[20:21]
	v_fma_f64 v[24:25], -v[22:23], v[22:23], v[12:13]
	v_fmac_f64_e32 v[22:23], v[24:25], v[20:21]
	v_mov_b32_e32 v20, 0xffffff80
	v_cndmask_b32_e32 v20, 0, v20, vcc
	v_ldexp_f64 v[20:21], v[22:23], v20
	v_mov_b32_e32 v22, 0x260
	v_cmp_class_f64_e32 vcc, v[12:13], v22
	v_cndmask_b32_e32 v13, v21, v13, vcc
	v_cndmask_b32_e32 v12, v20, v12, vcc
	v_add_f64 v[18:19], v[18:19], v[12:13]
	v_add_f64 v[12:13], v[18:19], 1.0
	v_add_f64 v[20:21], v[12:13], -1.0
	v_add_f64 v[22:23], v[20:21], -v[12:13]
	v_add_f64 v[22:23], v[22:23], 1.0
	v_add_f64 v[20:21], v[18:19], -v[20:21]
	v_add_f64 v[20:21], v[20:21], v[22:23]
	v_frexp_mant_f64_e32 v[22:23], v[12:13]
	v_frexp_exp_i32_f64_e32 v24, v[12:13]
	v_cmp_gt_f64_e32 vcc, s[18:19], v[22:23]
	v_subbrev_co_u32_e32 v38, vcc, 0, v24, vcc
	v_sub_u32_e32 v22, 0, v38
	v_ldexp_f64 v[12:13], v[12:13], v22
	v_ldexp_f64 v[20:21], v[20:21], v22
	v_add_f64 v[22:23], v[12:13], -1.0
	v_add_f64 v[28:29], v[12:13], 1.0
	v_add_f64 v[24:25], v[22:23], 1.0
	v_add_f64 v[30:31], v[28:29], -1.0
	v_add_f64 v[24:25], v[12:13], -v[24:25]
	v_add_f64 v[12:13], v[12:13], -v[30:31]
	v_add_f64 v[12:13], v[20:21], v[12:13]
	v_add_f64 v[24:25], v[20:21], v[24:25]
	;; [unrolled: 1-line block ×3, first 2 shown]
	v_rcp_f64_e32 v[30:31], v[20:21]
	v_add_f64 v[26:27], v[22:23], v[24:25]
	v_add_f64 v[22:23], v[26:27], -v[22:23]
	v_add_f64 v[22:23], v[24:25], -v[22:23]
	;; [unrolled: 1-line block ×4, first 2 shown]
	v_fma_f64 v[24:25], -v[20:21], v[30:31], 1.0
	v_fmac_f64_e32 v[30:31], v[24:25], v[30:31]
	v_fma_f64 v[24:25], -v[20:21], v[30:31], 1.0
	v_fmac_f64_e32 v[30:31], v[24:25], v[30:31]
	v_mul_f64 v[24:25], v[26:27], v[30:31]
	v_mul_f64 v[28:29], v[20:21], v[24:25]
	v_fma_f64 v[32:33], v[24:25], v[20:21], -v[28:29]
	v_fmac_f64_e32 v[32:33], v[24:25], v[12:13]
	v_add_f64 v[34:35], v[28:29], v[32:33]
	v_add_f64 v[36:37], v[26:27], -v[34:35]
	v_add_f64 v[26:27], v[26:27], -v[36:37]
	;; [unrolled: 1-line block ×4, first 2 shown]
	v_add_f64 v[22:23], v[22:23], v[26:27]
	v_add_f64 v[26:27], v[28:29], -v[32:33]
	v_add_f64 v[22:23], v[26:27], v[22:23]
	v_add_f64 v[26:27], v[36:37], v[22:23]
	v_add_f64 v[28:29], v[36:37], -v[26:27]
	v_add_f64 v[22:23], v[22:23], v[28:29]
	v_mul_f64 v[28:29], v[30:31], v[26:27]
	v_mul_f64 v[32:33], v[20:21], v[28:29]
	v_fma_f64 v[20:21], v[28:29], v[20:21], -v[32:33]
	v_fmac_f64_e32 v[20:21], v[28:29], v[12:13]
	v_add_f64 v[12:13], v[32:33], v[20:21]
	v_add_f64 v[34:35], v[26:27], -v[12:13]
	v_add_f64 v[26:27], v[26:27], -v[34:35]
	v_add_f64 v[32:33], v[12:13], -v[32:33]
	v_add_f64 v[12:13], v[26:27], -v[12:13]
	v_add_f64 v[12:13], v[22:23], v[12:13]
	v_add_f64 v[20:21], v[32:33], -v[20:21]
	v_add_f64 v[12:13], v[20:21], v[12:13]
	v_add_f64 v[20:21], v[24:25], v[28:29]
	;; [unrolled: 1-line block ×3, first 2 shown]
	v_add_f64 v[22:23], v[20:21], -v[24:25]
	v_mul_f64 v[12:13], v[30:31], v[12:13]
	v_add_f64 v[22:23], v[28:29], -v[22:23]
	v_add_f64 v[12:13], v[22:23], v[12:13]
	v_add_f64 v[22:23], v[20:21], v[12:13]
	v_add_f64 v[20:21], v[22:23], -v[20:21]
	s_mov_b32 s18, 0xbf559e2b
	v_add_f64 v[12:13], v[12:13], -v[20:21]
	v_mul_f64 v[20:21], v[22:23], v[22:23]
	v_mov_b32_e32 v24, 0x6b47b09a
	v_mov_b32_e32 v25, 0x3fc38538
	s_mov_b32 s19, 0x3fc3ab76
	v_fmac_f64_e32 v[24:25], s[18:19], v[20:21]
	v_mov_b32_e32 v26, 0xd7f4df2e
	v_mov_b32_e32 v27, 0x3fc7474d
	v_fmac_f64_e32 v[26:27], v[20:21], v[24:25]
	v_mov_b32_e32 v24, 0x16291751
	v_mov_b32_e32 v25, 0x3fcc71c0
	;; [unrolled: 3-line block ×5, first 2 shown]
	s_mov_b32 s18, 0xfefa39ef
	v_fmac_f64_e32 v[26:27], v[20:21], v[24:25]
	v_cvt_f64_i32_e32 v[24:25], v38
	s_mov_b32 s19, 0x3fe62e42
	v_mul_f64 v[28:29], v[24:25], s[18:19]
	v_fma_f64 v[30:31], v[24:25], s[18:19], -v[28:29]
	s_mov_b32 s18, 0x3b39803f
	s_mov_b32 s19, 0x3c7abc9e
	v_fmac_f64_e32 v[30:31], s[18:19], v[24:25]
	v_add_f64 v[24:25], v[28:29], v[30:31]
	v_add_f64 v[28:29], v[24:25], -v[28:29]
	v_mul_f64 v[20:21], v[22:23], v[20:21]
	v_add_f64 v[28:29], v[30:31], -v[28:29]
	v_ldexp_f64 v[30:31], v[22:23], 1
	v_mul_f64 v[20:21], v[20:21], v[26:27]
	v_add_f64 v[22:23], v[30:31], v[20:21]
	v_add_f64 v[26:27], v[22:23], -v[30:31]
	v_ldexp_f64 v[12:13], v[12:13], 1
	v_add_f64 v[20:21], v[20:21], -v[26:27]
	v_add_f64 v[12:13], v[12:13], v[20:21]
	v_add_f64 v[20:21], v[22:23], v[12:13]
	v_add_f64 v[22:23], v[20:21], -v[22:23]
	v_add_f64 v[12:13], v[12:13], -v[22:23]
	v_add_f64 v[22:23], v[24:25], v[20:21]
	v_add_f64 v[26:27], v[22:23], -v[24:25]
	v_add_f64 v[30:31], v[22:23], -v[26:27]
	;; [unrolled: 1-line block ×4, first 2 shown]
	v_add_f64 v[20:21], v[20:21], v[24:25]
	v_add_f64 v[24:25], v[28:29], v[12:13]
	v_add_f64 v[26:27], v[24:25], -v[28:29]
	v_add_f64 v[20:21], v[24:25], v[20:21]
	v_add_f64 v[30:31], v[24:25], -v[26:27]
	v_add_f64 v[24:25], v[22:23], v[20:21]
	v_add_f64 v[28:29], v[28:29], -v[30:31]
	v_add_f64 v[12:13], v[12:13], -v[26:27]
	v_add_f64 v[22:23], v[24:25], -v[22:23]
	v_add_f64 v[12:13], v[12:13], v[28:29]
	v_add_f64 v[20:21], v[20:21], -v[22:23]
	s_mov_b32 s18, 0
	v_add_f64 v[12:13], v[12:13], v[20:21]
	s_mov_b32 s19, 0x7ff00000
	v_add_f64 v[12:13], v[24:25], v[12:13]
	v_cmp_eq_f64_e32 vcc, s[18:19], v[18:19]
	v_cndmask_b32_e32 v12, v12, v18, vcc
	v_cndmask_b32_e32 v13, v13, v19, vcc
	v_mov_b32_e32 v20, 0x7ff80000
	v_cmp_ngt_f64_e32 vcc, -1.0, v[18:19]
	v_cndmask_b32_e32 v13, v20, v13, vcc
	v_cmp_nge_f64_e32 vcc, -1.0, v[18:19]
	v_cndmask_b32_e32 v12, 0, v12, vcc
	v_mov_b32_e32 v20, 0xfff00000
	v_cmp_neq_f64_e32 vcc, -1.0, v[18:19]
	v_cndmask_b32_e32 v13, v20, v13, vcc
.LBB55_20:
	s_andn2_saveexec_b64 s[16:17], s[16:17]
	s_cbranch_execz .LBB55_26
; %bb.21:
	v_cmp_nlt_f64_e64 s[18:19], |v[0:1]|, 1.0
                                        ; implicit-def: $vgpr12_vgpr13
	s_and_saveexec_b64 s[20:21], s[18:19]
	s_xor_b64 s[18:19], exec, s[20:21]
	s_cbranch_execz .LBB55_23
; %bb.22:
	s_mov_b32 s20, 0
	v_mul_f64 v[12:13], v[4:5], v[8:9]
	s_brev_b32 s21, 8
	v_cmp_gt_f64_e32 vcc, s[20:21], v[12:13]
	v_cndmask_b32_e64 v18, 0, 1, vcc
	v_lshlrev_b32_e32 v18, 8, v18
	v_ldexp_f64 v[12:13], v[12:13], v18
	v_rsq_f64_e32 v[18:19], v[12:13]
	s_mov_b32 s20, 0x55555555
	s_mov_b32 s21, 0x3fe55555
	v_mul_f64 v[20:21], v[12:13], v[18:19]
	v_mul_f64 v[18:19], v[18:19], 0.5
	v_fma_f64 v[22:23], -v[18:19], v[20:21], 0.5
	v_fmac_f64_e32 v[20:21], v[20:21], v[22:23]
	v_fma_f64 v[24:25], -v[20:21], v[20:21], v[12:13]
	v_fmac_f64_e32 v[18:19], v[18:19], v[22:23]
	v_fmac_f64_e32 v[20:21], v[24:25], v[18:19]
	v_fma_f64 v[22:23], -v[20:21], v[20:21], v[12:13]
	v_fmac_f64_e32 v[20:21], v[22:23], v[18:19]
	v_mov_b32_e32 v18, 0xffffff80
	v_cndmask_b32_e32 v18, 0, v18, vcc
	v_ldexp_f64 v[18:19], v[20:21], v18
	v_mov_b32_e32 v20, 0x260
	v_cmp_class_f64_e32 vcc, v[12:13], v20
	v_cndmask_b32_e32 v13, v19, v13, vcc
	v_cndmask_b32_e32 v12, v18, v12, vcc
	v_add_f64 v[18:19], v[4:5], v[12:13]
	v_add_f64 v[12:13], v[18:19], 1.0
	v_add_f64 v[20:21], v[12:13], -1.0
	v_add_f64 v[22:23], v[20:21], -v[12:13]
	v_add_f64 v[22:23], v[22:23], 1.0
	v_add_f64 v[20:21], v[18:19], -v[20:21]
	v_add_f64 v[20:21], v[20:21], v[22:23]
	v_frexp_mant_f64_e32 v[22:23], v[12:13]
	v_frexp_exp_i32_f64_e32 v24, v[12:13]
	v_cmp_gt_f64_e32 vcc, s[20:21], v[22:23]
	v_subbrev_co_u32_e32 v38, vcc, 0, v24, vcc
	v_sub_u32_e32 v22, 0, v38
	v_ldexp_f64 v[12:13], v[12:13], v22
	v_ldexp_f64 v[20:21], v[20:21], v22
	v_add_f64 v[22:23], v[12:13], -1.0
	v_add_f64 v[28:29], v[12:13], 1.0
	v_add_f64 v[24:25], v[22:23], 1.0
	v_add_f64 v[30:31], v[28:29], -1.0
	v_add_f64 v[24:25], v[12:13], -v[24:25]
	v_add_f64 v[12:13], v[12:13], -v[30:31]
	v_add_f64 v[12:13], v[20:21], v[12:13]
	v_add_f64 v[24:25], v[20:21], v[24:25]
	;; [unrolled: 1-line block ×3, first 2 shown]
	v_rcp_f64_e32 v[30:31], v[20:21]
	v_add_f64 v[26:27], v[22:23], v[24:25]
	v_add_f64 v[22:23], v[26:27], -v[22:23]
	v_add_f64 v[22:23], v[24:25], -v[22:23]
	;; [unrolled: 1-line block ×4, first 2 shown]
	v_fma_f64 v[24:25], -v[20:21], v[30:31], 1.0
	v_fmac_f64_e32 v[30:31], v[24:25], v[30:31]
	v_fma_f64 v[24:25], -v[20:21], v[30:31], 1.0
	v_fmac_f64_e32 v[30:31], v[24:25], v[30:31]
	v_mul_f64 v[24:25], v[26:27], v[30:31]
	v_mul_f64 v[28:29], v[20:21], v[24:25]
	v_fma_f64 v[32:33], v[24:25], v[20:21], -v[28:29]
	v_fmac_f64_e32 v[32:33], v[24:25], v[12:13]
	v_add_f64 v[34:35], v[28:29], v[32:33]
	v_add_f64 v[36:37], v[26:27], -v[34:35]
	v_add_f64 v[26:27], v[26:27], -v[36:37]
	;; [unrolled: 1-line block ×4, first 2 shown]
	v_add_f64 v[22:23], v[22:23], v[26:27]
	v_add_f64 v[26:27], v[28:29], -v[32:33]
	v_add_f64 v[22:23], v[26:27], v[22:23]
	v_add_f64 v[26:27], v[36:37], v[22:23]
	v_add_f64 v[28:29], v[36:37], -v[26:27]
	v_add_f64 v[22:23], v[22:23], v[28:29]
	v_mul_f64 v[28:29], v[30:31], v[26:27]
	v_mul_f64 v[32:33], v[20:21], v[28:29]
	v_fma_f64 v[20:21], v[28:29], v[20:21], -v[32:33]
	v_fmac_f64_e32 v[20:21], v[28:29], v[12:13]
	v_add_f64 v[12:13], v[32:33], v[20:21]
	v_add_f64 v[34:35], v[26:27], -v[12:13]
	v_add_f64 v[26:27], v[26:27], -v[34:35]
	;; [unrolled: 1-line block ×4, first 2 shown]
	v_add_f64 v[12:13], v[22:23], v[12:13]
	v_add_f64 v[20:21], v[32:33], -v[20:21]
	v_add_f64 v[12:13], v[20:21], v[12:13]
	v_add_f64 v[20:21], v[24:25], v[28:29]
	;; [unrolled: 1-line block ×3, first 2 shown]
	v_add_f64 v[22:23], v[20:21], -v[24:25]
	v_mul_f64 v[12:13], v[30:31], v[12:13]
	v_add_f64 v[22:23], v[28:29], -v[22:23]
	v_add_f64 v[12:13], v[22:23], v[12:13]
	v_add_f64 v[22:23], v[20:21], v[12:13]
	v_add_f64 v[20:21], v[22:23], -v[20:21]
	s_mov_b32 s20, 0xbf559e2b
	v_add_f64 v[12:13], v[12:13], -v[20:21]
	v_mul_f64 v[20:21], v[22:23], v[22:23]
	v_mov_b32_e32 v24, 0x6b47b09a
	v_mov_b32_e32 v25, 0x3fc38538
	s_mov_b32 s21, 0x3fc3ab76
	v_fmac_f64_e32 v[24:25], s[20:21], v[20:21]
	v_mov_b32_e32 v26, 0xd7f4df2e
	v_mov_b32_e32 v27, 0x3fc7474d
	v_fmac_f64_e32 v[26:27], v[20:21], v[24:25]
	v_mov_b32_e32 v24, 0x16291751
	v_mov_b32_e32 v25, 0x3fcc71c0
	;; [unrolled: 3-line block ×5, first 2 shown]
	s_mov_b32 s20, 0xfefa39ef
	v_fmac_f64_e32 v[26:27], v[20:21], v[24:25]
	v_cvt_f64_i32_e32 v[24:25], v38
	s_mov_b32 s21, 0x3fe62e42
	v_mul_f64 v[28:29], v[24:25], s[20:21]
	v_fma_f64 v[30:31], v[24:25], s[20:21], -v[28:29]
	s_mov_b32 s20, 0x3b39803f
	s_mov_b32 s21, 0x3c7abc9e
	v_fmac_f64_e32 v[30:31], s[20:21], v[24:25]
	v_add_f64 v[24:25], v[28:29], v[30:31]
	v_add_f64 v[28:29], v[24:25], -v[28:29]
	v_mul_f64 v[20:21], v[22:23], v[20:21]
	v_add_f64 v[28:29], v[30:31], -v[28:29]
	v_ldexp_f64 v[30:31], v[22:23], 1
	v_mul_f64 v[20:21], v[20:21], v[26:27]
	v_add_f64 v[22:23], v[30:31], v[20:21]
	v_add_f64 v[26:27], v[22:23], -v[30:31]
	v_ldexp_f64 v[12:13], v[12:13], 1
	v_add_f64 v[20:21], v[20:21], -v[26:27]
	v_add_f64 v[12:13], v[12:13], v[20:21]
	v_add_f64 v[20:21], v[22:23], v[12:13]
	v_add_f64 v[22:23], v[20:21], -v[22:23]
	v_add_f64 v[12:13], v[12:13], -v[22:23]
	v_add_f64 v[22:23], v[24:25], v[20:21]
	v_add_f64 v[26:27], v[22:23], -v[24:25]
	v_add_f64 v[30:31], v[22:23], -v[26:27]
	;; [unrolled: 1-line block ×4, first 2 shown]
	v_add_f64 v[20:21], v[20:21], v[24:25]
	v_add_f64 v[24:25], v[28:29], v[12:13]
	v_add_f64 v[26:27], v[24:25], -v[28:29]
	v_add_f64 v[20:21], v[24:25], v[20:21]
	v_add_f64 v[30:31], v[24:25], -v[26:27]
	;; [unrolled: 2-line block ×3, first 2 shown]
	v_add_f64 v[12:13], v[12:13], -v[26:27]
	v_add_f64 v[22:23], v[24:25], -v[22:23]
	v_add_f64 v[12:13], v[12:13], v[28:29]
	v_add_f64 v[20:21], v[20:21], -v[22:23]
	s_mov_b32 s20, 0
	v_add_f64 v[12:13], v[12:13], v[20:21]
	s_mov_b32 s21, 0x7ff00000
	v_add_f64 v[12:13], v[24:25], v[12:13]
	v_cmp_eq_f64_e32 vcc, s[20:21], v[18:19]
	v_cndmask_b32_e32 v12, v12, v18, vcc
	v_cndmask_b32_e32 v13, v13, v19, vcc
	v_mov_b32_e32 v20, 0x7ff80000
	v_cmp_ngt_f64_e32 vcc, -1.0, v[18:19]
	v_cndmask_b32_e32 v13, v20, v13, vcc
	v_cmp_nge_f64_e32 vcc, -1.0, v[18:19]
	v_cndmask_b32_e32 v12, 0, v12, vcc
	v_mov_b32_e32 v20, 0xfff00000
	v_cmp_neq_f64_e32 vcc, -1.0, v[18:19]
	v_cndmask_b32_e32 v13, v20, v13, vcc
.LBB55_23:
	s_andn2_saveexec_b64 s[18:19], s[18:19]
	s_cbranch_execz .LBB55_25
; %bb.24:
	v_add_f64 v[12:13], -|v[0:1]|, 1.0
	s_mov_b32 s20, 0
	v_mul_f64 v[12:13], v[12:13], v[8:9]
	s_brev_b32 s21, 8
	v_cmp_gt_f64_e32 vcc, s[20:21], v[12:13]
	v_cndmask_b32_e64 v18, 0, 1, vcc
	v_lshlrev_b32_e32 v18, 8, v18
	v_ldexp_f64 v[12:13], v[12:13], v18
	v_rsq_f64_e32 v[18:19], v[12:13]
	v_mul_f64 v[20:21], v[12:13], v[18:19]
	v_mul_f64 v[18:19], v[18:19], 0.5
	v_fma_f64 v[22:23], -v[18:19], v[20:21], 0.5
	v_fmac_f64_e32 v[20:21], v[20:21], v[22:23]
	v_fma_f64 v[24:25], -v[20:21], v[20:21], v[12:13]
	v_fmac_f64_e32 v[18:19], v[18:19], v[22:23]
	v_fmac_f64_e32 v[20:21], v[24:25], v[18:19]
	v_fma_f64 v[22:23], -v[20:21], v[20:21], v[12:13]
	v_fmac_f64_e32 v[20:21], v[22:23], v[18:19]
	v_mov_b32_e32 v18, 0xffffff80
	v_cndmask_b32_e32 v18, 0, v18, vcc
	v_ldexp_f64 v[18:19], v[20:21], v18
	v_mov_b32_e32 v20, 0x260
	v_cmp_class_f64_e32 vcc, v[12:13], v20
	v_cndmask_b32_e32 v13, v19, v13, vcc
	v_cndmask_b32_e32 v12, v18, v12, vcc
	v_and_b32_e32 v19, 0x7fffffff, v3
	v_mov_b32_e32 v18, v2
	v_div_scale_f64 v[20:21], s[20:21], v[12:13], v[12:13], v[18:19]
	v_rcp_f64_e32 v[22:23], v[20:21]
	v_div_scale_f64 v[18:19], vcc, v[18:19], v[12:13], v[18:19]
	v_fma_f64 v[24:25], -v[20:21], v[22:23], 1.0
	v_fmac_f64_e32 v[22:23], v[22:23], v[24:25]
	v_fma_f64 v[24:25], -v[20:21], v[22:23], 1.0
	v_fmac_f64_e32 v[22:23], v[22:23], v[24:25]
	v_mul_f64 v[24:25], v[18:19], v[22:23]
	v_fma_f64 v[18:19], -v[20:21], v[24:25], v[18:19]
	v_div_fmas_f64 v[18:19], v[18:19], v[22:23], v[24:25]
	v_div_fixup_f64 v[12:13], v[18:19], v[12:13], |v[2:3]|
.LBB55_25:
	s_or_b64 exec, exec, s[18:19]
.LBB55_26:
	s_or_b64 exec, exec, s[16:17]
.LBB55_27:
	s_andn2_saveexec_b64 s[6:7], s[6:7]
	s_cbranch_execz .LBB55_29
; %bb.28:
	s_mov_b32 s16, 0
	s_brev_b32 s17, 8
	v_cmp_lt_f64_e64 vcc, |v[2:3]|, s[16:17]
	v_cndmask_b32_e64 v12, 0, 1, vcc
	v_lshlrev_b32_e32 v12, 8, v12
	v_ldexp_f64 v[12:13], |v[2:3]|, v12
	v_rsq_f64_e32 v[18:19], v[12:13]
	v_mul_f64 v[20:21], v[12:13], v[18:19]
	v_mul_f64 v[18:19], v[18:19], 0.5
	v_fma_f64 v[22:23], -v[18:19], v[20:21], 0.5
	v_fmac_f64_e32 v[20:21], v[20:21], v[22:23]
	v_fma_f64 v[24:25], -v[20:21], v[20:21], v[12:13]
	v_fmac_f64_e32 v[18:19], v[18:19], v[22:23]
	v_fmac_f64_e32 v[20:21], v[24:25], v[18:19]
	v_fma_f64 v[22:23], -v[20:21], v[20:21], v[12:13]
	v_fmac_f64_e32 v[20:21], v[22:23], v[18:19]
	v_mov_b32_e32 v18, 0xffffff80
	v_cndmask_b32_e32 v18, 0, v18, vcc
	v_ldexp_f64 v[18:19], v[20:21], v18
	v_mov_b32_e32 v20, 0x260
	v_cmp_class_f64_e32 vcc, v[12:13], v20
	v_cndmask_b32_e32 v13, v19, v13, vcc
	v_cndmask_b32_e32 v12, v18, v12, vcc
.LBB55_29:
	s_or_b64 exec, exec, s[6:7]
.LBB55_30:
	s_or_b64 exec, exec, s[4:5]
	s_mov_b32 s4, 0
	s_mov_b32 s5, 0x20200000
	v_cmp_nlt_f64_e64 s[6:7], |v[0:1]|, s[4:5]
                                        ; implicit-def: $sgpr4_sgpr5
                                        ; implicit-def: $vgpr18_vgpr19
                                        ; implicit-def: $vgpr22_vgpr23
                                        ; implicit-def: $vgpr20_vgpr21
	s_and_saveexec_b64 s[16:17], s[6:7]
	s_xor_b64 s[6:7], exec, s[16:17]
	s_cbranch_execz .LBB55_54
; %bb.31:
	v_and_b32_e32 v21, 0x7fffffff, v1
	v_mov_b32_e32 v20, v0
	v_div_scale_f64 v[18:19], s[4:5], v[6:7], v[6:7], v[20:21]
	v_rcp_f64_e32 v[22:23], v[18:19]
	s_mov_b32 s4, 0x703afb7f
	s_mov_b32 s5, 0x3fe488ce
	v_fma_f64 v[24:25], -v[18:19], v[22:23], 1.0
	v_fmac_f64_e32 v[22:23], v[22:23], v[24:25]
	v_fma_f64 v[24:25], -v[18:19], v[22:23], 1.0
	v_fmac_f64_e32 v[22:23], v[22:23], v[24:25]
	v_div_scale_f64 v[24:25], vcc, v[20:21], v[6:7], v[20:21]
	v_mul_f64 v[26:27], v[24:25], v[22:23]
	v_fma_f64 v[18:19], -v[18:19], v[26:27], v[24:25]
	s_nop 1
	v_div_fmas_f64 v[18:19], v[18:19], v[22:23], v[26:27]
	v_div_fixup_f64 v[18:19], v[18:19], v[6:7], |v[0:1]|
	v_cmp_lt_f64_e32 vcc, s[4:5], v[18:19]
	s_mov_b64 s[4:5], 0
                                        ; implicit-def: $vgpr22_vgpr23
	s_and_saveexec_b64 s[16:17], vcc
	s_cbranch_execz .LBB55_53
; %bb.32:
	s_mov_b32 s18, 0
	s_mov_b32 s19, 0x3c400000
	v_cmp_neq_f64_e64 s[4:5], |v[0:1]|, 1.0
	v_cmp_nlt_f64_e64 s[18:19], |v[2:3]|, s[18:19]
	s_or_b64 s[4:5], s[4:5], s[18:19]
                                        ; implicit-def: $sgpr18_sgpr19
                                        ; implicit-def: $vgpr22_vgpr23
	s_and_saveexec_b64 s[20:21], s[4:5]
	s_xor_b64 s[4:5], exec, s[20:21]
	s_cbranch_execz .LBB55_50
; %bb.33:
	s_movk_i32 s18, 0xffcc
	v_ldexp_f64 v[22:23], |v[4:5]|, s18
	v_cmp_le_f64_e64 s[20:21], v[22:23], |v[2:3]|
                                        ; implicit-def: $vgpr22_vgpr23
                                        ; implicit-def: $sgpr18_sgpr19
	s_and_saveexec_b64 s[22:23], s[20:21]
	s_xor_b64 s[20:21], exec, s[22:23]
	s_cbranch_execz .LBB55_43
; %bb.34:
	v_cmp_neq_f64_e32 vcc, 0, v[8:9]
	v_pk_mov_b32 v[22:23], v[10:11], v[10:11] op_sel:[0,1]
	s_and_saveexec_b64 s[18:19], vcc
	s_cbranch_execz .LBB55_36
; %bb.35:
	v_mul_f64 v[22:23], v[2:3], v[2:3]
	v_add_f64 v[8:9], v[8:9], v[16:17]
	v_div_scale_f64 v[16:17], s[22:23], v[8:9], v[8:9], v[22:23]
	v_rcp_f64_e32 v[24:25], v[16:17]
	v_fma_f64 v[26:27], -v[16:17], v[24:25], 1.0
	v_fmac_f64_e32 v[24:25], v[24:25], v[26:27]
	v_fma_f64 v[26:27], -v[16:17], v[24:25], 1.0
	v_fmac_f64_e32 v[24:25], v[24:25], v[26:27]
	v_div_scale_f64 v[26:27], vcc, v[22:23], v[8:9], v[22:23]
	v_mul_f64 v[28:29], v[26:27], v[24:25]
	v_fma_f64 v[16:17], -v[16:17], v[28:29], v[26:27]
	s_nop 1
	v_div_fmas_f64 v[16:17], v[16:17], v[24:25], v[28:29]
	v_div_fixup_f64 v[22:23], v[16:17], v[8:9], v[22:23]
.LBB55_36:
	s_or_b64 exec, exec, s[18:19]
	v_cmp_ngt_f64_e32 vcc, 0, v[4:5]
	s_and_saveexec_b64 s[18:19], vcc
	s_xor_b64 s[18:19], exec, s[18:19]
	s_cbranch_execz .LBB55_40
; %bb.37:
	v_cmp_neq_f64_e32 vcc, 0, v[4:5]
	s_and_saveexec_b64 s[22:23], vcc
	s_cbranch_execz .LBB55_39
; %bb.38:
	v_mul_f64 v[8:9], v[2:3], v[2:3]
	v_add_f64 v[4:5], v[4:5], v[14:15]
	v_div_scale_f64 v[10:11], s[24:25], v[4:5], v[4:5], v[8:9]
	v_rcp_f64_e32 v[14:15], v[10:11]
	v_fma_f64 v[16:17], -v[10:11], v[14:15], 1.0
	v_fmac_f64_e32 v[14:15], v[14:15], v[16:17]
	v_fma_f64 v[16:17], -v[10:11], v[14:15], 1.0
	v_fmac_f64_e32 v[14:15], v[14:15], v[16:17]
	v_div_scale_f64 v[16:17], vcc, v[8:9], v[4:5], v[8:9]
	v_mul_f64 v[24:25], v[16:17], v[14:15]
	v_fma_f64 v[10:11], -v[10:11], v[24:25], v[16:17]
	s_nop 1
	v_div_fmas_f64 v[10:11], v[10:11], v[14:15], v[24:25]
	v_div_fixup_f64 v[10:11], v[10:11], v[4:5], v[8:9]
.LBB55_39:
	s_or_b64 exec, exec, s[22:23]
                                        ; implicit-def: $vgpr14_vgpr15
                                        ; implicit-def: $vgpr4_vgpr5
.LBB55_40:
	s_andn2_saveexec_b64 s[18:19], s[18:19]
; %bb.41:
	v_add_f64 v[10:11], v[14:15], -v[4:5]
; %bb.42:
	s_or_b64 exec, exec, s[18:19]
	v_mul_f64 v[4:5], v[10:11], 0.5
	v_fmac_f64_e32 v[4:5], 0.5, v[22:23]
	v_add_f64 v[6:7], |v[0:1]|, v[6:7]
	s_mov_b32 s18, 0
	v_mul_f64 v[4:5], v[6:7], v[4:5]
	s_brev_b32 s19, 8
	v_cmp_gt_f64_e32 vcc, s[18:19], v[4:5]
	v_cndmask_b32_e64 v6, 0, 1, vcc
	v_lshlrev_b32_e32 v6, 8, v6
	v_ldexp_f64 v[4:5], v[4:5], v6
	v_rsq_f64_e32 v[6:7], v[4:5]
	s_mov_b64 s[18:19], -1
	v_mul_f64 v[8:9], v[4:5], v[6:7]
	v_mul_f64 v[6:7], v[6:7], 0.5
	v_fma_f64 v[10:11], -v[6:7], v[8:9], 0.5
	v_fmac_f64_e32 v[8:9], v[8:9], v[10:11]
	v_fma_f64 v[14:15], -v[8:9], v[8:9], v[4:5]
	v_fmac_f64_e32 v[6:7], v[6:7], v[10:11]
	v_fmac_f64_e32 v[8:9], v[14:15], v[6:7]
	v_fma_f64 v[10:11], -v[8:9], v[8:9], v[4:5]
	v_fmac_f64_e32 v[8:9], v[10:11], v[6:7]
	v_mov_b32_e32 v6, 0xffffff80
	v_cndmask_b32_e32 v6, 0, v6, vcc
	v_ldexp_f64 v[6:7], v[8:9], v6
	v_mov_b32_e32 v8, 0x260
	v_cmp_class_f64_e32 vcc, v[4:5], v8
	v_cndmask_b32_e32 v23, v7, v5, vcc
	v_cndmask_b32_e32 v22, v6, v4, vcc
                                        ; implicit-def: $vgpr8_vgpr9
                                        ; implicit-def: $vgpr4_vgpr5
.LBB55_43:
	s_andn2_saveexec_b64 s[20:21], s[20:21]
	s_cbranch_execz .LBB55_49
; %bb.44:
	v_cmp_ngt_f64_e64 s[24:25], |v[0:1]|, 1.0
                                        ; implicit-def: $vgpr22_vgpr23
                                        ; implicit-def: $sgpr22_sgpr23
	s_and_saveexec_b64 s[26:27], s[24:25]
	s_xor_b64 s[24:25], exec, s[26:27]
	s_cbranch_execz .LBB55_46
; %bb.45:
	v_add_f64 v[4:5], -|v[0:1]|, 1.0
	s_mov_b32 s22, 0
	v_mul_f64 v[4:5], v[4:5], v[8:9]
	s_brev_b32 s23, 8
	v_cmp_gt_f64_e32 vcc, s[22:23], v[4:5]
	v_cndmask_b32_e64 v6, 0, 1, vcc
	v_lshlrev_b32_e32 v6, 8, v6
	v_ldexp_f64 v[4:5], v[4:5], v6
	v_rsq_f64_e32 v[6:7], v[4:5]
	s_mov_b64 s[22:23], -1
	v_mul_f64 v[8:9], v[4:5], v[6:7]
	v_mul_f64 v[6:7], v[6:7], 0.5
	v_fma_f64 v[10:11], -v[6:7], v[8:9], 0.5
	v_fmac_f64_e32 v[8:9], v[8:9], v[10:11]
	v_fma_f64 v[14:15], -v[8:9], v[8:9], v[4:5]
	v_fmac_f64_e32 v[6:7], v[6:7], v[10:11]
	v_fmac_f64_e32 v[8:9], v[14:15], v[6:7]
	v_fma_f64 v[10:11], -v[8:9], v[8:9], v[4:5]
	v_fmac_f64_e32 v[8:9], v[10:11], v[6:7]
	v_mov_b32_e32 v6, 0xffffff80
	v_cndmask_b32_e32 v6, 0, v6, vcc
	v_ldexp_f64 v[6:7], v[8:9], v6
	v_mov_b32_e32 v8, 0x260
	v_cmp_class_f64_e32 vcc, v[4:5], v8
	v_cndmask_b32_e32 v23, v7, v5, vcc
	v_cndmask_b32_e32 v22, v6, v4, vcc
                                        ; implicit-def: $vgpr8_vgpr9
                                        ; implicit-def: $vgpr4_vgpr5
.LBB55_46:
	s_andn2_saveexec_b64 s[24:25], s[24:25]
	s_cbranch_execz .LBB55_48
; %bb.47:
	s_mov_b32 s26, 0
	v_mul_f64 v[4:5], v[8:9], v[4:5]
	s_brev_b32 s27, 8
	v_cmp_gt_f64_e32 vcc, s[26:27], v[4:5]
	v_cndmask_b32_e64 v6, 0, 1, vcc
	v_lshlrev_b32_e32 v6, 8, v6
	v_ldexp_f64 v[4:5], v[4:5], v6
	v_rsq_f64_e32 v[6:7], v[4:5]
	s_movk_i32 s28, 0x6a
	v_ldexp_f64 v[8:9], |v[2:3]|, s28
	v_mul_f64 v[8:9], |v[0:1]|, v[8:9]
	v_mul_f64 v[10:11], v[4:5], v[6:7]
	v_mul_f64 v[6:7], v[6:7], 0.5
	v_fma_f64 v[14:15], -v[6:7], v[10:11], 0.5
	v_fmac_f64_e32 v[10:11], v[10:11], v[14:15]
	v_fma_f64 v[16:17], -v[10:11], v[10:11], v[4:5]
	v_fmac_f64_e32 v[6:7], v[6:7], v[14:15]
	v_fmac_f64_e32 v[10:11], v[16:17], v[6:7]
	v_fma_f64 v[14:15], -v[10:11], v[10:11], v[4:5]
	v_fmac_f64_e32 v[10:11], v[14:15], v[6:7]
	v_mov_b32_e32 v6, 0xffffff80
	v_cndmask_b32_e32 v6, 0, v6, vcc
	v_ldexp_f64 v[6:7], v[10:11], v6
	v_mov_b32_e32 v10, 0x260
	v_cmp_class_f64_e32 vcc, v[4:5], v10
	v_cndmask_b32_e32 v5, v7, v5, vcc
	v_cndmask_b32_e32 v4, v6, v4, vcc
	v_div_scale_f64 v[6:7], s[26:27], v[4:5], v[4:5], v[8:9]
	v_rcp_f64_e32 v[10:11], v[6:7]
	v_ldexp_f64 v[20:21], |v[0:1]|, s28
	s_or_b64 s[22:23], s[22:23], exec
	v_fma_f64 v[14:15], -v[6:7], v[10:11], 1.0
	v_fmac_f64_e32 v[10:11], v[10:11], v[14:15]
	v_fma_f64 v[14:15], -v[6:7], v[10:11], 1.0
	v_fmac_f64_e32 v[10:11], v[10:11], v[14:15]
	v_div_scale_f64 v[14:15], vcc, v[8:9], v[4:5], v[8:9]
	v_mul_f64 v[16:17], v[14:15], v[10:11]
	v_fma_f64 v[6:7], -v[6:7], v[16:17], v[14:15]
	s_nop 1
	v_div_fmas_f64 v[6:7], v[6:7], v[10:11], v[16:17]
	v_div_fixup_f64 v[22:23], v[6:7], v[4:5], v[8:9]
.LBB55_48:
	s_or_b64 exec, exec, s[24:25]
	s_andn2_b64 s[18:19], s[18:19], exec
	s_and_b64 s[22:23], s[22:23], exec
	s_or_b64 s[18:19], s[18:19], s[22:23]
.LBB55_49:
	s_or_b64 exec, exec, s[20:21]
	s_and_b64 s[18:19], s[18:19], exec
                                        ; implicit-def: $vgpr6_vgpr7
.LBB55_50:
	s_andn2_saveexec_b64 s[20:21], s[4:5]
	s_cbranch_execz .LBB55_52
; %bb.51:
	s_mov_b32 s4, 0
	s_brev_b32 s5, 8
	v_cmp_lt_f64_e64 vcc, |v[2:3]|, s[4:5]
	v_cndmask_b32_e64 v4, 0, 1, vcc
	v_lshlrev_b32_e32 v4, 8, v4
	v_ldexp_f64 v[4:5], |v[2:3]|, v4
	v_rsq_f64_e32 v[8:9], v[4:5]
	v_add_f64 v[6:7], v[6:7], 1.0
	v_mov_b32_e32 v2, 0xffffff80
	v_mul_f64 v[6:7], v[6:7], 0.5
	v_mul_f64 v[10:11], v[4:5], v[8:9]
	v_mul_f64 v[8:9], v[8:9], 0.5
	v_fma_f64 v[14:15], -v[8:9], v[10:11], 0.5
	v_fmac_f64_e32 v[10:11], v[10:11], v[14:15]
	v_fma_f64 v[16:17], -v[10:11], v[10:11], v[4:5]
	v_fmac_f64_e32 v[8:9], v[8:9], v[14:15]
	v_fmac_f64_e32 v[10:11], v[16:17], v[8:9]
	v_fma_f64 v[14:15], -v[10:11], v[10:11], v[4:5]
	v_fmac_f64_e32 v[10:11], v[14:15], v[8:9]
	v_cndmask_b32_e32 v8, 0, v2, vcc
	v_cmp_gt_f64_e32 vcc, s[4:5], v[6:7]
	v_ldexp_f64 v[8:9], v[10:11], v8
	v_cndmask_b32_e64 v10, 0, 1, vcc
	v_lshlrev_b32_e32 v10, 8, v10
	v_ldexp_f64 v[6:7], v[6:7], v10
	v_rsq_f64_e32 v[10:11], v[6:7]
	v_mov_b32_e32 v20, 0x260
	v_cmp_class_f64_e64 s[4:5], v[4:5], v20
	v_cndmask_b32_e64 v5, v9, v5, s[4:5]
	v_cndmask_b32_e64 v4, v8, v4, s[4:5]
	v_mul_f64 v[8:9], v[6:7], v[10:11]
	v_mul_f64 v[10:11], v[10:11], 0.5
	v_fma_f64 v[14:15], -v[10:11], v[8:9], 0.5
	v_fmac_f64_e32 v[8:9], v[8:9], v[14:15]
	v_fma_f64 v[16:17], -v[8:9], v[8:9], v[6:7]
	v_fmac_f64_e32 v[10:11], v[10:11], v[14:15]
	v_fmac_f64_e32 v[8:9], v[16:17], v[10:11]
	v_fma_f64 v[14:15], -v[8:9], v[8:9], v[6:7]
	v_fmac_f64_e32 v[8:9], v[14:15], v[10:11]
	v_cndmask_b32_e32 v2, 0, v2, vcc
	v_ldexp_f64 v[8:9], v[8:9], v2
	v_cmp_class_f64_e32 vcc, v[6:7], v20
	v_cndmask_b32_e32 v7, v9, v7, vcc
	v_cndmask_b32_e32 v6, v8, v6, vcc
	v_mov_b32_e32 v20, 0
	v_mul_f64 v[22:23], v[4:5], v[6:7]
	v_mov_b32_e32 v21, 0x3ff00000
	s_or_b64 s[18:19], s[18:19], exec
.LBB55_52:
	s_or_b64 exec, exec, s[20:21]
	s_and_b64 s[4:5], s[18:19], exec
.LBB55_53:
	s_or_b64 exec, exec, s[16:17]
	s_and_b64 s[4:5], s[4:5], exec
                                        ; implicit-def: $vgpr6_vgpr7
.LBB55_54:
	s_andn2_saveexec_b64 s[6:7], s[6:7]
; %bb.55:
	v_ldexp_f64 v[22:23], v[6:7], 53
	v_ldexp_f64 v[20:21], |v[0:1]|, 53
	s_or_b64 s[4:5], s[4:5], exec
                                        ; implicit-def: $vgpr18_vgpr19
; %bb.56:
	s_or_b64 exec, exec, s[6:7]
	s_xor_b64 s[4:5], s[4:5], -1
                                        ; implicit-def: $vgpr6_vgpr7
	s_and_saveexec_b64 s[6:7], s[4:5]
	s_xor_b64 s[4:5], exec, s[6:7]
	s_cbranch_execz .LBB55_60
; %bb.57:
	v_fma_f64 v[4:5], |v[18:19]|, -0.5, 0.5
	v_mul_f64 v[6:7], v[18:19], v[18:19]
	v_cmp_ge_f64_e64 vcc, |v[18:19]|, 0.5
	s_mov_b32 s6, 0x9fea6a70
	v_cndmask_b32_e32 v7, v7, v5, vcc
	v_cndmask_b32_e32 v6, v6, v4, vcc
	v_mov_b32_e32 v8, 0x78a05eaf
	v_mov_b32_e32 v9, 0xbf90a5a3
	s_mov_b32 s7, 0x3fa05985
	v_fmac_f64_e32 v[8:9], s[6:7], v[6:7]
	v_mov_b32_e32 v10, 0x37024d6a
	v_mov_b32_e32 v11, 0x3f940521
	v_fmac_f64_e32 v[10:11], v[6:7], v[8:9]
	v_mov_b32_e32 v8, 0x98a70509
	v_mov_b32_e32 v9, 0x3f7ab3a0
	;; [unrolled: 3-line block ×10, first 2 shown]
	v_fmac_f64_e32 v[8:9], v[6:7], v[10:11]
	v_mul_f64 v[8:9], v[6:7], v[8:9]
	v_fma_f64 v[6:7], |v[18:19]|, v[8:9], |v[18:19]|
	s_and_saveexec_b64 s[6:7], vcc
	s_cbranch_execz .LBB55_59
; %bb.58:
	v_rsq_f64_e32 v[6:7], v[4:5]
	v_cmp_eq_f64_e32 vcc, 0, v[4:5]
	s_mov_b32 s16, 0x54442d18
	s_mov_b32 s17, 0x3fe921fb
	v_mul_f64 v[10:11], v[4:5], v[6:7]
	v_mul_f64 v[6:7], v[6:7], 0.5
	v_fma_f64 v[14:15], -v[6:7], v[10:11], 0.5
	v_fmac_f64_e32 v[10:11], v[10:11], v[14:15]
	v_fmac_f64_e32 v[6:7], v[6:7], v[14:15]
	v_fma_f64 v[14:15], -v[10:11], v[10:11], v[4:5]
	v_fmac_f64_e32 v[10:11], v[14:15], v[6:7]
	v_cndmask_b32_e32 v7, v11, v5, vcc
	v_cndmask_b32_e32 v6, v10, v4, vcc
	v_add_f64 v[20:21], v[6:7], v[6:7]
	v_rcp_f64_e32 v[22:23], v[20:21]
	v_mul_f64 v[10:11], v[6:7], v[6:7]
	v_add_f64 v[16:17], v[4:5], -v[10:11]
	v_add_f64 v[4:5], v[4:5], -v[16:17]
	v_fma_f64 v[14:15], v[6:7], v[6:7], -v[10:11]
	v_add_f64 v[4:5], v[4:5], -v[10:11]
	v_fma_f64 v[10:11], -v[20:21], v[22:23], 1.0
	v_fmac_f64_e32 v[22:23], v[10:11], v[22:23]
	v_add_f64 v[4:5], v[4:5], -v[14:15]
	v_fma_f64 v[10:11], -v[20:21], v[22:23], 1.0
	v_add_f64 v[4:5], v[16:17], v[4:5]
	v_fmac_f64_e32 v[22:23], v[10:11], v[22:23]
	v_mul_f64 v[10:11], v[4:5], v[22:23]
	v_fma_f64 v[4:5], -v[20:21], v[10:11], v[4:5]
	v_fmac_f64_e32 v[10:11], v[4:5], v[22:23]
	v_cndmask_b32_e64 v5, v11, 0, vcc
	v_cndmask_b32_e64 v4, v10, 0, vcc
	v_add_f64 v[10:11], v[6:7], v[4:5]
	v_add_f64 v[6:7], v[10:11], -v[6:7]
	v_add_f64 v[4:5], v[4:5], -v[6:7]
	v_mul_f64 v[6:7], v[8:9], v[10:11]
	v_fma_f64 v[14:15], v[10:11], v[8:9], -v[6:7]
	v_fmac_f64_e32 v[14:15], v[4:5], v[8:9]
	v_add_f64 v[8:9], v[6:7], v[14:15]
	v_add_f64 v[6:7], v[8:9], -v[6:7]
	v_add_f64 v[6:7], v[14:15], -v[6:7]
	v_add_f64 v[14:15], v[10:11], v[8:9]
	v_add_f64 v[10:11], v[14:15], -v[10:11]
	v_add_f64 v[8:9], v[8:9], -v[10:11]
	v_add_f64 v[4:5], v[4:5], v[6:7]
	v_add_f64 v[4:5], v[4:5], v[8:9]
	;; [unrolled: 1-line block ×3, first 2 shown]
	v_add_f64 v[10:11], -v[6:7], s[16:17]
	v_add_f64 v[8:9], v[6:7], -v[14:15]
	v_add_f64 v[14:15], -v[10:11], s[16:17]
	s_mov_b32 s16, 0x33145c07
	v_add_f64 v[6:7], v[14:15], -v[6:7]
	s_mov_b32 s17, 0x3c81a626
	v_add_f64 v[6:7], v[6:7], s[16:17]
	v_add_f64 v[4:5], v[8:9], -v[4:5]
	v_add_f64 v[4:5], v[4:5], v[6:7]
	v_add_f64 v[4:5], v[10:11], v[4:5]
	v_add_f64 v[4:5], v[4:5], v[4:5]
	v_mov_b32_e32 v0, 0x3ff921fb
	v_cmp_neq_f64_e64 vcc, |v[18:19]|, 1.0
	v_cndmask_b32_e32 v7, v0, v5, vcc
	v_mov_b32_e32 v0, 0x54442d18
	v_cndmask_b32_e32 v6, v0, v4, vcc
.LBB55_59:
	s_or_b64 exec, exec, s[6:7]
	s_brev_b32 s6, -2
	v_bfi_b32 v7, s6, v7, v19
                                        ; implicit-def: $vgpr20_vgpr21
                                        ; implicit-def: $vgpr22_vgpr23
.LBB55_60:
	s_andn2_saveexec_b64 s[16:17], s[4:5]
	s_cbranch_execz .LBB55_62
; %bb.61:
	v_max_f64 v[4:5], v[20:21], v[20:21]
	v_max_f64 v[6:7], |v[22:23]|, |v[22:23]|
	v_max_f64 v[8:9], v[6:7], v[4:5]
	v_min_f64 v[4:5], v[6:7], v[4:5]
	v_div_scale_f64 v[6:7], s[4:5], v[8:9], v[8:9], v[4:5]
	v_rcp_f64_e32 v[10:11], v[6:7]
	s_mov_b32 s4, 0xb5e68a13
	s_mov_b32 s5, 0x3eeba404
	v_mov_b32_e32 v0, 0x54442d18
	v_fma_f64 v[14:15], -v[6:7], v[10:11], 1.0
	v_fmac_f64_e32 v[10:11], v[10:11], v[14:15]
	v_fma_f64 v[14:15], -v[6:7], v[10:11], 1.0
	v_fmac_f64_e32 v[10:11], v[10:11], v[14:15]
	v_div_scale_f64 v[14:15], vcc, v[4:5], v[8:9], v[4:5]
	v_mul_f64 v[16:17], v[14:15], v[10:11]
	v_fma_f64 v[6:7], -v[6:7], v[16:17], v[14:15]
	v_mov_b32_e32 v2, 0x7f3321d2
	s_nop 0
	v_div_fmas_f64 v[6:7], v[6:7], v[10:11], v[16:17]
	v_div_fixup_f64 v[4:5], v[6:7], v[8:9], v[4:5]
	v_mul_f64 v[6:7], v[4:5], v[4:5]
	v_mov_b32_e32 v8, 0xbd3237f4
	v_mov_b32_e32 v9, 0xbf23e260
	v_fmac_f64_e32 v[8:9], s[4:5], v[6:7]
	v_mov_b32_e32 v10, 0x69efb384
	v_mov_b32_e32 v11, 0x3f4b2bb0
	v_fmac_f64_e32 v[10:11], v[6:7], v[8:9]
	;; [unrolled: 3-line block ×17, first 2 shown]
	v_mov_b32_e32 v10, 0x999952cc
	v_mov_b32_e32 v11, 0x3fc99999
	s_mov_b32 s4, 0
	v_fmac_f64_e32 v[10:11], v[6:7], v[8:9]
	v_mov_b32_e32 v8, 0x55555523
	v_mov_b32_e32 v9, 0xbfd55555
	s_mov_b32 s5, 0x7ff00000
	v_fmac_f64_e32 v[8:9], v[6:7], v[10:11]
	v_cmp_eq_f64_e32 vcc, s[4:5], v[20:21]
	s_movk_i32 s4, 0x204
	v_mul_f64 v[6:7], v[6:7], v[8:9]
	v_cmp_class_f64_e64 s[18:19], v[22:23], s4
	v_cmp_gt_i32_e64 s[4:5], 0, v23
	v_fmac_f64_e32 v[4:5], v[4:5], v[6:7]
	v_cndmask_b32_e64 v0, v0, v2, s[4:5]
	v_mov_b32_e32 v2, 0x3fe921fb
	v_mov_b32_e32 v6, 0x4002d97c
	s_mov_b32 s20, 0x54442d18
	v_cndmask_b32_e64 v2, v2, v6, s[4:5]
	v_ashrrev_i32_e32 v6, 31, v23
	s_mov_b32 s21, 0x3ff921fb
	s_mov_b32 s22, 0x400921fb
	v_and_b32_e32 v8, 0x400921fb, v6
	v_and_b32_e32 v9, 0x54442d18, v6
	v_add_f64 v[6:7], -v[4:5], s[20:21]
	v_cmp_lt_f64_e64 s[6:7], |v[22:23]|, v[20:21]
	v_cndmask_b32_e64 v5, v5, v7, s[6:7]
	v_cndmask_b32_e64 v4, v4, v6, s[6:7]
	s_mov_b32 s21, s22
	v_add_f64 v[6:7], -v[4:5], s[20:21]
	v_cndmask_b32_e64 v5, v5, v7, s[4:5]
	v_cndmask_b32_e64 v4, v4, v6, s[4:5]
	v_cmp_eq_f64_e64 s[4:5], 0, v[20:21]
	v_cndmask_b32_e64 v5, v5, v8, s[4:5]
	s_and_b64 vcc, vcc, s[18:19]
	v_cndmask_b32_e64 v4, v4, v9, s[4:5]
	v_cndmask_b32_e32 v2, v5, v2, vcc
	v_cndmask_b32_e32 v0, v4, v0, vcc
	v_and_b32_e32 v2, 0x7fffffff, v2
	v_mov_b32_e32 v4, 0x7ff80000
	v_cmp_o_f64_e32 vcc, v[22:23], v[20:21]
	v_cndmask_b32_e32 v7, v4, v2, vcc
	v_cndmask_b32_e32 v6, 0, v0, vcc
.LBB55_62:
	s_or_b64 exec, exec, s[16:17]
	s_brev_b32 s4, -2
	v_bfi_b32 v13, s4, v13, v3
	v_bfi_b32 v7, s4, v7, v1
	v_pk_mov_b32 v[0:1], v[6:7], v[6:7] op_sel:[0,1]
	v_pk_mov_b32 v[2:3], v[12:13], v[12:13] op_sel:[0,1]
.LBB55_63:
	s_or_b64 exec, exec, s[14:15]
.LBB55_64:
	s_or_b64 exec, exec, s[10:11]
                                        ; implicit-def: $vgpr4_vgpr5
                                        ; implicit-def: $vgpr12_vgpr13
                                        ; implicit-def: $vgpr8_vgpr9
.LBB55_65:
	s_andn2_saveexec_b64 s[14:15], s[8:9]
	s_cbranch_execz .LBB55_87
; %bb.66:
	v_cmp_lt_i64_e32 vcc, -1, v[2:3]
                                        ; implicit-def: $vgpr10_vgpr11
                                        ; implicit-def: $vgpr6_vgpr7
	s_and_saveexec_b64 s[4:5], vcc
	s_xor_b64 s[10:11], exec, s[4:5]
	s_cbranch_execz .LBB55_76
; %bb.67:
	v_and_b32_e32 v16, 0x7fffffff, v3
	v_and_b32_e32 v17, 0x7fffffff, v1
	v_cmp_lt_f64_e64 s[4:5], |v[2:3]|, |v[0:1]|
	s_mov_b32 s6, -1
	v_cndmask_b32_e64 v15, v16, v17, s[4:5]
	v_cndmask_b32_e64 v14, v2, v0, s[4:5]
	s_mov_b32 s7, 0x7fdfffff
	v_cmp_nlt_f64_e32 vcc, s[6:7], v[14:15]
                                        ; implicit-def: $vgpr6_vgpr7
                                        ; implicit-def: $vgpr10_vgpr11
	s_and_saveexec_b64 s[6:7], vcc
	s_xor_b64 s[16:17], exec, s[6:7]
	s_cbranch_execz .LBB55_73
; %bb.68:
	s_mov_b32 s6, 0
	s_mov_b32 s7, 0x20200000
	v_cmp_nlt_f64_e32 vcc, s[6:7], v[14:15]
	s_mov_b32 s6, 0
	v_cndmask_b32_e64 v17, v17, v16, s[4:5]
	v_cndmask_b32_e64 v16, v0, v2, s[4:5]
	s_brev_b32 s7, 4
	v_cmp_ngt_f64_e64 s[6:7], s[6:7], v[16:17]
	s_and_b64 s[6:7], vcc, s[6:7]
                                        ; implicit-def: $vgpr6_vgpr7
                                        ; implicit-def: $vgpr10_vgpr11
	s_and_saveexec_b64 s[8:9], s[6:7]
	s_xor_b64 s[6:7], exec, s[8:9]
	s_cbranch_execz .LBB55_70
; %bb.69:
	v_mul_f64 v[6:7], v[16:17], v[16:17]
	v_fmac_f64_e32 v[6:7], v[14:15], v[14:15]
	s_mov_b32 s8, 0x55555555
	v_frexp_mant_f64_e32 v[10:11], v[6:7]
	s_mov_b32 s9, 0x3fe55555
	v_mov_b32_e32 v14, 0x3ff00000
	v_cmp_gt_f64_e32 vcc, s[8:9], v[10:11]
	v_cndmask_b32_e64 v15, v14, 2.0, vcc
	v_mov_b32_e32 v14, 0
	v_mul_f64 v[10:11], v[10:11], v[14:15]
	v_frexp_exp_i32_f64_e32 v16, v[6:7]
	v_add_f64 v[14:15], v[10:11], 1.0
	v_subbrev_co_u32_e32 v26, vcc, 0, v16, vcc
	v_rcp_f64_e32 v[16:17], v[14:15]
	v_add_f64 v[20:21], v[14:15], -1.0
	v_add_f64 v[18:19], v[10:11], -1.0
	v_add_f64 v[10:11], v[10:11], -v[20:21]
	v_fma_f64 v[20:21], -v[14:15], v[16:17], 1.0
	v_fmac_f64_e32 v[16:17], v[20:21], v[16:17]
	v_fma_f64 v[20:21], -v[14:15], v[16:17], 1.0
	v_fmac_f64_e32 v[16:17], v[20:21], v[16:17]
	v_mul_f64 v[20:21], v[18:19], v[16:17]
	v_mul_f64 v[22:23], v[14:15], v[20:21]
	v_fma_f64 v[14:15], v[20:21], v[14:15], -v[22:23]
	v_fmac_f64_e32 v[14:15], v[20:21], v[10:11]
	v_add_f64 v[10:11], v[22:23], v[14:15]
	v_add_f64 v[24:25], v[18:19], -v[10:11]
	v_add_f64 v[22:23], v[10:11], -v[22:23]
	;; [unrolled: 1-line block ×5, first 2 shown]
	v_add_f64 v[10:11], v[14:15], v[10:11]
	v_add_f64 v[10:11], v[24:25], v[10:11]
	v_mul_f64 v[10:11], v[16:17], v[10:11]
	v_add_f64 v[14:15], v[20:21], v[10:11]
	v_add_f64 v[16:17], v[14:15], -v[20:21]
	s_mov_b32 s8, 0xbf559e2b
	v_add_f64 v[10:11], v[10:11], -v[16:17]
	v_mul_f64 v[16:17], v[14:15], v[14:15]
	v_mov_b32_e32 v18, 0x6b47b09a
	v_mov_b32_e32 v19, 0x3fc38538
	s_mov_b32 s9, 0x3fc3ab76
	v_fmac_f64_e32 v[18:19], s[8:9], v[16:17]
	v_mov_b32_e32 v20, 0xd7f4df2e
	v_mov_b32_e32 v21, 0x3fc7474d
	v_fmac_f64_e32 v[20:21], v[16:17], v[18:19]
	v_mov_b32_e32 v18, 0x16291751
	v_mov_b32_e32 v19, 0x3fcc71c0
	;; [unrolled: 3-line block ×5, first 2 shown]
	v_fmac_f64_e32 v[20:21], v[16:17], v[18:19]
	v_ldexp_f64 v[18:19], v[14:15], 1
	v_mul_f64 v[14:15], v[14:15], v[16:17]
	v_mul_f64 v[14:15], v[14:15], v[20:21]
	v_add_f64 v[16:17], v[18:19], v[14:15]
	v_add_f64 v[18:19], v[16:17], -v[18:19]
	v_ldexp_f64 v[10:11], v[10:11], 1
	v_add_f64 v[14:15], v[14:15], -v[18:19]
	v_add_f64 v[10:11], v[10:11], v[14:15]
	v_add_f64 v[14:15], v[16:17], v[10:11]
	v_add_f64 v[16:17], v[14:15], -v[16:17]
	s_mov_b32 s8, 0xfefa39ef
	v_add_f64 v[10:11], v[10:11], -v[16:17]
	v_cvt_f64_i32_e32 v[16:17], v26
	s_mov_b32 s9, 0x3fe62e42
	v_mul_f64 v[18:19], v[16:17], s[8:9]
	v_fma_f64 v[20:21], v[16:17], s[8:9], -v[18:19]
	s_mov_b32 s8, 0x3b39803f
	s_mov_b32 s9, 0x3c7abc9e
	v_fmac_f64_e32 v[20:21], s[8:9], v[16:17]
	v_add_f64 v[16:17], v[18:19], v[20:21]
	v_add_f64 v[18:19], v[16:17], -v[18:19]
	v_add_f64 v[18:19], v[20:21], -v[18:19]
	v_add_f64 v[20:21], v[16:17], v[14:15]
	v_add_f64 v[22:23], v[20:21], -v[16:17]
	v_add_f64 v[24:25], v[20:21], -v[22:23]
	;; [unrolled: 1-line block ×4, first 2 shown]
	v_add_f64 v[14:15], v[14:15], v[16:17]
	v_add_f64 v[16:17], v[18:19], v[10:11]
	v_add_f64 v[22:23], v[16:17], -v[18:19]
	v_add_f64 v[24:25], v[16:17], -v[22:23]
	v_add_f64 v[14:15], v[16:17], v[14:15]
	v_add_f64 v[18:19], v[18:19], -v[24:25]
	v_add_f64 v[10:11], v[10:11], -v[22:23]
	v_add_f64 v[16:17], v[20:21], v[14:15]
	v_add_f64 v[10:11], v[10:11], v[18:19]
	v_add_f64 v[18:19], v[16:17], -v[20:21]
	s_waitcnt lgkmcnt(0)
	v_min_f64 v[4:5], v[12:13], v[4:5]
	v_add_f64 v[14:15], v[14:15], -v[18:19]
	v_div_scale_f64 v[12:13], s[8:9], v[8:9], v[8:9], v[4:5]
	v_add_f64 v[10:11], v[10:11], v[14:15]
	s_movk_i32 s18, 0x204
	v_rcp_f64_e32 v[14:15], v[12:13]
	v_add_f64 v[10:11], v[16:17], v[10:11]
	v_cmp_class_f64_e64 vcc, v[6:7], s18
	v_cndmask_b32_e32 v11, v11, v7, vcc
	v_cndmask_b32_e32 v10, v10, v6, vcc
	v_mul_f64 v[10:11], v[10:11], 0.5
	v_mov_b32_e32 v16, 0xfff00000
	v_cmp_neq_f64_e32 vcc, 0, v[6:7]
	v_cndmask_b32_e32 v7, v16, v11, vcc
	v_cndmask_b32_e32 v6, 0, v10, vcc
	v_fma_f64 v[10:11], -v[12:13], v[14:15], 1.0
	v_fmac_f64_e32 v[14:15], v[14:15], v[10:11]
	v_fma_f64 v[10:11], -v[12:13], v[14:15], 1.0
	v_fmac_f64_e32 v[14:15], v[14:15], v[10:11]
	v_div_scale_f64 v[10:11], vcc, v[4:5], v[8:9], v[4:5]
	v_mul_f64 v[16:17], v[10:11], v[14:15]
	v_fma_f64 v[10:11], -v[12:13], v[16:17], v[10:11]
	s_mov_b32 s8, 0xb5e68a13
	s_nop 0
	v_div_fmas_f64 v[10:11], v[10:11], v[14:15], v[16:17]
	v_div_fixup_f64 v[4:5], v[10:11], v[8:9], v[4:5]
	v_mul_f64 v[8:9], v[4:5], v[4:5]
	v_mov_b32_e32 v10, 0xbd3237f4
	v_mov_b32_e32 v11, 0xbf23e260
	s_mov_b32 s9, 0x3eeba404
	v_fmac_f64_e32 v[10:11], s[8:9], v[8:9]
	v_mov_b32_e32 v12, 0x69efb384
	v_mov_b32_e32 v13, 0x3f4b2bb0
	v_fmac_f64_e32 v[12:13], v[8:9], v[10:11]
	v_mov_b32_e32 v10, 0xaf56de9b
	v_mov_b32_e32 v11, 0xbf67952d
	v_fmac_f64_e32 v[10:11], v[8:9], v[12:13]
	v_mov_b32_e32 v12, 0xa595c56f
	v_mov_b32_e32 v13, 0x3f7d6d43
	v_fmac_f64_e32 v[12:13], v[8:9], v[10:11]
	v_mov_b32_e32 v10, 0xa57d9582
	v_mov_b32_e32 v11, 0xbf8c6ea4
	v_fmac_f64_e32 v[10:11], v[8:9], v[12:13]
	v_mov_b32_e32 v12, 0x5f08b19f
	v_mov_b32_e32 v13, 0x3f967e29
	v_fmac_f64_e32 v[12:13], v[8:9], v[10:11]
	v_mov_b32_e32 v10, 0xfc27006a
	v_mov_b32_e32 v11, 0xbf9e9ae6
	v_fmac_f64_e32 v[10:11], v[8:9], v[12:13]
	v_mov_b32_e32 v12, 0x5711927a
	v_mov_b32_e32 v13, 0x3fa2c15b
	v_fmac_f64_e32 v[12:13], v[8:9], v[10:11]
	v_mov_b32_e32 v10, 0xe82d3ff0
	v_mov_b32_e32 v11, 0xbfa59976
	v_fmac_f64_e32 v[10:11], v[8:9], v[12:13]
	v_mov_b32_e32 v12, 0x6ef28734
	v_mov_b32_e32 v13, 0x3fa82d5d
	v_fmac_f64_e32 v[12:13], v[8:9], v[10:11]
	v_mov_b32_e32 v10, 0x6a214619
	v_mov_b32_e32 v11, 0xbfaae5ce
	v_fmac_f64_e32 v[10:11], v[8:9], v[12:13]
	v_mov_b32_e32 v12, 0x8427b883
	v_mov_b32_e32 v13, 0x3fae1bb4
	v_fmac_f64_e32 v[12:13], v[8:9], v[10:11]
	v_mov_b32_e32 v10, 0x8b207f05
	v_mov_b32_e32 v11, 0xbfb110e4
	v_fmac_f64_e32 v[10:11], v[8:9], v[12:13]
	v_mov_b32_e32 v12, 0x57b87036
	v_mov_b32_e32 v13, 0x3fb3b136
	v_fmac_f64_e32 v[12:13], v[8:9], v[10:11]
	v_mov_b32_e32 v10, 0x19378e4f
	v_mov_b32_e32 v11, 0xbfb745d1
	v_fmac_f64_e32 v[10:11], v[8:9], v[12:13]
	v_mov_b32_e32 v12, 0x17e1913c
	v_mov_b32_e32 v13, 0x3fbc71c7
	v_fmac_f64_e32 v[12:13], v[8:9], v[10:11]
	v_mov_b32_e32 v10, 0x92376b7d
	v_mov_b32_e32 v11, 0xbfc24924
	v_fmac_f64_e32 v[10:11], v[8:9], v[12:13]
	v_mov_b32_e32 v12, 0x999952cc
	v_mov_b32_e32 v13, 0x3fc99999
	v_fmac_f64_e32 v[12:13], v[8:9], v[10:11]
	v_mov_b32_e32 v10, 0x55555523
	v_mov_b32_e32 v11, 0xbfd55555
	v_fmac_f64_e32 v[10:11], v[8:9], v[12:13]
	v_mul_f64 v[8:9], v[8:9], v[10:11]
	v_fmac_f64_e32 v[4:5], v[4:5], v[8:9]
	v_mov_b32_e32 v8, 0x54442d18
	v_mov_b32_e32 v9, 0x7f3321d2
	v_cmp_gt_i32_e32 vcc, 0, v3
	v_cndmask_b32_e32 v10, v8, v9, vcc
	v_mov_b32_e32 v8, 0x3fe921fb
	v_mov_b32_e32 v9, 0x4002d97c
	v_cndmask_b32_e32 v8, v8, v9, vcc
	s_brev_b32 s21, -2
	s_mov_b32 s20, 0x54442d18
	v_bfi_b32 v11, s21, v8, v1
	v_ashrrev_i32_e32 v8, 31, v3
	s_mov_b32 s21, 0x3ff921fb
	v_and_b32_e32 v12, 0x54442d18, v8
	s_mov_b32 s22, 0x400921fb
	v_and_b32_e32 v13, 0x400921fb, v8
	v_add_f64 v[8:9], -v[4:5], s[20:21]
	v_cndmask_b32_e64 v5, v5, v9, s[4:5]
	v_cndmask_b32_e64 v4, v4, v8, s[4:5]
	s_mov_b32 s21, s22
	v_add_f64 v[8:9], -v[4:5], s[20:21]
	v_cmp_class_f64_e64 s[8:9], v[0:1], s18
	v_cmp_class_f64_e64 s[18:19], v[2:3], s18
	v_cndmask_b32_e32 v4, v4, v8, vcc
	v_cndmask_b32_e32 v5, v5, v9, vcc
	v_cmp_eq_f64_e32 vcc, 0, v[0:1]
	v_cndmask_b32_e32 v5, v5, v13, vcc
	v_cndmask_b32_e32 v4, v4, v12, vcc
	s_and_b64 vcc, s[8:9], s[18:19]
	v_cndmask_b32_e32 v4, v4, v10, vcc
	v_cndmask_b32_e32 v5, v5, v11, vcc
	v_mov_b32_e32 v8, 0x7ff80000
	v_cmp_o_f64_e32 vcc, v[2:3], v[0:1]
	v_cndmask_b32_e32 v11, v8, v5, vcc
	v_cndmask_b32_e32 v10, 0, v4, vcc
                                        ; implicit-def: $vgpr8_vgpr9
                                        ; implicit-def: $vgpr12_vgpr13
                                        ; implicit-def: $vgpr4_vgpr5
.LBB55_70:
	s_andn2_saveexec_b64 s[18:19], s[6:7]
	s_cbranch_execz .LBB55_72
; %bb.71:
	v_frexp_exp_i32_f64_e32 v18, v[8:9]
	v_sub_u32_e32 v10, 0, v18
	v_ldexp_f64 v[6:7], |v[2:3]|, v10
	v_ldexp_f64 v[10:11], |v[0:1]|, v10
	v_mul_f64 v[10:11], v[10:11], v[10:11]
	v_fmac_f64_e32 v[10:11], v[6:7], v[6:7]
	v_rsq_f64_e32 v[6:7], v[10:11]
	v_cmp_eq_f64_e32 vcc, 0, v[10:11]
	s_movk_i32 s8, 0x204
	v_cmp_o_f64_e64 s[6:7], v[2:3], v[0:1]
	v_mul_f64 v[14:15], v[10:11], v[6:7]
	v_mul_f64 v[6:7], v[6:7], 0.5
	v_fma_f64 v[16:17], -v[6:7], v[14:15], 0.5
	v_fmac_f64_e32 v[14:15], v[14:15], v[16:17]
	v_fmac_f64_e32 v[6:7], v[6:7], v[16:17]
	v_fma_f64 v[16:17], -v[14:15], v[14:15], v[10:11]
	v_fmac_f64_e32 v[14:15], v[16:17], v[6:7]
	v_cndmask_b32_e32 v7, v15, v11, vcc
	v_cndmask_b32_e32 v6, v14, v10, vcc
	v_ldexp_f64 v[6:7], v[6:7], v18
	v_mov_b32_e32 v14, 0x7ff80000
	v_cmp_class_f64_e64 s[20:21], v[2:3], s8
	v_cmp_class_f64_e64 s[22:23], v[0:1], s8
	v_cndmask_b32_e64 v15, 0, v6, s[6:7]
	v_cndmask_b32_e64 v30, v14, v7, s[6:7]
	v_mov_b32_e32 v31, 0x7ff00000
	s_or_b64 vcc, s[22:23], s[20:21]
	v_cndmask_b32_e32 v11, v30, v31, vcc
	v_cndmask_b32_e64 v10, v15, 0, vcc
	s_mov_b32 s8, 0x55555555
	v_frexp_mant_f64_e32 v[18:19], v[10:11]
	s_mov_b32 s9, 0x3fe55555
	v_mov_b32_e32 v17, 0x3ff00000
	v_cmp_gt_f64_e64 s[8:9], s[8:9], v[18:19]
	v_mov_b32_e32 v16, 0
	v_cndmask_b32_e64 v17, v17, 2.0, s[8:9]
	v_mul_f64 v[16:17], v[18:19], v[16:17]
	v_frexp_exp_i32_f64_e32 v20, v[10:11]
	v_add_f64 v[18:19], v[16:17], 1.0
	v_subbrev_co_u32_e64 v32, s[8:9], 0, v20, s[8:9]
	v_rcp_f64_e32 v[20:21], v[18:19]
	v_add_f64 v[24:25], v[18:19], -1.0
	v_add_f64 v[22:23], v[16:17], -1.0
	v_add_f64 v[16:17], v[16:17], -v[24:25]
	v_fma_f64 v[24:25], -v[18:19], v[20:21], 1.0
	v_fmac_f64_e32 v[20:21], v[24:25], v[20:21]
	v_fma_f64 v[24:25], -v[18:19], v[20:21], 1.0
	v_fmac_f64_e32 v[20:21], v[24:25], v[20:21]
	v_mul_f64 v[24:25], v[22:23], v[20:21]
	v_mul_f64 v[26:27], v[18:19], v[24:25]
	v_fma_f64 v[18:19], v[24:25], v[18:19], -v[26:27]
	v_fmac_f64_e32 v[18:19], v[24:25], v[16:17]
	v_add_f64 v[16:17], v[26:27], v[18:19]
	v_add_f64 v[28:29], v[22:23], -v[16:17]
	v_add_f64 v[26:27], v[16:17], -v[26:27]
	;; [unrolled: 1-line block ×5, first 2 shown]
	v_add_f64 v[16:17], v[18:19], v[16:17]
	v_add_f64 v[16:17], v[28:29], v[16:17]
	v_mul_f64 v[16:17], v[20:21], v[16:17]
	v_add_f64 v[18:19], v[24:25], v[16:17]
	v_add_f64 v[20:21], v[18:19], -v[24:25]
	s_mov_b32 s8, 0xbf559e2b
	v_add_f64 v[16:17], v[16:17], -v[20:21]
	v_mul_f64 v[20:21], v[18:19], v[18:19]
	v_mov_b32_e32 v22, 0x6b47b09a
	v_mov_b32_e32 v23, 0x3fc38538
	s_mov_b32 s9, 0x3fc3ab76
	v_fmac_f64_e32 v[22:23], s[8:9], v[20:21]
	v_mov_b32_e32 v24, 0xd7f4df2e
	v_mov_b32_e32 v25, 0x3fc7474d
	v_fmac_f64_e32 v[24:25], v[20:21], v[22:23]
	v_mov_b32_e32 v22, 0x16291751
	v_mov_b32_e32 v23, 0x3fcc71c0
	;; [unrolled: 3-line block ×5, first 2 shown]
	v_fmac_f64_e32 v[24:25], v[20:21], v[22:23]
	v_ldexp_f64 v[22:23], v[18:19], 1
	v_mul_f64 v[18:19], v[18:19], v[20:21]
	v_mul_f64 v[18:19], v[18:19], v[24:25]
	v_add_f64 v[20:21], v[22:23], v[18:19]
	v_add_f64 v[22:23], v[20:21], -v[22:23]
	v_ldexp_f64 v[16:17], v[16:17], 1
	v_add_f64 v[18:19], v[18:19], -v[22:23]
	v_add_f64 v[16:17], v[16:17], v[18:19]
	v_add_f64 v[18:19], v[20:21], v[16:17]
	v_add_f64 v[20:21], v[18:19], -v[20:21]
	s_mov_b32 s8, 0xfefa39ef
	v_add_f64 v[16:17], v[16:17], -v[20:21]
	v_cvt_f64_i32_e32 v[20:21], v32
	s_mov_b32 s9, 0x3fe62e42
	v_mul_f64 v[22:23], v[20:21], s[8:9]
	v_fma_f64 v[24:25], v[20:21], s[8:9], -v[22:23]
	s_mov_b32 s8, 0x3b39803f
	s_mov_b32 s9, 0x3c7abc9e
	v_fmac_f64_e32 v[24:25], s[8:9], v[20:21]
	v_add_f64 v[20:21], v[22:23], v[24:25]
	v_add_f64 v[22:23], v[20:21], -v[22:23]
	v_add_f64 v[22:23], v[24:25], -v[22:23]
	v_add_f64 v[24:25], v[20:21], v[18:19]
	v_add_f64 v[26:27], v[24:25], -v[20:21]
	v_add_f64 v[28:29], v[24:25], -v[26:27]
	;; [unrolled: 1-line block ×4, first 2 shown]
	v_add_f64 v[18:19], v[18:19], v[20:21]
	v_add_f64 v[20:21], v[22:23], v[16:17]
	v_add_f64 v[26:27], v[20:21], -v[22:23]
	v_add_f64 v[28:29], v[20:21], -v[26:27]
	v_add_f64 v[18:19], v[20:21], v[18:19]
	v_add_f64 v[22:23], v[22:23], -v[28:29]
	v_add_f64 v[16:17], v[16:17], -v[26:27]
	v_add_f64 v[20:21], v[24:25], v[18:19]
	v_add_f64 v[16:17], v[16:17], v[22:23]
	v_add_f64 v[22:23], v[20:21], -v[24:25]
	s_mov_b32 s8, 0
	v_add_f64 v[18:19], v[18:19], -v[22:23]
	v_and_b32_e32 v7, 0x7fffffff, v7
	s_mov_b32 s9, 0x7ff00000
	v_add_f64 v[16:17], v[16:17], v[18:19]
	v_cmp_eq_f64_e64 s[8:9], s[8:9], v[6:7]
	v_add_f64 v[16:17], v[20:21], v[16:17]
	s_and_b64 s[8:9], s[6:7], s[8:9]
	s_waitcnt lgkmcnt(0)
	v_min_f64 v[4:5], v[12:13], v[4:5]
	v_cndmask_b32_e64 v6, v17, v30, s[8:9]
	v_cndmask_b32_e64 v7, v16, v15, s[8:9]
	v_div_scale_f64 v[12:13], s[8:9], v[8:9], v[8:9], v[4:5]
	v_rcp_f64_e32 v[16:17], v[12:13]
	v_cndmask_b32_e64 v7, v7, 0, vcc
	v_cndmask_b32_e32 v6, v6, v31, vcc
	v_cmp_ngt_f64_e32 vcc, 0, v[10:11]
	v_cndmask_b32_e32 v15, v14, v6, vcc
	v_cmp_nge_f64_e32 vcc, 0, v[10:11]
	v_cndmask_b32_e32 v6, 0, v7, vcc
	v_cmp_neq_f64_e32 vcc, 0, v[10:11]
	v_fma_f64 v[10:11], -v[12:13], v[16:17], 1.0
	v_fmac_f64_e32 v[16:17], v[16:17], v[10:11]
	v_mov_b32_e32 v7, 0xfff00000
	v_fma_f64 v[10:11], -v[12:13], v[16:17], 1.0
	v_cndmask_b32_e32 v7, v7, v15, vcc
	v_fmac_f64_e32 v[16:17], v[16:17], v[10:11]
	v_div_scale_f64 v[10:11], vcc, v[4:5], v[8:9], v[4:5]
	v_mul_f64 v[18:19], v[10:11], v[16:17]
	v_fma_f64 v[10:11], -v[12:13], v[18:19], v[10:11]
	s_mov_b32 s8, 0xb5e68a13
	s_nop 0
	v_div_fmas_f64 v[10:11], v[10:11], v[16:17], v[18:19]
	v_div_fixup_f64 v[4:5], v[10:11], v[8:9], v[4:5]
	v_mul_f64 v[8:9], v[4:5], v[4:5]
	v_mov_b32_e32 v10, 0xbd3237f4
	v_mov_b32_e32 v11, 0xbf23e260
	s_mov_b32 s9, 0x3eeba404
	v_fmac_f64_e32 v[10:11], s[8:9], v[8:9]
	v_mov_b32_e32 v12, 0x69efb384
	v_mov_b32_e32 v13, 0x3f4b2bb0
	v_fmac_f64_e32 v[12:13], v[8:9], v[10:11]
	v_mov_b32_e32 v10, 0xaf56de9b
	v_mov_b32_e32 v11, 0xbf67952d
	;; [unrolled: 3-line block ×18, first 2 shown]
	v_fmac_f64_e32 v[10:11], v[8:9], v[12:13]
	v_mul_f64 v[8:9], v[8:9], v[10:11]
	v_fmac_f64_e32 v[4:5], v[4:5], v[8:9]
	v_mov_b32_e32 v8, 0x54442d18
	v_mov_b32_e32 v9, 0x7f3321d2
	v_cmp_gt_i32_e32 vcc, 0, v3
	v_cndmask_b32_e32 v10, v8, v9, vcc
	v_mov_b32_e32 v8, 0x3fe921fb
	v_mov_b32_e32 v9, 0x4002d97c
	s_brev_b32 s24, -2
	v_cndmask_b32_e32 v8, v8, v9, vcc
	s_mov_b32 s8, 0x54442d18
	v_bfi_b32 v11, s24, v8, v1
	v_ashrrev_i32_e32 v8, 31, v3
	s_mov_b32 s9, 0x3ff921fb
	v_and_b32_e32 v12, 0x54442d18, v8
	s_mov_b32 s24, 0x400921fb
	v_and_b32_e32 v13, 0x400921fb, v8
	v_add_f64 v[8:9], -v[4:5], s[8:9]
	v_cndmask_b32_e64 v5, v5, v9, s[4:5]
	v_cndmask_b32_e64 v4, v4, v8, s[4:5]
	s_mov_b32 s9, s24
	v_add_f64 v[8:9], -v[4:5], s[8:9]
	v_cndmask_b32_e32 v4, v4, v8, vcc
	v_cndmask_b32_e32 v5, v5, v9, vcc
	v_cmp_eq_f64_e32 vcc, 0, v[0:1]
	v_cndmask_b32_e32 v5, v5, v13, vcc
	v_cndmask_b32_e32 v4, v4, v12, vcc
	s_and_b64 vcc, s[22:23], s[20:21]
	v_cndmask_b32_e32 v4, v4, v10, vcc
	v_cndmask_b32_e32 v5, v5, v11, vcc
	v_cndmask_b32_e64 v11, v14, v5, s[6:7]
	v_cndmask_b32_e64 v10, 0, v4, s[6:7]
.LBB55_72:
	s_or_b64 exec, exec, s[18:19]
                                        ; implicit-def: $vgpr12_vgpr13
                                        ; implicit-def: $vgpr4_vgpr5
                                        ; implicit-def: $vgpr8_vgpr9
.LBB55_73:
	s_andn2_saveexec_b64 s[16:17], s[16:17]
	s_cbranch_execz .LBB55_75
; %bb.74:
	s_mov_b32 s6, 0x8b145769
	s_mov_b32 s7, 0x4005bf0a
	v_div_scale_f64 v[6:7], s[8:9], s[6:7], s[6:7], v[2:3]
	v_rcp_f64_e32 v[10:11], v[6:7]
	s_movk_i32 s18, 0x204
	v_mov_b32_e32 v31, 0x7ff00000
	s_waitcnt lgkmcnt(0)
	v_min_f64 v[4:5], v[12:13], v[4:5]
	v_fma_f64 v[14:15], -v[6:7], v[10:11], 1.0
	v_fmac_f64_e32 v[10:11], v[10:11], v[14:15]
	v_fma_f64 v[14:15], -v[6:7], v[10:11], 1.0
	v_fmac_f64_e32 v[10:11], v[10:11], v[14:15]
	v_div_scale_f64 v[14:15], vcc, v[2:3], s[6:7], v[2:3]
	v_mul_f64 v[16:17], v[14:15], v[10:11]
	v_fma_f64 v[6:7], -v[6:7], v[16:17], v[14:15]
	v_div_scale_f64 v[14:15], s[8:9], s[6:7], s[6:7], v[0:1]
	v_rcp_f64_e32 v[18:19], v[14:15]
	v_div_fmas_f64 v[6:7], v[6:7], v[10:11], v[16:17]
	v_div_fixup_f64 v[10:11], v[6:7], s[6:7], v[2:3]
	s_brev_b32 s19, -2
	v_fma_f64 v[6:7], -v[14:15], v[18:19], 1.0
	v_fmac_f64_e32 v[18:19], v[18:19], v[6:7]
	v_fma_f64 v[6:7], -v[14:15], v[18:19], 1.0
	v_fmac_f64_e32 v[18:19], v[18:19], v[6:7]
	v_div_scale_f64 v[6:7], vcc, v[0:1], s[6:7], v[0:1]
	v_mul_f64 v[16:17], v[6:7], v[18:19]
	v_fma_f64 v[6:7], -v[14:15], v[16:17], v[6:7]
	s_mov_b32 s20, 0x400921fb
	s_nop 0
	v_div_fmas_f64 v[6:7], v[6:7], v[18:19], v[16:17]
	v_div_fixup_f64 v[16:17], v[6:7], s[6:7], v[0:1]
	v_max_f64 v[6:7], |v[10:11]|, |v[16:17]|
	v_frexp_exp_i32_f64_e32 v22, v[6:7]
	v_sub_u32_e32 v14, 0, v22
	v_ldexp_f64 v[6:7], |v[10:11]|, v14
	v_ldexp_f64 v[14:15], |v[16:17]|, v14
	v_mul_f64 v[14:15], v[14:15], v[14:15]
	v_fmac_f64_e32 v[14:15], v[6:7], v[6:7]
	v_rsq_f64_e32 v[6:7], v[14:15]
	v_cmp_eq_f64_e32 vcc, 0, v[14:15]
	v_cmp_class_f64_e64 s[6:7], v[10:11], s18
	v_cmp_class_f64_e64 s[8:9], v[16:17], s18
	v_mul_f64 v[18:19], v[14:15], v[6:7]
	v_mul_f64 v[6:7], v[6:7], 0.5
	v_fma_f64 v[20:21], -v[6:7], v[18:19], 0.5
	v_fmac_f64_e32 v[18:19], v[18:19], v[20:21]
	v_fmac_f64_e32 v[6:7], v[6:7], v[20:21]
	v_fma_f64 v[20:21], -v[18:19], v[18:19], v[14:15]
	v_fmac_f64_e32 v[18:19], v[20:21], v[6:7]
	v_cndmask_b32_e32 v7, v19, v15, vcc
	v_cndmask_b32_e32 v6, v18, v14, vcc
	v_ldexp_f64 v[6:7], v[6:7], v22
	v_cmp_o_f64_e32 vcc, v[10:11], v[16:17]
	v_mov_b32_e32 v14, 0x7ff80000
	v_cndmask_b32_e32 v15, 0, v6, vcc
	v_cndmask_b32_e32 v30, v14, v7, vcc
	s_or_b64 s[6:7], s[8:9], s[6:7]
	v_cndmask_b32_e64 v11, v30, v31, s[6:7]
	v_cndmask_b32_e64 v10, v15, 0, s[6:7]
	s_mov_b32 s8, 0x55555555
	v_frexp_mant_f64_e32 v[16:17], v[10:11]
	s_mov_b32 s9, 0x3fe55555
	v_mov_b32_e32 v19, 0x3ff00000
	v_cmp_gt_f64_e64 s[8:9], s[8:9], v[16:17]
	v_mov_b32_e32 v18, 0
	v_cndmask_b32_e64 v19, v19, 2.0, s[8:9]
	v_mul_f64 v[16:17], v[16:17], v[18:19]
	v_frexp_exp_i32_f64_e32 v20, v[10:11]
	v_add_f64 v[18:19], v[16:17], 1.0
	v_subbrev_co_u32_e64 v32, s[8:9], 0, v20, s[8:9]
	v_rcp_f64_e32 v[20:21], v[18:19]
	v_add_f64 v[24:25], v[18:19], -1.0
	v_add_f64 v[22:23], v[16:17], -1.0
	v_add_f64 v[16:17], v[16:17], -v[24:25]
	v_fma_f64 v[24:25], -v[18:19], v[20:21], 1.0
	v_fmac_f64_e32 v[20:21], v[24:25], v[20:21]
	v_fma_f64 v[24:25], -v[18:19], v[20:21], 1.0
	v_fmac_f64_e32 v[20:21], v[24:25], v[20:21]
	v_mul_f64 v[24:25], v[22:23], v[20:21]
	v_mul_f64 v[26:27], v[18:19], v[24:25]
	v_fma_f64 v[18:19], v[24:25], v[18:19], -v[26:27]
	v_fmac_f64_e32 v[18:19], v[24:25], v[16:17]
	v_add_f64 v[16:17], v[26:27], v[18:19]
	v_add_f64 v[28:29], v[22:23], -v[16:17]
	v_add_f64 v[26:27], v[16:17], -v[26:27]
	v_add_f64 v[22:23], v[22:23], -v[28:29]
	v_add_f64 v[16:17], v[22:23], -v[16:17]
	v_add_f64 v[18:19], v[26:27], -v[18:19]
	v_add_f64 v[16:17], v[18:19], v[16:17]
	v_add_f64 v[16:17], v[28:29], v[16:17]
	v_mul_f64 v[16:17], v[20:21], v[16:17]
	v_add_f64 v[18:19], v[24:25], v[16:17]
	v_add_f64 v[20:21], v[18:19], -v[24:25]
	s_mov_b32 s8, 0xbf559e2b
	v_add_f64 v[16:17], v[16:17], -v[20:21]
	v_mul_f64 v[20:21], v[18:19], v[18:19]
	v_mov_b32_e32 v22, 0x6b47b09a
	v_mov_b32_e32 v23, 0x3fc38538
	s_mov_b32 s9, 0x3fc3ab76
	v_fmac_f64_e32 v[22:23], s[8:9], v[20:21]
	v_mov_b32_e32 v24, 0xd7f4df2e
	v_mov_b32_e32 v25, 0x3fc7474d
	v_fmac_f64_e32 v[24:25], v[20:21], v[22:23]
	v_mov_b32_e32 v22, 0x16291751
	v_mov_b32_e32 v23, 0x3fcc71c0
	;; [unrolled: 3-line block ×5, first 2 shown]
	v_fmac_f64_e32 v[24:25], v[20:21], v[22:23]
	v_ldexp_f64 v[22:23], v[18:19], 1
	v_mul_f64 v[18:19], v[18:19], v[20:21]
	v_mul_f64 v[18:19], v[18:19], v[24:25]
	v_add_f64 v[20:21], v[22:23], v[18:19]
	v_add_f64 v[22:23], v[20:21], -v[22:23]
	v_ldexp_f64 v[16:17], v[16:17], 1
	v_add_f64 v[18:19], v[18:19], -v[22:23]
	v_add_f64 v[16:17], v[16:17], v[18:19]
	v_add_f64 v[18:19], v[20:21], v[16:17]
	v_add_f64 v[20:21], v[18:19], -v[20:21]
	s_mov_b32 s8, 0xfefa39ef
	v_add_f64 v[16:17], v[16:17], -v[20:21]
	v_cvt_f64_i32_e32 v[20:21], v32
	s_mov_b32 s9, 0x3fe62e42
	v_mul_f64 v[22:23], v[20:21], s[8:9]
	v_fma_f64 v[24:25], v[20:21], s[8:9], -v[22:23]
	s_mov_b32 s8, 0x3b39803f
	s_mov_b32 s9, 0x3c7abc9e
	v_fmac_f64_e32 v[24:25], s[8:9], v[20:21]
	v_add_f64 v[20:21], v[22:23], v[24:25]
	v_add_f64 v[22:23], v[20:21], -v[22:23]
	v_add_f64 v[22:23], v[24:25], -v[22:23]
	v_add_f64 v[24:25], v[20:21], v[18:19]
	v_add_f64 v[26:27], v[24:25], -v[20:21]
	v_add_f64 v[28:29], v[24:25], -v[26:27]
	v_add_f64 v[20:21], v[20:21], -v[28:29]
	v_add_f64 v[18:19], v[18:19], -v[26:27]
	v_add_f64 v[18:19], v[18:19], v[20:21]
	v_add_f64 v[20:21], v[22:23], v[16:17]
	v_add_f64 v[26:27], v[20:21], -v[22:23]
	v_add_f64 v[28:29], v[20:21], -v[26:27]
	v_add_f64 v[18:19], v[20:21], v[18:19]
	v_add_f64 v[22:23], v[22:23], -v[28:29]
	v_add_f64 v[16:17], v[16:17], -v[26:27]
	v_add_f64 v[20:21], v[24:25], v[18:19]
	v_add_f64 v[16:17], v[16:17], v[22:23]
	v_add_f64 v[22:23], v[20:21], -v[24:25]
	s_mov_b32 s8, 0
	v_add_f64 v[18:19], v[18:19], -v[22:23]
	v_and_b32_e32 v7, 0x7fffffff, v7
	s_mov_b32 s9, 0x7ff00000
	v_add_f64 v[16:17], v[16:17], v[18:19]
	v_cmp_eq_f64_e64 s[8:9], s[8:9], v[6:7]
	v_add_f64 v[16:17], v[20:21], v[16:17]
	s_and_b64 vcc, vcc, s[8:9]
	v_cndmask_b32_e32 v7, v17, v30, vcc
	v_cndmask_b32_e32 v6, v16, v15, vcc
	v_add_f64 v[6:7], v[6:7], 1.0
	v_cndmask_b32_e64 v6, v6, 0, s[6:7]
	v_cndmask_b32_e64 v7, v7, v31, s[6:7]
	v_div_scale_f64 v[12:13], s[6:7], v[8:9], v[8:9], v[4:5]
	v_rcp_f64_e32 v[16:17], v[12:13]
	v_cmp_ngt_f64_e32 vcc, 0, v[10:11]
	v_cndmask_b32_e32 v7, v14, v7, vcc
	v_cmp_nge_f64_e32 vcc, 0, v[10:11]
	v_cndmask_b32_e32 v6, 0, v6, vcc
	v_cmp_neq_f64_e32 vcc, 0, v[10:11]
	v_fma_f64 v[10:11], -v[12:13], v[16:17], 1.0
	v_fmac_f64_e32 v[16:17], v[16:17], v[10:11]
	v_mov_b32_e32 v15, 0xfff00000
	v_fma_f64 v[10:11], -v[12:13], v[16:17], 1.0
	v_cndmask_b32_e32 v7, v15, v7, vcc
	v_fmac_f64_e32 v[16:17], v[16:17], v[10:11]
	v_div_scale_f64 v[10:11], vcc, v[4:5], v[8:9], v[4:5]
	v_mul_f64 v[18:19], v[10:11], v[16:17]
	v_fma_f64 v[10:11], -v[12:13], v[18:19], v[10:11]
	s_mov_b32 s6, 0xb5e68a13
	s_nop 0
	v_div_fmas_f64 v[10:11], v[10:11], v[16:17], v[18:19]
	v_div_fixup_f64 v[4:5], v[10:11], v[8:9], v[4:5]
	v_mul_f64 v[8:9], v[4:5], v[4:5]
	v_mov_b32_e32 v10, 0xbd3237f4
	v_mov_b32_e32 v11, 0xbf23e260
	s_mov_b32 s7, 0x3eeba404
	v_fmac_f64_e32 v[10:11], s[6:7], v[8:9]
	v_mov_b32_e32 v12, 0x69efb384
	v_mov_b32_e32 v13, 0x3f4b2bb0
	v_fmac_f64_e32 v[12:13], v[8:9], v[10:11]
	v_mov_b32_e32 v10, 0xaf56de9b
	v_mov_b32_e32 v11, 0xbf67952d
	;; [unrolled: 3-line block ×18, first 2 shown]
	v_fmac_f64_e32 v[10:11], v[8:9], v[12:13]
	v_mul_f64 v[8:9], v[8:9], v[10:11]
	v_fmac_f64_e32 v[4:5], v[4:5], v[8:9]
	v_mov_b32_e32 v8, 0x54442d18
	v_mov_b32_e32 v9, 0x7f3321d2
	v_cmp_gt_i32_e32 vcc, 0, v3
	v_cndmask_b32_e32 v10, v8, v9, vcc
	v_mov_b32_e32 v8, 0x3fe921fb
	v_mov_b32_e32 v9, 0x4002d97c
	v_cndmask_b32_e32 v8, v8, v9, vcc
	v_cmp_class_f64_e64 s[6:7], v[0:1], s18
	v_cmp_class_f64_e64 s[8:9], v[2:3], s18
	s_mov_b32 s18, 0x54442d18
	v_bfi_b32 v11, s19, v8, v1
	v_ashrrev_i32_e32 v8, 31, v3
	s_mov_b32 s19, 0x3ff921fb
	v_and_b32_e32 v12, 0x54442d18, v8
	v_and_b32_e32 v13, 0x400921fb, v8
	v_add_f64 v[8:9], -v[4:5], s[18:19]
	v_cndmask_b32_e64 v5, v5, v9, s[4:5]
	v_cndmask_b32_e64 v4, v4, v8, s[4:5]
	s_mov_b32 s19, s20
	v_add_f64 v[8:9], -v[4:5], s[18:19]
	v_cndmask_b32_e32 v4, v4, v8, vcc
	v_cndmask_b32_e32 v5, v5, v9, vcc
	v_cmp_eq_f64_e32 vcc, 0, v[0:1]
	v_cndmask_b32_e32 v5, v5, v13, vcc
	v_cndmask_b32_e32 v4, v4, v12, vcc
	s_and_b64 vcc, s[6:7], s[8:9]
	v_cndmask_b32_e32 v4, v4, v10, vcc
	v_cndmask_b32_e32 v5, v5, v11, vcc
	v_cmp_o_f64_e32 vcc, v[2:3], v[0:1]
	v_cndmask_b32_e32 v11, v14, v5, vcc
	v_cndmask_b32_e32 v10, 0, v4, vcc
.LBB55_75:
	s_or_b64 exec, exec, s[16:17]
	s_brev_b32 s4, -2
	v_bfi_b32 v11, s4, v11, v1
                                        ; implicit-def: $vgpr4_vgpr5
.LBB55_76:
	s_andn2_saveexec_b64 s[16:17], s[10:11]
	s_cbranch_execz .LBB55_86
; %bb.77:
	v_and_b32_e32 v14, 0x7fffffff, v1
	v_xor_b32_e32 v9, 0x80000000, v3
	v_mov_b32_e32 v8, v2
	v_cmp_gt_f64_e64 s[4:5], |v[0:1]|, -v[2:3]
	s_mov_b32 s6, -1
	v_cndmask_b32_e64 v13, v9, v14, s[4:5]
	v_cndmask_b32_e64 v12, v8, v0, s[4:5]
	s_mov_b32 s7, 0x7fdfffff
	v_cmp_nlt_f64_e32 vcc, s[6:7], v[12:13]
                                        ; implicit-def: $vgpr6_vgpr7
                                        ; implicit-def: $vgpr10_vgpr11
	s_and_saveexec_b64 s[6:7], vcc
	s_xor_b64 s[18:19], exec, s[6:7]
	s_cbranch_execz .LBB55_83
; %bb.78:
	s_mov_b32 s6, 0
	s_mov_b32 s7, 0x20200000
	v_cmp_nlt_f64_e32 vcc, s[6:7], v[12:13]
	s_mov_b32 s6, 0
	v_cndmask_b32_e64 v15, v14, v9, s[4:5]
	v_cndmask_b32_e64 v14, v0, v8, s[4:5]
	s_brev_b32 s7, 4
	v_cmp_ngt_f64_e64 s[6:7], s[6:7], v[14:15]
	s_and_b64 s[6:7], vcc, s[6:7]
                                        ; implicit-def: $vgpr6_vgpr7
                                        ; implicit-def: $vgpr10_vgpr11
	s_and_saveexec_b64 s[8:9], s[6:7]
	s_xor_b64 s[8:9], exec, s[8:9]
	s_cbranch_execz .LBB55_80
; %bb.79:
	v_mul_f64 v[6:7], v[14:15], v[14:15]
	v_fmac_f64_e32 v[6:7], v[12:13], v[12:13]
	s_mov_b32 s6, 0x55555555
	v_frexp_mant_f64_e32 v[10:11], v[6:7]
	s_mov_b32 s7, 0x3fe55555
	v_mov_b32_e32 v12, 0x3ff00000
	v_cmp_gt_f64_e32 vcc, s[6:7], v[10:11]
	v_cndmask_b32_e64 v13, v12, 2.0, vcc
	v_mov_b32_e32 v12, 0
	v_mul_f64 v[10:11], v[10:11], v[12:13]
	v_add_f64 v[12:13], v[10:11], 1.0
	v_rcp_f64_e32 v[14:15], v[12:13]
	v_add_f64 v[18:19], v[12:13], -1.0
	v_add_f64 v[16:17], v[10:11], -1.0
	v_add_f64 v[10:11], v[10:11], -v[18:19]
	v_fma_f64 v[18:19], -v[12:13], v[14:15], 1.0
	v_fmac_f64_e32 v[14:15], v[18:19], v[14:15]
	v_fma_f64 v[18:19], -v[12:13], v[14:15], 1.0
	v_fmac_f64_e32 v[14:15], v[18:19], v[14:15]
	v_mul_f64 v[18:19], v[16:17], v[14:15]
	v_mul_f64 v[20:21], v[12:13], v[18:19]
	v_fma_f64 v[12:13], v[18:19], v[12:13], -v[20:21]
	v_fmac_f64_e32 v[12:13], v[18:19], v[10:11]
	v_add_f64 v[10:11], v[20:21], v[12:13]
	v_add_f64 v[22:23], v[16:17], -v[10:11]
	v_add_f64 v[20:21], v[10:11], -v[20:21]
	;; [unrolled: 1-line block ×5, first 2 shown]
	v_add_f64 v[10:11], v[12:13], v[10:11]
	v_add_f64 v[10:11], v[22:23], v[10:11]
	v_mul_f64 v[10:11], v[14:15], v[10:11]
	v_add_f64 v[12:13], v[18:19], v[10:11]
	v_add_f64 v[14:15], v[12:13], -v[18:19]
	s_mov_b32 s6, 0xbf559e2b
	v_add_f64 v[10:11], v[10:11], -v[14:15]
	v_mul_f64 v[14:15], v[12:13], v[12:13]
	v_mov_b32_e32 v16, 0x6b47b09a
	v_mov_b32_e32 v17, 0x3fc38538
	s_mov_b32 s7, 0x3fc3ab76
	v_fmac_f64_e32 v[16:17], s[6:7], v[14:15]
	v_mov_b32_e32 v18, 0xd7f4df2e
	v_mov_b32_e32 v19, 0x3fc7474d
	v_fmac_f64_e32 v[18:19], v[14:15], v[16:17]
	v_mov_b32_e32 v16, 0x16291751
	v_mov_b32_e32 v17, 0x3fcc71c0
	;; [unrolled: 3-line block ×5, first 2 shown]
	v_fmac_f64_e32 v[18:19], v[14:15], v[16:17]
	v_ldexp_f64 v[16:17], v[12:13], 1
	v_mul_f64 v[12:13], v[12:13], v[14:15]
	v_mul_f64 v[12:13], v[12:13], v[18:19]
	v_add_f64 v[14:15], v[16:17], v[12:13]
	v_add_f64 v[16:17], v[14:15], -v[16:17]
	v_ldexp_f64 v[10:11], v[10:11], 1
	v_add_f64 v[12:13], v[12:13], -v[16:17]
	v_add_f64 v[10:11], v[10:11], v[12:13]
	v_frexp_exp_i32_f64_e32 v8, v[6:7]
	v_add_f64 v[12:13], v[14:15], v[10:11]
	v_subbrev_co_u32_e32 v8, vcc, 0, v8, vcc
	v_add_f64 v[14:15], v[12:13], -v[14:15]
	s_mov_b32 s6, 0xfefa39ef
	v_add_f64 v[10:11], v[10:11], -v[14:15]
	v_cvt_f64_i32_e32 v[14:15], v8
	s_mov_b32 s7, 0x3fe62e42
	v_mul_f64 v[16:17], v[14:15], s[6:7]
	v_fma_f64 v[18:19], v[14:15], s[6:7], -v[16:17]
	s_mov_b32 s6, 0x3b39803f
	s_mov_b32 s7, 0x3c7abc9e
	v_fmac_f64_e32 v[18:19], s[6:7], v[14:15]
	v_add_f64 v[14:15], v[16:17], v[18:19]
	v_add_f64 v[16:17], v[14:15], -v[16:17]
	v_add_f64 v[16:17], v[18:19], -v[16:17]
	v_add_f64 v[18:19], v[14:15], v[12:13]
	v_add_f64 v[20:21], v[18:19], -v[14:15]
	v_add_f64 v[22:23], v[18:19], -v[20:21]
	;; [unrolled: 1-line block ×4, first 2 shown]
	v_add_f64 v[12:13], v[12:13], v[14:15]
	v_add_f64 v[14:15], v[16:17], v[10:11]
	v_add_f64 v[20:21], v[14:15], -v[16:17]
	v_add_f64 v[22:23], v[14:15], -v[20:21]
	v_add_f64 v[12:13], v[14:15], v[12:13]
	v_add_f64 v[16:17], v[16:17], -v[22:23]
	v_add_f64 v[10:11], v[10:11], -v[20:21]
	v_add_f64 v[14:15], v[18:19], v[12:13]
	v_add_f64 v[10:11], v[10:11], v[16:17]
	v_add_f64 v[16:17], v[14:15], -v[18:19]
	v_add_f64 v[12:13], v[12:13], -v[16:17]
	v_add_f64 v[10:11], v[10:11], v[12:13]
	v_max_f64 v[12:13], -v[2:3], -v[2:3]
	v_add_f64 v[10:11], v[14:15], v[10:11]
	s_waitcnt lgkmcnt(0)
	v_max_f64 v[14:15], v[12:13], v[4:5]
	v_min_f64 v[4:5], v[12:13], v[4:5]
	v_div_scale_f64 v[12:13], s[6:7], v[14:15], v[14:15], v[4:5]
	s_movk_i32 s10, 0x204
	v_rcp_f64_e32 v[16:17], v[12:13]
	v_cmp_class_f64_e64 vcc, v[6:7], s10
	v_cndmask_b32_e32 v11, v11, v7, vcc
	v_cndmask_b32_e32 v10, v10, v6, vcc
	v_mul_f64 v[10:11], v[10:11], 0.5
	v_mov_b32_e32 v8, 0xfff00000
	v_cmp_neq_f64_e32 vcc, 0, v[6:7]
	v_cndmask_b32_e32 v7, v8, v11, vcc
	v_cndmask_b32_e32 v6, 0, v10, vcc
	v_fma_f64 v[10:11], -v[12:13], v[16:17], 1.0
	v_fmac_f64_e32 v[16:17], v[16:17], v[10:11]
	v_fma_f64 v[10:11], -v[12:13], v[16:17], 1.0
	v_fmac_f64_e32 v[16:17], v[16:17], v[10:11]
	v_div_scale_f64 v[10:11], vcc, v[4:5], v[14:15], v[4:5]
	v_mul_f64 v[18:19], v[10:11], v[16:17]
	v_fma_f64 v[10:11], -v[12:13], v[18:19], v[10:11]
	s_mov_b32 s6, 0xb5e68a13
	s_nop 0
	v_div_fmas_f64 v[10:11], v[10:11], v[16:17], v[18:19]
	v_div_fixup_f64 v[4:5], v[10:11], v[14:15], v[4:5]
	v_mul_f64 v[10:11], v[4:5], v[4:5]
	v_mov_b32_e32 v12, 0xbd3237f4
	v_mov_b32_e32 v13, 0xbf23e260
	s_mov_b32 s7, 0x3eeba404
	v_fmac_f64_e32 v[12:13], s[6:7], v[10:11]
	v_mov_b32_e32 v14, 0x69efb384
	v_mov_b32_e32 v15, 0x3f4b2bb0
	v_fmac_f64_e32 v[14:15], v[10:11], v[12:13]
	v_mov_b32_e32 v12, 0xaf56de9b
	v_mov_b32_e32 v13, 0xbf67952d
	;; [unrolled: 3-line block ×18, first 2 shown]
	v_fmac_f64_e32 v[12:13], v[10:11], v[14:15]
	s_mov_b32 s6, 0
	v_mul_f64 v[10:11], v[10:11], v[12:13]
	s_mov_b32 s7, 0xfff00000
	v_fmac_f64_e32 v[4:5], v[4:5], v[10:11]
	v_cmp_eq_f64_e32 vcc, s[6:7], v[2:3]
	v_mov_b32_e32 v8, 0x54442d18
	v_mov_b32_e32 v10, 0x7f3321d2
	v_cmp_gt_i32_e64 s[6:7], 0, v9
	v_cndmask_b32_e64 v10, v8, v10, s[6:7]
	v_mov_b32_e32 v8, 0x3fe921fb
	v_mov_b32_e32 v11, 0x4002d97c
	v_cndmask_b32_e64 v8, v8, v11, s[6:7]
	v_xor_b32_e32 v11, 0x80000000, v1
	s_brev_b32 s21, -2
	s_mov_b32 s20, 0x54442d18
	v_bfi_b32 v11, s21, v8, v11
	v_ashrrev_i32_e32 v8, 31, v9
	s_mov_b32 s21, 0x3ff921fb
	v_and_b32_e32 v12, 0x54442d18, v8
	s_mov_b32 s22, 0x400921fb
	v_and_b32_e32 v13, 0x400921fb, v8
	v_add_f64 v[8:9], -v[4:5], s[20:21]
	v_cndmask_b32_e64 v5, v5, v9, s[4:5]
	v_cndmask_b32_e64 v4, v4, v8, s[4:5]
	s_mov_b32 s21, s22
	v_add_f64 v[8:9], -v[4:5], s[20:21]
	v_cmp_class_f64_e64 s[10:11], v[0:1], s10
	v_cndmask_b32_e64 v4, v4, v8, s[6:7]
	v_cndmask_b32_e64 v5, v5, v9, s[6:7]
	v_cmp_eq_f64_e64 s[6:7], 0, v[0:1]
	v_cndmask_b32_e64 v5, v5, v13, s[6:7]
	v_cndmask_b32_e64 v4, v4, v12, s[6:7]
	s_and_b64 vcc, vcc, s[10:11]
	v_cndmask_b32_e32 v4, v4, v10, vcc
	v_cndmask_b32_e32 v5, v5, v11, vcc
	v_mov_b32_e32 v8, 0x7ff80000
	v_cmp_o_f64_e32 vcc, v[2:3], v[0:1]
	v_cndmask_b32_e32 v11, v8, v5, vcc
	v_cndmask_b32_e32 v10, 0, v4, vcc
                                        ; implicit-def: $vgpr4_vgpr5
                                        ; implicit-def: $vgpr8_vgpr9
.LBB55_80:
	s_andn2_saveexec_b64 s[20:21], s[8:9]
	s_cbranch_execz .LBB55_82
; %bb.81:
	v_max_f64 v[12:13], -v[2:3], -v[2:3]
	s_waitcnt lgkmcnt(0)
	v_max_f64 v[10:11], v[12:13], v[4:5]
	v_frexp_exp_i32_f64_e32 v8, v[10:11]
	v_sub_u32_e32 v14, 0, v8
	v_ldexp_f64 v[6:7], -v[2:3], v14
	v_ldexp_f64 v[14:15], |v[0:1]|, v14
	v_mul_f64 v[14:15], v[14:15], v[14:15]
	v_fmac_f64_e32 v[14:15], v[6:7], v[6:7]
	v_rsq_f64_e32 v[6:7], v[14:15]
	v_cmp_eq_f64_e32 vcc, 0, v[14:15]
	s_mov_b32 s8, 0
	s_mov_b32 s9, 0xfff00000
	v_mul_f64 v[16:17], v[14:15], v[6:7]
	v_mul_f64 v[6:7], v[6:7], 0.5
	v_fma_f64 v[18:19], -v[6:7], v[16:17], 0.5
	v_fmac_f64_e32 v[16:17], v[16:17], v[18:19]
	v_fmac_f64_e32 v[6:7], v[6:7], v[18:19]
	v_fma_f64 v[18:19], -v[16:17], v[16:17], v[14:15]
	v_fmac_f64_e32 v[16:17], v[18:19], v[6:7]
	v_cndmask_b32_e32 v7, v17, v15, vcc
	v_cndmask_b32_e32 v6, v16, v14, vcc
	s_movk_i32 s10, 0x204
	v_ldexp_f64 v[6:7], v[6:7], v8
	v_cmp_o_f64_e64 s[6:7], v[2:3], v[0:1]
	v_mov_b32_e32 v8, 0x7ff80000
	v_cmp_eq_f64_e64 s[8:9], s[8:9], v[2:3]
	v_cmp_class_f64_e64 s[22:23], v[0:1], s10
	v_cndmask_b32_e64 v30, 0, v6, s[6:7]
	v_cndmask_b32_e64 v31, v8, v7, s[6:7]
	v_mov_b32_e32 v32, 0x7ff00000
	s_or_b64 vcc, s[8:9], s[22:23]
	v_cndmask_b32_e32 v15, v31, v32, vcc
	v_cndmask_b32_e64 v14, v30, 0, vcc
	s_mov_b32 s10, 0x55555555
	v_frexp_mant_f64_e32 v[18:19], v[14:15]
	s_mov_b32 s11, 0x3fe55555
	v_mov_b32_e32 v17, 0x3ff00000
	v_cmp_gt_f64_e64 s[10:11], s[10:11], v[18:19]
	v_mov_b32_e32 v16, 0
	v_cndmask_b32_e64 v17, v17, 2.0, s[10:11]
	v_mul_f64 v[16:17], v[18:19], v[16:17]
	v_frexp_exp_i32_f64_e32 v20, v[14:15]
	v_add_f64 v[18:19], v[16:17], 1.0
	v_subbrev_co_u32_e64 v33, s[10:11], 0, v20, s[10:11]
	v_rcp_f64_e32 v[20:21], v[18:19]
	v_add_f64 v[24:25], v[18:19], -1.0
	v_add_f64 v[22:23], v[16:17], -1.0
	v_add_f64 v[16:17], v[16:17], -v[24:25]
	v_fma_f64 v[24:25], -v[18:19], v[20:21], 1.0
	v_fmac_f64_e32 v[20:21], v[24:25], v[20:21]
	v_fma_f64 v[24:25], -v[18:19], v[20:21], 1.0
	v_fmac_f64_e32 v[20:21], v[24:25], v[20:21]
	v_mul_f64 v[24:25], v[22:23], v[20:21]
	v_mul_f64 v[26:27], v[18:19], v[24:25]
	v_fma_f64 v[18:19], v[24:25], v[18:19], -v[26:27]
	v_fmac_f64_e32 v[18:19], v[24:25], v[16:17]
	v_add_f64 v[16:17], v[26:27], v[18:19]
	v_add_f64 v[28:29], v[22:23], -v[16:17]
	v_add_f64 v[26:27], v[16:17], -v[26:27]
	;; [unrolled: 1-line block ×5, first 2 shown]
	v_add_f64 v[16:17], v[18:19], v[16:17]
	v_add_f64 v[16:17], v[28:29], v[16:17]
	v_mul_f64 v[16:17], v[20:21], v[16:17]
	v_add_f64 v[18:19], v[24:25], v[16:17]
	v_add_f64 v[20:21], v[18:19], -v[24:25]
	s_mov_b32 s10, 0xbf559e2b
	v_add_f64 v[16:17], v[16:17], -v[20:21]
	v_mul_f64 v[20:21], v[18:19], v[18:19]
	v_mov_b32_e32 v22, 0x6b47b09a
	v_mov_b32_e32 v23, 0x3fc38538
	s_mov_b32 s11, 0x3fc3ab76
	v_fmac_f64_e32 v[22:23], s[10:11], v[20:21]
	v_mov_b32_e32 v24, 0xd7f4df2e
	v_mov_b32_e32 v25, 0x3fc7474d
	v_fmac_f64_e32 v[24:25], v[20:21], v[22:23]
	v_mov_b32_e32 v22, 0x16291751
	v_mov_b32_e32 v23, 0x3fcc71c0
	;; [unrolled: 3-line block ×5, first 2 shown]
	v_fmac_f64_e32 v[24:25], v[20:21], v[22:23]
	v_ldexp_f64 v[22:23], v[18:19], 1
	v_mul_f64 v[18:19], v[18:19], v[20:21]
	v_mul_f64 v[18:19], v[18:19], v[24:25]
	v_add_f64 v[20:21], v[22:23], v[18:19]
	v_add_f64 v[22:23], v[20:21], -v[22:23]
	v_ldexp_f64 v[16:17], v[16:17], 1
	v_add_f64 v[18:19], v[18:19], -v[22:23]
	v_add_f64 v[16:17], v[16:17], v[18:19]
	v_add_f64 v[18:19], v[20:21], v[16:17]
	v_add_f64 v[20:21], v[18:19], -v[20:21]
	s_mov_b32 s10, 0xfefa39ef
	v_add_f64 v[16:17], v[16:17], -v[20:21]
	v_cvt_f64_i32_e32 v[20:21], v33
	s_mov_b32 s11, 0x3fe62e42
	v_mul_f64 v[22:23], v[20:21], s[10:11]
	v_fma_f64 v[24:25], v[20:21], s[10:11], -v[22:23]
	s_mov_b32 s10, 0x3b39803f
	s_mov_b32 s11, 0x3c7abc9e
	v_fmac_f64_e32 v[24:25], s[10:11], v[20:21]
	v_add_f64 v[20:21], v[22:23], v[24:25]
	v_add_f64 v[22:23], v[20:21], -v[22:23]
	v_add_f64 v[22:23], v[24:25], -v[22:23]
	v_add_f64 v[24:25], v[20:21], v[18:19]
	v_add_f64 v[26:27], v[24:25], -v[20:21]
	v_add_f64 v[28:29], v[24:25], -v[26:27]
	;; [unrolled: 1-line block ×4, first 2 shown]
	v_add_f64 v[18:19], v[18:19], v[20:21]
	v_add_f64 v[20:21], v[22:23], v[16:17]
	v_add_f64 v[26:27], v[20:21], -v[22:23]
	v_add_f64 v[28:29], v[20:21], -v[26:27]
	v_add_f64 v[18:19], v[20:21], v[18:19]
	v_add_f64 v[22:23], v[22:23], -v[28:29]
	v_add_f64 v[16:17], v[16:17], -v[26:27]
	v_add_f64 v[20:21], v[24:25], v[18:19]
	v_add_f64 v[16:17], v[16:17], v[22:23]
	v_add_f64 v[22:23], v[20:21], -v[24:25]
	s_mov_b32 s10, 0
	v_add_f64 v[18:19], v[18:19], -v[22:23]
	v_and_b32_e32 v7, 0x7fffffff, v7
	s_mov_b32 s11, 0x7ff00000
	v_add_f64 v[16:17], v[16:17], v[18:19]
	v_cmp_eq_f64_e64 s[10:11], s[10:11], v[6:7]
	v_add_f64 v[16:17], v[20:21], v[16:17]
	s_and_b64 s[10:11], s[6:7], s[10:11]
	v_min_f64 v[4:5], v[12:13], v[4:5]
	v_cndmask_b32_e64 v6, v17, v31, s[10:11]
	v_cndmask_b32_e64 v7, v16, v30, s[10:11]
	v_div_scale_f64 v[12:13], s[10:11], v[10:11], v[10:11], v[4:5]
	v_rcp_f64_e32 v[16:17], v[12:13]
	v_cndmask_b32_e64 v7, v7, 0, vcc
	v_cndmask_b32_e32 v6, v6, v32, vcc
	v_cmp_ngt_f64_e32 vcc, 0, v[14:15]
	v_cndmask_b32_e32 v18, v8, v6, vcc
	v_cmp_nge_f64_e32 vcc, 0, v[14:15]
	v_cndmask_b32_e32 v6, 0, v7, vcc
	v_cmp_neq_f64_e32 vcc, 0, v[14:15]
	v_fma_f64 v[14:15], -v[12:13], v[16:17], 1.0
	v_fmac_f64_e32 v[16:17], v[16:17], v[14:15]
	v_mov_b32_e32 v7, 0xfff00000
	v_fma_f64 v[14:15], -v[12:13], v[16:17], 1.0
	v_cndmask_b32_e32 v7, v7, v18, vcc
	v_fmac_f64_e32 v[16:17], v[16:17], v[14:15]
	v_div_scale_f64 v[14:15], vcc, v[4:5], v[10:11], v[4:5]
	v_mul_f64 v[18:19], v[14:15], v[16:17]
	v_fma_f64 v[12:13], -v[12:13], v[18:19], v[14:15]
	s_mov_b32 s10, 0xb5e68a13
	s_nop 0
	v_div_fmas_f64 v[12:13], v[12:13], v[16:17], v[18:19]
	v_div_fixup_f64 v[4:5], v[12:13], v[10:11], v[4:5]
	v_mul_f64 v[10:11], v[4:5], v[4:5]
	v_mov_b32_e32 v12, 0xbd3237f4
	v_mov_b32_e32 v13, 0xbf23e260
	s_mov_b32 s11, 0x3eeba404
	v_fmac_f64_e32 v[12:13], s[10:11], v[10:11]
	v_mov_b32_e32 v14, 0x69efb384
	v_mov_b32_e32 v15, 0x3f4b2bb0
	v_fmac_f64_e32 v[14:15], v[10:11], v[12:13]
	v_mov_b32_e32 v12, 0xaf56de9b
	v_mov_b32_e32 v13, 0xbf67952d
	;; [unrolled: 3-line block ×18, first 2 shown]
	v_fmac_f64_e32 v[12:13], v[10:11], v[14:15]
	v_mul_f64 v[10:11], v[10:11], v[12:13]
	v_fmac_f64_e32 v[4:5], v[4:5], v[10:11]
	v_mov_b32_e32 v10, 0x54442d18
	v_mov_b32_e32 v11, 0x7f3321d2
	v_cmp_gt_i32_e32 vcc, 0, v9
	v_cndmask_b32_e32 v12, v10, v11, vcc
	v_mov_b32_e32 v10, 0x3fe921fb
	v_mov_b32_e32 v11, 0x4002d97c
	s_brev_b32 s24, -2
	s_mov_b32 s10, 0x54442d18
	v_cndmask_b32_e32 v10, v10, v11, vcc
	v_xor_b32_e32 v11, 0x80000000, v1
	s_mov_b32 s11, 0x3ff921fb
	v_bfi_b32 v13, s24, v10, v11
	s_mov_b32 s24, 0x400921fb
	v_add_f64 v[10:11], -v[4:5], s[10:11]
	v_cndmask_b32_e64 v5, v5, v11, s[4:5]
	v_cndmask_b32_e64 v4, v4, v10, s[4:5]
	s_mov_b32 s11, s24
	v_ashrrev_i32_e32 v9, 31, v9
	v_add_f64 v[10:11], -v[4:5], s[10:11]
	v_and_b32_e32 v14, 0x54442d18, v9
	v_and_b32_e32 v9, 0x400921fb, v9
	v_cndmask_b32_e32 v4, v4, v10, vcc
	v_cndmask_b32_e32 v5, v5, v11, vcc
	v_cmp_eq_f64_e32 vcc, 0, v[0:1]
	v_cndmask_b32_e32 v5, v5, v9, vcc
	v_cndmask_b32_e32 v4, v4, v14, vcc
	s_and_b64 vcc, s[8:9], s[22:23]
	v_cndmask_b32_e32 v4, v4, v12, vcc
	v_cndmask_b32_e32 v5, v5, v13, vcc
	v_cndmask_b32_e64 v11, v8, v5, s[6:7]
	v_cndmask_b32_e64 v10, 0, v4, s[6:7]
.LBB55_82:
	s_or_b64 exec, exec, s[20:21]
                                        ; implicit-def: $vgpr4_vgpr5
                                        ; implicit-def: $vgpr8_vgpr9
.LBB55_83:
	s_andn2_saveexec_b64 s[10:11], s[18:19]
	s_cbranch_execz .LBB55_85
; %bb.84:
	s_mov_b32 s6, 0x8b145769
	s_mov_b32 s7, 0xc005bf0a
	v_div_scale_f64 v[6:7], s[8:9], s[6:7], s[6:7], v[2:3]
	v_rcp_f64_e32 v[10:11], v[6:7]
	s_movk_i32 s18, 0x204
	v_mov_b32_e32 v28, 0x7ff00000
	s_brev_b32 s19, -2
	v_fma_f64 v[12:13], -v[6:7], v[10:11], 1.0
	v_fmac_f64_e32 v[10:11], v[10:11], v[12:13]
	v_fma_f64 v[12:13], -v[6:7], v[10:11], 1.0
	v_fmac_f64_e32 v[10:11], v[10:11], v[12:13]
	v_div_scale_f64 v[12:13], vcc, v[2:3], s[6:7], v[2:3]
	v_mul_f64 v[14:15], v[12:13], v[10:11]
	v_fma_f64 v[6:7], -v[6:7], v[14:15], v[12:13]
	v_div_scale_f64 v[12:13], s[8:9], s[6:7], s[6:7], v[0:1]
	v_rcp_f64_e32 v[16:17], v[12:13]
	v_div_fmas_f64 v[6:7], v[6:7], v[10:11], v[14:15]
	v_div_fixup_f64 v[10:11], v[6:7], s[6:7], v[2:3]
	s_mov_b32 s20, 0x400921fb
	v_fma_f64 v[6:7], -v[12:13], v[16:17], 1.0
	v_fmac_f64_e32 v[16:17], v[16:17], v[6:7]
	v_fma_f64 v[6:7], -v[12:13], v[16:17], 1.0
	v_fmac_f64_e32 v[16:17], v[16:17], v[6:7]
	v_div_scale_f64 v[6:7], vcc, v[0:1], s[6:7], v[0:1]
	v_mul_f64 v[14:15], v[6:7], v[16:17]
	v_fma_f64 v[6:7], -v[12:13], v[14:15], v[6:7]
	s_nop 1
	v_div_fmas_f64 v[6:7], v[6:7], v[16:17], v[14:15]
	v_div_fixup_f64 v[12:13], v[6:7], s[6:7], v[0:1]
	v_max_f64 v[6:7], |v[10:11]|, |v[12:13]|
	v_frexp_exp_i32_f64_e32 v8, v[6:7]
	v_sub_u32_e32 v14, 0, v8
	v_ldexp_f64 v[6:7], |v[10:11]|, v14
	v_ldexp_f64 v[14:15], |v[12:13]|, v14
	v_mul_f64 v[14:15], v[14:15], v[14:15]
	v_fmac_f64_e32 v[14:15], v[6:7], v[6:7]
	v_rsq_f64_e32 v[6:7], v[14:15]
	v_cmp_eq_f64_e32 vcc, 0, v[14:15]
	v_cmp_class_f64_e64 s[6:7], v[10:11], s18
	v_cmp_class_f64_e64 s[8:9], v[12:13], s18
	v_mul_f64 v[16:17], v[14:15], v[6:7]
	v_mul_f64 v[6:7], v[6:7], 0.5
	v_fma_f64 v[18:19], -v[6:7], v[16:17], 0.5
	v_fmac_f64_e32 v[16:17], v[16:17], v[18:19]
	v_fmac_f64_e32 v[6:7], v[6:7], v[18:19]
	v_fma_f64 v[18:19], -v[16:17], v[16:17], v[14:15]
	v_fmac_f64_e32 v[16:17], v[18:19], v[6:7]
	v_cndmask_b32_e32 v7, v17, v15, vcc
	v_cndmask_b32_e32 v6, v16, v14, vcc
	v_ldexp_f64 v[6:7], v[6:7], v8
	v_cmp_o_f64_e32 vcc, v[10:11], v[12:13]
	v_mov_b32_e32 v8, 0x7ff80000
	v_cndmask_b32_e32 v26, 0, v6, vcc
	v_cndmask_b32_e32 v27, v8, v7, vcc
	s_or_b64 s[6:7], s[8:9], s[6:7]
	v_cndmask_b32_e64 v11, v27, v28, s[6:7]
	v_cndmask_b32_e64 v10, v26, 0, s[6:7]
	s_mov_b32 s8, 0x55555555
	v_frexp_mant_f64_e32 v[12:13], v[10:11]
	s_mov_b32 s9, 0x3fe55555
	v_mov_b32_e32 v15, 0x3ff00000
	v_cmp_gt_f64_e64 s[8:9], s[8:9], v[12:13]
	v_mov_b32_e32 v14, 0
	v_cndmask_b32_e64 v15, v15, 2.0, s[8:9]
	v_mul_f64 v[12:13], v[12:13], v[14:15]
	v_frexp_exp_i32_f64_e32 v16, v[10:11]
	v_add_f64 v[14:15], v[12:13], 1.0
	v_subbrev_co_u32_e64 v29, s[8:9], 0, v16, s[8:9]
	v_rcp_f64_e32 v[16:17], v[14:15]
	v_add_f64 v[20:21], v[14:15], -1.0
	v_add_f64 v[18:19], v[12:13], -1.0
	v_add_f64 v[12:13], v[12:13], -v[20:21]
	v_fma_f64 v[20:21], -v[14:15], v[16:17], 1.0
	v_fmac_f64_e32 v[16:17], v[20:21], v[16:17]
	v_fma_f64 v[20:21], -v[14:15], v[16:17], 1.0
	v_fmac_f64_e32 v[16:17], v[20:21], v[16:17]
	v_mul_f64 v[20:21], v[18:19], v[16:17]
	v_mul_f64 v[22:23], v[14:15], v[20:21]
	v_fma_f64 v[14:15], v[20:21], v[14:15], -v[22:23]
	v_fmac_f64_e32 v[14:15], v[20:21], v[12:13]
	v_add_f64 v[12:13], v[22:23], v[14:15]
	v_add_f64 v[24:25], v[18:19], -v[12:13]
	v_add_f64 v[22:23], v[12:13], -v[22:23]
	;; [unrolled: 1-line block ×5, first 2 shown]
	v_add_f64 v[12:13], v[14:15], v[12:13]
	v_add_f64 v[12:13], v[24:25], v[12:13]
	v_mul_f64 v[12:13], v[16:17], v[12:13]
	v_add_f64 v[14:15], v[20:21], v[12:13]
	v_add_f64 v[16:17], v[14:15], -v[20:21]
	s_mov_b32 s8, 0xbf559e2b
	v_add_f64 v[12:13], v[12:13], -v[16:17]
	v_mul_f64 v[16:17], v[14:15], v[14:15]
	v_mov_b32_e32 v18, 0x6b47b09a
	v_mov_b32_e32 v19, 0x3fc38538
	s_mov_b32 s9, 0x3fc3ab76
	v_fmac_f64_e32 v[18:19], s[8:9], v[16:17]
	v_mov_b32_e32 v20, 0xd7f4df2e
	v_mov_b32_e32 v21, 0x3fc7474d
	v_fmac_f64_e32 v[20:21], v[16:17], v[18:19]
	v_mov_b32_e32 v18, 0x16291751
	v_mov_b32_e32 v19, 0x3fcc71c0
	;; [unrolled: 3-line block ×5, first 2 shown]
	v_fmac_f64_e32 v[20:21], v[16:17], v[18:19]
	v_ldexp_f64 v[18:19], v[14:15], 1
	v_mul_f64 v[14:15], v[14:15], v[16:17]
	v_mul_f64 v[14:15], v[14:15], v[20:21]
	v_add_f64 v[16:17], v[18:19], v[14:15]
	v_add_f64 v[18:19], v[16:17], -v[18:19]
	v_ldexp_f64 v[12:13], v[12:13], 1
	v_add_f64 v[14:15], v[14:15], -v[18:19]
	v_add_f64 v[12:13], v[12:13], v[14:15]
	v_add_f64 v[14:15], v[16:17], v[12:13]
	v_add_f64 v[16:17], v[14:15], -v[16:17]
	s_mov_b32 s8, 0xfefa39ef
	v_add_f64 v[12:13], v[12:13], -v[16:17]
	v_cvt_f64_i32_e32 v[16:17], v29
	s_mov_b32 s9, 0x3fe62e42
	v_mul_f64 v[18:19], v[16:17], s[8:9]
	v_fma_f64 v[20:21], v[16:17], s[8:9], -v[18:19]
	s_mov_b32 s8, 0x3b39803f
	s_mov_b32 s9, 0x3c7abc9e
	v_fmac_f64_e32 v[20:21], s[8:9], v[16:17]
	v_add_f64 v[16:17], v[18:19], v[20:21]
	v_add_f64 v[18:19], v[16:17], -v[18:19]
	v_add_f64 v[18:19], v[20:21], -v[18:19]
	v_add_f64 v[20:21], v[16:17], v[14:15]
	v_add_f64 v[22:23], v[20:21], -v[16:17]
	v_add_f64 v[24:25], v[20:21], -v[22:23]
	;; [unrolled: 1-line block ×4, first 2 shown]
	v_add_f64 v[14:15], v[14:15], v[16:17]
	v_add_f64 v[16:17], v[18:19], v[12:13]
	v_add_f64 v[22:23], v[16:17], -v[18:19]
	v_add_f64 v[24:25], v[16:17], -v[22:23]
	v_add_f64 v[14:15], v[16:17], v[14:15]
	v_add_f64 v[18:19], v[18:19], -v[24:25]
	v_add_f64 v[12:13], v[12:13], -v[22:23]
	v_add_f64 v[16:17], v[20:21], v[14:15]
	v_add_f64 v[12:13], v[12:13], v[18:19]
	v_add_f64 v[18:19], v[16:17], -v[20:21]
	s_mov_b32 s8, 0
	v_add_f64 v[14:15], v[14:15], -v[18:19]
	v_and_b32_e32 v7, 0x7fffffff, v7
	s_mov_b32 s9, 0x7ff00000
	v_add_f64 v[12:13], v[12:13], v[14:15]
	v_cmp_eq_f64_e64 s[8:9], s[8:9], v[6:7]
	v_add_f64 v[12:13], v[16:17], v[12:13]
	s_and_b64 vcc, vcc, s[8:9]
	v_cndmask_b32_e32 v7, v13, v27, vcc
	v_cndmask_b32_e32 v6, v12, v26, vcc
	v_max_f64 v[12:13], -v[2:3], -v[2:3]
	v_add_f64 v[6:7], v[6:7], 1.0
	s_waitcnt lgkmcnt(0)
	v_max_f64 v[14:15], v[12:13], v[4:5]
	v_min_f64 v[4:5], v[12:13], v[4:5]
	v_cndmask_b32_e64 v6, v6, 0, s[6:7]
	v_cndmask_b32_e64 v7, v7, v28, s[6:7]
	v_div_scale_f64 v[12:13], s[6:7], v[14:15], v[14:15], v[4:5]
	v_rcp_f64_e32 v[16:17], v[12:13]
	v_cmp_ngt_f64_e32 vcc, 0, v[10:11]
	v_cndmask_b32_e32 v7, v8, v7, vcc
	v_cmp_nge_f64_e32 vcc, 0, v[10:11]
	v_cndmask_b32_e32 v6, 0, v6, vcc
	v_cmp_neq_f64_e32 vcc, 0, v[10:11]
	v_fma_f64 v[10:11], -v[12:13], v[16:17], 1.0
	v_fmac_f64_e32 v[16:17], v[16:17], v[10:11]
	v_mov_b32_e32 v18, 0xfff00000
	v_fma_f64 v[10:11], -v[12:13], v[16:17], 1.0
	v_cndmask_b32_e32 v7, v18, v7, vcc
	v_fmac_f64_e32 v[16:17], v[16:17], v[10:11]
	v_div_scale_f64 v[10:11], vcc, v[4:5], v[14:15], v[4:5]
	v_mul_f64 v[18:19], v[10:11], v[16:17]
	v_fma_f64 v[10:11], -v[12:13], v[18:19], v[10:11]
	s_mov_b32 s6, 0xb5e68a13
	s_nop 0
	v_div_fmas_f64 v[10:11], v[10:11], v[16:17], v[18:19]
	v_div_fixup_f64 v[4:5], v[10:11], v[14:15], v[4:5]
	v_mul_f64 v[10:11], v[4:5], v[4:5]
	v_mov_b32_e32 v12, 0xbd3237f4
	v_mov_b32_e32 v13, 0xbf23e260
	s_mov_b32 s7, 0x3eeba404
	v_fmac_f64_e32 v[12:13], s[6:7], v[10:11]
	v_mov_b32_e32 v14, 0x69efb384
	v_mov_b32_e32 v15, 0x3f4b2bb0
	v_fmac_f64_e32 v[14:15], v[10:11], v[12:13]
	v_mov_b32_e32 v12, 0xaf56de9b
	v_mov_b32_e32 v13, 0xbf67952d
	;; [unrolled: 3-line block ×18, first 2 shown]
	v_fmac_f64_e32 v[12:13], v[10:11], v[14:15]
	s_mov_b32 s6, 0
	v_mul_f64 v[10:11], v[10:11], v[12:13]
	s_mov_b32 s7, 0xfff00000
	v_fmac_f64_e32 v[4:5], v[4:5], v[10:11]
	v_cmp_eq_f64_e32 vcc, s[6:7], v[2:3]
	v_mov_b32_e32 v10, 0x54442d18
	v_mov_b32_e32 v11, 0x7f3321d2
	v_cmp_gt_i32_e64 s[6:7], 0, v9
	v_cndmask_b32_e64 v12, v10, v11, s[6:7]
	v_mov_b32_e32 v10, 0x3fe921fb
	v_mov_b32_e32 v11, 0x4002d97c
	v_cndmask_b32_e64 v10, v10, v11, s[6:7]
	v_xor_b32_e32 v11, 0x80000000, v1
	v_cmp_class_f64_e64 s[8:9], v[0:1], s18
	s_mov_b32 s18, 0x54442d18
	v_bfi_b32 v13, s19, v10, v11
	s_mov_b32 s19, 0x3ff921fb
	v_add_f64 v[10:11], -v[4:5], s[18:19]
	v_cndmask_b32_e64 v5, v5, v11, s[4:5]
	v_cndmask_b32_e64 v4, v4, v10, s[4:5]
	s_mov_b32 s19, s20
	v_ashrrev_i32_e32 v9, 31, v9
	v_add_f64 v[10:11], -v[4:5], s[18:19]
	v_and_b32_e32 v14, 0x54442d18, v9
	v_and_b32_e32 v9, 0x400921fb, v9
	v_cndmask_b32_e64 v4, v4, v10, s[6:7]
	v_cndmask_b32_e64 v5, v5, v11, s[6:7]
	v_cmp_eq_f64_e64 s[4:5], 0, v[0:1]
	v_cndmask_b32_e64 v5, v5, v9, s[4:5]
	v_cndmask_b32_e64 v4, v4, v14, s[4:5]
	s_and_b64 vcc, vcc, s[8:9]
	v_cndmask_b32_e32 v4, v4, v12, vcc
	v_cndmask_b32_e32 v5, v5, v13, vcc
	v_cmp_o_f64_e32 vcc, v[2:3], v[0:1]
	v_cndmask_b32_e32 v11, v8, v5, vcc
	v_cndmask_b32_e32 v10, 0, v4, vcc
.LBB55_85:
	s_or_b64 exec, exec, s[10:11]
	v_xor_b32_e32 v0, 0x80000000, v1
	s_brev_b32 s4, -2
	v_bfi_b32 v11, s4, v11, v0
.LBB55_86:
	s_or_b64 exec, exec, s[16:17]
	s_mov_b32 s4, 0xfefa39ef
	s_mov_b32 s5, 0x3fe62e42
	s_waitcnt lgkmcnt(0)
	v_add_f64 v[4:5], v[6:7], s[4:5]
	s_brev_b32 s4, -2
	v_bfi_b32 v5, s4, v5, v3
	v_bfi_b32 v11, s4, v11, v1
	v_pk_mov_b32 v[0:1], v[10:11], v[10:11] op_sel:[0,1]
	v_pk_mov_b32 v[2:3], v[4:5], v[4:5] op_sel:[0,1]
.LBB55_87:
	s_or_b64 exec, exec, s[14:15]
	s_andn2_saveexec_b64 s[4:5], s[12:13]
	s_cbranch_execz .LBB55_2
.LBB55_88:
	s_mov_b32 s8, 0
	s_mov_b32 s9, 0x7ff00000
	v_cmp_neq_f64_e64 s[6:7], |v[2:3]|, s[8:9]
                                        ; implicit-def: $vgpr4_vgpr5
                                        ; implicit-def: $vgpr6_vgpr7
	s_and_saveexec_b64 s[10:11], s[6:7]
	s_xor_b64 s[6:7], exec, s[10:11]
	s_cbranch_execz .LBB55_98
; %bb.89:
	v_cmp_neq_f64_e64 s[8:9], |v[0:1]|, s[8:9]
                                        ; implicit-def: $vgpr4_vgpr5
                                        ; implicit-def: $vgpr6_vgpr7
	s_and_saveexec_b64 s[10:11], s[8:9]
	s_xor_b64 s[8:9], exec, s[10:11]
	s_cbranch_execz .LBB55_95
; %bb.90:
	v_cmp_neq_f64_e32 vcc, 0, v[0:1]
                                        ; implicit-def: $vgpr4_vgpr5
	s_and_saveexec_b64 s[10:11], vcc
	s_xor_b64 s[10:11], exec, s[10:11]
	s_cbranch_execz .LBB55_92
; %bb.91:
	v_add_f64 v[2:3], v[2:3], 0
	s_waitcnt lgkmcnt(0)
	v_add_f64 v[4:5], v[2:3], v[0:1]
                                        ; implicit-def: $vgpr2_vgpr3
                                        ; implicit-def: $vgpr0_vgpr1
.LBB55_92:
	s_or_saveexec_b64 s[10:11], s[10:11]
	s_waitcnt lgkmcnt(0)
	v_pk_mov_b32 v[6:7], v[4:5], v[4:5] op_sel:[0,1]
	s_xor_b64 exec, exec, s[10:11]
; %bb.93:
	v_add_f64 v[6:7], v[2:3], v[2:3]
	v_pk_mov_b32 v[4:5], v[0:1], v[0:1] op_sel:[0,1]
; %bb.94:
	s_or_b64 exec, exec, s[10:11]
                                        ; implicit-def: $vgpr2_vgpr3
                                        ; implicit-def: $vgpr0_vgpr1
.LBB55_95:
	s_andn2_saveexec_b64 s[8:9], s[8:9]
	s_cbranch_execz .LBB55_97
; %bb.96:
	s_waitcnt lgkmcnt(0)
	v_add_f64 v[4:5], v[2:3], v[2:3]
	v_pk_mov_b32 v[6:7], v[0:1], v[0:1] op_sel:[0,1]
.LBB55_97:
	s_or_b64 exec, exec, s[8:9]
                                        ; implicit-def: $vgpr0_vgpr1
                                        ; implicit-def: $vgpr2_vgpr3
.LBB55_98:
	s_andn2_saveexec_b64 s[6:7], s[6:7]
	s_cbranch_execz .LBB55_100
; %bb.99:
	s_waitcnt lgkmcnt(0)
	v_add_f64 v[4:5], v[0:1], v[0:1]
	v_pk_mov_b32 v[6:7], v[2:3], v[2:3] op_sel:[0,1]
.LBB55_100:
	s_or_b64 exec, exec, s[6:7]
	v_pk_mov_b32 v[2:3], v[6:7], v[6:7] op_sel:[0,1]
	s_waitcnt lgkmcnt(0)
	v_pk_mov_b32 v[0:1], v[4:5], v[4:5] op_sel:[0,1]
	s_or_b64 exec, exec, s[4:5]
	s_setpc_b64 s[30:31]
.Lfunc_end55:
	.size	_ZNK2at6native4AsinIN3c107complexIdEEEclES4_, .Lfunc_end55-_ZNK2at6native4AsinIN3c107complexIdEEEclES4_
                                        ; -- End function
	.section	.AMDGPU.csdata,"",@progbits
; Function info:
; codeLenInByte = 18692
; NumSgprs: 37
; NumVgprs: 39
; NumAgprs: 0
; TotalNumVgprs: 39
; ScratchSize: 12
; MemoryBound: 0
	.section	.text._ZN2at6native12_GLOBAL__N_125multi_tensor_apply_kernelINS1_18TensorListMetadataILi2EEENS1_14UnaryOpFunctorIN3c107complexIdEELi2ELi1ELi1EEEJNS0_4AsinIS8_EEEEEvT_T0_DpT1_,"axG",@progbits,_ZN2at6native12_GLOBAL__N_125multi_tensor_apply_kernelINS1_18TensorListMetadataILi2EEENS1_14UnaryOpFunctorIN3c107complexIdEELi2ELi1ELi1EEEJNS0_4AsinIS8_EEEEEvT_T0_DpT1_,comdat
	.globl	_ZN2at6native12_GLOBAL__N_125multi_tensor_apply_kernelINS1_18TensorListMetadataILi2EEENS1_14UnaryOpFunctorIN3c107complexIdEELi2ELi1ELi1EEEJNS0_4AsinIS8_EEEEEvT_T0_DpT1_ ; -- Begin function _ZN2at6native12_GLOBAL__N_125multi_tensor_apply_kernelINS1_18TensorListMetadataILi2EEENS1_14UnaryOpFunctorIN3c107complexIdEELi2ELi1ELi1EEEJNS0_4AsinIS8_EEEEEvT_T0_DpT1_
	.p2align	8
	.type	_ZN2at6native12_GLOBAL__N_125multi_tensor_apply_kernelINS1_18TensorListMetadataILi2EEENS1_14UnaryOpFunctorIN3c107complexIdEELi2ELi1ELi1EEEJNS0_4AsinIS8_EEEEEvT_T0_DpT1_,@function
_ZN2at6native12_GLOBAL__N_125multi_tensor_apply_kernelINS1_18TensorListMetadataILi2EEENS1_14UnaryOpFunctorIN3c107complexIdEELi2ELi1ELi1EEEJNS0_4AsinIS8_EEEEEvT_T0_DpT1_: ; @_ZN2at6native12_GLOBAL__N_125multi_tensor_apply_kernelINS1_18TensorListMetadataILi2EEENS1_14UnaryOpFunctorIN3c107complexIdEELi2ELi1ELi1EEEJNS0_4AsinIS8_EEEEEvT_T0_DpT1_
; %bb.0:
	v_mov_b32_e32 v60, v0
	v_mov_b32_e32 v0, s8
	global_load_ubyte v0, v0, s[4:5] offset:1536
	s_add_u32 flat_scratch_lo, s6, s9
	s_addc_u32 flat_scratch_hi, s7, 0
	s_add_u32 s0, s0, s9
	s_addc_u32 s1, s1, 0
	s_mov_b64 s[34:35], s[4:5]
	s_add_u32 s4, s34, s8
	s_mul_hi_u32 s7, s8, 3
	s_mul_i32 s8, s8, 3
	s_addc_u32 s10, s35, 0
	s_add_u32 s6, s4, s8
	s_addc_u32 s7, s10, s7
	s_load_dword s10, s[6:7], 0x740
	s_mov_b32 s5, 0
	s_mov_b32 s9, s5
	;; [unrolled: 1-line block ×4, first 2 shown]
	s_waitcnt lgkmcnt(0)
	s_ashr_i32 s11, s10, 31
	s_lshl_b64 s[42:43], s[10:11], 20
	s_waitcnt vmcnt(0)
	v_readfirstlane_b32 s4, v0
	s_lshl_b32 s4, s4, 3
	s_load_dwordx2 s[38:39], s[34:35], s4 offset:0x0
	s_load_dwordx2 s[12:13], s[34:35], s4 offset:0x400
	;; [unrolled: 1-line block ×3, first 2 shown]
	s_waitcnt lgkmcnt(0)
	s_add_u32 s29, s38, s42
	s_addc_u32 s6, s39, s43
	s_add_u32 s33, s36, s42
	s_addc_u32 s7, s37, s43
	s_and_b32 s8, s29, 63
	s_and_b32 s14, s12, 3
	;; [unrolled: 1-line block ×3, first 2 shown]
	s_or_b64 s[8:9], s[8:9], s[14:15]
	s_lshl_b64 s[10:11], s[10:11], 16
	s_or_b64 s[4:5], s[4:5], s[8:9]
	s_sub_u32 s44, s12, s10
	s_subb_u32 s45, s13, s11
	s_cmp_eq_u64 s[4:5], 0
	s_mov_b64 s[4:5], -1
	s_cbranch_scc0 .LBB56_5
; %bb.1:
	v_mov_b32_e32 v1, 0
	v_lshlrev_b32_e32 v0, 2, v60
	v_cmp_gt_i64_e32 vcc, s[44:45], v[0:1]
	s_and_saveexec_b64 s[40:41], vcc
	s_cbranch_execz .LBB56_4
; %bb.2:
	v_mov_b32_e32 v61, v1
	s_add_u32 s46, s34, 0xc50
	s_addc_u32 s47, s35, 0
	s_mov_b64 s[48:49], 0
	v_mov_b32_e32 v39, s6
	v_mov_b32_e32 v58, s7
	s_mov_b64 s[50:51], 0xffff
	v_pk_mov_b32 v[56:57], v[60:61], v[60:61] op_sel:[0,1]
.LBB56_3:                               ; =>This Inner Loop Header: Depth=1
	v_lshlrev_b64 v[62:63], 6, v[56:57]
	v_add_co_u32_e32 v4, vcc, s29, v62
	v_addc_co_u32_e32 v5, vcc, v39, v63, vcc
	global_load_dwordx4 v[0:3], v[4:5], off
	global_load_dwordx4 v[40:43], v[4:5], off offset:16
	global_load_dwordx4 v[44:47], v[4:5], off offset:48
	global_load_dwordx4 v[48:51], v[4:5], off offset:32
	s_getpc_b64 s[52:53]
	s_add_u32 s52, s52, _ZNK2at6native4AsinIN3c107complexIdEEEclES4_@rel32@lo+4
	s_addc_u32 s53, s53, _ZNK2at6native4AsinIN3c107complexIdEEEclES4_@rel32@hi+12
	s_swappc_b64 s[30:31], s[52:53]
	v_mov_b32_e32 v52, v0
	v_mov_b32_e32 v53, v1
	v_mov_b32_e32 v54, v2
	v_mov_b32_e32 v55, v3
	v_mov_b32_e32 v0, v40
	v_mov_b32_e32 v1, v41
	v_mov_b32_e32 v2, v42
	v_mov_b32_e32 v3, v43
	s_swappc_b64 s[30:31], s[52:53]
	v_mov_b32_e32 v40, v0
	v_mov_b32_e32 v41, v1
	v_mov_b32_e32 v42, v2
	v_mov_b32_e32 v43, v3
	v_mov_b32_e32 v0, v48
	v_mov_b32_e32 v1, v49
	v_mov_b32_e32 v2, v50
	v_mov_b32_e32 v3, v51
	;; [unrolled: 9-line block ×3, first 2 shown]
	s_swappc_b64 s[30:31], s[52:53]
	v_add_co_u32_e32 v4, vcc, s33, v62
	v_addc_co_u32_e32 v5, vcc, v58, v63, vcc
	global_store_dwordx4 v[4:5], v[52:55], off
	global_store_dwordx4 v[4:5], v[40:43], off offset:16
	global_store_dwordx4 v[4:5], v[48:51], off offset:32
	;; [unrolled: 1-line block ×3, first 2 shown]
	s_load_dword s4, s[46:47], 0xc
	s_waitcnt lgkmcnt(0)
	s_and_b32 s4, s4, 0xffff
	v_add_co_u32_e32 v56, vcc, s4, v56
	v_addc_co_u32_e32 v57, vcc, 0, v57, vcc
	v_lshlrev_b64 v[0:1], 2, v[56:57]
	v_cmp_le_i64_e32 vcc, s[44:45], v[0:1]
	v_cmp_lt_u64_e64 s[4:5], s[50:51], v[0:1]
	s_or_b64 s[4:5], vcc, s[4:5]
	s_and_b64 s[4:5], exec, s[4:5]
	s_or_b64 s[48:49], s[4:5], s[48:49]
	s_andn2_b64 exec, exec, s[48:49]
	s_cbranch_execnz .LBB56_3
.LBB56_4:
	s_or_b64 exec, exec, s[40:41]
	s_mov_b64 s[4:5], 0
.LBB56_5:
	s_andn2_b64 vcc, exec, s[4:5]
	s_cbranch_vccnz .LBB56_25
; %bb.6:
	v_cmp_lt_i64_e64 s[4:5], s[44:45], 1
	s_and_b64 vcc, exec, s[4:5]
	s_cbranch_vccnz .LBB56_25
; %bb.7:
	s_load_dword s4, s[34:35], 0xc5c
	v_mov_b32_e32 v0, 0x10000
	v_mov_b32_e32 v1, 0
	v_cmp_lt_u64_e32 vcc, s[44:45], v[0:1]
	v_lshl_or_b32 v0, v60, 4, 8
	s_waitcnt lgkmcnt(0)
	s_and_b32 s33, s4, 0xffff
	s_and_b64 s[4:5], vcc, exec
	v_mov_b32_e32 v4, s39
	v_add_co_u32_e32 v62, vcc, s38, v0
	v_addc_co_u32_e32 v63, vcc, 0, v4, vcc
	v_mov_b32_e32 v5, s37
	v_add_co_u32_e32 v64, vcc, s36, v0
	v_mov_b32_e32 v61, 0
	v_addc_co_u32_e32 v65, vcc, 0, v5, vcc
	v_add_lshl_u32 v6, v60, s33, 4
	v_mov_b32_e32 v1, v61
	v_add_co_u32_e32 v66, vcc, s36, v6
	v_addc_co_u32_e32 v67, vcc, 0, v5, vcc
	v_mad_u64_u32 v[2:3], s[4:5], s33, 48, v[0:1]
	v_add_co_u32_e32 v68, vcc, s38, v2
	v_addc_co_u32_e32 v69, vcc, v4, v3, vcc
	v_add_co_u32_e32 v70, vcc, s38, v6
	v_addc_co_u32_e32 v71, vcc, 0, v4, vcc
	v_add_co_u32_e32 v72, vcc, s36, v2
	s_cselect_b32 s47, s45, 0
	s_cselect_b32 s46, s44, 0x10000
	v_addc_co_u32_e32 v73, vcc, v5, v3, vcc
	s_lshl_b32 s4, s33, 5
	v_add_co_u32_e32 v0, vcc, s4, v0
	v_addc_co_u32_e64 v1, s[4:5], 0, 0, vcc
	v_add_co_u32_e32 v74, vcc, s38, v0
	s_mov_b32 s29, 0
	v_addc_co_u32_e32 v75, vcc, v4, v1, vcc
	s_lshl_b32 s48, s33, 2
	s_mov_b32 s49, s29
	v_add_co_u32_e32 v76, vcc, s36, v0
	s_lshl_b32 s52, s33, 1
	s_mov_b32 s53, s29
	s_mul_i32 s54, s33, 3
	s_mov_b32 s55, s29
	s_lshl_b32 s56, s33, 6
	s_mov_b32 s57, s29
	v_addc_co_u32_e32 v77, vcc, v5, v1, vcc
	s_mov_b64 s[50:51], s[48:49]
	s_branch .LBB56_9
.LBB56_8:                               ;   in Loop: Header=BB56_9 Depth=1
	s_or_b64 exec, exec, s[4:5]
	v_pk_mov_b32 v[0:1], s[44:45], s[44:45] op_sel:[0,1]
	v_cmp_ge_i64_e32 vcc, s[50:51], v[0:1]
	v_mov_b32_e32 v0, 0xffff
	v_mov_b32_e32 v1, 0
	v_cmp_gt_u64_e64 s[4:5], s[50:51], v[0:1]
	s_or_b64 s[4:5], vcc, s[4:5]
	v_mov_b32_e32 v0, s49
	v_add_co_u32_e32 v60, vcc, s48, v60
	v_addc_co_u32_e32 v61, vcc, v61, v0, vcc
	v_mov_b32_e32 v0, s57
	v_add_co_u32_e32 v62, vcc, s56, v62
	v_addc_co_u32_e32 v63, vcc, v63, v0, vcc
	v_add_co_u32_e32 v64, vcc, s56, v64
	v_addc_co_u32_e32 v65, vcc, v65, v0, vcc
	;; [unrolled: 2-line block ×7, first 2 shown]
	v_add_co_u32_e32 v76, vcc, s56, v76
	s_add_u32 s50, s50, s48
	v_addc_co_u32_e32 v77, vcc, v77, v0, vcc
	s_addc_u32 s51, s51, 0
	s_and_b64 vcc, exec, s[4:5]
	s_cbranch_vccnz .LBB56_25
.LBB56_9:                               ; =>This Inner Loop Header: Depth=1
	v_pk_mov_b32 v[42:43], 0, 0
	v_cmp_gt_u64_e64 s[34:35], s[46:47], v[60:61]
	v_pk_mov_b32 v[2:3], v[42:43], v[42:43] op_sel:[0,1]
	v_pk_mov_b32 v[0:1], v[42:43], v[42:43] op_sel:[0,1]
	s_and_saveexec_b64 s[4:5], s[34:35]
	s_cbranch_execz .LBB56_11
; %bb.10:                               ;   in Loop: Header=BB56_9 Depth=1
	v_mov_b32_e32 v1, s43
	v_add_co_u32_e32 v0, vcc, s42, v62
	v_addc_co_u32_e32 v1, vcc, v63, v1, vcc
	global_load_dwordx4 v[0:3], v[0:1], off offset:-8
.LBB56_11:                              ;   in Loop: Header=BB56_9 Depth=1
	s_or_b64 exec, exec, s[4:5]
	v_mov_b32_e32 v5, s29
	v_add_co_u32_e32 v4, vcc, s33, v60
	v_addc_co_u32_e32 v5, vcc, v5, v61, vcc
	v_cmp_gt_u64_e64 s[36:37], s[46:47], v[4:5]
	v_pk_mov_b32 v[40:41], v[42:43], v[42:43] op_sel:[0,1]
	s_and_saveexec_b64 s[4:5], s[36:37]
	s_cbranch_execz .LBB56_13
; %bb.12:                               ;   in Loop: Header=BB56_9 Depth=1
	v_mov_b32_e32 v5, s43
	v_add_co_u32_e32 v4, vcc, s42, v70
	v_addc_co_u32_e32 v5, vcc, v71, v5, vcc
	global_load_dwordx4 v[40:43], v[4:5], off
.LBB56_13:                              ;   in Loop: Header=BB56_9 Depth=1
	s_or_b64 exec, exec, s[4:5]
	v_mov_b32_e32 v5, s53
	v_add_co_u32_e32 v4, vcc, s52, v60
	v_addc_co_u32_e32 v5, vcc, v5, v61, vcc
	v_pk_mov_b32 v[46:47], 0, 0
	v_cmp_gt_u64_e64 s[38:39], s[46:47], v[4:5]
	v_pk_mov_b32 v[50:51], v[46:47], v[46:47] op_sel:[0,1]
	v_pk_mov_b32 v[48:49], v[46:47], v[46:47] op_sel:[0,1]
	s_and_saveexec_b64 s[4:5], s[38:39]
	s_cbranch_execz .LBB56_15
; %bb.14:                               ;   in Loop: Header=BB56_9 Depth=1
	v_mov_b32_e32 v5, s43
	v_add_co_u32_e32 v4, vcc, s42, v74
	v_addc_co_u32_e32 v5, vcc, v75, v5, vcc
	global_load_dwordx4 v[48:51], v[4:5], off offset:-8
.LBB56_15:                              ;   in Loop: Header=BB56_9 Depth=1
	s_or_b64 exec, exec, s[4:5]
	v_mov_b32_e32 v5, s55
	v_add_co_u32_e32 v4, vcc, s54, v60
	v_addc_co_u32_e32 v5, vcc, v5, v61, vcc
	v_cmp_gt_u64_e64 s[40:41], s[46:47], v[4:5]
	v_pk_mov_b32 v[44:45], v[46:47], v[46:47] op_sel:[0,1]
	s_and_saveexec_b64 s[4:5], s[40:41]
	s_cbranch_execz .LBB56_17
; %bb.16:                               ;   in Loop: Header=BB56_9 Depth=1
	v_mov_b32_e32 v5, s43
	v_add_co_u32_e32 v4, vcc, s42, v68
	v_addc_co_u32_e32 v5, vcc, v69, v5, vcc
	global_load_dwordx4 v[44:47], v[4:5], off offset:-8
.LBB56_17:                              ;   in Loop: Header=BB56_9 Depth=1
	s_or_b64 exec, exec, s[4:5]
	s_getpc_b64 s[58:59]
	s_add_u32 s58, s58, _ZNK2at6native4AsinIN3c107complexIdEEEclES4_@rel32@lo+4
	s_addc_u32 s59, s59, _ZNK2at6native4AsinIN3c107complexIdEEEclES4_@rel32@hi+12
	s_swappc_b64 s[30:31], s[58:59]
	v_mov_b32_e32 v56, v0
	v_mov_b32_e32 v57, v1
	v_mov_b32_e32 v58, v2
	v_mov_b32_e32 v59, v3
	v_mov_b32_e32 v0, v40
	v_mov_b32_e32 v1, v41
	v_mov_b32_e32 v2, v42
	v_mov_b32_e32 v3, v43
	s_swappc_b64 s[30:31], s[58:59]
	v_mov_b32_e32 v52, v0
	v_mov_b32_e32 v53, v1
	v_mov_b32_e32 v54, v2
	v_mov_b32_e32 v55, v3
	v_mov_b32_e32 v0, v48
	v_mov_b32_e32 v1, v49
	v_mov_b32_e32 v2, v50
	v_mov_b32_e32 v3, v51
	;; [unrolled: 9-line block ×3, first 2 shown]
	s_swappc_b64 s[30:31], s[58:59]
	s_and_saveexec_b64 s[4:5], s[34:35]
	s_cbranch_execnz .LBB56_21
; %bb.18:                               ;   in Loop: Header=BB56_9 Depth=1
	s_or_b64 exec, exec, s[4:5]
	s_and_saveexec_b64 s[4:5], s[36:37]
	s_cbranch_execnz .LBB56_22
.LBB56_19:                              ;   in Loop: Header=BB56_9 Depth=1
	s_or_b64 exec, exec, s[4:5]
	s_and_saveexec_b64 s[4:5], s[38:39]
	s_cbranch_execnz .LBB56_23
.LBB56_20:                              ;   in Loop: Header=BB56_9 Depth=1
	s_or_b64 exec, exec, s[4:5]
	s_and_saveexec_b64 s[4:5], s[40:41]
	s_cbranch_execz .LBB56_8
	s_branch .LBB56_24
.LBB56_21:                              ;   in Loop: Header=BB56_9 Depth=1
	v_mov_b32_e32 v5, s43
	v_add_co_u32_e32 v4, vcc, s42, v64
	v_addc_co_u32_e32 v5, vcc, v65, v5, vcc
	global_store_dwordx4 v[4:5], v[56:59], off offset:-8
	s_or_b64 exec, exec, s[4:5]
	s_and_saveexec_b64 s[4:5], s[36:37]
	s_cbranch_execz .LBB56_19
.LBB56_22:                              ;   in Loop: Header=BB56_9 Depth=1
	v_mov_b32_e32 v5, s43
	v_add_co_u32_e32 v4, vcc, s42, v66
	v_addc_co_u32_e32 v5, vcc, v67, v5, vcc
	global_store_dwordx4 v[4:5], v[52:55], off
	s_or_b64 exec, exec, s[4:5]
	s_and_saveexec_b64 s[4:5], s[38:39]
	s_cbranch_execz .LBB56_20
.LBB56_23:                              ;   in Loop: Header=BB56_9 Depth=1
	v_mov_b32_e32 v5, s43
	v_add_co_u32_e32 v4, vcc, s42, v76
	v_addc_co_u32_e32 v5, vcc, v77, v5, vcc
	global_store_dwordx4 v[4:5], v[40:43], off offset:-8
	s_or_b64 exec, exec, s[4:5]
	s_and_saveexec_b64 s[4:5], s[40:41]
	s_cbranch_execz .LBB56_8
.LBB56_24:                              ;   in Loop: Header=BB56_9 Depth=1
	v_mov_b32_e32 v5, s43
	v_add_co_u32_e32 v4, vcc, s42, v72
	v_addc_co_u32_e32 v5, vcc, v73, v5, vcc
	global_store_dwordx4 v[4:5], v[0:3], off offset:-8
	s_branch .LBB56_8
.LBB56_25:
	s_endpgm
	.section	.rodata,"a",@progbits
	.p2align	6, 0x0
	.amdhsa_kernel _ZN2at6native12_GLOBAL__N_125multi_tensor_apply_kernelINS1_18TensorListMetadataILi2EEENS1_14UnaryOpFunctorIN3c107complexIdEELi2ELi1ELi1EEEJNS0_4AsinIS8_EEEEEvT_T0_DpT1_
		.amdhsa_group_segment_fixed_size 0
		.amdhsa_private_segment_fixed_size 12
		.amdhsa_kernarg_size 3408
		.amdhsa_user_sgpr_count 8
		.amdhsa_user_sgpr_private_segment_buffer 1
		.amdhsa_user_sgpr_dispatch_ptr 0
		.amdhsa_user_sgpr_queue_ptr 0
		.amdhsa_user_sgpr_kernarg_segment_ptr 1
		.amdhsa_user_sgpr_dispatch_id 0
		.amdhsa_user_sgpr_flat_scratch_init 1
		.amdhsa_user_sgpr_kernarg_preload_length 0
		.amdhsa_user_sgpr_kernarg_preload_offset 0
		.amdhsa_user_sgpr_private_segment_size 0
		.amdhsa_uses_dynamic_stack 0
		.amdhsa_system_sgpr_private_segment_wavefront_offset 1
		.amdhsa_system_sgpr_workgroup_id_x 1
		.amdhsa_system_sgpr_workgroup_id_y 0
		.amdhsa_system_sgpr_workgroup_id_z 0
		.amdhsa_system_sgpr_workgroup_info 0
		.amdhsa_system_vgpr_workitem_id 0
		.amdhsa_next_free_vgpr 78
		.amdhsa_next_free_sgpr 60
		.amdhsa_accum_offset 80
		.amdhsa_reserve_vcc 1
		.amdhsa_reserve_flat_scratch 1
		.amdhsa_float_round_mode_32 0
		.amdhsa_float_round_mode_16_64 0
		.amdhsa_float_denorm_mode_32 3
		.amdhsa_float_denorm_mode_16_64 3
		.amdhsa_dx10_clamp 1
		.amdhsa_ieee_mode 1
		.amdhsa_fp16_overflow 0
		.amdhsa_tg_split 0
		.amdhsa_exception_fp_ieee_invalid_op 0
		.amdhsa_exception_fp_denorm_src 0
		.amdhsa_exception_fp_ieee_div_zero 0
		.amdhsa_exception_fp_ieee_overflow 0
		.amdhsa_exception_fp_ieee_underflow 0
		.amdhsa_exception_fp_ieee_inexact 0
		.amdhsa_exception_int_div_zero 0
	.end_amdhsa_kernel
	.section	.text._ZN2at6native12_GLOBAL__N_125multi_tensor_apply_kernelINS1_18TensorListMetadataILi2EEENS1_14UnaryOpFunctorIN3c107complexIdEELi2ELi1ELi1EEEJNS0_4AsinIS8_EEEEEvT_T0_DpT1_,"axG",@progbits,_ZN2at6native12_GLOBAL__N_125multi_tensor_apply_kernelINS1_18TensorListMetadataILi2EEENS1_14UnaryOpFunctorIN3c107complexIdEELi2ELi1ELi1EEEJNS0_4AsinIS8_EEEEEvT_T0_DpT1_,comdat
.Lfunc_end56:
	.size	_ZN2at6native12_GLOBAL__N_125multi_tensor_apply_kernelINS1_18TensorListMetadataILi2EEENS1_14UnaryOpFunctorIN3c107complexIdEELi2ELi1ELi1EEEJNS0_4AsinIS8_EEEEEvT_T0_DpT1_, .Lfunc_end56-_ZN2at6native12_GLOBAL__N_125multi_tensor_apply_kernelINS1_18TensorListMetadataILi2EEENS1_14UnaryOpFunctorIN3c107complexIdEELi2ELi1ELi1EEEJNS0_4AsinIS8_EEEEEvT_T0_DpT1_
                                        ; -- End function
	.section	.AMDGPU.csdata,"",@progbits
; Kernel info:
; codeLenInByte = 1496
; NumSgprs: 66
; NumVgprs: 78
; NumAgprs: 0
; TotalNumVgprs: 78
; ScratchSize: 12
; MemoryBound: 1
; FloatMode: 240
; IeeeMode: 1
; LDSByteSize: 0 bytes/workgroup (compile time only)
; SGPRBlocks: 8
; VGPRBlocks: 9
; NumSGPRsForWavesPerEU: 66
; NumVGPRsForWavesPerEU: 78
; AccumOffset: 80
; Occupancy: 6
; WaveLimiterHint : 0
; COMPUTE_PGM_RSRC2:SCRATCH_EN: 1
; COMPUTE_PGM_RSRC2:USER_SGPR: 8
; COMPUTE_PGM_RSRC2:TRAP_HANDLER: 0
; COMPUTE_PGM_RSRC2:TGID_X_EN: 1
; COMPUTE_PGM_RSRC2:TGID_Y_EN: 0
; COMPUTE_PGM_RSRC2:TGID_Z_EN: 0
; COMPUTE_PGM_RSRC2:TIDIG_COMP_CNT: 0
; COMPUTE_PGM_RSRC3_GFX90A:ACCUM_OFFSET: 19
; COMPUTE_PGM_RSRC3_GFX90A:TG_SPLIT: 0
	.section	.text._ZN2at6native12_GLOBAL__N_125multi_tensor_apply_kernelINS1_18TensorListMetadataILi2EEENS1_14UnaryOpFunctorIN3c107complexIfEELi2ELi1ELi1EEEJNS0_4AsinIS8_EEEEEvT_T0_DpT1_,"axG",@progbits,_ZN2at6native12_GLOBAL__N_125multi_tensor_apply_kernelINS1_18TensorListMetadataILi2EEENS1_14UnaryOpFunctorIN3c107complexIfEELi2ELi1ELi1EEEJNS0_4AsinIS8_EEEEEvT_T0_DpT1_,comdat
	.globl	_ZN2at6native12_GLOBAL__N_125multi_tensor_apply_kernelINS1_18TensorListMetadataILi2EEENS1_14UnaryOpFunctorIN3c107complexIfEELi2ELi1ELi1EEEJNS0_4AsinIS8_EEEEEvT_T0_DpT1_ ; -- Begin function _ZN2at6native12_GLOBAL__N_125multi_tensor_apply_kernelINS1_18TensorListMetadataILi2EEENS1_14UnaryOpFunctorIN3c107complexIfEELi2ELi1ELi1EEEJNS0_4AsinIS8_EEEEEvT_T0_DpT1_
	.p2align	8
	.type	_ZN2at6native12_GLOBAL__N_125multi_tensor_apply_kernelINS1_18TensorListMetadataILi2EEENS1_14UnaryOpFunctorIN3c107complexIfEELi2ELi1ELi1EEEJNS0_4AsinIS8_EEEEEvT_T0_DpT1_,@function
_ZN2at6native12_GLOBAL__N_125multi_tensor_apply_kernelINS1_18TensorListMetadataILi2EEENS1_14UnaryOpFunctorIN3c107complexIfEELi2ELi1ELi1EEEJNS0_4AsinIS8_EEEEEvT_T0_DpT1_: ; @_ZN2at6native12_GLOBAL__N_125multi_tensor_apply_kernelINS1_18TensorListMetadataILi2EEENS1_14UnaryOpFunctorIN3c107complexIfEELi2ELi1ELi1EEEJNS0_4AsinIS8_EEEEEvT_T0_DpT1_
; %bb.0:
	v_mov_b32_e32 v1, s8
	global_load_ubyte v1, v1, s[4:5] offset:1536
	s_add_u32 flat_scratch_lo, s6, s9
	s_addc_u32 flat_scratch_hi, s7, 0
	s_add_u32 s0, s0, s9
	s_addc_u32 s1, s1, 0
	s_add_u32 s6, s4, s8
	s_mul_hi_u32 s9, s8, 3
	s_mul_i32 s8, s8, 3
	s_addc_u32 s10, s5, 0
	s_add_u32 s8, s6, s8
	s_addc_u32 s9, s10, s9
	s_load_dword s18, s[8:9], 0x740
	s_mov_b32 s7, 0
	s_mov_b32 s15, s7
	;; [unrolled: 1-line block ×3, first 2 shown]
	s_waitcnt lgkmcnt(0)
	s_ashr_i32 s19, s18, 31
	s_lshl_b64 s[16:17], s[18:19], 19
	s_waitcnt vmcnt(0)
	v_readfirstlane_b32 s6, v1
	s_lshl_b32 s6, s6, 3
	s_load_dwordx2 s[12:13], s[4:5], s6 offset:0x0
	s_load_dwordx2 s[20:21], s[4:5], s6 offset:0x400
	;; [unrolled: 1-line block ×3, first 2 shown]
	s_waitcnt lgkmcnt(0)
	s_add_u32 s31, s12, s16
	s_addc_u32 s8, s13, s17
	s_add_u32 s33, s10, s16
	s_addc_u32 s56, s11, s17
	s_and_b32 s14, s31, 31
	s_and_b32 s22, s20, 3
	;; [unrolled: 1-line block ×3, first 2 shown]
	s_or_b64 s[14:15], s[14:15], s[22:23]
	s_lshl_b64 s[18:19], s[18:19], 16
	s_or_b64 s[6:7], s[6:7], s[14:15]
	s_sub_u32 s18, s20, s18
	s_subb_u32 s19, s21, s19
	s_cmp_eq_u64 s[6:7], 0
	s_mov_b64 s[6:7], -1
	s_cbranch_scc0 .LBB57_397
; %bb.1:
	v_mov_b32_e32 v3, 0
	v_lshlrev_b32_e32 v2, 2, v0
	v_cmp_gt_i64_e32 vcc, s[18:19], v[2:3]
	s_and_saveexec_b64 s[14:15], vcc
	s_cbranch_execz .LBB57_396
; %bb.2:
	v_mov_b32_e32 v1, v3
	s_add_u32 s20, s4, 0xc50
	s_mov_b64 s[22:23], src_private_base
	s_mov_b32 s28, 1.0
	s_addc_u32 s21, s5, 0
	s_mov_b32 s22, 0
	s_mov_b32 s24, 4
	;; [unrolled: 1-line block ×3, first 2 shown]
	s_mov_b64 s[26:27], 0
	v_mov_b32_e32 v26, s8
	s_mov_b32 s57, 0x4b000000
	v_mov_b32_e32 v27, 0xd800000
	s_mov_b32 s29, -1.0
	s_mov_b32 s58, 0x395db3d7
	s_brev_b32 s59, -2
	s_mov_b32 s60, 0x7f800000
	s_mov_b32 s61, 0x41200000
	;; [unrolled: 1-line block ×4, first 2 shown]
	v_mov_b32_e32 v28, 0x260
	s_mov_b32 s64, 0x800000
	s_mov_b32 s65, 0x3f317217
	;; [unrolled: 1-line block ×4, first 2 shown]
	v_mov_b32_e32 v29, 0x3f2aaada
	s_mov_b32 s68, 0x3f317218
	s_mov_b32 s69, 0x33800000
	;; [unrolled: 1-line block ×7, first 2 shown]
	v_mov_b32_e32 v30, 0x3d034c3c
	v_mov_b32_e32 v31, 0x3d3641b1
	;; [unrolled: 1-line block ×10, first 2 shown]
	s_movk_i32 s74, 0x204
	s_mov_b32 s75, 0x7effffff
	s_mov_b32 s76, 0x5e000000
	s_brev_b32 s77, 4
	s_mov_b32 s78, 0x402df854
	s_mov_b32 s79, 0xc02df854
	s_mov_b64 s[34:35], 0xffff
	v_mov_b32_e32 v40, 0x7f800000
	v_mov_b32_e32 v41, 0x4f800000
	;; [unrolled: 1-line block ×3, first 2 shown]
	v_mov_b32_e32 v14, 1.0
	v_mov_b32_e32 v16, 0x3f317218
	v_mov_b32_e32 v43, 0x7fc00000
	;; [unrolled: 1-line block ×6, first 2 shown]
	v_pk_mov_b32 v[18:19], v[0:1], v[0:1] op_sel:[0,1]
	s_branch .LBB57_5
.LBB57_3:                               ;   in Loop: Header=BB57_5 Depth=1
	s_or_b64 exec, exec, s[8:9]
.LBB57_4:                               ;   in Loop: Header=BB57_5 Depth=1
	s_or_b64 exec, exec, s[6:7]
	v_mov_b32_e32 v1, s56
	s_waitcnt lgkmcnt(0)
	v_add_co_u32_e32 v2, vcc, s33, v20
	v_addc_co_u32_e32 v3, vcc, v1, v21, vcc
	global_store_dwordx4 v[2:3], v[6:9], off
	global_store_dwordx4 v[2:3], v[10:13], off offset:16
	s_load_dword s6, s[20:21], 0xc
	s_waitcnt lgkmcnt(0)
	s_and_b32 s6, s6, 0xffff
	v_add_co_u32_e32 v18, vcc, s6, v18
	v_addc_co_u32_e32 v19, vcc, 0, v19, vcc
	v_lshlrev_b64 v[2:3], 2, v[18:19]
	v_cmp_le_i64_e32 vcc, s[18:19], v[2:3]
	v_cmp_lt_u64_e64 s[6:7], s[34:35], v[2:3]
	s_or_b64 s[6:7], vcc, s[6:7]
	s_and_b64 s[6:7], exec, s[6:7]
	s_or_b64 s[26:27], s[6:7], s[26:27]
	s_andn2_b64 exec, exec, s[26:27]
	s_cbranch_execz .LBB57_396
.LBB57_5:                               ; =>This Inner Loop Header: Depth=1
	v_lshlrev_b64 v[20:21], 5, v[18:19]
	v_add_co_u32_e32 v2, vcc, s31, v20
	v_addc_co_u32_e32 v3, vcc, v26, v21, vcc
	global_load_dwordx4 v[10:13], v[2:3], off
	s_nop 0
	global_load_dwordx4 v[2:5], v[2:3], off offset:16
                                        ; implicit-def: $vgpr7
	s_waitcnt vmcnt(1)
	v_cmp_o_f32_e32 vcc, v11, v11
	v_cmp_o_f32_e64 s[6:7], v10, v10
	s_and_b64 s[6:7], vcc, s[6:7]
	s_and_saveexec_b64 s[8:9], s[6:7]
	s_xor_b64 s[36:37], exec, s[8:9]
	s_cbranch_execz .LBB57_89
; %bb.6:                                ;   in Loop: Header=BB57_5 Depth=1
	v_max_f32_e64 v1, |v11|, |v11|
	v_max_f32_e64 v9, |v10|, |v10|
	v_max_f32_e32 v8, v9, v1
	v_cmp_nlt_f32_e32 vcc, s57, v8
                                        ; implicit-def: $vgpr7
	s_and_saveexec_b64 s[6:7], vcc
	s_xor_b64 s[8:9], exec, s[6:7]
	s_cbranch_execz .LBB57_66
; %bb.7:                                ;   in Loop: Header=BB57_5 Depth=1
	v_cmp_neq_f32_e32 vcc, 0, v11
	v_cmp_neq_f32_e64 s[6:7], 0, v10
	s_or_b64 s[6:7], vcc, s[6:7]
	v_mov_b32_e32 v7, v11
	v_mov_b32_e32 v6, v10
	s_and_saveexec_b64 s[38:39], s[6:7]
	s_cbranch_execz .LBB57_65
; %bb.8:                                ;   in Loop: Header=BB57_5 Depth=1
	v_pk_mov_b32 v[6:7], s[22:23], s[22:23] op_sel:[0,1]
	flat_store_dword v[6:7], v27
	s_waitcnt vmcnt(0)
	flat_load_dword v6, v[6:7] glc
	s_waitcnt vmcnt(0)
	v_cmp_nlt_f32_e64 s[6:7], |v11|, s58
	v_cmp_nlt_f32_e64 s[40:41], |v10|, s58
	s_or_b64 s[6:7], s[40:41], s[6:7]
	s_waitcnt lgkmcnt(0)
	v_add_f32_e32 v8, 1.0, v6
	v_pk_mov_b32 v[6:7], s[24:25], s[24:25] op_sel:[0,1]
	flat_store_dword v[6:7], v8
	s_waitcnt vmcnt(0)
	flat_load_dword v6, v[6:7] glc
	s_waitcnt vmcnt(0)
	v_mov_b32_e32 v7, v11
	s_waitcnt lgkmcnt(0)
	v_mov_b32_e32 v6, v10
	s_and_saveexec_b64 s[40:41], s[6:7]
	s_cbranch_execz .LBB57_64
; %bb.9:                                ;   in Loop: Header=BB57_5 Depth=1
	v_and_b32_e32 v6, 0x7fffffff, v10
	v_pk_add_f32 v[22:23], v[6:7], s[28:29] op_sel_hi:[0,1]
	v_max_f32_e64 v15, v1, |v22|
	v_cvt_f64_f32_e32 v[8:9], v15
	v_max_f32_e64 v7, v1, |v23|
	v_frexp_exp_i32_f64_e32 v1, v[8:9]
	v_sub_u32_e32 v8, 0, v1
	v_ldexp_f32 v9, |v11|, v8
	v_ldexp_f32 v8, |v22|, v8
	v_mul_f32_e32 v8, v8, v8
	v_fmac_f32_e32 v8, v9, v9
	v_sqrt_f32_e32 v17, v8
	v_cvt_f64_f32_e32 v[8:9], v7
	v_frexp_exp_i32_f64_e32 v8, v[8:9]
	v_sub_u32_e32 v9, 0, v8
	v_ldexp_f32 v24, |v11|, v9
	v_ldexp_f32 v9, |v23|, v9
	v_mul_f32_e32 v9, v9, v9
	v_fmac_f32_e32 v9, v24, v24
	v_sqrt_f32_e32 v9, v9
	v_ldexp_f32 v17, v17, v1
	v_cmp_neq_f32_e32 vcc, s60, v7
	v_ldexp_f32 v1, v9, v8
	v_cndmask_b32_e32 v1, v40, v1, vcc
	v_cmp_neq_f32_e32 vcc, s60, v15
	v_cndmask_b32_e32 v7, v40, v17, vcc
	v_add_f32_e32 v8, v7, v1
	v_mul_f32_e32 v8, 0.5, v8
	v_cmp_ngt_f32_e32 vcc, 1.0, v8
	v_cndmask_b32_e32 v8, 1.0, v8, vcc
	v_cmp_ngt_f32_e32 vcc, s61, v8
                                        ; implicit-def: $vgpr15
	s_and_saveexec_b64 s[6:7], vcc
	s_xor_b64 s[42:43], exec, s[6:7]
	s_cbranch_execz .LBB57_11
; %bb.10:                               ;   in Loop: Header=BB57_5 Depth=1
	v_fma_f32 v9, v8, v8, -1.0
	v_mul_f32_e32 v15, 0x4f800000, v9
	v_cmp_gt_f32_e32 vcc, s62, v9
	v_cndmask_b32_e32 v9, v9, v15, vcc
	v_sqrt_f32_e32 v15, v9
	v_add_u32_e32 v17, -1, v15
	v_fma_f32 v25, -v17, v15, v9
	v_add_u32_e32 v24, 1, v15
	v_cmp_ge_f32_e64 s[6:7], 0, v25
	v_cndmask_b32_e64 v17, v15, v17, s[6:7]
	v_fma_f32 v15, -v24, v15, v9
	v_cmp_lt_f32_e64 s[6:7], 0, v15
	v_cndmask_b32_e64 v15, v17, v24, s[6:7]
	v_mul_f32_e32 v17, 0x37800000, v15
	v_cndmask_b32_e32 v15, v15, v17, vcc
	v_cmp_class_f32_e32 vcc, v9, v28
	v_cndmask_b32_e32 v9, v15, v9, vcc
	v_add_f32_e32 v9, v8, v9
	v_cmp_gt_f32_e32 vcc, s64, v9
	v_cndmask_b32_e32 v15, 1.0, v41, vcc
	v_mul_f32_e32 v9, v9, v15
	v_log_f32_e32 v9, v9
	v_mul_f32_e32 v15, 0x3f317217, v9
	v_fma_f32 v17, v9, s65, -v15
	v_fmac_f32_e32 v17, 0x3377d1cf, v9
	v_add_f32_e32 v15, v15, v17
	v_cmp_lt_f32_e64 s[6:7], |v9|, s60
	v_cndmask_b32_e64 v9, v9, v15, s[6:7]
	v_cndmask_b32_e32 v15, 0, v42, vcc
	v_sub_f32_e32 v15, v9, v15
.LBB57_11:                              ;   in Loop: Header=BB57_5 Depth=1
	s_or_saveexec_b64 s[42:43], s[42:43]
	v_and_b32_e32 v25, 0x7fffffff, v11
	v_and_b32_e32 v48, 0x7fffffff, v23
	s_xor_b64 exec, exec, s[42:43]
	s_cbranch_execz .LBB57_33
; %bb.12:                               ;   in Loop: Header=BB57_5 Depth=1
	v_cmp_neq_f32_e64 s[6:7], |v10|, 1.0
	v_cmp_nlt_f32_e64 s[44:45], |v11|, s66
	s_or_b64 s[6:7], s[6:7], s[44:45]
                                        ; implicit-def: $vgpr15
	s_and_saveexec_b64 s[44:45], s[6:7]
	s_xor_b64 s[44:45], exec, s[44:45]
	s_cbranch_execz .LBB57_30
; %bb.13:                               ;   in Loop: Header=BB57_5 Depth=1
	v_mul_f32_e32 v9, 0x34000000, v48
	v_cmp_le_f32_e64 s[6:7], v9, |v11|
                                        ; implicit-def: $vgpr15
	s_and_saveexec_b64 s[46:47], s[6:7]
	s_xor_b64 s[46:47], exec, s[46:47]
	s_cbranch_execz .LBB57_23
; %bb.14:                               ;   in Loop: Header=BB57_5 Depth=1
	v_cmp_neq_f32_e32 vcc, 0, v22
	v_mov_b32_e32 v9, v25
	s_and_saveexec_b64 s[6:7], vcc
	s_cbranch_execz .LBB57_16
; %bb.15:                               ;   in Loop: Header=BB57_5 Depth=1
	v_mul_f32_e32 v9, v11, v11
	v_add_f32_e32 v15, v22, v7
	v_div_scale_f32 v17, s[48:49], v15, v15, v9
	v_rcp_f32_e32 v24, v17
	v_fma_f32 v49, -v17, v24, 1.0
	v_fmac_f32_e32 v24, v49, v24
	v_div_scale_f32 v49, vcc, v9, v15, v9
	v_mul_f32_e32 v50, v49, v24
	v_fma_f32 v51, -v17, v50, v49
	v_fmac_f32_e32 v50, v51, v24
	v_fma_f32 v17, -v17, v50, v49
	v_div_fmas_f32 v17, v17, v24, v50
	v_div_fixup_f32 v9, v17, v15, v9
.LBB57_16:                              ;   in Loop: Header=BB57_5 Depth=1
	s_or_b64 exec, exec, s[6:7]
	v_sub_f32_e64 v17, 1.0, |v10|
	v_cmp_ngt_f32_e32 vcc, 0, v17
                                        ; implicit-def: $vgpr15
	s_and_saveexec_b64 s[6:7], vcc
	s_xor_b64 s[6:7], exec, s[6:7]
	s_cbranch_execz .LBB57_20
; %bb.17:                               ;   in Loop: Header=BB57_5 Depth=1
	v_cmp_neq_f32_e32 vcc, 0, v17
	v_mov_b32_e32 v15, v25
	s_and_saveexec_b64 s[48:49], vcc
	s_cbranch_execz .LBB57_19
; %bb.18:                               ;   in Loop: Header=BB57_5 Depth=1
	v_mul_f32_e32 v15, v11, v11
	v_add_f32_e32 v17, v17, v1
	v_div_scale_f32 v24, s[50:51], v17, v17, v15
	v_rcp_f32_e32 v49, v24
	v_fma_f32 v50, -v24, v49, 1.0
	v_fmac_f32_e32 v49, v50, v49
	v_div_scale_f32 v50, vcc, v15, v17, v15
	v_mul_f32_e32 v51, v50, v49
	v_fma_f32 v52, -v24, v51, v50
	v_fmac_f32_e32 v51, v52, v49
	v_fma_f32 v24, -v24, v51, v50
	v_div_fmas_f32 v24, v24, v49, v51
	v_div_fixup_f32 v15, v24, v17, v15
.LBB57_19:                              ;   in Loop: Header=BB57_5 Depth=1
	s_or_b64 exec, exec, s[48:49]
                                        ; implicit-def: $vgpr17
.LBB57_20:                              ;   in Loop: Header=BB57_5 Depth=1
	s_andn2_saveexec_b64 s[6:7], s[6:7]
; %bb.21:                               ;   in Loop: Header=BB57_5 Depth=1
	v_sub_f32_e32 v15, v1, v17
; %bb.22:                               ;   in Loop: Header=BB57_5 Depth=1
	s_or_b64 exec, exec, s[6:7]
	v_mul_f32_e32 v9, 0.5, v9
	v_mul_f32_e32 v15, 0.5, v15
	v_pk_add_f32 v[50:51], v[8:9], v[14:15]
	v_mul_f32_e32 v9, v50, v51
	v_mul_f32_e32 v15, 0x4f800000, v9
	v_cmp_gt_f32_e32 vcc, s62, v9
	v_cndmask_b32_e32 v9, v9, v15, vcc
	v_sqrt_f32_e32 v15, v9
	v_add_u32_e32 v17, -1, v15
	v_fma_f32 v24, -v17, v15, v9
	v_cmp_ge_f32_e64 s[6:7], 0, v24
	v_add_u32_e32 v24, 1, v15
	v_cndmask_b32_e64 v17, v15, v17, s[6:7]
	v_fma_f32 v15, -v24, v15, v9
	v_cmp_lt_f32_e64 s[6:7], 0, v15
	v_cndmask_b32_e64 v15, v17, v24, s[6:7]
	v_mul_f32_e32 v17, 0x37800000, v15
	v_cndmask_b32_e32 v15, v15, v17, vcc
	v_cmp_class_f32_e32 vcc, v9, v28
	v_cndmask_b32_e32 v9, v15, v9, vcc
	v_add_f32_e32 v50, v51, v9
	v_add_f32_e32 v53, 1.0, v50
	v_add_f32_e32 v51, -1.0, v53
	v_mov_b32_e32 v52, v51
	v_pk_add_f32 v[54:55], v[50:51], v[52:53] neg_lo:[0,1] neg_hi:[0,1]
	v_add_f32_e32 v9, 1.0, v55
	v_add_f32_e32 v9, v54, v9
	v_frexp_mant_f32_e32 v15, v53
	v_cvt_f64_f32_e32 v[54:55], v53
	v_frexp_exp_i32_f64_e32 v17, v[54:55]
	v_cmp_gt_f32_e32 vcc, s67, v15
	v_subbrev_co_u32_e32 v15, vcc, 0, v17, vcc
	v_sub_u32_e32 v17, 0, v15
	v_ldexp_f32 v24, v53, v17
	v_ldexp_f32 v9, v9, v17
	v_add_f32_e32 v17, -1.0, v24
	v_add_f32_e32 v51, 1.0, v24
	v_add_f32_e32 v49, 1.0, v17
	v_add_f32_e32 v52, -1.0, v51
	v_sub_f32_e32 v49, v24, v49
	v_sub_f32_e32 v24, v24, v52
	v_add_f32_e32 v49, v9, v49
	v_add_f32_e32 v9, v9, v24
	;; [unrolled: 1-line block ×3, first 2 shown]
	v_sub_f32_e32 v51, v24, v51
	v_sub_f32_e32 v9, v9, v51
	v_rcp_f32_e32 v51, v24
	v_add_f32_e32 v53, v17, v49
	v_sub_f32_e32 v17, v53, v17
	v_sub_f32_e32 v17, v49, v17
	v_mul_f32_e32 v49, v53, v51
	v_mul_f32_e32 v54, v24, v49
	v_fma_f32 v56, v49, v24, -v54
	v_fmac_f32_e32 v56, v49, v9
	v_add_f32_e32 v52, v54, v56
	v_sub_f32_e32 v55, v53, v52
	v_pk_add_f32 v[58:59], v[52:53], v[54:55] neg_lo:[0,1] neg_hi:[0,1]
	v_mov_b32_e32 v57, v52
	v_pk_add_f32 v[52:53], v[58:59], v[56:57] neg_lo:[0,1] neg_hi:[0,1]
	v_add_f32_e32 v17, v17, v53
	v_add_f32_e32 v17, v52, v17
	;; [unrolled: 1-line block ×3, first 2 shown]
	v_mul_f32_e32 v60, v51, v53
	v_mul_f32_e32 v54, v24, v60
	v_fma_f32 v56, v60, v24, -v54
	v_fmac_f32_e32 v56, v60, v9
	v_add_f32_e32 v52, v54, v56
	v_sub_f32_e32 v9, v55, v53
	v_sub_f32_e32 v55, v53, v52
	v_pk_add_f32 v[58:59], v[52:53], v[54:55] neg_lo:[0,1] neg_hi:[0,1]
	v_mov_b32_e32 v57, v52
	v_add_f32_e32 v9, v17, v9
	v_pk_add_f32 v[52:53], v[58:59], v[56:57] neg_lo:[0,1] neg_hi:[0,1]
	v_add_f32_e32 v9, v9, v53
	v_add_f32_e32 v9, v52, v9
	;; [unrolled: 1-line block ×4, first 2 shown]
	v_sub_f32_e32 v17, v24, v49
	v_mul_f32_e32 v9, v51, v9
	v_sub_f32_e32 v17, v60, v17
	v_add_f32_e32 v9, v17, v9
	v_add_f32_e32 v49, v24, v9
	v_cvt_f32_i32_e32 v52, v15
	v_mul_f32_e32 v51, v49, v49
	v_mov_b32_e32 v17, 0x3ecc95a3
	v_fmac_f32_e32 v17, 0x3e9b6dac, v51
	v_fma_f32 v17, v51, v17, v29
	v_mul_f32_e32 v53, v49, v51
	v_pk_mul_f32 v[56:57], v[52:53], v[16:17]
	v_fma_f32 v54, v52, s68, -v56
	v_ldexp_f32 v55, v49, 1
	v_fmac_f32_e32 v54, 0xb102e308, v52
	v_sub_f32_e32 v15, v49, v24
	v_pk_add_f32 v[52:53], v[56:57], v[54:55]
	v_sub_f32_e32 v9, v9, v15
	v_sub_f32_e32 v15, v53, v55
	v_ldexp_f32 v9, v9, 1
	v_sub_f32_e32 v15, v57, v15
	v_add_f32_e32 v59, v9, v15
	v_mov_b32_e32 v58, v56
	v_pk_add_f32 v[56:57], v[52:53], v[56:57] neg_lo:[0,1] neg_hi:[0,1]
	v_pk_add_f32 v[60:61], v[52:53], v[58:59]
	v_mov_b32_e32 v57, v61
	v_mov_b32_e32 v55, v52
	v_pk_add_f32 v[62:63], v[54:55], v[56:57] neg_lo:[0,1] neg_hi:[0,1]
	v_pk_add_f32 v[54:55], v[54:55], v[56:57]
	v_mov_b32_e32 v24, v55
	v_pk_add_f32 v[56:57], v[24:25], v[52:53] neg_lo:[0,1] neg_hi:[0,1]
	v_mov_b32_e32 v9, v56
	v_pk_add_f32 v[64:65], v[60:61], v[8:9] neg_lo:[0,1] neg_hi:[0,1]
	v_mov_b32_e32 v54, v61
	v_mov_b32_e32 v60, v53
	;; [unrolled: 1-line block ×4, first 2 shown]
	v_pk_add_f32 v[54:55], v[54:55], v[60:61] neg_lo:[0,1] neg_hi:[0,1]
	v_mov_b32_e32 v56, v59
	v_mov_b32_e32 v57, v52
	v_pk_add_f32 v[52:53], v[56:57], v[54:55] neg_lo:[0,1] neg_hi:[0,1]
	v_mov_b32_e32 v64, v62
	v_pk_add_f32 v[54:55], v[64:65], v[52:53]
	v_mov_b32_e32 v56, v55
	v_pk_add_f32 v[56:57], v[54:55], v[56:57]
	v_pk_add_f32 v[58:59], v[24:25], v[56:57]
	v_mov_b32_e32 v55, v58
	v_pk_add_f32 v[60:61], v[54:55], v[62:63] neg_lo:[0,1] neg_hi:[0,1]
	v_mov_b32_e32 v53, v56
	v_sub_f32_e32 v9, v54, v60
	v_pk_add_f32 v[52:53], v[52:53], v[60:61] neg_lo:[0,1] neg_hi:[0,1]
	v_sub_f32_e32 v9, v62, v9
	v_add_f32_e32 v9, v52, v9
	v_add_f32_e32 v9, v9, v53
	;; [unrolled: 1-line block ×3, first 2 shown]
	v_cmp_eq_f32_e32 vcc, s60, v50
	v_cndmask_b32_e32 v9, v9, v50, vcc
	v_cmp_ngt_f32_e32 vcc, -1.0, v50
	v_cndmask_b32_e32 v9, v43, v9, vcc
	v_cmp_neq_f32_e32 vcc, -1.0, v50
	v_cndmask_b32_e32 v9, v44, v9, vcc
	v_cmp_lt_f32_e64 vcc, |v50|, s69
	v_cndmask_b32_e32 v15, v9, v50, vcc
.LBB57_23:                              ;   in Loop: Header=BB57_5 Depth=1
	s_andn2_saveexec_b64 s[46:47], s[46:47]
	s_cbranch_execz .LBB57_29
; %bb.24:                               ;   in Loop: Header=BB57_5 Depth=1
	v_cmp_nlt_f32_e64 s[6:7], |v10|, 1.0
                                        ; implicit-def: $vgpr15
	s_and_saveexec_b64 s[48:49], s[6:7]
	s_xor_b64 s[48:49], exec, s[48:49]
	s_cbranch_execz .LBB57_26
; %bb.25:                               ;   in Loop: Header=BB57_5 Depth=1
	v_mul_f32_e32 v9, v23, v22
	v_mul_f32_e32 v15, 0x4f800000, v9
	v_cmp_gt_f32_e32 vcc, s62, v9
	v_cndmask_b32_e32 v9, v9, v15, vcc
	v_sqrt_f32_e32 v15, v9
	v_add_u32_e32 v17, -1, v15
	v_fma_f32 v49, -v17, v15, v9
	v_add_u32_e32 v24, 1, v15
	v_cmp_ge_f32_e64 s[6:7], 0, v49
	v_cndmask_b32_e64 v17, v15, v17, s[6:7]
	v_fma_f32 v15, -v24, v15, v9
	v_cmp_lt_f32_e64 s[6:7], 0, v15
	v_cndmask_b32_e64 v15, v17, v24, s[6:7]
	v_mul_f32_e32 v17, 0x37800000, v15
	v_cndmask_b32_e32 v15, v15, v17, vcc
	v_cmp_class_f32_e32 vcc, v9, v28
	v_cndmask_b32_e32 v9, v15, v9, vcc
	v_add_f32_e32 v50, v23, v9
	v_add_f32_e32 v53, 1.0, v50
	v_add_f32_e32 v51, -1.0, v53
	v_mov_b32_e32 v52, v51
	v_pk_add_f32 v[54:55], v[50:51], v[52:53] neg_lo:[0,1] neg_hi:[0,1]
	v_add_f32_e32 v9, 1.0, v55
	v_add_f32_e32 v9, v54, v9
	v_frexp_mant_f32_e32 v15, v53
	v_cvt_f64_f32_e32 v[54:55], v53
	v_frexp_exp_i32_f64_e32 v17, v[54:55]
	v_cmp_gt_f32_e32 vcc, s67, v15
	v_subbrev_co_u32_e32 v15, vcc, 0, v17, vcc
	v_sub_u32_e32 v17, 0, v15
	v_ldexp_f32 v24, v53, v17
	v_ldexp_f32 v9, v9, v17
	v_add_f32_e32 v17, -1.0, v24
	v_add_f32_e32 v51, 1.0, v24
	v_add_f32_e32 v49, 1.0, v17
	v_add_f32_e32 v52, -1.0, v51
	v_sub_f32_e32 v49, v24, v49
	v_sub_f32_e32 v24, v24, v52
	v_add_f32_e32 v49, v9, v49
	v_add_f32_e32 v9, v9, v24
	;; [unrolled: 1-line block ×3, first 2 shown]
	v_sub_f32_e32 v51, v24, v51
	v_sub_f32_e32 v9, v9, v51
	v_rcp_f32_e32 v51, v24
	v_add_f32_e32 v53, v17, v49
	v_sub_f32_e32 v17, v53, v17
	v_sub_f32_e32 v17, v49, v17
	v_mul_f32_e32 v49, v53, v51
	v_mul_f32_e32 v54, v24, v49
	v_fma_f32 v56, v49, v24, -v54
	v_fmac_f32_e32 v56, v49, v9
	v_add_f32_e32 v52, v54, v56
	v_sub_f32_e32 v55, v53, v52
	v_pk_add_f32 v[58:59], v[52:53], v[54:55] neg_lo:[0,1] neg_hi:[0,1]
	v_mov_b32_e32 v57, v52
	v_pk_add_f32 v[52:53], v[58:59], v[56:57] neg_lo:[0,1] neg_hi:[0,1]
	v_add_f32_e32 v17, v17, v53
	v_add_f32_e32 v17, v52, v17
	v_add_f32_e32 v53, v55, v17
	v_mul_f32_e32 v60, v51, v53
	v_mul_f32_e32 v54, v24, v60
	v_fma_f32 v56, v60, v24, -v54
	v_fmac_f32_e32 v56, v60, v9
	v_add_f32_e32 v52, v54, v56
	v_sub_f32_e32 v9, v55, v53
	v_sub_f32_e32 v55, v53, v52
	v_pk_add_f32 v[58:59], v[52:53], v[54:55] neg_lo:[0,1] neg_hi:[0,1]
	v_mov_b32_e32 v57, v52
	v_add_f32_e32 v9, v17, v9
	v_pk_add_f32 v[52:53], v[58:59], v[56:57] neg_lo:[0,1] neg_hi:[0,1]
	v_add_f32_e32 v9, v9, v53
	v_add_f32_e32 v9, v52, v9
	;; [unrolled: 1-line block ×4, first 2 shown]
	v_sub_f32_e32 v17, v24, v49
	v_mul_f32_e32 v9, v51, v9
	v_sub_f32_e32 v17, v60, v17
	v_add_f32_e32 v9, v17, v9
	v_add_f32_e32 v49, v24, v9
	v_cvt_f32_i32_e32 v52, v15
	v_mul_f32_e32 v51, v49, v49
	v_mov_b32_e32 v17, 0x3ecc95a3
	v_fmac_f32_e32 v17, 0x3e9b6dac, v51
	v_fma_f32 v17, v51, v17, v29
	v_mul_f32_e32 v53, v49, v51
	v_pk_mul_f32 v[56:57], v[52:53], v[16:17]
	v_fma_f32 v54, v52, s68, -v56
	v_ldexp_f32 v55, v49, 1
	v_fmac_f32_e32 v54, 0xb102e308, v52
	v_sub_f32_e32 v15, v49, v24
	v_pk_add_f32 v[52:53], v[56:57], v[54:55]
	v_sub_f32_e32 v9, v9, v15
	v_sub_f32_e32 v15, v53, v55
	v_ldexp_f32 v9, v9, 1
	v_sub_f32_e32 v15, v57, v15
	v_add_f32_e32 v59, v9, v15
	v_mov_b32_e32 v58, v56
	v_pk_add_f32 v[56:57], v[52:53], v[56:57] neg_lo:[0,1] neg_hi:[0,1]
	v_pk_add_f32 v[60:61], v[52:53], v[58:59]
	v_mov_b32_e32 v57, v61
	v_mov_b32_e32 v55, v52
	v_pk_add_f32 v[62:63], v[54:55], v[56:57] neg_lo:[0,1] neg_hi:[0,1]
	v_pk_add_f32 v[54:55], v[54:55], v[56:57]
	v_mov_b32_e32 v24, v55
	v_pk_add_f32 v[56:57], v[24:25], v[52:53] neg_lo:[0,1] neg_hi:[0,1]
	v_mov_b32_e32 v9, v56
	v_pk_add_f32 v[64:65], v[60:61], v[8:9] neg_lo:[0,1] neg_hi:[0,1]
	v_mov_b32_e32 v54, v61
	v_mov_b32_e32 v60, v53
	;; [unrolled: 1-line block ×4, first 2 shown]
	v_pk_add_f32 v[54:55], v[54:55], v[60:61] neg_lo:[0,1] neg_hi:[0,1]
	v_mov_b32_e32 v56, v59
	v_mov_b32_e32 v57, v52
	v_pk_add_f32 v[52:53], v[56:57], v[54:55] neg_lo:[0,1] neg_hi:[0,1]
	v_mov_b32_e32 v64, v62
	v_pk_add_f32 v[54:55], v[64:65], v[52:53]
	v_mov_b32_e32 v56, v55
	v_pk_add_f32 v[56:57], v[54:55], v[56:57]
	v_pk_add_f32 v[58:59], v[24:25], v[56:57]
	v_mov_b32_e32 v55, v58
	v_pk_add_f32 v[60:61], v[54:55], v[62:63] neg_lo:[0,1] neg_hi:[0,1]
	v_mov_b32_e32 v53, v56
	v_sub_f32_e32 v9, v54, v60
	v_pk_add_f32 v[52:53], v[52:53], v[60:61] neg_lo:[0,1] neg_hi:[0,1]
	v_sub_f32_e32 v9, v62, v9
	v_add_f32_e32 v9, v52, v9
	v_add_f32_e32 v9, v9, v53
	v_add_f32_e32 v9, v58, v9
	v_cmp_eq_f32_e32 vcc, s60, v50
	v_cndmask_b32_e32 v9, v9, v50, vcc
	v_cmp_ngt_f32_e32 vcc, -1.0, v50
	v_cndmask_b32_e32 v9, v43, v9, vcc
	v_cmp_neq_f32_e32 vcc, -1.0, v50
	v_cndmask_b32_e32 v9, v44, v9, vcc
	v_cmp_lt_f32_e64 vcc, |v50|, s69
	v_cndmask_b32_e32 v15, v9, v50, vcc
.LBB57_26:                              ;   in Loop: Header=BB57_5 Depth=1
	s_andn2_saveexec_b64 s[48:49], s[48:49]
	s_cbranch_execz .LBB57_28
; %bb.27:                               ;   in Loop: Header=BB57_5 Depth=1
	v_sub_f32_e64 v9, 1.0, |v10|
	v_mul_f32_e32 v9, v9, v22
	v_mul_f32_e32 v15, 0x4f800000, v9
	v_cmp_gt_f32_e32 vcc, s62, v9
	v_cndmask_b32_e32 v9, v9, v15, vcc
	v_sqrt_f32_e32 v15, v9
	v_add_u32_e32 v17, -1, v15
	v_fma_f32 v49, -v17, v15, v9
	v_add_u32_e32 v24, 1, v15
	v_cmp_ge_f32_e64 s[6:7], 0, v49
	v_cndmask_b32_e64 v17, v15, v17, s[6:7]
	v_fma_f32 v15, -v24, v15, v9
	v_cmp_lt_f32_e64 s[6:7], 0, v15
	v_cndmask_b32_e64 v15, v17, v24, s[6:7]
	v_mul_f32_e32 v17, 0x37800000, v15
	v_cndmask_b32_e32 v15, v15, v17, vcc
	v_cmp_class_f32_e32 vcc, v9, v28
	v_cndmask_b32_e32 v9, v15, v9, vcc
	v_and_b32_e32 v15, 0x7fffffff, v11
	v_div_scale_f32 v17, s[6:7], v9, v9, v15
	v_rcp_f32_e32 v24, v17
	v_div_scale_f32 v15, vcc, v15, v9, v15
	v_fma_f32 v49, -v17, v24, 1.0
	v_fmac_f32_e32 v24, v49, v24
	v_mul_f32_e32 v49, v15, v24
	v_fma_f32 v50, -v17, v49, v15
	v_fmac_f32_e32 v49, v50, v24
	v_fma_f32 v15, -v17, v49, v15
	v_div_fmas_f32 v15, v15, v24, v49
	v_div_fixup_f32 v15, v15, v9, |v11|
.LBB57_28:                              ;   in Loop: Header=BB57_5 Depth=1
	s_or_b64 exec, exec, s[48:49]
.LBB57_29:                              ;   in Loop: Header=BB57_5 Depth=1
	s_or_b64 exec, exec, s[46:47]
.LBB57_30:                              ;   in Loop: Header=BB57_5 Depth=1
	s_andn2_saveexec_b64 s[44:45], s[44:45]
	s_cbranch_execz .LBB57_32
; %bb.31:                               ;   in Loop: Header=BB57_5 Depth=1
	v_mul_f32_e64 v9, |v11|, s63
	v_cmp_lt_f32_e64 vcc, |v11|, s62
	v_cndmask_b32_e64 v9, |v11|, v9, vcc
	v_sqrt_f32_e32 v15, v9
	v_add_u32_e32 v17, -1, v15
	v_fma_f32 v49, -v17, v15, v9
	v_add_u32_e32 v24, 1, v15
	v_cmp_ge_f32_e64 s[6:7], 0, v49
	v_cndmask_b32_e64 v17, v15, v17, s[6:7]
	v_fma_f32 v15, -v24, v15, v9
	v_cmp_lt_f32_e64 s[6:7], 0, v15
	v_cndmask_b32_e64 v15, v17, v24, s[6:7]
	v_mul_f32_e32 v17, 0x37800000, v15
	v_cndmask_b32_e32 v15, v15, v17, vcc
	v_cmp_class_f32_e32 vcc, v9, v28
	v_cndmask_b32_e32 v15, v15, v9, vcc
.LBB57_32:                              ;   in Loop: Header=BB57_5 Depth=1
	s_or_b64 exec, exec, s[44:45]
.LBB57_33:                              ;   in Loop: Header=BB57_5 Depth=1
	s_or_b64 exec, exec, s[42:43]
	v_cmp_nlt_f32_e64 s[42:43], |v10|, s70
                                        ; implicit-def: $sgpr6_sgpr7
                                        ; implicit-def: $vgpr24
                                        ; implicit-def: $vgpr17
	s_and_saveexec_b64 s[44:45], s[42:43]
	s_xor_b64 s[42:43], exec, s[44:45]
	s_cbranch_execz .LBB57_57
; %bb.34:                               ;   in Loop: Header=BB57_5 Depth=1
	v_div_scale_f32 v9, s[6:7], v8, v8, v6
	v_rcp_f32_e32 v17, v9
	v_div_scale_f32 v24, vcc, v6, v8, v6
	s_mov_b64 s[6:7], 0
	v_fma_f32 v49, -v9, v17, 1.0
	v_fmac_f32_e32 v17, v49, v17
	v_mul_f32_e32 v49, v24, v17
	v_fma_f32 v50, -v9, v49, v24
	v_fmac_f32_e32 v49, v50, v17
	v_fma_f32 v9, -v9, v49, v24
	v_div_fmas_f32 v9, v9, v17, v49
	v_div_fixup_f32 v17, v9, v8, |v10|
	v_cmp_lt_f32_e32 vcc, s71, v17
                                        ; implicit-def: $vgpr24
	s_and_saveexec_b64 s[44:45], vcc
	s_cbranch_execz .LBB57_56
; %bb.35:                               ;   in Loop: Header=BB57_5 Depth=1
	v_cmp_neq_f32_e64 s[6:7], |v10|, 1.0
	v_cmp_nlt_f32_e64 s[46:47], |v11|, s72
	s_or_b64 s[6:7], s[6:7], s[46:47]
                                        ; implicit-def: $sgpr48_sgpr49
                                        ; implicit-def: $vgpr24
	s_and_saveexec_b64 s[46:47], s[6:7]
	s_xor_b64 s[46:47], exec, s[46:47]
	s_cbranch_execz .LBB57_53
; %bb.36:                               ;   in Loop: Header=BB57_5 Depth=1
	v_mul_f32_e32 v9, 0x34000000, v48
	v_cmp_le_f32_e64 s[6:7], v9, |v11|
                                        ; implicit-def: $vgpr24
                                        ; implicit-def: $sgpr48_sgpr49
	s_and_saveexec_b64 s[50:51], s[6:7]
	s_xor_b64 s[50:51], exec, s[50:51]
	s_cbranch_execz .LBB57_46
; %bb.37:                               ;   in Loop: Header=BB57_5 Depth=1
	v_cmp_neq_f32_e32 vcc, 0, v22
	v_mov_b32_e32 v9, v25
	s_and_saveexec_b64 s[6:7], vcc
	s_cbranch_execz .LBB57_39
; %bb.38:                               ;   in Loop: Header=BB57_5 Depth=1
	v_mul_f32_e32 v9, v11, v11
	v_add_f32_e32 v7, v22, v7
	v_div_scale_f32 v22, s[48:49], v7, v7, v9
	v_rcp_f32_e32 v24, v22
	v_fma_f32 v48, -v22, v24, 1.0
	v_fmac_f32_e32 v24, v48, v24
	v_div_scale_f32 v48, vcc, v9, v7, v9
	v_mul_f32_e32 v49, v48, v24
	v_fma_f32 v50, -v22, v49, v48
	v_fmac_f32_e32 v49, v50, v24
	v_fma_f32 v22, -v22, v49, v48
	v_div_fmas_f32 v22, v22, v24, v49
	v_div_fixup_f32 v9, v22, v7, v9
.LBB57_39:                              ;   in Loop: Header=BB57_5 Depth=1
	s_or_b64 exec, exec, s[6:7]
	v_cmp_ngt_f32_e32 vcc, 0, v23
	s_and_saveexec_b64 s[6:7], vcc
	s_xor_b64 s[6:7], exec, s[6:7]
	s_cbranch_execz .LBB57_43
; %bb.40:                               ;   in Loop: Header=BB57_5 Depth=1
	v_cmp_neq_f32_e32 vcc, 0, v23
	s_and_saveexec_b64 s[48:49], vcc
	s_cbranch_execz .LBB57_42
; %bb.41:                               ;   in Loop: Header=BB57_5 Depth=1
	v_mul_f32_e32 v7, v11, v11
	v_add_f32_e32 v1, v23, v1
	v_div_scale_f32 v22, s[52:53], v1, v1, v7
	v_rcp_f32_e32 v23, v22
	v_fma_f32 v24, -v22, v23, 1.0
	v_fmac_f32_e32 v23, v24, v23
	v_div_scale_f32 v24, vcc, v7, v1, v7
	v_mul_f32_e32 v25, v24, v23
	v_fma_f32 v48, -v22, v25, v24
	v_fmac_f32_e32 v25, v48, v23
	v_fma_f32 v22, -v22, v25, v24
	v_div_fmas_f32 v22, v22, v23, v25
	v_div_fixup_f32 v25, v22, v1, v7
.LBB57_42:                              ;   in Loop: Header=BB57_5 Depth=1
	s_or_b64 exec, exec, s[48:49]
                                        ; implicit-def: $vgpr1
                                        ; implicit-def: $vgpr22_vgpr23
.LBB57_43:                              ;   in Loop: Header=BB57_5 Depth=1
	s_andn2_saveexec_b64 s[6:7], s[6:7]
; %bb.44:                               ;   in Loop: Header=BB57_5 Depth=1
	v_sub_f32_e32 v25, v1, v23
; %bb.45:                               ;   in Loop: Header=BB57_5 Depth=1
	s_or_b64 exec, exec, s[6:7]
	v_mul_f32_e32 v7, 0.5, v9
	v_mul_f32_e32 v9, 0.5, v25
	v_pk_add_f32 v[8:9], v[6:7], v[8:9]
	v_mul_f32_e32 v1, v8, v9
	v_mul_f32_e32 v7, 0x4f800000, v1
	v_cmp_gt_f32_e32 vcc, s62, v1
	v_cndmask_b32_e32 v1, v1, v7, vcc
	v_sqrt_f32_e32 v7, v1
	s_mov_b64 s[48:49], -1
                                        ; implicit-def: $vgpr22_vgpr23
	v_add_u32_e32 v8, -1, v7
	v_fma_f32 v9, -v8, v7, v1
	v_cmp_ge_f32_e64 s[6:7], 0, v9
	v_add_u32_e32 v9, 1, v7
	v_cndmask_b32_e64 v8, v7, v8, s[6:7]
	v_fma_f32 v7, -v9, v7, v1
	v_cmp_lt_f32_e64 s[6:7], 0, v7
	v_cndmask_b32_e64 v7, v8, v9, s[6:7]
	v_mul_f32_e32 v8, 0x37800000, v7
	v_cndmask_b32_e32 v7, v7, v8, vcc
	v_cmp_class_f32_e32 vcc, v1, v28
	v_cndmask_b32_e32 v24, v7, v1, vcc
.LBB57_46:                              ;   in Loop: Header=BB57_5 Depth=1
	s_andn2_saveexec_b64 s[50:51], s[50:51]
	s_cbranch_execz .LBB57_52
; %bb.47:                               ;   in Loop: Header=BB57_5 Depth=1
	v_cmp_ngt_f32_e64 s[6:7], |v10|, 1.0
                                        ; implicit-def: $vgpr24
                                        ; implicit-def: $sgpr52_sgpr53
	s_and_saveexec_b64 s[54:55], s[6:7]
	s_xor_b64 s[54:55], exec, s[54:55]
	s_cbranch_execz .LBB57_49
; %bb.48:                               ;   in Loop: Header=BB57_5 Depth=1
	v_sub_f32_e64 v1, 1.0, |v10|
	v_mul_f32_e32 v1, v1, v22
	v_mul_f32_e32 v7, 0x4f800000, v1
	v_cmp_gt_f32_e32 vcc, s62, v1
	v_cndmask_b32_e32 v1, v1, v7, vcc
	v_sqrt_f32_e32 v7, v1
	s_mov_b64 s[52:53], -1
	v_add_u32_e32 v8, -1, v7
	v_fma_f32 v22, -v8, v7, v1
	v_add_u32_e32 v9, 1, v7
	v_cmp_ge_f32_e64 s[6:7], 0, v22
	v_cndmask_b32_e64 v8, v7, v8, s[6:7]
	v_fma_f32 v7, -v9, v7, v1
	v_cmp_lt_f32_e64 s[6:7], 0, v7
	v_cndmask_b32_e64 v7, v8, v9, s[6:7]
	v_mul_f32_e32 v8, 0x37800000, v7
	v_cndmask_b32_e32 v7, v7, v8, vcc
	v_cmp_class_f32_e32 vcc, v1, v28
	v_cndmask_b32_e32 v24, v7, v1, vcc
                                        ; implicit-def: $vgpr22_vgpr23
.LBB57_49:                              ;   in Loop: Header=BB57_5 Depth=1
	s_andn2_saveexec_b64 s[54:55], s[54:55]
	s_cbranch_execz .LBB57_51
; %bb.50:                               ;   in Loop: Header=BB57_5 Depth=1
	v_mul_f32_e32 v1, v22, v23
	v_mul_f32_e32 v6, 0x4f800000, v1
	v_cmp_gt_f32_e32 vcc, s62, v1
	v_cndmask_b32_e32 v1, v1, v6, vcc
	v_sqrt_f32_e32 v6, v1
	v_mul_f32_e64 v7, |v11|, s73
	v_mul_f32_e64 v7, |v10|, v7
	s_or_b64 s[52:53], s[52:53], exec
	v_add_u32_e32 v8, -1, v6
	v_fma_f32 v9, -v8, v6, v1
	v_cmp_ge_f32_e64 s[6:7], 0, v9
	v_add_u32_e32 v9, 1, v6
	v_cndmask_b32_e64 v8, v6, v8, s[6:7]
	v_fma_f32 v6, -v9, v6, v1
	v_cmp_lt_f32_e64 s[6:7], 0, v6
	v_cndmask_b32_e64 v6, v8, v9, s[6:7]
	v_mul_f32_e32 v8, 0x37800000, v6
	v_cndmask_b32_e32 v6, v6, v8, vcc
	v_cmp_class_f32_e32 vcc, v1, v28
	v_cndmask_b32_e32 v1, v6, v1, vcc
	v_div_scale_f32 v6, s[6:7], v1, v1, v7
	v_rcp_f32_e32 v8, v6
	v_fma_f32 v9, -v6, v8, 1.0
	v_fmac_f32_e32 v8, v9, v8
	v_div_scale_f32 v9, vcc, v7, v1, v7
	v_mul_f32_e32 v22, v9, v8
	v_fma_f32 v23, -v6, v22, v9
	v_fmac_f32_e32 v22, v23, v8
	v_fma_f32 v6, -v6, v22, v9
	v_div_fmas_f32 v6, v6, v8, v22
	v_div_fixup_f32 v24, v6, v1, v7
	v_mul_f32_e64 v6, |v10|, s73
.LBB57_51:                              ;   in Loop: Header=BB57_5 Depth=1
	s_or_b64 exec, exec, s[54:55]
	s_andn2_b64 s[6:7], s[48:49], exec
	s_and_b64 s[48:49], s[52:53], exec
	s_or_b64 s[48:49], s[6:7], s[48:49]
.LBB57_52:                              ;   in Loop: Header=BB57_5 Depth=1
	s_or_b64 exec, exec, s[50:51]
	s_and_b64 s[48:49], s[48:49], exec
                                        ; implicit-def: $vgpr8
.LBB57_53:                              ;   in Loop: Header=BB57_5 Depth=1
	s_andn2_saveexec_b64 s[46:47], s[46:47]
	s_cbranch_execz .LBB57_55
; %bb.54:                               ;   in Loop: Header=BB57_5 Depth=1
	v_mul_f32_e64 v1, |v11|, s63
	v_cmp_lt_f32_e64 vcc, |v11|, s62
	v_cndmask_b32_e64 v1, |v11|, v1, vcc
	v_sqrt_f32_e32 v6, v1
	v_add_f32_e32 v8, 1.0, v8
	v_mul_f32_e32 v8, 0.5, v8
	s_or_b64 s[48:49], s[48:49], exec
	v_add_u32_e32 v7, -1, v6
	v_fma_f32 v22, -v7, v6, v1
	v_add_u32_e32 v9, 1, v6
	v_cmp_ge_f32_e64 s[6:7], 0, v22
	v_cndmask_b32_e64 v7, v6, v7, s[6:7]
	v_fma_f32 v6, -v9, v6, v1
	v_cmp_lt_f32_e64 s[6:7], 0, v6
	v_cndmask_b32_e64 v6, v7, v9, s[6:7]
	v_mul_f32_e32 v9, 0x4f800000, v8
	v_cmp_gt_f32_e64 s[6:7], s62, v8
	v_cndmask_b32_e64 v8, v8, v9, s[6:7]
	v_sqrt_f32_e32 v9, v8
	v_mul_f32_e32 v7, 0x37800000, v6
	v_cndmask_b32_e32 v6, v6, v7, vcc
	v_cmp_class_f32_e32 vcc, v1, v28
	v_cndmask_b32_e32 v1, v6, v1, vcc
	v_add_u32_e32 v6, -1, v9
	v_fma_f32 v7, -v6, v9, v8
	v_cmp_ge_f32_e32 vcc, 0, v7
	v_add_u32_e32 v7, 1, v9
	v_cndmask_b32_e32 v6, v9, v6, vcc
	v_fma_f32 v9, -v7, v9, v8
	v_cmp_lt_f32_e32 vcc, 0, v9
	v_cndmask_b32_e32 v6, v6, v7, vcc
	v_mul_f32_e32 v7, 0x37800000, v6
	v_cndmask_b32_e64 v6, v6, v7, s[6:7]
	v_cmp_class_f32_e32 vcc, v8, v28
	v_cndmask_b32_e32 v6, v6, v8, vcc
	v_mul_f32_e32 v24, v1, v6
	v_mov_b32_e32 v6, 1.0
.LBB57_55:                              ;   in Loop: Header=BB57_5 Depth=1
	s_or_b64 exec, exec, s[46:47]
	s_and_b64 s[6:7], s[48:49], exec
.LBB57_56:                              ;   in Loop: Header=BB57_5 Depth=1
	s_or_b64 exec, exec, s[44:45]
	s_and_b64 s[6:7], s[6:7], exec
                                        ; implicit-def: $vgpr8
.LBB57_57:                              ;   in Loop: Header=BB57_5 Depth=1
	s_andn2_saveexec_b64 s[42:43], s[42:43]
; %bb.58:                               ;   in Loop: Header=BB57_5 Depth=1
	v_mov_b32_e32 v9, v6
	v_pk_mul_f32 v[24:25], v[8:9], s[30:31] op_sel_hi:[1,0]
	s_or_b64 s[6:7], s[6:7], exec
	v_mov_b32_e32 v6, v25
                                        ; implicit-def: $vgpr17
; %bb.59:                               ;   in Loop: Header=BB57_5 Depth=1
	s_or_b64 exec, exec, s[42:43]
	s_xor_b64 s[6:7], s[6:7], -1
                                        ; implicit-def: $vgpr1
	s_and_saveexec_b64 s[42:43], s[6:7]
	s_xor_b64 s[6:7], exec, s[42:43]
	s_cbranch_execz .LBB57_61
; %bb.60:                               ;   in Loop: Header=BB57_5 Depth=1
	v_fma_f32 v1, |v17|, -0.5, 0.5
	v_mul_f32_e32 v6, v17, v17
	v_cmp_ge_f32_e64 vcc, |v17|, 0.5
	v_cndmask_b32_e32 v1, v6, v1, vcc
	v_mov_b32_e32 v6, 0x3c5fc5da
	v_fmac_f32_e32 v6, 0x3d1c21a7, v1
	v_fma_f32 v6, v1, v6, v30
	v_fma_f32 v6, v1, v6, v31
	v_sqrt_f32_e32 v7, v1
	v_fma_f32 v6, v1, v6, v32
	v_fma_f32 v6, v1, v6, v33
	v_mul_f32_e32 v1, v1, v6
	v_fmac_f32_e32 v7, v7, v1
	v_add_f32_e32 v6, v7, v7
	v_sub_f32_e32 v6, 0x3fc90fdb, v6
	v_fma_f32 v1, |v17|, v1, |v17|
	v_cmp_lt_f32_e64 vcc, |v17|, 0.5
	v_cndmask_b32_e32 v1, v6, v1, vcc
	v_bfi_b32 v1, s59, v1, v17
                                        ; implicit-def: $vgpr6
                                        ; implicit-def: $vgpr24
.LBB57_61:                              ;   in Loop: Header=BB57_5 Depth=1
	s_andn2_saveexec_b64 s[42:43], s[6:7]
	s_cbranch_execz .LBB57_63
; %bb.62:                               ;   in Loop: Header=BB57_5 Depth=1
	v_max_f32_e32 v1, v6, v6
	v_max_f32_e64 v7, |v24|, |v24|
	v_min_f32_e32 v8, v7, v1
	v_max_f32_e32 v1, v7, v1
	v_frexp_mant_f32_e32 v7, v1
	v_rcp_f32_e32 v7, v7
	v_frexp_exp_i32_f32_e32 v1, v1
	v_frexp_exp_i32_f32_e32 v9, v8
	v_frexp_mant_f32_e32 v8, v8
	v_mul_f32_e32 v7, v8, v7
	v_sub_u32_e32 v1, v9, v1
	v_ldexp_f32 v1, v7, v1
	v_mul_f32_e32 v7, v1, v1
	v_mov_b32_e32 v8, 0xbc7a590c
	v_fmac_f32_e32 v8, 0x3b2d2a58, v7
	v_fma_f32 v8, v7, v8, v34
	v_fma_f32 v8, v7, v8, v35
	;; [unrolled: 1-line block ×6, first 2 shown]
	v_mul_f32_e32 v7, v7, v8
	v_fmac_f32_e32 v1, v1, v7
	v_sub_f32_e32 v7, 0x3fc90fdb, v1
	v_cmp_gt_f32_e64 vcc, v6, |v24|
	v_cndmask_b32_e32 v1, v1, v7, vcc
	v_sub_f32_e32 v7, 0x40490fdb, v1
	v_cmp_gt_f32_e32 vcc, 0, v24
	v_cmp_gt_i32_e64 s[6:7], 0, v24
	v_cndmask_b32_e32 v1, v1, v7, vcc
	v_cndmask_b32_e64 v7, 0, v45, s[6:7]
	v_cmp_eq_f32_e64 s[6:7], 0, v6
	v_cndmask_b32_e64 v1, v1, v7, s[6:7]
	v_cndmask_b32_e32 v7, v46, v47, vcc
	v_cmp_class_f32_e64 s[6:7], v24, s74
	v_cmp_eq_f32_e32 vcc, s60, v6
	s_and_b64 vcc, vcc, s[6:7]
	v_cndmask_b32_e32 v1, v1, v7, vcc
	v_cmp_o_f32_e32 vcc, v24, v6
	v_cndmask_b32_e64 v1, v43, |v1|, vcc
.LBB57_63:                              ;   in Loop: Header=BB57_5 Depth=1
	s_or_b64 exec, exec, s[42:43]
	v_bfi_b32 v6, s59, v1, v10
	v_bfi_b32 v7, s59, v15, v11
.LBB57_64:                              ;   in Loop: Header=BB57_5 Depth=1
	s_or_b64 exec, exec, s[40:41]
.LBB57_65:                              ;   in Loop: Header=BB57_5 Depth=1
	s_or_b64 exec, exec, s[38:39]
                                        ; implicit-def: $vgpr1
                                        ; implicit-def: $vgpr9
                                        ; implicit-def: $vgpr8
.LBB57_66:                              ;   in Loop: Header=BB57_5 Depth=1
	s_andn2_saveexec_b64 s[38:39], s[8:9]
	s_cbranch_execz .LBB57_88
; %bb.67:                               ;   in Loop: Header=BB57_5 Depth=1
	v_cmp_lt_i32_e32 vcc, -1, v11
                                        ; implicit-def: $vgpr6
                                        ; implicit-def: $vgpr7
	s_and_saveexec_b64 s[6:7], vcc
	s_xor_b64 s[40:41], exec, s[6:7]
	s_cbranch_execz .LBB57_77
; %bb.68:                               ;   in Loop: Header=BB57_5 Depth=1
	v_cmp_lt_f32_e64 s[6:7], |v11|, |v10|
	v_cndmask_b32_e64 v15, |v11|, |v10|, s[6:7]
	v_cmp_nlt_f32_e32 vcc, s75, v15
                                        ; implicit-def: $vgpr6
                                        ; implicit-def: $vgpr7
	s_and_saveexec_b64 s[8:9], vcc
	s_xor_b64 s[42:43], exec, s[8:9]
	s_cbranch_execz .LBB57_74
; %bb.69:                               ;   in Loop: Header=BB57_5 Depth=1
	v_cndmask_b32_e64 v17, |v10|, |v11|, s[6:7]
	v_cmp_nlt_f32_e32 vcc, s76, v15
	v_cmp_ngt_f32_e64 s[8:9], s77, v17
	s_and_b64 s[8:9], vcc, s[8:9]
                                        ; implicit-def: $vgpr6
                                        ; implicit-def: $vgpr7
	s_and_saveexec_b64 s[44:45], s[8:9]
	s_xor_b64 s[8:9], exec, s[44:45]
	s_cbranch_execz .LBB57_71
; %bb.70:                               ;   in Loop: Header=BB57_5 Depth=1
	v_mul_f32_e32 v6, v17, v17
	v_fmac_f32_e32 v6, v15, v15
	v_cmp_gt_f32_e32 vcc, s64, v6
	v_cndmask_b32_e32 v7, 1.0, v41, vcc
	v_mul_f32_e32 v6, v6, v7
	v_log_f32_e32 v6, v6
	v_cndmask_b32_e32 v7, 0, v42, vcc
	v_min_f32_e32 v1, v1, v9
	v_frexp_exp_i32_f32_e32 v9, v1
	v_mul_f32_e32 v15, 0x3f317217, v6
	v_fma_f32 v17, v6, s65, -v15
	v_fmac_f32_e32 v17, 0x3377d1cf, v6
	v_add_f32_e32 v15, v15, v17
	v_cmp_lt_f32_e64 vcc, |v6|, s60
	v_cndmask_b32_e32 v6, v6, v15, vcc
	v_sub_f32_e32 v6, v6, v7
	v_frexp_mant_f32_e32 v7, v8
	v_rcp_f32_e32 v7, v7
	v_frexp_exp_i32_f32_e32 v8, v8
	v_frexp_mant_f32_e32 v1, v1
	v_mul_f32_e32 v6, 0.5, v6
	v_mul_f32_e32 v1, v1, v7
	v_sub_u32_e32 v7, v9, v8
	v_ldexp_f32 v7, v1, v7
	v_mul_f32_e32 v1, v7, v7
	v_mov_b32_e32 v8, 0xbc7a590c
	v_fmac_f32_e32 v8, 0x3b2d2a58, v1
	v_fma_f32 v8, v1, v8, v34
	v_fma_f32 v8, v1, v8, v35
	;; [unrolled: 1-line block ×6, first 2 shown]
	v_mul_f32_e32 v1, v1, v8
	v_fmac_f32_e32 v7, v7, v1
                                        ; implicit-def: $vgpr8
                                        ; implicit-def: $vgpr1
                                        ; implicit-def: $vgpr9
.LBB57_71:                              ;   in Loop: Header=BB57_5 Depth=1
	s_andn2_saveexec_b64 s[8:9], s[8:9]
	s_cbranch_execz .LBB57_73
; %bb.72:                               ;   in Loop: Header=BB57_5 Depth=1
	v_cvt_f64_f32_e32 v[6:7], v8
	v_frexp_exp_i32_f64_e32 v6, v[6:7]
	v_sub_u32_e32 v7, 0, v6
	v_ldexp_f32 v15, |v11|, v7
	v_ldexp_f32 v7, |v10|, v7
	v_mul_f32_e32 v7, v7, v7
	v_fmac_f32_e32 v7, v15, v15
	v_sqrt_f32_e32 v7, v7
	v_cmp_neq_f32_e32 vcc, s60, v8
	v_min_f32_e32 v1, v1, v9
	v_ldexp_f32 v6, v7, v6
	v_cndmask_b32_e32 v6, v40, v6, vcc
	v_cmp_gt_f32_e32 vcc, s64, v6
	v_cndmask_b32_e32 v7, 1.0, v41, vcc
	v_mul_f32_e32 v6, v6, v7
	v_log_f32_e32 v6, v6
	v_cndmask_b32_e32 v7, 0, v42, vcc
	v_mul_f32_e32 v9, 0x3f317217, v6
	v_fma_f32 v15, v6, s65, -v9
	v_fmac_f32_e32 v15, 0x3377d1cf, v6
	v_add_f32_e32 v9, v9, v15
	v_cmp_lt_f32_e64 vcc, |v6|, s60
	v_cndmask_b32_e32 v6, v6, v9, vcc
	v_sub_f32_e32 v6, v6, v7
	v_frexp_mant_f32_e32 v7, v8
	v_rcp_f32_e32 v7, v7
	v_frexp_exp_i32_f32_e32 v8, v8
	v_frexp_exp_i32_f32_e32 v9, v1
	v_frexp_mant_f32_e32 v1, v1
	v_mul_f32_e32 v1, v1, v7
	v_sub_u32_e32 v7, v9, v8
	v_ldexp_f32 v7, v1, v7
	v_mul_f32_e32 v1, v7, v7
	v_mov_b32_e32 v8, 0xbc7a590c
	v_fmac_f32_e32 v8, 0x3b2d2a58, v1
	v_fma_f32 v8, v1, v8, v34
	v_fma_f32 v8, v1, v8, v35
	;; [unrolled: 1-line block ×6, first 2 shown]
	v_mul_f32_e32 v1, v1, v8
	v_fmac_f32_e32 v7, v7, v1
.LBB57_73:                              ;   in Loop: Header=BB57_5 Depth=1
	s_or_b64 exec, exec, s[8:9]
                                        ; implicit-def: $vgpr1
                                        ; implicit-def: $vgpr9
                                        ; implicit-def: $vgpr8
.LBB57_74:                              ;   in Loop: Header=BB57_5 Depth=1
	s_andn2_saveexec_b64 s[42:43], s[42:43]
	s_cbranch_execz .LBB57_76
; %bb.75:                               ;   in Loop: Header=BB57_5 Depth=1
	v_div_scale_f32 v6, s[8:9], s78, s78, v11
	v_rcp_f32_e32 v7, v6
	v_div_scale_f32 v15, vcc, v11, s78, v11
	v_min_f32_e32 v1, v1, v9
	v_fma_f32 v17, -v6, v7, 1.0
	v_fmac_f32_e32 v7, v17, v7
	v_mul_f32_e32 v17, v15, v7
	v_fma_f32 v22, -v6, v17, v15
	v_fmac_f32_e32 v17, v22, v7
	v_fma_f32 v6, -v6, v17, v15
	v_div_scale_f32 v15, s[8:9], s78, s78, v10
	v_rcp_f32_e32 v22, v15
	v_div_fmas_f32 v6, v6, v7, v17
	v_div_fixup_f32 v17, v6, s78, v11
	v_frexp_exp_i32_f32_e32 v9, v1
	v_fma_f32 v6, -v15, v22, 1.0
	v_fmac_f32_e32 v22, v6, v22
	v_div_scale_f32 v6, vcc, v10, s78, v10
	v_mul_f32_e32 v7, v6, v22
	v_fma_f32 v23, -v15, v7, v6
	v_fmac_f32_e32 v7, v23, v22
	v_fma_f32 v6, -v15, v7, v6
	v_div_fmas_f32 v6, v6, v22, v7
	v_div_fixup_f32 v15, v6, s78, v10
	v_max_f32_e64 v22, |v17|, |v15|
	v_cvt_f64_f32_e32 v[6:7], v22
	v_frexp_exp_i32_f64_e32 v6, v[6:7]
	v_sub_u32_e32 v7, 0, v6
	v_ldexp_f32 v17, |v17|, v7
	v_ldexp_f32 v7, |v15|, v7
	v_mul_f32_e32 v7, v7, v7
	v_fmac_f32_e32 v7, v17, v17
	v_sqrt_f32_e32 v7, v7
	v_cmp_neq_f32_e32 vcc, s60, v22
	v_frexp_mant_f32_e32 v1, v1
	v_ldexp_f32 v6, v7, v6
	v_cndmask_b32_e32 v6, v40, v6, vcc
	v_cmp_gt_f32_e32 vcc, s64, v6
	v_cndmask_b32_e32 v7, 1.0, v41, vcc
	v_mul_f32_e32 v6, v6, v7
	v_log_f32_e32 v6, v6
	v_mul_f32_e32 v7, 0x3f317217, v6
	v_fma_f32 v15, v6, s65, -v7
	v_fmac_f32_e32 v15, 0x3377d1cf, v6
	v_add_f32_e32 v7, v7, v15
	v_cmp_lt_f32_e64 s[8:9], |v6|, s60
	v_cndmask_b32_e64 v6, v6, v7, s[8:9]
	v_cndmask_b32_e32 v7, 0, v42, vcc
	v_sub_f32_e32 v6, v6, v7
	v_frexp_mant_f32_e32 v7, v8
	v_rcp_f32_e32 v7, v7
	v_frexp_exp_i32_f32_e32 v8, v8
	v_add_f32_e32 v6, 1.0, v6
	v_mul_f32_e32 v1, v1, v7
	v_sub_u32_e32 v7, v9, v8
	v_ldexp_f32 v7, v1, v7
	v_mul_f32_e32 v1, v7, v7
	v_mov_b32_e32 v8, 0xbc7a590c
	v_fmac_f32_e32 v8, 0x3b2d2a58, v1
	v_fma_f32 v8, v1, v8, v34
	v_fma_f32 v8, v1, v8, v35
	;; [unrolled: 1-line block ×6, first 2 shown]
	v_mul_f32_e32 v1, v1, v8
	v_fmac_f32_e32 v7, v7, v1
.LBB57_76:                              ;   in Loop: Header=BB57_5 Depth=1
	s_or_b64 exec, exec, s[42:43]
	v_sub_f32_e32 v1, 0x3fc90fdb, v7
	v_cndmask_b32_e64 v7, v7, v1, s[6:7]
                                        ; implicit-def: $vgpr1
                                        ; implicit-def: $vgpr9
                                        ; implicit-def: $vgpr8
.LBB57_77:                              ;   in Loop: Header=BB57_5 Depth=1
	s_andn2_saveexec_b64 s[40:41], s[40:41]
	s_cbranch_execz .LBB57_87
; %bb.78:                               ;   in Loop: Header=BB57_5 Depth=1
	v_cmp_lt_f32_e64 s[6:7], |v11|, |v10|
	v_cndmask_b32_e64 v15, |v11|, |v10|, s[6:7]
	v_cmp_nlt_f32_e32 vcc, s75, v15
                                        ; implicit-def: $vgpr6
                                        ; implicit-def: $vgpr7
	s_and_saveexec_b64 s[8:9], vcc
	s_xor_b64 s[42:43], exec, s[8:9]
	s_cbranch_execz .LBB57_84
; %bb.79:                               ;   in Loop: Header=BB57_5 Depth=1
	v_cndmask_b32_e64 v17, |v10|, |v11|, s[6:7]
	v_cmp_nlt_f32_e32 vcc, s76, v15
	v_cmp_ngt_f32_e64 s[8:9], s77, v17
	s_and_b64 s[8:9], vcc, s[8:9]
                                        ; implicit-def: $vgpr6
                                        ; implicit-def: $vgpr7
	s_and_saveexec_b64 s[44:45], s[8:9]
	s_xor_b64 s[8:9], exec, s[44:45]
	s_cbranch_execz .LBB57_81
; %bb.80:                               ;   in Loop: Header=BB57_5 Depth=1
	v_mul_f32_e32 v6, v17, v17
	v_fmac_f32_e32 v6, v15, v15
	v_cmp_gt_f32_e32 vcc, s64, v6
	v_cndmask_b32_e32 v7, 1.0, v41, vcc
	v_mul_f32_e32 v6, v6, v7
	v_log_f32_e32 v6, v6
	v_cndmask_b32_e32 v7, 0, v42, vcc
	v_min_f32_e32 v1, v1, v9
	v_frexp_exp_i32_f32_e32 v9, v1
	v_mul_f32_e32 v15, 0x3f317217, v6
	v_fma_f32 v17, v6, s65, -v15
	v_fmac_f32_e32 v17, 0x3377d1cf, v6
	v_add_f32_e32 v15, v15, v17
	v_cmp_lt_f32_e64 vcc, |v6|, s60
	v_cndmask_b32_e32 v6, v6, v15, vcc
	v_sub_f32_e32 v6, v6, v7
	v_frexp_mant_f32_e32 v7, v8
	v_rcp_f32_e32 v7, v7
	v_frexp_exp_i32_f32_e32 v8, v8
	v_frexp_mant_f32_e32 v1, v1
	v_mul_f32_e32 v6, 0.5, v6
	v_mul_f32_e32 v1, v1, v7
	v_sub_u32_e32 v7, v9, v8
	v_ldexp_f32 v7, v1, v7
	v_mul_f32_e32 v1, v7, v7
	v_mov_b32_e32 v8, 0xbc7a590c
	v_fmac_f32_e32 v8, 0x3b2d2a58, v1
	v_fma_f32 v8, v1, v8, v34
	v_fma_f32 v8, v1, v8, v35
	;; [unrolled: 1-line block ×6, first 2 shown]
	v_mul_f32_e32 v1, v1, v8
	v_fmac_f32_e32 v7, v7, v1
                                        ; implicit-def: $vgpr8
                                        ; implicit-def: $vgpr1
                                        ; implicit-def: $vgpr9
.LBB57_81:                              ;   in Loop: Header=BB57_5 Depth=1
	s_andn2_saveexec_b64 s[8:9], s[8:9]
	s_cbranch_execz .LBB57_83
; %bb.82:                               ;   in Loop: Header=BB57_5 Depth=1
	v_cvt_f64_f32_e32 v[6:7], v8
	v_frexp_exp_i32_f64_e32 v6, v[6:7]
	v_sub_u32_e32 v7, 0, v6
	v_ldexp_f32 v15, |v11|, v7
	v_ldexp_f32 v7, |v10|, v7
	v_mul_f32_e32 v7, v7, v7
	v_fmac_f32_e32 v7, v15, v15
	v_sqrt_f32_e32 v7, v7
	v_cmp_neq_f32_e32 vcc, s60, v8
	v_min_f32_e32 v1, v1, v9
	v_ldexp_f32 v6, v7, v6
	v_cndmask_b32_e32 v6, v40, v6, vcc
	v_cmp_gt_f32_e32 vcc, s64, v6
	v_cndmask_b32_e32 v7, 1.0, v41, vcc
	v_mul_f32_e32 v6, v6, v7
	v_log_f32_e32 v6, v6
	v_cndmask_b32_e32 v7, 0, v42, vcc
	v_mul_f32_e32 v9, 0x3f317217, v6
	v_fma_f32 v15, v6, s65, -v9
	v_fmac_f32_e32 v15, 0x3377d1cf, v6
	v_add_f32_e32 v9, v9, v15
	v_cmp_lt_f32_e64 vcc, |v6|, s60
	v_cndmask_b32_e32 v6, v6, v9, vcc
	v_sub_f32_e32 v6, v6, v7
	v_frexp_mant_f32_e32 v7, v8
	v_rcp_f32_e32 v7, v7
	v_frexp_exp_i32_f32_e32 v8, v8
	v_frexp_exp_i32_f32_e32 v9, v1
	v_frexp_mant_f32_e32 v1, v1
	v_mul_f32_e32 v1, v1, v7
	v_sub_u32_e32 v7, v9, v8
	v_ldexp_f32 v7, v1, v7
	v_mul_f32_e32 v1, v7, v7
	v_mov_b32_e32 v8, 0xbc7a590c
	v_fmac_f32_e32 v8, 0x3b2d2a58, v1
	v_fma_f32 v8, v1, v8, v34
	v_fma_f32 v8, v1, v8, v35
	;; [unrolled: 1-line block ×6, first 2 shown]
	v_mul_f32_e32 v1, v1, v8
	v_fmac_f32_e32 v7, v7, v1
.LBB57_83:                              ;   in Loop: Header=BB57_5 Depth=1
	s_or_b64 exec, exec, s[8:9]
                                        ; implicit-def: $vgpr1
                                        ; implicit-def: $vgpr9
                                        ; implicit-def: $vgpr8
.LBB57_84:                              ;   in Loop: Header=BB57_5 Depth=1
	s_andn2_saveexec_b64 s[42:43], s[42:43]
	s_cbranch_execz .LBB57_86
; %bb.85:                               ;   in Loop: Header=BB57_5 Depth=1
	v_div_scale_f32 v6, s[8:9], s79, s79, v11
	v_rcp_f32_e32 v7, v6
	v_div_scale_f32 v15, vcc, v11, s79, v11
	v_min_f32_e32 v1, v1, v9
	v_fma_f32 v17, -v6, v7, 1.0
	v_fmac_f32_e32 v7, v17, v7
	v_mul_f32_e32 v17, v15, v7
	v_fma_f32 v22, -v6, v17, v15
	v_fmac_f32_e32 v17, v22, v7
	v_fma_f32 v6, -v6, v17, v15
	v_div_scale_f32 v15, s[8:9], s79, s79, v10
	v_rcp_f32_e32 v22, v15
	v_div_fmas_f32 v6, v6, v7, v17
	v_div_fixup_f32 v17, v6, s79, v11
	v_frexp_exp_i32_f32_e32 v9, v1
	v_fma_f32 v6, -v15, v22, 1.0
	v_fmac_f32_e32 v22, v6, v22
	v_div_scale_f32 v6, vcc, v10, s79, v10
	v_mul_f32_e32 v7, v6, v22
	v_fma_f32 v23, -v15, v7, v6
	v_fmac_f32_e32 v7, v23, v22
	v_fma_f32 v6, -v15, v7, v6
	v_div_fmas_f32 v6, v6, v22, v7
	v_div_fixup_f32 v15, v6, s79, v10
	v_max_f32_e64 v22, |v17|, |v15|
	v_cvt_f64_f32_e32 v[6:7], v22
	v_frexp_exp_i32_f64_e32 v6, v[6:7]
	v_sub_u32_e32 v7, 0, v6
	v_ldexp_f32 v17, |v17|, v7
	v_ldexp_f32 v7, |v15|, v7
	v_mul_f32_e32 v7, v7, v7
	v_fmac_f32_e32 v7, v17, v17
	v_sqrt_f32_e32 v7, v7
	v_cmp_neq_f32_e32 vcc, s60, v22
	v_frexp_mant_f32_e32 v1, v1
	v_ldexp_f32 v6, v7, v6
	v_cndmask_b32_e32 v6, v40, v6, vcc
	v_cmp_gt_f32_e32 vcc, s64, v6
	v_cndmask_b32_e32 v7, 1.0, v41, vcc
	v_mul_f32_e32 v6, v6, v7
	v_log_f32_e32 v6, v6
	v_mul_f32_e32 v7, 0x3f317217, v6
	v_fma_f32 v15, v6, s65, -v7
	v_fmac_f32_e32 v15, 0x3377d1cf, v6
	v_add_f32_e32 v7, v7, v15
	v_cmp_lt_f32_e64 s[8:9], |v6|, s60
	v_cndmask_b32_e64 v6, v6, v7, s[8:9]
	v_cndmask_b32_e32 v7, 0, v42, vcc
	v_sub_f32_e32 v6, v6, v7
	v_frexp_mant_f32_e32 v7, v8
	v_rcp_f32_e32 v7, v7
	v_frexp_exp_i32_f32_e32 v8, v8
	v_add_f32_e32 v6, 1.0, v6
	v_mul_f32_e32 v1, v1, v7
	v_sub_u32_e32 v7, v9, v8
	v_ldexp_f32 v7, v1, v7
	v_mul_f32_e32 v1, v7, v7
	v_mov_b32_e32 v8, 0xbc7a590c
	v_fmac_f32_e32 v8, 0x3b2d2a58, v1
	v_fma_f32 v8, v1, v8, v34
	v_fma_f32 v8, v1, v8, v35
	;; [unrolled: 1-line block ×6, first 2 shown]
	v_mul_f32_e32 v1, v1, v8
	v_fmac_f32_e32 v7, v7, v1
.LBB57_86:                              ;   in Loop: Header=BB57_5 Depth=1
	s_or_b64 exec, exec, s[42:43]
	v_sub_f32_e32 v1, 0x3fc90fdb, v7
	v_cndmask_b32_e64 v7, v7, v1, s[6:7]
.LBB57_87:                              ;   in Loop: Header=BB57_5 Depth=1
	s_or_b64 exec, exec, s[40:41]
	v_cmp_neq_f32_e32 vcc, 0, v10
	v_cmp_class_f32_e64 s[6:7], v11, s74
	v_cmp_class_f32_e64 s[8:9], v10, s74
	v_cndmask_b32_e32 v1, 0, v7, vcc
	s_and_b64 vcc, s[8:9], s[6:7]
	v_cndmask_b32_e32 v1, v1, v46, vcc
	v_cmp_o_f32_e32 vcc, v10, v11
	v_cndmask_b32_e32 v1, v43, v1, vcc
	v_add_f32_e32 v7, 0x3f317218, v6
	v_bfi_b32 v6, s59, v1, v10
	v_bfi_b32 v7, s59, v7, v11
.LBB57_88:                              ;   in Loop: Header=BB57_5 Depth=1
	s_or_b64 exec, exec, s[38:39]
.LBB57_89:                              ;   in Loop: Header=BB57_5 Depth=1
	s_andn2_saveexec_b64 s[6:7], s[36:37]
	s_cbranch_execz .LBB57_103
; %bb.90:                               ;   in Loop: Header=BB57_5 Depth=1
	v_cmp_neq_f32_e64 s[8:9], |v11|, s60
                                        ; implicit-def: $vgpr7
	s_and_saveexec_b64 s[36:37], s[8:9]
	s_xor_b64 s[8:9], exec, s[36:37]
	s_cbranch_execz .LBB57_100
; %bb.91:                               ;   in Loop: Header=BB57_5 Depth=1
	v_cmp_neq_f32_e64 s[36:37], |v10|, s60
                                        ; implicit-def: $vgpr7
	s_and_saveexec_b64 s[38:39], s[36:37]
	s_xor_b64 s[36:37], exec, s[38:39]
	s_cbranch_execz .LBB57_97
; %bb.92:                               ;   in Loop: Header=BB57_5 Depth=1
	v_cmp_neq_f32_e32 vcc, 0, v10
                                        ; implicit-def: $vgpr7
	s_and_saveexec_b64 s[38:39], vcc
	s_xor_b64 s[38:39], exec, s[38:39]
; %bb.93:                               ;   in Loop: Header=BB57_5 Depth=1
	v_add_f32_e32 v1, 0, v11
	v_add_f32_e32 v7, v10, v1
; %bb.94:                               ;   in Loop: Header=BB57_5 Depth=1
	s_or_saveexec_b64 s[38:39], s[38:39]
	v_mov_b32_e32 v6, v7
	s_xor_b64 exec, exec, s[38:39]
; %bb.95:                               ;   in Loop: Header=BB57_5 Depth=1
	v_pk_add_f32 v[6:7], v[10:11], v[10:11]
	v_mov_b32_e32 v6, v10
; %bb.96:                               ;   in Loop: Header=BB57_5 Depth=1
	s_or_b64 exec, exec, s[38:39]
.LBB57_97:                              ;   in Loop: Header=BB57_5 Depth=1
	s_andn2_saveexec_b64 s[36:37], s[36:37]
; %bb.98:                               ;   in Loop: Header=BB57_5 Depth=1
	v_add_f32_e32 v6, v11, v11
	v_mov_b32_e32 v7, v10
; %bb.99:                               ;   in Loop: Header=BB57_5 Depth=1
	s_or_b64 exec, exec, s[36:37]
.LBB57_100:                             ;   in Loop: Header=BB57_5 Depth=1
	s_andn2_saveexec_b64 s[8:9], s[8:9]
; %bb.101:                              ;   in Loop: Header=BB57_5 Depth=1
	v_add_f32_e32 v6, v10, v10
	v_mov_b32_e32 v7, v11
; %bb.102:                              ;   in Loop: Header=BB57_5 Depth=1
	s_or_b64 exec, exec, s[8:9]
.LBB57_103:                             ;   in Loop: Header=BB57_5 Depth=1
	s_or_b64 exec, exec, s[6:7]
	v_cmp_o_f32_e32 vcc, v13, v13
	v_cmp_o_f32_e64 s[6:7], v12, v12
	s_and_b64 s[6:7], vcc, s[6:7]
	s_and_saveexec_b64 s[8:9], s[6:7]
	s_xor_b64 s[36:37], exec, s[8:9]
	s_cbranch_execz .LBB57_187
; %bb.104:                              ;   in Loop: Header=BB57_5 Depth=1
	v_max_f32_e64 v1, |v13|, |v13|
	v_max_f32_e64 v11, |v12|, |v12|
	v_max_f32_e32 v10, v11, v1
	v_cmp_nlt_f32_e32 vcc, s57, v10
	s_and_saveexec_b64 s[6:7], vcc
	s_xor_b64 s[8:9], exec, s[6:7]
	s_cbranch_execz .LBB57_164
; %bb.105:                              ;   in Loop: Header=BB57_5 Depth=1
	v_cmp_neq_f32_e32 vcc, 0, v13
	v_cmp_neq_f32_e64 s[6:7], 0, v12
	s_or_b64 s[6:7], vcc, s[6:7]
	s_and_saveexec_b64 s[38:39], s[6:7]
	s_cbranch_execz .LBB57_163
; %bb.106:                              ;   in Loop: Header=BB57_5 Depth=1
	v_pk_mov_b32 v[8:9], s[22:23], s[22:23] op_sel:[0,1]
	flat_store_dword v[8:9], v27
	s_waitcnt vmcnt(0)
	flat_load_dword v8, v[8:9] glc
	s_waitcnt vmcnt(0)
	v_cmp_nlt_f32_e64 s[6:7], |v13|, s58
	v_cmp_nlt_f32_e64 s[40:41], |v12|, s58
	s_or_b64 s[6:7], s[40:41], s[6:7]
	s_waitcnt lgkmcnt(0)
	v_add_f32_e32 v10, 1.0, v8
	v_pk_mov_b32 v[8:9], s[24:25], s[24:25] op_sel:[0,1]
	flat_store_dword v[8:9], v10
	s_waitcnt vmcnt(0)
	flat_load_dword v8, v[8:9] glc
	s_waitcnt vmcnt(0)
	s_and_saveexec_b64 s[40:41], s[6:7]
	s_cbranch_execz .LBB57_162
; %bb.107:                              ;   in Loop: Header=BB57_5 Depth=1
	s_waitcnt lgkmcnt(0)
	v_and_b32_e32 v8, 0x7fffffff, v12
	v_pk_add_f32 v[22:23], v[8:9], s[28:29] op_sel_hi:[0,1]
	v_max_f32_e64 v15, v1, |v22|
	v_cvt_f64_f32_e32 v[10:11], v15
	v_max_f32_e64 v9, v1, |v23|
	v_frexp_exp_i32_f64_e32 v1, v[10:11]
	v_sub_u32_e32 v10, 0, v1
	v_ldexp_f32 v11, |v13|, v10
	v_ldexp_f32 v10, |v22|, v10
	v_mul_f32_e32 v10, v10, v10
	v_fmac_f32_e32 v10, v11, v11
	v_sqrt_f32_e32 v17, v10
	v_cvt_f64_f32_e32 v[10:11], v9
	v_frexp_exp_i32_f64_e32 v10, v[10:11]
	v_sub_u32_e32 v11, 0, v10
	v_ldexp_f32 v24, |v13|, v11
	v_ldexp_f32 v11, |v23|, v11
	v_mul_f32_e32 v11, v11, v11
	v_fmac_f32_e32 v11, v24, v24
	v_sqrt_f32_e32 v11, v11
	v_ldexp_f32 v17, v17, v1
	v_cmp_neq_f32_e32 vcc, s60, v9
	v_ldexp_f32 v1, v11, v10
	v_cndmask_b32_e32 v1, v40, v1, vcc
	v_cmp_neq_f32_e32 vcc, s60, v15
	v_cndmask_b32_e32 v9, v40, v17, vcc
	v_add_f32_e32 v10, v9, v1
	v_mul_f32_e32 v10, 0.5, v10
	v_cmp_ngt_f32_e32 vcc, 1.0, v10
	v_cndmask_b32_e32 v10, 1.0, v10, vcc
	v_cmp_ngt_f32_e32 vcc, s61, v10
                                        ; implicit-def: $vgpr15
	s_and_saveexec_b64 s[6:7], vcc
	s_xor_b64 s[42:43], exec, s[6:7]
	s_cbranch_execz .LBB57_109
; %bb.108:                              ;   in Loop: Header=BB57_5 Depth=1
	v_fma_f32 v11, v10, v10, -1.0
	v_mul_f32_e32 v15, 0x4f800000, v11
	v_cmp_gt_f32_e32 vcc, s62, v11
	v_cndmask_b32_e32 v11, v11, v15, vcc
	v_sqrt_f32_e32 v15, v11
	v_add_u32_e32 v17, -1, v15
	v_fma_f32 v25, -v17, v15, v11
	v_add_u32_e32 v24, 1, v15
	v_cmp_ge_f32_e64 s[6:7], 0, v25
	v_cndmask_b32_e64 v17, v15, v17, s[6:7]
	v_fma_f32 v15, -v24, v15, v11
	v_cmp_lt_f32_e64 s[6:7], 0, v15
	v_cndmask_b32_e64 v15, v17, v24, s[6:7]
	v_mul_f32_e32 v17, 0x37800000, v15
	v_cndmask_b32_e32 v15, v15, v17, vcc
	v_cmp_class_f32_e32 vcc, v11, v28
	v_cndmask_b32_e32 v11, v15, v11, vcc
	v_add_f32_e32 v11, v10, v11
	v_cmp_gt_f32_e32 vcc, s64, v11
	v_cndmask_b32_e32 v15, 1.0, v41, vcc
	v_mul_f32_e32 v11, v11, v15
	v_log_f32_e32 v11, v11
	v_mul_f32_e32 v15, 0x3f317217, v11
	v_fma_f32 v17, v11, s65, -v15
	v_fmac_f32_e32 v17, 0x3377d1cf, v11
	v_add_f32_e32 v15, v15, v17
	v_cmp_lt_f32_e64 s[6:7], |v11|, s60
	v_cndmask_b32_e64 v11, v11, v15, s[6:7]
	v_cndmask_b32_e32 v15, 0, v42, vcc
	v_sub_f32_e32 v15, v11, v15
.LBB57_109:                             ;   in Loop: Header=BB57_5 Depth=1
	s_or_saveexec_b64 s[42:43], s[42:43]
	v_and_b32_e32 v25, 0x7fffffff, v13
	v_and_b32_e32 v48, 0x7fffffff, v23
	s_xor_b64 exec, exec, s[42:43]
	s_cbranch_execz .LBB57_131
; %bb.110:                              ;   in Loop: Header=BB57_5 Depth=1
	v_cmp_neq_f32_e64 s[6:7], |v12|, 1.0
	v_cmp_nlt_f32_e64 s[44:45], |v13|, s66
	s_or_b64 s[6:7], s[6:7], s[44:45]
                                        ; implicit-def: $vgpr15
	s_and_saveexec_b64 s[44:45], s[6:7]
	s_xor_b64 s[44:45], exec, s[44:45]
	s_cbranch_execz .LBB57_128
; %bb.111:                              ;   in Loop: Header=BB57_5 Depth=1
	v_mul_f32_e32 v11, 0x34000000, v48
	v_cmp_le_f32_e64 s[6:7], v11, |v13|
                                        ; implicit-def: $vgpr15
	s_and_saveexec_b64 s[46:47], s[6:7]
	s_xor_b64 s[46:47], exec, s[46:47]
	s_cbranch_execz .LBB57_121
; %bb.112:                              ;   in Loop: Header=BB57_5 Depth=1
	v_cmp_neq_f32_e32 vcc, 0, v22
	v_mov_b32_e32 v11, v25
	s_and_saveexec_b64 s[6:7], vcc
	s_cbranch_execz .LBB57_114
; %bb.113:                              ;   in Loop: Header=BB57_5 Depth=1
	v_mul_f32_e32 v11, v13, v13
	v_add_f32_e32 v15, v22, v9
	v_div_scale_f32 v17, s[48:49], v15, v15, v11
	v_rcp_f32_e32 v24, v17
	v_fma_f32 v49, -v17, v24, 1.0
	v_fmac_f32_e32 v24, v49, v24
	v_div_scale_f32 v49, vcc, v11, v15, v11
	v_mul_f32_e32 v50, v49, v24
	v_fma_f32 v51, -v17, v50, v49
	v_fmac_f32_e32 v50, v51, v24
	v_fma_f32 v17, -v17, v50, v49
	v_div_fmas_f32 v17, v17, v24, v50
	v_div_fixup_f32 v11, v17, v15, v11
.LBB57_114:                             ;   in Loop: Header=BB57_5 Depth=1
	s_or_b64 exec, exec, s[6:7]
	v_sub_f32_e64 v17, 1.0, |v12|
	v_cmp_ngt_f32_e32 vcc, 0, v17
                                        ; implicit-def: $vgpr15
	s_and_saveexec_b64 s[6:7], vcc
	s_xor_b64 s[6:7], exec, s[6:7]
	s_cbranch_execz .LBB57_118
; %bb.115:                              ;   in Loop: Header=BB57_5 Depth=1
	v_cmp_neq_f32_e32 vcc, 0, v17
	v_mov_b32_e32 v15, v25
	s_and_saveexec_b64 s[48:49], vcc
	s_cbranch_execz .LBB57_117
; %bb.116:                              ;   in Loop: Header=BB57_5 Depth=1
	v_mul_f32_e32 v15, v13, v13
	v_add_f32_e32 v17, v17, v1
	v_div_scale_f32 v24, s[50:51], v17, v17, v15
	v_rcp_f32_e32 v49, v24
	v_fma_f32 v50, -v24, v49, 1.0
	v_fmac_f32_e32 v49, v50, v49
	v_div_scale_f32 v50, vcc, v15, v17, v15
	v_mul_f32_e32 v51, v50, v49
	v_fma_f32 v52, -v24, v51, v50
	v_fmac_f32_e32 v51, v52, v49
	v_fma_f32 v24, -v24, v51, v50
	v_div_fmas_f32 v24, v24, v49, v51
	v_div_fixup_f32 v15, v24, v17, v15
.LBB57_117:                             ;   in Loop: Header=BB57_5 Depth=1
	s_or_b64 exec, exec, s[48:49]
                                        ; implicit-def: $vgpr17
.LBB57_118:                             ;   in Loop: Header=BB57_5 Depth=1
	s_andn2_saveexec_b64 s[6:7], s[6:7]
; %bb.119:                              ;   in Loop: Header=BB57_5 Depth=1
	v_sub_f32_e32 v15, v1, v17
; %bb.120:                              ;   in Loop: Header=BB57_5 Depth=1
	s_or_b64 exec, exec, s[6:7]
	v_mul_f32_e32 v11, 0.5, v11
	v_mul_f32_e32 v15, 0.5, v15
	v_pk_add_f32 v[50:51], v[10:11], v[14:15]
	v_mul_f32_e32 v11, v50, v51
	v_mul_f32_e32 v15, 0x4f800000, v11
	v_cmp_gt_f32_e32 vcc, s62, v11
	v_cndmask_b32_e32 v11, v11, v15, vcc
	v_sqrt_f32_e32 v15, v11
	v_add_u32_e32 v17, -1, v15
	v_fma_f32 v24, -v17, v15, v11
	v_cmp_ge_f32_e64 s[6:7], 0, v24
	v_add_u32_e32 v24, 1, v15
	v_cndmask_b32_e64 v17, v15, v17, s[6:7]
	v_fma_f32 v15, -v24, v15, v11
	v_cmp_lt_f32_e64 s[6:7], 0, v15
	v_cndmask_b32_e64 v15, v17, v24, s[6:7]
	v_mul_f32_e32 v17, 0x37800000, v15
	v_cndmask_b32_e32 v15, v15, v17, vcc
	v_cmp_class_f32_e32 vcc, v11, v28
	v_cndmask_b32_e32 v11, v15, v11, vcc
	v_add_f32_e32 v50, v51, v11
	v_add_f32_e32 v53, 1.0, v50
	v_add_f32_e32 v51, -1.0, v53
	v_mov_b32_e32 v52, v51
	v_pk_add_f32 v[54:55], v[50:51], v[52:53] neg_lo:[0,1] neg_hi:[0,1]
	v_add_f32_e32 v11, 1.0, v55
	v_add_f32_e32 v11, v54, v11
	v_frexp_mant_f32_e32 v15, v53
	v_cvt_f64_f32_e32 v[54:55], v53
	v_frexp_exp_i32_f64_e32 v17, v[54:55]
	v_cmp_gt_f32_e32 vcc, s67, v15
	v_subbrev_co_u32_e32 v15, vcc, 0, v17, vcc
	v_sub_u32_e32 v17, 0, v15
	v_ldexp_f32 v24, v53, v17
	v_ldexp_f32 v11, v11, v17
	v_add_f32_e32 v17, -1.0, v24
	v_add_f32_e32 v51, 1.0, v24
	v_add_f32_e32 v49, 1.0, v17
	v_add_f32_e32 v52, -1.0, v51
	v_sub_f32_e32 v49, v24, v49
	v_sub_f32_e32 v24, v24, v52
	v_add_f32_e32 v49, v11, v49
	v_add_f32_e32 v11, v11, v24
	;; [unrolled: 1-line block ×3, first 2 shown]
	v_sub_f32_e32 v51, v24, v51
	v_sub_f32_e32 v11, v11, v51
	v_rcp_f32_e32 v51, v24
	v_add_f32_e32 v53, v17, v49
	v_sub_f32_e32 v17, v53, v17
	v_sub_f32_e32 v17, v49, v17
	v_mul_f32_e32 v49, v53, v51
	v_mul_f32_e32 v54, v24, v49
	v_fma_f32 v56, v49, v24, -v54
	v_fmac_f32_e32 v56, v49, v11
	v_add_f32_e32 v52, v54, v56
	v_sub_f32_e32 v55, v53, v52
	v_pk_add_f32 v[58:59], v[52:53], v[54:55] neg_lo:[0,1] neg_hi:[0,1]
	v_mov_b32_e32 v57, v52
	v_pk_add_f32 v[52:53], v[58:59], v[56:57] neg_lo:[0,1] neg_hi:[0,1]
	v_add_f32_e32 v17, v17, v53
	v_add_f32_e32 v17, v52, v17
	;; [unrolled: 1-line block ×3, first 2 shown]
	v_mul_f32_e32 v60, v51, v53
	v_mul_f32_e32 v54, v24, v60
	v_fma_f32 v56, v60, v24, -v54
	v_fmac_f32_e32 v56, v60, v11
	v_add_f32_e32 v52, v54, v56
	v_sub_f32_e32 v11, v55, v53
	v_sub_f32_e32 v55, v53, v52
	v_pk_add_f32 v[58:59], v[52:53], v[54:55] neg_lo:[0,1] neg_hi:[0,1]
	v_mov_b32_e32 v57, v52
	v_add_f32_e32 v11, v17, v11
	v_pk_add_f32 v[52:53], v[58:59], v[56:57] neg_lo:[0,1] neg_hi:[0,1]
	v_add_f32_e32 v11, v11, v53
	v_add_f32_e32 v11, v52, v11
	;; [unrolled: 1-line block ×4, first 2 shown]
	v_sub_f32_e32 v17, v24, v49
	v_mul_f32_e32 v11, v51, v11
	v_sub_f32_e32 v17, v60, v17
	v_add_f32_e32 v11, v17, v11
	v_add_f32_e32 v49, v24, v11
	v_cvt_f32_i32_e32 v52, v15
	v_mul_f32_e32 v51, v49, v49
	v_mov_b32_e32 v17, 0x3ecc95a3
	v_fmac_f32_e32 v17, 0x3e9b6dac, v51
	v_fma_f32 v17, v51, v17, v29
	v_mul_f32_e32 v53, v49, v51
	v_pk_mul_f32 v[56:57], v[52:53], v[16:17]
	v_fma_f32 v54, v52, s68, -v56
	v_ldexp_f32 v55, v49, 1
	v_fmac_f32_e32 v54, 0xb102e308, v52
	v_sub_f32_e32 v15, v49, v24
	v_pk_add_f32 v[52:53], v[56:57], v[54:55]
	v_sub_f32_e32 v11, v11, v15
	v_sub_f32_e32 v15, v53, v55
	v_ldexp_f32 v11, v11, 1
	v_sub_f32_e32 v15, v57, v15
	v_add_f32_e32 v59, v11, v15
	v_mov_b32_e32 v58, v56
	v_pk_add_f32 v[56:57], v[52:53], v[56:57] neg_lo:[0,1] neg_hi:[0,1]
	v_pk_add_f32 v[60:61], v[52:53], v[58:59]
	v_mov_b32_e32 v57, v61
	v_mov_b32_e32 v55, v52
	v_pk_add_f32 v[62:63], v[54:55], v[56:57] neg_lo:[0,1] neg_hi:[0,1]
	v_pk_add_f32 v[54:55], v[54:55], v[56:57]
	v_mov_b32_e32 v24, v55
	v_pk_add_f32 v[56:57], v[24:25], v[52:53] neg_lo:[0,1] neg_hi:[0,1]
	v_mov_b32_e32 v11, v56
	v_pk_add_f32 v[64:65], v[60:61], v[10:11] neg_lo:[0,1] neg_hi:[0,1]
	v_mov_b32_e32 v54, v61
	v_mov_b32_e32 v60, v53
	;; [unrolled: 1-line block ×4, first 2 shown]
	v_pk_add_f32 v[54:55], v[54:55], v[60:61] neg_lo:[0,1] neg_hi:[0,1]
	v_mov_b32_e32 v56, v59
	v_mov_b32_e32 v57, v52
	v_pk_add_f32 v[52:53], v[56:57], v[54:55] neg_lo:[0,1] neg_hi:[0,1]
	v_mov_b32_e32 v64, v62
	v_pk_add_f32 v[54:55], v[64:65], v[52:53]
	v_mov_b32_e32 v56, v55
	v_pk_add_f32 v[56:57], v[54:55], v[56:57]
	v_pk_add_f32 v[58:59], v[24:25], v[56:57]
	v_mov_b32_e32 v55, v58
	v_pk_add_f32 v[60:61], v[54:55], v[62:63] neg_lo:[0,1] neg_hi:[0,1]
	v_mov_b32_e32 v53, v56
	v_sub_f32_e32 v11, v54, v60
	v_pk_add_f32 v[52:53], v[52:53], v[60:61] neg_lo:[0,1] neg_hi:[0,1]
	v_sub_f32_e32 v11, v62, v11
	v_add_f32_e32 v11, v52, v11
	v_add_f32_e32 v11, v11, v53
	;; [unrolled: 1-line block ×3, first 2 shown]
	v_cmp_eq_f32_e32 vcc, s60, v50
	v_cndmask_b32_e32 v11, v11, v50, vcc
	v_cmp_ngt_f32_e32 vcc, -1.0, v50
	v_cndmask_b32_e32 v11, v43, v11, vcc
	v_cmp_neq_f32_e32 vcc, -1.0, v50
	v_cndmask_b32_e32 v11, v44, v11, vcc
	v_cmp_lt_f32_e64 vcc, |v50|, s69
	v_cndmask_b32_e32 v15, v11, v50, vcc
.LBB57_121:                             ;   in Loop: Header=BB57_5 Depth=1
	s_andn2_saveexec_b64 s[46:47], s[46:47]
	s_cbranch_execz .LBB57_127
; %bb.122:                              ;   in Loop: Header=BB57_5 Depth=1
	v_cmp_nlt_f32_e64 s[6:7], |v12|, 1.0
                                        ; implicit-def: $vgpr15
	s_and_saveexec_b64 s[48:49], s[6:7]
	s_xor_b64 s[48:49], exec, s[48:49]
	s_cbranch_execz .LBB57_124
; %bb.123:                              ;   in Loop: Header=BB57_5 Depth=1
	v_mul_f32_e32 v11, v23, v22
	v_mul_f32_e32 v15, 0x4f800000, v11
	v_cmp_gt_f32_e32 vcc, s62, v11
	v_cndmask_b32_e32 v11, v11, v15, vcc
	v_sqrt_f32_e32 v15, v11
	v_add_u32_e32 v17, -1, v15
	v_fma_f32 v49, -v17, v15, v11
	v_add_u32_e32 v24, 1, v15
	v_cmp_ge_f32_e64 s[6:7], 0, v49
	v_cndmask_b32_e64 v17, v15, v17, s[6:7]
	v_fma_f32 v15, -v24, v15, v11
	v_cmp_lt_f32_e64 s[6:7], 0, v15
	v_cndmask_b32_e64 v15, v17, v24, s[6:7]
	v_mul_f32_e32 v17, 0x37800000, v15
	v_cndmask_b32_e32 v15, v15, v17, vcc
	v_cmp_class_f32_e32 vcc, v11, v28
	v_cndmask_b32_e32 v11, v15, v11, vcc
	v_add_f32_e32 v50, v23, v11
	v_add_f32_e32 v53, 1.0, v50
	v_add_f32_e32 v51, -1.0, v53
	v_mov_b32_e32 v52, v51
	v_pk_add_f32 v[54:55], v[50:51], v[52:53] neg_lo:[0,1] neg_hi:[0,1]
	v_add_f32_e32 v11, 1.0, v55
	v_add_f32_e32 v11, v54, v11
	v_frexp_mant_f32_e32 v15, v53
	v_cvt_f64_f32_e32 v[54:55], v53
	v_frexp_exp_i32_f64_e32 v17, v[54:55]
	v_cmp_gt_f32_e32 vcc, s67, v15
	v_subbrev_co_u32_e32 v15, vcc, 0, v17, vcc
	v_sub_u32_e32 v17, 0, v15
	v_ldexp_f32 v24, v53, v17
	v_ldexp_f32 v11, v11, v17
	v_add_f32_e32 v17, -1.0, v24
	v_add_f32_e32 v51, 1.0, v24
	v_add_f32_e32 v49, 1.0, v17
	v_add_f32_e32 v52, -1.0, v51
	v_sub_f32_e32 v49, v24, v49
	v_sub_f32_e32 v24, v24, v52
	v_add_f32_e32 v49, v11, v49
	v_add_f32_e32 v11, v11, v24
	;; [unrolled: 1-line block ×3, first 2 shown]
	v_sub_f32_e32 v51, v24, v51
	v_sub_f32_e32 v11, v11, v51
	v_rcp_f32_e32 v51, v24
	v_add_f32_e32 v53, v17, v49
	v_sub_f32_e32 v17, v53, v17
	v_sub_f32_e32 v17, v49, v17
	v_mul_f32_e32 v49, v53, v51
	v_mul_f32_e32 v54, v24, v49
	v_fma_f32 v56, v49, v24, -v54
	v_fmac_f32_e32 v56, v49, v11
	v_add_f32_e32 v52, v54, v56
	v_sub_f32_e32 v55, v53, v52
	v_pk_add_f32 v[58:59], v[52:53], v[54:55] neg_lo:[0,1] neg_hi:[0,1]
	v_mov_b32_e32 v57, v52
	v_pk_add_f32 v[52:53], v[58:59], v[56:57] neg_lo:[0,1] neg_hi:[0,1]
	v_add_f32_e32 v17, v17, v53
	v_add_f32_e32 v17, v52, v17
	;; [unrolled: 1-line block ×3, first 2 shown]
	v_mul_f32_e32 v60, v51, v53
	v_mul_f32_e32 v54, v24, v60
	v_fma_f32 v56, v60, v24, -v54
	v_fmac_f32_e32 v56, v60, v11
	v_add_f32_e32 v52, v54, v56
	v_sub_f32_e32 v11, v55, v53
	v_sub_f32_e32 v55, v53, v52
	v_pk_add_f32 v[58:59], v[52:53], v[54:55] neg_lo:[0,1] neg_hi:[0,1]
	v_mov_b32_e32 v57, v52
	v_add_f32_e32 v11, v17, v11
	v_pk_add_f32 v[52:53], v[58:59], v[56:57] neg_lo:[0,1] neg_hi:[0,1]
	v_add_f32_e32 v11, v11, v53
	v_add_f32_e32 v11, v52, v11
	;; [unrolled: 1-line block ×4, first 2 shown]
	v_sub_f32_e32 v17, v24, v49
	v_mul_f32_e32 v11, v51, v11
	v_sub_f32_e32 v17, v60, v17
	v_add_f32_e32 v11, v17, v11
	v_add_f32_e32 v49, v24, v11
	v_cvt_f32_i32_e32 v52, v15
	v_mul_f32_e32 v51, v49, v49
	v_mov_b32_e32 v17, 0x3ecc95a3
	v_fmac_f32_e32 v17, 0x3e9b6dac, v51
	v_fma_f32 v17, v51, v17, v29
	v_mul_f32_e32 v53, v49, v51
	v_pk_mul_f32 v[56:57], v[52:53], v[16:17]
	v_fma_f32 v54, v52, s68, -v56
	v_ldexp_f32 v55, v49, 1
	v_fmac_f32_e32 v54, 0xb102e308, v52
	v_sub_f32_e32 v15, v49, v24
	v_pk_add_f32 v[52:53], v[56:57], v[54:55]
	v_sub_f32_e32 v11, v11, v15
	v_sub_f32_e32 v15, v53, v55
	v_ldexp_f32 v11, v11, 1
	v_sub_f32_e32 v15, v57, v15
	v_add_f32_e32 v59, v11, v15
	v_mov_b32_e32 v58, v56
	v_pk_add_f32 v[56:57], v[52:53], v[56:57] neg_lo:[0,1] neg_hi:[0,1]
	v_pk_add_f32 v[60:61], v[52:53], v[58:59]
	v_mov_b32_e32 v57, v61
	v_mov_b32_e32 v55, v52
	v_pk_add_f32 v[62:63], v[54:55], v[56:57] neg_lo:[0,1] neg_hi:[0,1]
	v_pk_add_f32 v[54:55], v[54:55], v[56:57]
	v_mov_b32_e32 v24, v55
	v_pk_add_f32 v[56:57], v[24:25], v[52:53] neg_lo:[0,1] neg_hi:[0,1]
	v_mov_b32_e32 v11, v56
	v_pk_add_f32 v[64:65], v[60:61], v[10:11] neg_lo:[0,1] neg_hi:[0,1]
	v_mov_b32_e32 v54, v61
	v_mov_b32_e32 v60, v53
	;; [unrolled: 1-line block ×4, first 2 shown]
	v_pk_add_f32 v[54:55], v[54:55], v[60:61] neg_lo:[0,1] neg_hi:[0,1]
	v_mov_b32_e32 v56, v59
	v_mov_b32_e32 v57, v52
	v_pk_add_f32 v[52:53], v[56:57], v[54:55] neg_lo:[0,1] neg_hi:[0,1]
	v_mov_b32_e32 v64, v62
	v_pk_add_f32 v[54:55], v[64:65], v[52:53]
	v_mov_b32_e32 v56, v55
	v_pk_add_f32 v[56:57], v[54:55], v[56:57]
	v_pk_add_f32 v[58:59], v[24:25], v[56:57]
	v_mov_b32_e32 v55, v58
	v_pk_add_f32 v[60:61], v[54:55], v[62:63] neg_lo:[0,1] neg_hi:[0,1]
	v_mov_b32_e32 v53, v56
	v_sub_f32_e32 v11, v54, v60
	v_pk_add_f32 v[52:53], v[52:53], v[60:61] neg_lo:[0,1] neg_hi:[0,1]
	v_sub_f32_e32 v11, v62, v11
	v_add_f32_e32 v11, v52, v11
	v_add_f32_e32 v11, v11, v53
	;; [unrolled: 1-line block ×3, first 2 shown]
	v_cmp_eq_f32_e32 vcc, s60, v50
	v_cndmask_b32_e32 v11, v11, v50, vcc
	v_cmp_ngt_f32_e32 vcc, -1.0, v50
	v_cndmask_b32_e32 v11, v43, v11, vcc
	v_cmp_neq_f32_e32 vcc, -1.0, v50
	v_cndmask_b32_e32 v11, v44, v11, vcc
	v_cmp_lt_f32_e64 vcc, |v50|, s69
	v_cndmask_b32_e32 v15, v11, v50, vcc
.LBB57_124:                             ;   in Loop: Header=BB57_5 Depth=1
	s_andn2_saveexec_b64 s[48:49], s[48:49]
	s_cbranch_execz .LBB57_126
; %bb.125:                              ;   in Loop: Header=BB57_5 Depth=1
	v_sub_f32_e64 v11, 1.0, |v12|
	v_mul_f32_e32 v11, v11, v22
	v_mul_f32_e32 v15, 0x4f800000, v11
	v_cmp_gt_f32_e32 vcc, s62, v11
	v_cndmask_b32_e32 v11, v11, v15, vcc
	v_sqrt_f32_e32 v15, v11
	v_add_u32_e32 v17, -1, v15
	v_fma_f32 v49, -v17, v15, v11
	v_add_u32_e32 v24, 1, v15
	v_cmp_ge_f32_e64 s[6:7], 0, v49
	v_cndmask_b32_e64 v17, v15, v17, s[6:7]
	v_fma_f32 v15, -v24, v15, v11
	v_cmp_lt_f32_e64 s[6:7], 0, v15
	v_cndmask_b32_e64 v15, v17, v24, s[6:7]
	v_mul_f32_e32 v17, 0x37800000, v15
	v_cndmask_b32_e32 v15, v15, v17, vcc
	v_cmp_class_f32_e32 vcc, v11, v28
	v_cndmask_b32_e32 v11, v15, v11, vcc
	v_and_b32_e32 v15, 0x7fffffff, v13
	v_div_scale_f32 v17, s[6:7], v11, v11, v15
	v_rcp_f32_e32 v24, v17
	v_div_scale_f32 v15, vcc, v15, v11, v15
	v_fma_f32 v49, -v17, v24, 1.0
	v_fmac_f32_e32 v24, v49, v24
	v_mul_f32_e32 v49, v15, v24
	v_fma_f32 v50, -v17, v49, v15
	v_fmac_f32_e32 v49, v50, v24
	v_fma_f32 v15, -v17, v49, v15
	v_div_fmas_f32 v15, v15, v24, v49
	v_div_fixup_f32 v15, v15, v11, |v13|
.LBB57_126:                             ;   in Loop: Header=BB57_5 Depth=1
	s_or_b64 exec, exec, s[48:49]
.LBB57_127:                             ;   in Loop: Header=BB57_5 Depth=1
	s_or_b64 exec, exec, s[46:47]
.LBB57_128:                             ;   in Loop: Header=BB57_5 Depth=1
	s_andn2_saveexec_b64 s[44:45], s[44:45]
	s_cbranch_execz .LBB57_130
; %bb.129:                              ;   in Loop: Header=BB57_5 Depth=1
	v_mul_f32_e64 v11, |v13|, s63
	v_cmp_lt_f32_e64 vcc, |v13|, s62
	v_cndmask_b32_e64 v11, |v13|, v11, vcc
	v_sqrt_f32_e32 v15, v11
	v_add_u32_e32 v17, -1, v15
	v_fma_f32 v49, -v17, v15, v11
	v_add_u32_e32 v24, 1, v15
	v_cmp_ge_f32_e64 s[6:7], 0, v49
	v_cndmask_b32_e64 v17, v15, v17, s[6:7]
	v_fma_f32 v15, -v24, v15, v11
	v_cmp_lt_f32_e64 s[6:7], 0, v15
	v_cndmask_b32_e64 v15, v17, v24, s[6:7]
	v_mul_f32_e32 v17, 0x37800000, v15
	v_cndmask_b32_e32 v15, v15, v17, vcc
	v_cmp_class_f32_e32 vcc, v11, v28
	v_cndmask_b32_e32 v15, v15, v11, vcc
.LBB57_130:                             ;   in Loop: Header=BB57_5 Depth=1
	s_or_b64 exec, exec, s[44:45]
.LBB57_131:                             ;   in Loop: Header=BB57_5 Depth=1
	s_or_b64 exec, exec, s[42:43]
	v_cmp_nlt_f32_e64 s[42:43], |v12|, s70
                                        ; implicit-def: $sgpr6_sgpr7
                                        ; implicit-def: $vgpr24
                                        ; implicit-def: $vgpr17
	s_and_saveexec_b64 s[44:45], s[42:43]
	s_xor_b64 s[42:43], exec, s[44:45]
	s_cbranch_execz .LBB57_155
; %bb.132:                              ;   in Loop: Header=BB57_5 Depth=1
	v_div_scale_f32 v11, s[6:7], v10, v10, v8
	v_rcp_f32_e32 v17, v11
	v_div_scale_f32 v24, vcc, v8, v10, v8
	s_mov_b64 s[6:7], 0
	v_fma_f32 v49, -v11, v17, 1.0
	v_fmac_f32_e32 v17, v49, v17
	v_mul_f32_e32 v49, v24, v17
	v_fma_f32 v50, -v11, v49, v24
	v_fmac_f32_e32 v49, v50, v17
	v_fma_f32 v11, -v11, v49, v24
	v_div_fmas_f32 v11, v11, v17, v49
	v_div_fixup_f32 v17, v11, v10, |v12|
	v_cmp_lt_f32_e32 vcc, s71, v17
                                        ; implicit-def: $vgpr24
	s_and_saveexec_b64 s[44:45], vcc
	s_cbranch_execz .LBB57_154
; %bb.133:                              ;   in Loop: Header=BB57_5 Depth=1
	v_cmp_neq_f32_e64 s[6:7], |v12|, 1.0
	v_cmp_nlt_f32_e64 s[46:47], |v13|, s72
	s_or_b64 s[6:7], s[6:7], s[46:47]
                                        ; implicit-def: $sgpr48_sgpr49
                                        ; implicit-def: $vgpr24
	s_and_saveexec_b64 s[46:47], s[6:7]
	s_xor_b64 s[46:47], exec, s[46:47]
	s_cbranch_execz .LBB57_151
; %bb.134:                              ;   in Loop: Header=BB57_5 Depth=1
	v_mul_f32_e32 v11, 0x34000000, v48
	v_cmp_le_f32_e64 s[6:7], v11, |v13|
                                        ; implicit-def: $vgpr24
                                        ; implicit-def: $sgpr48_sgpr49
	s_and_saveexec_b64 s[50:51], s[6:7]
	s_xor_b64 s[50:51], exec, s[50:51]
	s_cbranch_execz .LBB57_144
; %bb.135:                              ;   in Loop: Header=BB57_5 Depth=1
	v_cmp_neq_f32_e32 vcc, 0, v22
	v_mov_b32_e32 v11, v25
	s_and_saveexec_b64 s[6:7], vcc
	s_cbranch_execz .LBB57_137
; %bb.136:                              ;   in Loop: Header=BB57_5 Depth=1
	v_mul_f32_e32 v11, v13, v13
	v_add_f32_e32 v9, v22, v9
	v_div_scale_f32 v22, s[48:49], v9, v9, v11
	v_rcp_f32_e32 v24, v22
	v_fma_f32 v48, -v22, v24, 1.0
	v_fmac_f32_e32 v24, v48, v24
	v_div_scale_f32 v48, vcc, v11, v9, v11
	v_mul_f32_e32 v49, v48, v24
	v_fma_f32 v50, -v22, v49, v48
	v_fmac_f32_e32 v49, v50, v24
	v_fma_f32 v22, -v22, v49, v48
	v_div_fmas_f32 v22, v22, v24, v49
	v_div_fixup_f32 v11, v22, v9, v11
.LBB57_137:                             ;   in Loop: Header=BB57_5 Depth=1
	s_or_b64 exec, exec, s[6:7]
	v_cmp_ngt_f32_e32 vcc, 0, v23
	s_and_saveexec_b64 s[6:7], vcc
	s_xor_b64 s[6:7], exec, s[6:7]
	s_cbranch_execz .LBB57_141
; %bb.138:                              ;   in Loop: Header=BB57_5 Depth=1
	v_cmp_neq_f32_e32 vcc, 0, v23
	s_and_saveexec_b64 s[48:49], vcc
	s_cbranch_execz .LBB57_140
; %bb.139:                              ;   in Loop: Header=BB57_5 Depth=1
	v_mul_f32_e32 v9, v13, v13
	v_add_f32_e32 v1, v23, v1
	v_div_scale_f32 v22, s[52:53], v1, v1, v9
	v_rcp_f32_e32 v23, v22
	v_fma_f32 v24, -v22, v23, 1.0
	v_fmac_f32_e32 v23, v24, v23
	v_div_scale_f32 v24, vcc, v9, v1, v9
	v_mul_f32_e32 v25, v24, v23
	v_fma_f32 v48, -v22, v25, v24
	v_fmac_f32_e32 v25, v48, v23
	v_fma_f32 v22, -v22, v25, v24
	v_div_fmas_f32 v22, v22, v23, v25
	v_div_fixup_f32 v25, v22, v1, v9
.LBB57_140:                             ;   in Loop: Header=BB57_5 Depth=1
	s_or_b64 exec, exec, s[48:49]
                                        ; implicit-def: $vgpr1
                                        ; implicit-def: $vgpr22_vgpr23
.LBB57_141:                             ;   in Loop: Header=BB57_5 Depth=1
	s_andn2_saveexec_b64 s[6:7], s[6:7]
; %bb.142:                              ;   in Loop: Header=BB57_5 Depth=1
	v_sub_f32_e32 v25, v1, v23
; %bb.143:                              ;   in Loop: Header=BB57_5 Depth=1
	s_or_b64 exec, exec, s[6:7]
	v_mul_f32_e32 v9, 0.5, v11
	v_mul_f32_e32 v11, 0.5, v25
	v_pk_add_f32 v[10:11], v[8:9], v[10:11]
	v_mul_f32_e32 v1, v10, v11
	v_mul_f32_e32 v9, 0x4f800000, v1
	v_cmp_gt_f32_e32 vcc, s62, v1
	v_cndmask_b32_e32 v1, v1, v9, vcc
	v_sqrt_f32_e32 v9, v1
	s_mov_b64 s[48:49], -1
                                        ; implicit-def: $vgpr22_vgpr23
	v_add_u32_e32 v10, -1, v9
	v_fma_f32 v11, -v10, v9, v1
	v_cmp_ge_f32_e64 s[6:7], 0, v11
	v_add_u32_e32 v11, 1, v9
	v_cndmask_b32_e64 v10, v9, v10, s[6:7]
	v_fma_f32 v9, -v11, v9, v1
	v_cmp_lt_f32_e64 s[6:7], 0, v9
	v_cndmask_b32_e64 v9, v10, v11, s[6:7]
	v_mul_f32_e32 v10, 0x37800000, v9
	v_cndmask_b32_e32 v9, v9, v10, vcc
	v_cmp_class_f32_e32 vcc, v1, v28
	v_cndmask_b32_e32 v24, v9, v1, vcc
.LBB57_144:                             ;   in Loop: Header=BB57_5 Depth=1
	s_andn2_saveexec_b64 s[50:51], s[50:51]
	s_cbranch_execz .LBB57_150
; %bb.145:                              ;   in Loop: Header=BB57_5 Depth=1
	v_cmp_ngt_f32_e64 s[6:7], |v12|, 1.0
                                        ; implicit-def: $vgpr24
                                        ; implicit-def: $sgpr52_sgpr53
	s_and_saveexec_b64 s[54:55], s[6:7]
	s_xor_b64 s[54:55], exec, s[54:55]
	s_cbranch_execz .LBB57_147
; %bb.146:                              ;   in Loop: Header=BB57_5 Depth=1
	v_sub_f32_e64 v1, 1.0, |v12|
	v_mul_f32_e32 v1, v1, v22
	v_mul_f32_e32 v9, 0x4f800000, v1
	v_cmp_gt_f32_e32 vcc, s62, v1
	v_cndmask_b32_e32 v1, v1, v9, vcc
	v_sqrt_f32_e32 v9, v1
	s_mov_b64 s[52:53], -1
	v_add_u32_e32 v10, -1, v9
	v_fma_f32 v22, -v10, v9, v1
	v_add_u32_e32 v11, 1, v9
	v_cmp_ge_f32_e64 s[6:7], 0, v22
	v_cndmask_b32_e64 v10, v9, v10, s[6:7]
	v_fma_f32 v9, -v11, v9, v1
	v_cmp_lt_f32_e64 s[6:7], 0, v9
	v_cndmask_b32_e64 v9, v10, v11, s[6:7]
	v_mul_f32_e32 v10, 0x37800000, v9
	v_cndmask_b32_e32 v9, v9, v10, vcc
	v_cmp_class_f32_e32 vcc, v1, v28
	v_cndmask_b32_e32 v24, v9, v1, vcc
                                        ; implicit-def: $vgpr22_vgpr23
.LBB57_147:                             ;   in Loop: Header=BB57_5 Depth=1
	s_andn2_saveexec_b64 s[54:55], s[54:55]
	s_cbranch_execz .LBB57_149
; %bb.148:                              ;   in Loop: Header=BB57_5 Depth=1
	v_mul_f32_e32 v1, v22, v23
	v_mul_f32_e32 v8, 0x4f800000, v1
	v_cmp_gt_f32_e32 vcc, s62, v1
	v_cndmask_b32_e32 v1, v1, v8, vcc
	v_sqrt_f32_e32 v8, v1
	v_mul_f32_e64 v9, |v13|, s73
	v_mul_f32_e64 v9, |v12|, v9
	s_or_b64 s[52:53], s[52:53], exec
	v_add_u32_e32 v10, -1, v8
	v_fma_f32 v11, -v10, v8, v1
	v_cmp_ge_f32_e64 s[6:7], 0, v11
	v_add_u32_e32 v11, 1, v8
	v_cndmask_b32_e64 v10, v8, v10, s[6:7]
	v_fma_f32 v8, -v11, v8, v1
	v_cmp_lt_f32_e64 s[6:7], 0, v8
	v_cndmask_b32_e64 v8, v10, v11, s[6:7]
	v_mul_f32_e32 v10, 0x37800000, v8
	v_cndmask_b32_e32 v8, v8, v10, vcc
	v_cmp_class_f32_e32 vcc, v1, v28
	v_cndmask_b32_e32 v1, v8, v1, vcc
	v_div_scale_f32 v8, s[6:7], v1, v1, v9
	v_rcp_f32_e32 v10, v8
	v_fma_f32 v11, -v8, v10, 1.0
	v_fmac_f32_e32 v10, v11, v10
	v_div_scale_f32 v11, vcc, v9, v1, v9
	v_mul_f32_e32 v22, v11, v10
	v_fma_f32 v23, -v8, v22, v11
	v_fmac_f32_e32 v22, v23, v10
	v_fma_f32 v8, -v8, v22, v11
	v_div_fmas_f32 v8, v8, v10, v22
	v_div_fixup_f32 v24, v8, v1, v9
	v_mul_f32_e64 v8, |v12|, s73
.LBB57_149:                             ;   in Loop: Header=BB57_5 Depth=1
	s_or_b64 exec, exec, s[54:55]
	s_andn2_b64 s[6:7], s[48:49], exec
	s_and_b64 s[48:49], s[52:53], exec
	s_or_b64 s[48:49], s[6:7], s[48:49]
.LBB57_150:                             ;   in Loop: Header=BB57_5 Depth=1
	s_or_b64 exec, exec, s[50:51]
	s_and_b64 s[48:49], s[48:49], exec
                                        ; implicit-def: $vgpr10
.LBB57_151:                             ;   in Loop: Header=BB57_5 Depth=1
	s_andn2_saveexec_b64 s[46:47], s[46:47]
	s_cbranch_execz .LBB57_153
; %bb.152:                              ;   in Loop: Header=BB57_5 Depth=1
	v_mul_f32_e64 v1, |v13|, s63
	v_cmp_lt_f32_e64 vcc, |v13|, s62
	v_cndmask_b32_e64 v1, |v13|, v1, vcc
	v_sqrt_f32_e32 v8, v1
	v_add_f32_e32 v10, 1.0, v10
	v_mul_f32_e32 v10, 0.5, v10
	s_or_b64 s[48:49], s[48:49], exec
	v_add_u32_e32 v9, -1, v8
	v_fma_f32 v22, -v9, v8, v1
	v_add_u32_e32 v11, 1, v8
	v_cmp_ge_f32_e64 s[6:7], 0, v22
	v_cndmask_b32_e64 v9, v8, v9, s[6:7]
	v_fma_f32 v8, -v11, v8, v1
	v_cmp_lt_f32_e64 s[6:7], 0, v8
	v_cndmask_b32_e64 v8, v9, v11, s[6:7]
	v_mul_f32_e32 v11, 0x4f800000, v10
	v_cmp_gt_f32_e64 s[6:7], s62, v10
	v_cndmask_b32_e64 v10, v10, v11, s[6:7]
	v_sqrt_f32_e32 v11, v10
	v_mul_f32_e32 v9, 0x37800000, v8
	v_cndmask_b32_e32 v8, v8, v9, vcc
	v_cmp_class_f32_e32 vcc, v1, v28
	v_cndmask_b32_e32 v1, v8, v1, vcc
	v_add_u32_e32 v8, -1, v11
	v_fma_f32 v9, -v8, v11, v10
	v_cmp_ge_f32_e32 vcc, 0, v9
	v_add_u32_e32 v9, 1, v11
	v_cndmask_b32_e32 v8, v11, v8, vcc
	v_fma_f32 v11, -v9, v11, v10
	v_cmp_lt_f32_e32 vcc, 0, v11
	v_cndmask_b32_e32 v8, v8, v9, vcc
	v_mul_f32_e32 v9, 0x37800000, v8
	v_cndmask_b32_e64 v8, v8, v9, s[6:7]
	v_cmp_class_f32_e32 vcc, v10, v28
	v_cndmask_b32_e32 v8, v8, v10, vcc
	v_mul_f32_e32 v24, v1, v8
	v_mov_b32_e32 v8, 1.0
.LBB57_153:                             ;   in Loop: Header=BB57_5 Depth=1
	s_or_b64 exec, exec, s[46:47]
	s_and_b64 s[6:7], s[48:49], exec
.LBB57_154:                             ;   in Loop: Header=BB57_5 Depth=1
	s_or_b64 exec, exec, s[44:45]
	s_and_b64 s[6:7], s[6:7], exec
                                        ; implicit-def: $vgpr10
.LBB57_155:                             ;   in Loop: Header=BB57_5 Depth=1
	s_andn2_saveexec_b64 s[42:43], s[42:43]
; %bb.156:                              ;   in Loop: Header=BB57_5 Depth=1
	v_mov_b32_e32 v11, v8
	v_pk_mul_f32 v[24:25], v[10:11], s[30:31] op_sel_hi:[1,0]
	s_or_b64 s[6:7], s[6:7], exec
	v_mov_b32_e32 v8, v25
                                        ; implicit-def: $vgpr17
; %bb.157:                              ;   in Loop: Header=BB57_5 Depth=1
	s_or_b64 exec, exec, s[42:43]
	s_xor_b64 s[6:7], s[6:7], -1
                                        ; implicit-def: $vgpr1
	s_and_saveexec_b64 s[42:43], s[6:7]
	s_xor_b64 s[6:7], exec, s[42:43]
	s_cbranch_execz .LBB57_159
; %bb.158:                              ;   in Loop: Header=BB57_5 Depth=1
	v_fma_f32 v1, |v17|, -0.5, 0.5
	v_mul_f32_e32 v8, v17, v17
	v_cmp_ge_f32_e64 vcc, |v17|, 0.5
	v_cndmask_b32_e32 v1, v8, v1, vcc
	v_mov_b32_e32 v8, 0x3c5fc5da
	v_fmac_f32_e32 v8, 0x3d1c21a7, v1
	v_fma_f32 v8, v1, v8, v30
	v_fma_f32 v8, v1, v8, v31
	v_sqrt_f32_e32 v9, v1
	v_fma_f32 v8, v1, v8, v32
	v_fma_f32 v8, v1, v8, v33
	v_mul_f32_e32 v1, v1, v8
	v_fmac_f32_e32 v9, v9, v1
	v_add_f32_e32 v8, v9, v9
	v_sub_f32_e32 v8, 0x3fc90fdb, v8
	v_fma_f32 v1, |v17|, v1, |v17|
	v_cmp_lt_f32_e64 vcc, |v17|, 0.5
	v_cndmask_b32_e32 v1, v8, v1, vcc
	v_bfi_b32 v1, s59, v1, v17
                                        ; implicit-def: $vgpr8
                                        ; implicit-def: $vgpr24
.LBB57_159:                             ;   in Loop: Header=BB57_5 Depth=1
	s_andn2_saveexec_b64 s[42:43], s[6:7]
	s_cbranch_execz .LBB57_161
; %bb.160:                              ;   in Loop: Header=BB57_5 Depth=1
	v_max_f32_e32 v1, v8, v8
	v_max_f32_e64 v9, |v24|, |v24|
	v_min_f32_e32 v10, v9, v1
	v_max_f32_e32 v1, v9, v1
	v_frexp_mant_f32_e32 v9, v1
	v_rcp_f32_e32 v9, v9
	v_frexp_exp_i32_f32_e32 v1, v1
	v_frexp_exp_i32_f32_e32 v11, v10
	v_frexp_mant_f32_e32 v10, v10
	v_mul_f32_e32 v9, v10, v9
	v_sub_u32_e32 v1, v11, v1
	v_ldexp_f32 v1, v9, v1
	v_mul_f32_e32 v9, v1, v1
	v_mov_b32_e32 v10, 0xbc7a590c
	v_fmac_f32_e32 v10, 0x3b2d2a58, v9
	v_fma_f32 v10, v9, v10, v34
	v_fma_f32 v10, v9, v10, v35
	;; [unrolled: 1-line block ×6, first 2 shown]
	v_mul_f32_e32 v9, v9, v10
	v_fmac_f32_e32 v1, v1, v9
	v_sub_f32_e32 v9, 0x3fc90fdb, v1
	v_cmp_gt_f32_e64 vcc, v8, |v24|
	v_cndmask_b32_e32 v1, v1, v9, vcc
	v_sub_f32_e32 v9, 0x40490fdb, v1
	v_cmp_gt_f32_e32 vcc, 0, v24
	v_cmp_gt_i32_e64 s[6:7], 0, v24
	v_cndmask_b32_e32 v1, v1, v9, vcc
	v_cndmask_b32_e64 v9, 0, v45, s[6:7]
	v_cmp_eq_f32_e64 s[6:7], 0, v8
	v_cndmask_b32_e64 v1, v1, v9, s[6:7]
	v_cndmask_b32_e32 v9, v46, v47, vcc
	v_cmp_class_f32_e64 s[6:7], v24, s74
	v_cmp_eq_f32_e32 vcc, s60, v8
	s_and_b64 vcc, vcc, s[6:7]
	v_cndmask_b32_e32 v1, v1, v9, vcc
	v_cmp_o_f32_e32 vcc, v24, v8
	v_cndmask_b32_e64 v1, v43, |v1|, vcc
.LBB57_161:                             ;   in Loop: Header=BB57_5 Depth=1
	s_or_b64 exec, exec, s[42:43]
	v_bfi_b32 v12, s59, v1, v12
	v_bfi_b32 v13, s59, v15, v13
.LBB57_162:                             ;   in Loop: Header=BB57_5 Depth=1
	s_or_b64 exec, exec, s[40:41]
.LBB57_163:                             ;   in Loop: Header=BB57_5 Depth=1
	s_or_b64 exec, exec, s[38:39]
	v_mov_b32_e32 v9, v13
	s_waitcnt lgkmcnt(0)
	v_mov_b32_e32 v8, v12
                                        ; implicit-def: $vgpr10_vgpr11_vgpr12_vgpr13
                                        ; implicit-def: $vgpr1
                                        ; implicit-def: $vgpr11
                                        ; implicit-def: $vgpr10
.LBB57_164:                             ;   in Loop: Header=BB57_5 Depth=1
	s_andn2_saveexec_b64 s[38:39], s[8:9]
	s_cbranch_execz .LBB57_186
; %bb.165:                              ;   in Loop: Header=BB57_5 Depth=1
	v_cmp_lt_i32_e32 vcc, -1, v13
                                        ; implicit-def: $vgpr8
                                        ; implicit-def: $vgpr9
	s_and_saveexec_b64 s[6:7], vcc
	s_xor_b64 s[40:41], exec, s[6:7]
	s_cbranch_execz .LBB57_175
; %bb.166:                              ;   in Loop: Header=BB57_5 Depth=1
	v_cmp_lt_f32_e64 s[6:7], |v13|, |v12|
	v_cndmask_b32_e64 v15, |v13|, |v12|, s[6:7]
	v_cmp_nlt_f32_e32 vcc, s75, v15
                                        ; implicit-def: $vgpr8
                                        ; implicit-def: $vgpr9
	s_and_saveexec_b64 s[8:9], vcc
	s_xor_b64 s[42:43], exec, s[8:9]
	s_cbranch_execz .LBB57_172
; %bb.167:                              ;   in Loop: Header=BB57_5 Depth=1
	v_cndmask_b32_e64 v17, |v12|, |v13|, s[6:7]
	v_cmp_nlt_f32_e32 vcc, s76, v15
	v_cmp_ngt_f32_e64 s[8:9], s77, v17
	s_and_b64 s[8:9], vcc, s[8:9]
                                        ; implicit-def: $vgpr8
                                        ; implicit-def: $vgpr9
	s_and_saveexec_b64 s[44:45], s[8:9]
	s_xor_b64 s[8:9], exec, s[44:45]
	s_cbranch_execz .LBB57_169
; %bb.168:                              ;   in Loop: Header=BB57_5 Depth=1
	v_mul_f32_e32 v8, v17, v17
	v_fmac_f32_e32 v8, v15, v15
	v_cmp_gt_f32_e32 vcc, s64, v8
	v_cndmask_b32_e32 v9, 1.0, v41, vcc
	v_mul_f32_e32 v8, v8, v9
	v_log_f32_e32 v8, v8
	v_cndmask_b32_e32 v9, 0, v42, vcc
	v_min_f32_e32 v1, v1, v11
	v_frexp_exp_i32_f32_e32 v11, v1
	v_mul_f32_e32 v15, 0x3f317217, v8
	v_fma_f32 v17, v8, s65, -v15
	v_fmac_f32_e32 v17, 0x3377d1cf, v8
	v_add_f32_e32 v15, v15, v17
	v_cmp_lt_f32_e64 vcc, |v8|, s60
	v_cndmask_b32_e32 v8, v8, v15, vcc
	v_sub_f32_e32 v8, v8, v9
	v_frexp_mant_f32_e32 v9, v10
	v_rcp_f32_e32 v9, v9
	v_frexp_exp_i32_f32_e32 v10, v10
	v_frexp_mant_f32_e32 v1, v1
	v_mul_f32_e32 v8, 0.5, v8
	v_mul_f32_e32 v1, v1, v9
	v_sub_u32_e32 v9, v11, v10
	v_ldexp_f32 v9, v1, v9
	v_mul_f32_e32 v1, v9, v9
	v_mov_b32_e32 v10, 0xbc7a590c
	v_fmac_f32_e32 v10, 0x3b2d2a58, v1
	v_fma_f32 v10, v1, v10, v34
	v_fma_f32 v10, v1, v10, v35
	;; [unrolled: 1-line block ×6, first 2 shown]
	v_mul_f32_e32 v1, v1, v10
	v_fmac_f32_e32 v9, v9, v1
                                        ; implicit-def: $vgpr10
                                        ; implicit-def: $vgpr1
                                        ; implicit-def: $vgpr11
.LBB57_169:                             ;   in Loop: Header=BB57_5 Depth=1
	s_andn2_saveexec_b64 s[8:9], s[8:9]
	s_cbranch_execz .LBB57_171
; %bb.170:                              ;   in Loop: Header=BB57_5 Depth=1
	v_cvt_f64_f32_e32 v[8:9], v10
	v_frexp_exp_i32_f64_e32 v8, v[8:9]
	v_sub_u32_e32 v9, 0, v8
	v_ldexp_f32 v15, |v13|, v9
	v_ldexp_f32 v9, |v12|, v9
	v_mul_f32_e32 v9, v9, v9
	v_fmac_f32_e32 v9, v15, v15
	v_sqrt_f32_e32 v9, v9
	v_cmp_neq_f32_e32 vcc, s60, v10
	v_min_f32_e32 v1, v1, v11
	v_ldexp_f32 v8, v9, v8
	v_cndmask_b32_e32 v8, v40, v8, vcc
	v_cmp_gt_f32_e32 vcc, s64, v8
	v_cndmask_b32_e32 v9, 1.0, v41, vcc
	v_mul_f32_e32 v8, v8, v9
	v_log_f32_e32 v8, v8
	v_cndmask_b32_e32 v9, 0, v42, vcc
	v_mul_f32_e32 v11, 0x3f317217, v8
	v_fma_f32 v15, v8, s65, -v11
	v_fmac_f32_e32 v15, 0x3377d1cf, v8
	v_add_f32_e32 v11, v11, v15
	v_cmp_lt_f32_e64 vcc, |v8|, s60
	v_cndmask_b32_e32 v8, v8, v11, vcc
	v_sub_f32_e32 v8, v8, v9
	v_frexp_mant_f32_e32 v9, v10
	v_rcp_f32_e32 v9, v9
	v_frexp_exp_i32_f32_e32 v10, v10
	v_frexp_exp_i32_f32_e32 v11, v1
	v_frexp_mant_f32_e32 v1, v1
	v_mul_f32_e32 v1, v1, v9
	v_sub_u32_e32 v9, v11, v10
	v_ldexp_f32 v9, v1, v9
	v_mul_f32_e32 v1, v9, v9
	v_mov_b32_e32 v10, 0xbc7a590c
	v_fmac_f32_e32 v10, 0x3b2d2a58, v1
	v_fma_f32 v10, v1, v10, v34
	v_fma_f32 v10, v1, v10, v35
	;; [unrolled: 1-line block ×6, first 2 shown]
	v_mul_f32_e32 v1, v1, v10
	v_fmac_f32_e32 v9, v9, v1
.LBB57_171:                             ;   in Loop: Header=BB57_5 Depth=1
	s_or_b64 exec, exec, s[8:9]
                                        ; implicit-def: $vgpr1
                                        ; implicit-def: $vgpr11
                                        ; implicit-def: $vgpr10
.LBB57_172:                             ;   in Loop: Header=BB57_5 Depth=1
	s_andn2_saveexec_b64 s[42:43], s[42:43]
	s_cbranch_execz .LBB57_174
; %bb.173:                              ;   in Loop: Header=BB57_5 Depth=1
	v_div_scale_f32 v8, s[8:9], s78, s78, v13
	v_rcp_f32_e32 v9, v8
	v_div_scale_f32 v15, vcc, v13, s78, v13
	v_min_f32_e32 v1, v1, v11
	v_fma_f32 v17, -v8, v9, 1.0
	v_fmac_f32_e32 v9, v17, v9
	v_mul_f32_e32 v17, v15, v9
	v_fma_f32 v22, -v8, v17, v15
	v_fmac_f32_e32 v17, v22, v9
	v_fma_f32 v8, -v8, v17, v15
	v_div_scale_f32 v15, s[8:9], s78, s78, v12
	v_rcp_f32_e32 v22, v15
	v_div_fmas_f32 v8, v8, v9, v17
	v_div_fixup_f32 v17, v8, s78, v13
	v_frexp_exp_i32_f32_e32 v11, v1
	v_fma_f32 v8, -v15, v22, 1.0
	v_fmac_f32_e32 v22, v8, v22
	v_div_scale_f32 v8, vcc, v12, s78, v12
	v_mul_f32_e32 v9, v8, v22
	v_fma_f32 v23, -v15, v9, v8
	v_fmac_f32_e32 v9, v23, v22
	v_fma_f32 v8, -v15, v9, v8
	v_div_fmas_f32 v8, v8, v22, v9
	v_div_fixup_f32 v15, v8, s78, v12
	v_max_f32_e64 v22, |v17|, |v15|
	v_cvt_f64_f32_e32 v[8:9], v22
	v_frexp_exp_i32_f64_e32 v8, v[8:9]
	v_sub_u32_e32 v9, 0, v8
	v_ldexp_f32 v17, |v17|, v9
	v_ldexp_f32 v9, |v15|, v9
	v_mul_f32_e32 v9, v9, v9
	v_fmac_f32_e32 v9, v17, v17
	v_sqrt_f32_e32 v9, v9
	v_cmp_neq_f32_e32 vcc, s60, v22
	v_frexp_mant_f32_e32 v1, v1
	v_ldexp_f32 v8, v9, v8
	v_cndmask_b32_e32 v8, v40, v8, vcc
	v_cmp_gt_f32_e32 vcc, s64, v8
	v_cndmask_b32_e32 v9, 1.0, v41, vcc
	v_mul_f32_e32 v8, v8, v9
	v_log_f32_e32 v8, v8
	v_mul_f32_e32 v9, 0x3f317217, v8
	v_fma_f32 v15, v8, s65, -v9
	v_fmac_f32_e32 v15, 0x3377d1cf, v8
	v_add_f32_e32 v9, v9, v15
	v_cmp_lt_f32_e64 s[8:9], |v8|, s60
	v_cndmask_b32_e64 v8, v8, v9, s[8:9]
	v_cndmask_b32_e32 v9, 0, v42, vcc
	v_sub_f32_e32 v8, v8, v9
	v_frexp_mant_f32_e32 v9, v10
	v_rcp_f32_e32 v9, v9
	v_frexp_exp_i32_f32_e32 v10, v10
	v_add_f32_e32 v8, 1.0, v8
	v_mul_f32_e32 v1, v1, v9
	v_sub_u32_e32 v9, v11, v10
	v_ldexp_f32 v9, v1, v9
	v_mul_f32_e32 v1, v9, v9
	v_mov_b32_e32 v10, 0xbc7a590c
	v_fmac_f32_e32 v10, 0x3b2d2a58, v1
	v_fma_f32 v10, v1, v10, v34
	v_fma_f32 v10, v1, v10, v35
	;; [unrolled: 1-line block ×6, first 2 shown]
	v_mul_f32_e32 v1, v1, v10
	v_fmac_f32_e32 v9, v9, v1
.LBB57_174:                             ;   in Loop: Header=BB57_5 Depth=1
	s_or_b64 exec, exec, s[42:43]
	v_sub_f32_e32 v1, 0x3fc90fdb, v9
	v_cndmask_b32_e64 v9, v9, v1, s[6:7]
                                        ; implicit-def: $vgpr1
                                        ; implicit-def: $vgpr11
                                        ; implicit-def: $vgpr10
.LBB57_175:                             ;   in Loop: Header=BB57_5 Depth=1
	s_andn2_saveexec_b64 s[40:41], s[40:41]
	s_cbranch_execz .LBB57_185
; %bb.176:                              ;   in Loop: Header=BB57_5 Depth=1
	v_cmp_lt_f32_e64 s[6:7], |v13|, |v12|
	v_cndmask_b32_e64 v15, |v13|, |v12|, s[6:7]
	v_cmp_nlt_f32_e32 vcc, s75, v15
                                        ; implicit-def: $vgpr8
                                        ; implicit-def: $vgpr9
	s_and_saveexec_b64 s[8:9], vcc
	s_xor_b64 s[42:43], exec, s[8:9]
	s_cbranch_execz .LBB57_182
; %bb.177:                              ;   in Loop: Header=BB57_5 Depth=1
	v_cndmask_b32_e64 v17, |v12|, |v13|, s[6:7]
	v_cmp_nlt_f32_e32 vcc, s76, v15
	v_cmp_ngt_f32_e64 s[8:9], s77, v17
	s_and_b64 s[8:9], vcc, s[8:9]
                                        ; implicit-def: $vgpr8
                                        ; implicit-def: $vgpr9
	s_and_saveexec_b64 s[44:45], s[8:9]
	s_xor_b64 s[8:9], exec, s[44:45]
	s_cbranch_execz .LBB57_179
; %bb.178:                              ;   in Loop: Header=BB57_5 Depth=1
	v_mul_f32_e32 v8, v17, v17
	v_fmac_f32_e32 v8, v15, v15
	v_cmp_gt_f32_e32 vcc, s64, v8
	v_cndmask_b32_e32 v9, 1.0, v41, vcc
	v_mul_f32_e32 v8, v8, v9
	v_log_f32_e32 v8, v8
	v_cndmask_b32_e32 v9, 0, v42, vcc
	v_min_f32_e32 v1, v1, v11
	v_frexp_exp_i32_f32_e32 v11, v1
	v_mul_f32_e32 v15, 0x3f317217, v8
	v_fma_f32 v17, v8, s65, -v15
	v_fmac_f32_e32 v17, 0x3377d1cf, v8
	v_add_f32_e32 v15, v15, v17
	v_cmp_lt_f32_e64 vcc, |v8|, s60
	v_cndmask_b32_e32 v8, v8, v15, vcc
	v_sub_f32_e32 v8, v8, v9
	v_frexp_mant_f32_e32 v9, v10
	v_rcp_f32_e32 v9, v9
	v_frexp_exp_i32_f32_e32 v10, v10
	v_frexp_mant_f32_e32 v1, v1
	v_mul_f32_e32 v8, 0.5, v8
	v_mul_f32_e32 v1, v1, v9
	v_sub_u32_e32 v9, v11, v10
	v_ldexp_f32 v9, v1, v9
	v_mul_f32_e32 v1, v9, v9
	v_mov_b32_e32 v10, 0xbc7a590c
	v_fmac_f32_e32 v10, 0x3b2d2a58, v1
	v_fma_f32 v10, v1, v10, v34
	v_fma_f32 v10, v1, v10, v35
	;; [unrolled: 1-line block ×6, first 2 shown]
	v_mul_f32_e32 v1, v1, v10
	v_fmac_f32_e32 v9, v9, v1
                                        ; implicit-def: $vgpr10
                                        ; implicit-def: $vgpr1
                                        ; implicit-def: $vgpr11
.LBB57_179:                             ;   in Loop: Header=BB57_5 Depth=1
	s_andn2_saveexec_b64 s[8:9], s[8:9]
	s_cbranch_execz .LBB57_181
; %bb.180:                              ;   in Loop: Header=BB57_5 Depth=1
	v_cvt_f64_f32_e32 v[8:9], v10
	v_frexp_exp_i32_f64_e32 v8, v[8:9]
	v_sub_u32_e32 v9, 0, v8
	v_ldexp_f32 v15, |v13|, v9
	v_ldexp_f32 v9, |v12|, v9
	v_mul_f32_e32 v9, v9, v9
	v_fmac_f32_e32 v9, v15, v15
	v_sqrt_f32_e32 v9, v9
	v_cmp_neq_f32_e32 vcc, s60, v10
	v_min_f32_e32 v1, v1, v11
	v_ldexp_f32 v8, v9, v8
	v_cndmask_b32_e32 v8, v40, v8, vcc
	v_cmp_gt_f32_e32 vcc, s64, v8
	v_cndmask_b32_e32 v9, 1.0, v41, vcc
	v_mul_f32_e32 v8, v8, v9
	v_log_f32_e32 v8, v8
	v_cndmask_b32_e32 v9, 0, v42, vcc
	v_mul_f32_e32 v11, 0x3f317217, v8
	v_fma_f32 v15, v8, s65, -v11
	v_fmac_f32_e32 v15, 0x3377d1cf, v8
	v_add_f32_e32 v11, v11, v15
	v_cmp_lt_f32_e64 vcc, |v8|, s60
	v_cndmask_b32_e32 v8, v8, v11, vcc
	v_sub_f32_e32 v8, v8, v9
	v_frexp_mant_f32_e32 v9, v10
	v_rcp_f32_e32 v9, v9
	v_frexp_exp_i32_f32_e32 v10, v10
	v_frexp_exp_i32_f32_e32 v11, v1
	v_frexp_mant_f32_e32 v1, v1
	v_mul_f32_e32 v1, v1, v9
	v_sub_u32_e32 v9, v11, v10
	v_ldexp_f32 v9, v1, v9
	v_mul_f32_e32 v1, v9, v9
	v_mov_b32_e32 v10, 0xbc7a590c
	v_fmac_f32_e32 v10, 0x3b2d2a58, v1
	v_fma_f32 v10, v1, v10, v34
	v_fma_f32 v10, v1, v10, v35
	;; [unrolled: 1-line block ×6, first 2 shown]
	v_mul_f32_e32 v1, v1, v10
	v_fmac_f32_e32 v9, v9, v1
.LBB57_181:                             ;   in Loop: Header=BB57_5 Depth=1
	s_or_b64 exec, exec, s[8:9]
                                        ; implicit-def: $vgpr1
                                        ; implicit-def: $vgpr11
                                        ; implicit-def: $vgpr10
.LBB57_182:                             ;   in Loop: Header=BB57_5 Depth=1
	s_andn2_saveexec_b64 s[42:43], s[42:43]
	s_cbranch_execz .LBB57_184
; %bb.183:                              ;   in Loop: Header=BB57_5 Depth=1
	v_div_scale_f32 v8, s[8:9], s79, s79, v13
	v_rcp_f32_e32 v9, v8
	v_div_scale_f32 v15, vcc, v13, s79, v13
	v_min_f32_e32 v1, v1, v11
	v_fma_f32 v17, -v8, v9, 1.0
	v_fmac_f32_e32 v9, v17, v9
	v_mul_f32_e32 v17, v15, v9
	v_fma_f32 v22, -v8, v17, v15
	v_fmac_f32_e32 v17, v22, v9
	v_fma_f32 v8, -v8, v17, v15
	v_div_scale_f32 v15, s[8:9], s79, s79, v12
	v_rcp_f32_e32 v22, v15
	v_div_fmas_f32 v8, v8, v9, v17
	v_div_fixup_f32 v17, v8, s79, v13
	v_frexp_exp_i32_f32_e32 v11, v1
	v_fma_f32 v8, -v15, v22, 1.0
	v_fmac_f32_e32 v22, v8, v22
	v_div_scale_f32 v8, vcc, v12, s79, v12
	v_mul_f32_e32 v9, v8, v22
	v_fma_f32 v23, -v15, v9, v8
	v_fmac_f32_e32 v9, v23, v22
	v_fma_f32 v8, -v15, v9, v8
	v_div_fmas_f32 v8, v8, v22, v9
	v_div_fixup_f32 v15, v8, s79, v12
	v_max_f32_e64 v22, |v17|, |v15|
	v_cvt_f64_f32_e32 v[8:9], v22
	v_frexp_exp_i32_f64_e32 v8, v[8:9]
	v_sub_u32_e32 v9, 0, v8
	v_ldexp_f32 v17, |v17|, v9
	v_ldexp_f32 v9, |v15|, v9
	v_mul_f32_e32 v9, v9, v9
	v_fmac_f32_e32 v9, v17, v17
	v_sqrt_f32_e32 v9, v9
	v_cmp_neq_f32_e32 vcc, s60, v22
	v_frexp_mant_f32_e32 v1, v1
	v_ldexp_f32 v8, v9, v8
	v_cndmask_b32_e32 v8, v40, v8, vcc
	v_cmp_gt_f32_e32 vcc, s64, v8
	v_cndmask_b32_e32 v9, 1.0, v41, vcc
	v_mul_f32_e32 v8, v8, v9
	v_log_f32_e32 v8, v8
	v_mul_f32_e32 v9, 0x3f317217, v8
	v_fma_f32 v15, v8, s65, -v9
	v_fmac_f32_e32 v15, 0x3377d1cf, v8
	v_add_f32_e32 v9, v9, v15
	v_cmp_lt_f32_e64 s[8:9], |v8|, s60
	v_cndmask_b32_e64 v8, v8, v9, s[8:9]
	v_cndmask_b32_e32 v9, 0, v42, vcc
	v_sub_f32_e32 v8, v8, v9
	v_frexp_mant_f32_e32 v9, v10
	v_rcp_f32_e32 v9, v9
	v_frexp_exp_i32_f32_e32 v10, v10
	v_add_f32_e32 v8, 1.0, v8
	v_mul_f32_e32 v1, v1, v9
	v_sub_u32_e32 v9, v11, v10
	v_ldexp_f32 v9, v1, v9
	v_mul_f32_e32 v1, v9, v9
	v_mov_b32_e32 v10, 0xbc7a590c
	v_fmac_f32_e32 v10, 0x3b2d2a58, v1
	v_fma_f32 v10, v1, v10, v34
	v_fma_f32 v10, v1, v10, v35
	;; [unrolled: 1-line block ×6, first 2 shown]
	v_mul_f32_e32 v1, v1, v10
	v_fmac_f32_e32 v9, v9, v1
.LBB57_184:                             ;   in Loop: Header=BB57_5 Depth=1
	s_or_b64 exec, exec, s[42:43]
	v_sub_f32_e32 v1, 0x3fc90fdb, v9
	v_cndmask_b32_e64 v9, v9, v1, s[6:7]
.LBB57_185:                             ;   in Loop: Header=BB57_5 Depth=1
	s_or_b64 exec, exec, s[40:41]
	v_cmp_neq_f32_e32 vcc, 0, v12
	v_cmp_class_f32_e64 s[6:7], v13, s74
	v_cmp_class_f32_e64 s[8:9], v12, s74
	v_cndmask_b32_e32 v1, 0, v9, vcc
	s_and_b64 vcc, s[8:9], s[6:7]
	v_cndmask_b32_e32 v1, v1, v46, vcc
	v_cmp_o_f32_e32 vcc, v12, v13
	v_cndmask_b32_e32 v1, v43, v1, vcc
	v_add_f32_e32 v9, 0x3f317218, v8
	v_bfi_b32 v8, s59, v1, v12
	v_bfi_b32 v9, s59, v9, v13
.LBB57_186:                             ;   in Loop: Header=BB57_5 Depth=1
	s_or_b64 exec, exec, s[38:39]
                                        ; implicit-def: $vgpr12_vgpr13
.LBB57_187:                             ;   in Loop: Header=BB57_5 Depth=1
	s_andn2_saveexec_b64 s[6:7], s[36:37]
	s_cbranch_execz .LBB57_201
; %bb.188:                              ;   in Loop: Header=BB57_5 Depth=1
	v_cmp_neq_f32_e64 s[8:9], |v13|, s60
	s_and_saveexec_b64 s[36:37], s[8:9]
	s_xor_b64 s[8:9], exec, s[36:37]
	s_cbranch_execz .LBB57_198
; %bb.189:                              ;   in Loop: Header=BB57_5 Depth=1
	v_cmp_neq_f32_e64 s[36:37], |v12|, s60
	s_and_saveexec_b64 s[38:39], s[36:37]
	s_xor_b64 s[36:37], exec, s[38:39]
	s_cbranch_execz .LBB57_195
; %bb.190:                              ;   in Loop: Header=BB57_5 Depth=1
	v_cmp_neq_f32_e32 vcc, 0, v12
	s_and_saveexec_b64 s[38:39], vcc
	s_xor_b64 s[38:39], exec, s[38:39]
; %bb.191:                              ;   in Loop: Header=BB57_5 Depth=1
	v_add_f32_e32 v1, 0, v13
	v_add_f32_e32 v9, v12, v1
                                        ; implicit-def: $vgpr12_vgpr13
; %bb.192:                              ;   in Loop: Header=BB57_5 Depth=1
	s_or_saveexec_b64 s[38:39], s[38:39]
	v_mov_b32_e32 v8, v9
	s_xor_b64 exec, exec, s[38:39]
; %bb.193:                              ;   in Loop: Header=BB57_5 Depth=1
	v_pk_add_f32 v[8:9], v[12:13], v[12:13]
	v_mov_b32_e32 v8, v12
; %bb.194:                              ;   in Loop: Header=BB57_5 Depth=1
	s_or_b64 exec, exec, s[38:39]
                                        ; implicit-def: $vgpr12_vgpr13
.LBB57_195:                             ;   in Loop: Header=BB57_5 Depth=1
	s_andn2_saveexec_b64 s[36:37], s[36:37]
; %bb.196:                              ;   in Loop: Header=BB57_5 Depth=1
	v_add_f32_e32 v8, v13, v13
	v_mov_b32_e32 v9, v12
; %bb.197:                              ;   in Loop: Header=BB57_5 Depth=1
	s_or_b64 exec, exec, s[36:37]
                                        ; implicit-def: $vgpr12_vgpr13
.LBB57_198:                             ;   in Loop: Header=BB57_5 Depth=1
	s_andn2_saveexec_b64 s[8:9], s[8:9]
; %bb.199:                              ;   in Loop: Header=BB57_5 Depth=1
	v_add_f32_e32 v8, v12, v12
	v_mov_b32_e32 v9, v13
; %bb.200:                              ;   in Loop: Header=BB57_5 Depth=1
	s_or_b64 exec, exec, s[8:9]
.LBB57_201:                             ;   in Loop: Header=BB57_5 Depth=1
	s_or_b64 exec, exec, s[6:7]
	s_waitcnt vmcnt(0)
	v_cmp_o_f32_e32 vcc, v3, v3
	v_cmp_o_f32_e64 s[6:7], v2, v2
	s_and_b64 s[6:7], vcc, s[6:7]
                                        ; implicit-def: $vgpr11
	s_and_saveexec_b64 s[8:9], s[6:7]
	s_xor_b64 s[36:37], exec, s[8:9]
	s_cbranch_execz .LBB57_285
; %bb.202:                              ;   in Loop: Header=BB57_5 Depth=1
	v_max_f32_e64 v1, |v3|, |v3|
	v_max_f32_e64 v13, |v2|, |v2|
	v_max_f32_e32 v12, v13, v1
	v_cmp_nlt_f32_e32 vcc, s57, v12
                                        ; implicit-def: $vgpr11
	s_and_saveexec_b64 s[6:7], vcc
	s_xor_b64 s[8:9], exec, s[6:7]
	s_cbranch_execz .LBB57_262
; %bb.203:                              ;   in Loop: Header=BB57_5 Depth=1
	v_cmp_neq_f32_e32 vcc, 0, v3
	v_cmp_neq_f32_e64 s[6:7], 0, v2
	s_or_b64 s[6:7], vcc, s[6:7]
	v_mov_b32_e32 v11, v3
	v_mov_b32_e32 v10, v2
	s_and_saveexec_b64 s[38:39], s[6:7]
	s_cbranch_execz .LBB57_261
; %bb.204:                              ;   in Loop: Header=BB57_5 Depth=1
	v_pk_mov_b32 v[10:11], s[22:23], s[22:23] op_sel:[0,1]
	flat_store_dword v[10:11], v27
	s_waitcnt vmcnt(0)
	flat_load_dword v10, v[10:11] glc
	s_waitcnt vmcnt(0)
	v_cmp_nlt_f32_e64 s[6:7], |v3|, s58
	v_cmp_nlt_f32_e64 s[40:41], |v2|, s58
	s_or_b64 s[6:7], s[40:41], s[6:7]
	s_waitcnt lgkmcnt(0)
	v_add_f32_e32 v12, 1.0, v10
	v_pk_mov_b32 v[10:11], s[24:25], s[24:25] op_sel:[0,1]
	flat_store_dword v[10:11], v12
	s_waitcnt vmcnt(0)
	flat_load_dword v10, v[10:11] glc
	s_waitcnt vmcnt(0)
	v_mov_b32_e32 v11, v3
	s_waitcnt lgkmcnt(0)
	v_mov_b32_e32 v10, v2
	s_and_saveexec_b64 s[40:41], s[6:7]
	s_cbranch_execz .LBB57_260
; %bb.205:                              ;   in Loop: Header=BB57_5 Depth=1
	v_and_b32_e32 v10, 0x7fffffff, v2
	v_pk_add_f32 v[22:23], v[10:11], s[28:29] op_sel_hi:[0,1]
	v_max_f32_e64 v15, v1, |v22|
	v_cvt_f64_f32_e32 v[12:13], v15
	v_max_f32_e64 v11, v1, |v23|
	v_frexp_exp_i32_f64_e32 v1, v[12:13]
	v_sub_u32_e32 v12, 0, v1
	v_ldexp_f32 v13, |v3|, v12
	v_ldexp_f32 v12, |v22|, v12
	v_mul_f32_e32 v12, v12, v12
	v_fmac_f32_e32 v12, v13, v13
	v_sqrt_f32_e32 v17, v12
	v_cvt_f64_f32_e32 v[12:13], v11
	v_frexp_exp_i32_f64_e32 v12, v[12:13]
	v_sub_u32_e32 v13, 0, v12
	v_ldexp_f32 v24, |v3|, v13
	v_ldexp_f32 v13, |v23|, v13
	v_mul_f32_e32 v13, v13, v13
	v_fmac_f32_e32 v13, v24, v24
	v_sqrt_f32_e32 v13, v13
	v_ldexp_f32 v17, v17, v1
	v_cmp_neq_f32_e32 vcc, s60, v11
	v_ldexp_f32 v1, v13, v12
	v_cndmask_b32_e32 v1, v40, v1, vcc
	v_cmp_neq_f32_e32 vcc, s60, v15
	v_cndmask_b32_e32 v11, v40, v17, vcc
	v_add_f32_e32 v12, v11, v1
	v_mul_f32_e32 v12, 0.5, v12
	v_cmp_ngt_f32_e32 vcc, 1.0, v12
	v_cndmask_b32_e32 v12, 1.0, v12, vcc
	v_cmp_ngt_f32_e32 vcc, s61, v12
                                        ; implicit-def: $vgpr15
	s_and_saveexec_b64 s[6:7], vcc
	s_xor_b64 s[42:43], exec, s[6:7]
	s_cbranch_execz .LBB57_207
; %bb.206:                              ;   in Loop: Header=BB57_5 Depth=1
	v_fma_f32 v13, v12, v12, -1.0
	v_mul_f32_e32 v15, 0x4f800000, v13
	v_cmp_gt_f32_e32 vcc, s62, v13
	v_cndmask_b32_e32 v13, v13, v15, vcc
	v_sqrt_f32_e32 v15, v13
	v_add_u32_e32 v17, -1, v15
	v_fma_f32 v25, -v17, v15, v13
	v_add_u32_e32 v24, 1, v15
	v_cmp_ge_f32_e64 s[6:7], 0, v25
	v_cndmask_b32_e64 v17, v15, v17, s[6:7]
	v_fma_f32 v15, -v24, v15, v13
	v_cmp_lt_f32_e64 s[6:7], 0, v15
	v_cndmask_b32_e64 v15, v17, v24, s[6:7]
	v_mul_f32_e32 v17, 0x37800000, v15
	v_cndmask_b32_e32 v15, v15, v17, vcc
	v_cmp_class_f32_e32 vcc, v13, v28
	v_cndmask_b32_e32 v13, v15, v13, vcc
	v_add_f32_e32 v13, v12, v13
	v_cmp_gt_f32_e32 vcc, s64, v13
	v_cndmask_b32_e32 v15, 1.0, v41, vcc
	v_mul_f32_e32 v13, v13, v15
	v_log_f32_e32 v13, v13
	v_mul_f32_e32 v15, 0x3f317217, v13
	v_fma_f32 v17, v13, s65, -v15
	v_fmac_f32_e32 v17, 0x3377d1cf, v13
	v_add_f32_e32 v15, v15, v17
	v_cmp_lt_f32_e64 s[6:7], |v13|, s60
	v_cndmask_b32_e64 v13, v13, v15, s[6:7]
	v_cndmask_b32_e32 v15, 0, v42, vcc
	v_sub_f32_e32 v15, v13, v15
.LBB57_207:                             ;   in Loop: Header=BB57_5 Depth=1
	s_or_saveexec_b64 s[42:43], s[42:43]
	v_and_b32_e32 v25, 0x7fffffff, v3
	v_and_b32_e32 v48, 0x7fffffff, v23
	s_xor_b64 exec, exec, s[42:43]
	s_cbranch_execz .LBB57_229
; %bb.208:                              ;   in Loop: Header=BB57_5 Depth=1
	v_cmp_neq_f32_e64 s[6:7], |v2|, 1.0
	v_cmp_nlt_f32_e64 s[44:45], |v3|, s66
	s_or_b64 s[6:7], s[6:7], s[44:45]
                                        ; implicit-def: $vgpr15
	s_and_saveexec_b64 s[44:45], s[6:7]
	s_xor_b64 s[44:45], exec, s[44:45]
	s_cbranch_execz .LBB57_226
; %bb.209:                              ;   in Loop: Header=BB57_5 Depth=1
	v_mul_f32_e32 v13, 0x34000000, v48
	v_cmp_le_f32_e64 s[6:7], v13, |v3|
                                        ; implicit-def: $vgpr15
	s_and_saveexec_b64 s[46:47], s[6:7]
	s_xor_b64 s[46:47], exec, s[46:47]
	s_cbranch_execz .LBB57_219
; %bb.210:                              ;   in Loop: Header=BB57_5 Depth=1
	v_cmp_neq_f32_e32 vcc, 0, v22
	v_mov_b32_e32 v13, v25
	s_and_saveexec_b64 s[6:7], vcc
	s_cbranch_execz .LBB57_212
; %bb.211:                              ;   in Loop: Header=BB57_5 Depth=1
	v_mul_f32_e32 v13, v3, v3
	v_add_f32_e32 v15, v22, v11
	v_div_scale_f32 v17, s[48:49], v15, v15, v13
	v_rcp_f32_e32 v24, v17
	v_fma_f32 v49, -v17, v24, 1.0
	v_fmac_f32_e32 v24, v49, v24
	v_div_scale_f32 v49, vcc, v13, v15, v13
	v_mul_f32_e32 v50, v49, v24
	v_fma_f32 v51, -v17, v50, v49
	v_fmac_f32_e32 v50, v51, v24
	v_fma_f32 v17, -v17, v50, v49
	v_div_fmas_f32 v17, v17, v24, v50
	v_div_fixup_f32 v13, v17, v15, v13
.LBB57_212:                             ;   in Loop: Header=BB57_5 Depth=1
	s_or_b64 exec, exec, s[6:7]
	v_sub_f32_e64 v17, 1.0, |v2|
	v_cmp_ngt_f32_e32 vcc, 0, v17
                                        ; implicit-def: $vgpr15
	s_and_saveexec_b64 s[6:7], vcc
	s_xor_b64 s[6:7], exec, s[6:7]
	s_cbranch_execz .LBB57_216
; %bb.213:                              ;   in Loop: Header=BB57_5 Depth=1
	v_cmp_neq_f32_e32 vcc, 0, v17
	v_mov_b32_e32 v15, v25
	s_and_saveexec_b64 s[48:49], vcc
	s_cbranch_execz .LBB57_215
; %bb.214:                              ;   in Loop: Header=BB57_5 Depth=1
	v_mul_f32_e32 v15, v3, v3
	v_add_f32_e32 v17, v17, v1
	v_div_scale_f32 v24, s[50:51], v17, v17, v15
	v_rcp_f32_e32 v49, v24
	v_fma_f32 v50, -v24, v49, 1.0
	v_fmac_f32_e32 v49, v50, v49
	v_div_scale_f32 v50, vcc, v15, v17, v15
	v_mul_f32_e32 v51, v50, v49
	v_fma_f32 v52, -v24, v51, v50
	v_fmac_f32_e32 v51, v52, v49
	v_fma_f32 v24, -v24, v51, v50
	v_div_fmas_f32 v24, v24, v49, v51
	v_div_fixup_f32 v15, v24, v17, v15
.LBB57_215:                             ;   in Loop: Header=BB57_5 Depth=1
	s_or_b64 exec, exec, s[48:49]
                                        ; implicit-def: $vgpr17
.LBB57_216:                             ;   in Loop: Header=BB57_5 Depth=1
	s_andn2_saveexec_b64 s[6:7], s[6:7]
; %bb.217:                              ;   in Loop: Header=BB57_5 Depth=1
	v_sub_f32_e32 v15, v1, v17
; %bb.218:                              ;   in Loop: Header=BB57_5 Depth=1
	s_or_b64 exec, exec, s[6:7]
	v_mul_f32_e32 v13, 0.5, v13
	v_mul_f32_e32 v15, 0.5, v15
	v_pk_add_f32 v[50:51], v[12:13], v[14:15]
	v_mul_f32_e32 v13, v50, v51
	v_mul_f32_e32 v15, 0x4f800000, v13
	v_cmp_gt_f32_e32 vcc, s62, v13
	v_cndmask_b32_e32 v13, v13, v15, vcc
	v_sqrt_f32_e32 v15, v13
	v_add_u32_e32 v17, -1, v15
	v_fma_f32 v24, -v17, v15, v13
	v_cmp_ge_f32_e64 s[6:7], 0, v24
	v_add_u32_e32 v24, 1, v15
	v_cndmask_b32_e64 v17, v15, v17, s[6:7]
	v_fma_f32 v15, -v24, v15, v13
	v_cmp_lt_f32_e64 s[6:7], 0, v15
	v_cndmask_b32_e64 v15, v17, v24, s[6:7]
	v_mul_f32_e32 v17, 0x37800000, v15
	v_cndmask_b32_e32 v15, v15, v17, vcc
	v_cmp_class_f32_e32 vcc, v13, v28
	v_cndmask_b32_e32 v13, v15, v13, vcc
	v_add_f32_e32 v50, v51, v13
	v_add_f32_e32 v53, 1.0, v50
	v_add_f32_e32 v51, -1.0, v53
	v_mov_b32_e32 v52, v51
	v_pk_add_f32 v[54:55], v[50:51], v[52:53] neg_lo:[0,1] neg_hi:[0,1]
	v_add_f32_e32 v13, 1.0, v55
	v_add_f32_e32 v13, v54, v13
	v_frexp_mant_f32_e32 v15, v53
	v_cvt_f64_f32_e32 v[54:55], v53
	v_frexp_exp_i32_f64_e32 v17, v[54:55]
	v_cmp_gt_f32_e32 vcc, s67, v15
	v_subbrev_co_u32_e32 v15, vcc, 0, v17, vcc
	v_sub_u32_e32 v17, 0, v15
	v_ldexp_f32 v24, v53, v17
	v_ldexp_f32 v13, v13, v17
	v_add_f32_e32 v17, -1.0, v24
	v_add_f32_e32 v51, 1.0, v24
	v_add_f32_e32 v49, 1.0, v17
	v_add_f32_e32 v52, -1.0, v51
	v_sub_f32_e32 v49, v24, v49
	v_sub_f32_e32 v24, v24, v52
	v_add_f32_e32 v49, v13, v49
	v_add_f32_e32 v13, v13, v24
	;; [unrolled: 1-line block ×3, first 2 shown]
	v_sub_f32_e32 v51, v24, v51
	v_sub_f32_e32 v13, v13, v51
	v_rcp_f32_e32 v51, v24
	v_add_f32_e32 v53, v17, v49
	v_sub_f32_e32 v17, v53, v17
	v_sub_f32_e32 v17, v49, v17
	v_mul_f32_e32 v49, v53, v51
	v_mul_f32_e32 v54, v24, v49
	v_fma_f32 v56, v49, v24, -v54
	v_fmac_f32_e32 v56, v49, v13
	v_add_f32_e32 v52, v54, v56
	v_sub_f32_e32 v55, v53, v52
	v_pk_add_f32 v[58:59], v[52:53], v[54:55] neg_lo:[0,1] neg_hi:[0,1]
	v_mov_b32_e32 v57, v52
	v_pk_add_f32 v[52:53], v[58:59], v[56:57] neg_lo:[0,1] neg_hi:[0,1]
	v_add_f32_e32 v17, v17, v53
	v_add_f32_e32 v17, v52, v17
	;; [unrolled: 1-line block ×3, first 2 shown]
	v_mul_f32_e32 v60, v51, v53
	v_mul_f32_e32 v54, v24, v60
	v_fma_f32 v56, v60, v24, -v54
	v_fmac_f32_e32 v56, v60, v13
	v_add_f32_e32 v52, v54, v56
	v_sub_f32_e32 v13, v55, v53
	v_sub_f32_e32 v55, v53, v52
	v_pk_add_f32 v[58:59], v[52:53], v[54:55] neg_lo:[0,1] neg_hi:[0,1]
	v_mov_b32_e32 v57, v52
	v_add_f32_e32 v13, v17, v13
	v_pk_add_f32 v[52:53], v[58:59], v[56:57] neg_lo:[0,1] neg_hi:[0,1]
	v_add_f32_e32 v13, v13, v53
	v_add_f32_e32 v13, v52, v13
	;; [unrolled: 1-line block ×4, first 2 shown]
	v_sub_f32_e32 v17, v24, v49
	v_mul_f32_e32 v13, v51, v13
	v_sub_f32_e32 v17, v60, v17
	v_add_f32_e32 v13, v17, v13
	v_add_f32_e32 v49, v24, v13
	v_cvt_f32_i32_e32 v52, v15
	v_mul_f32_e32 v51, v49, v49
	v_mov_b32_e32 v17, 0x3ecc95a3
	v_fmac_f32_e32 v17, 0x3e9b6dac, v51
	v_fma_f32 v17, v51, v17, v29
	v_mul_f32_e32 v53, v49, v51
	v_pk_mul_f32 v[56:57], v[52:53], v[16:17]
	v_fma_f32 v54, v52, s68, -v56
	v_ldexp_f32 v55, v49, 1
	v_fmac_f32_e32 v54, 0xb102e308, v52
	v_sub_f32_e32 v15, v49, v24
	v_pk_add_f32 v[52:53], v[56:57], v[54:55]
	v_sub_f32_e32 v13, v13, v15
	v_sub_f32_e32 v15, v53, v55
	v_ldexp_f32 v13, v13, 1
	v_sub_f32_e32 v15, v57, v15
	v_add_f32_e32 v59, v13, v15
	v_mov_b32_e32 v58, v56
	v_pk_add_f32 v[56:57], v[52:53], v[56:57] neg_lo:[0,1] neg_hi:[0,1]
	v_pk_add_f32 v[60:61], v[52:53], v[58:59]
	v_mov_b32_e32 v57, v61
	v_mov_b32_e32 v55, v52
	v_pk_add_f32 v[62:63], v[54:55], v[56:57] neg_lo:[0,1] neg_hi:[0,1]
	v_pk_add_f32 v[54:55], v[54:55], v[56:57]
	v_mov_b32_e32 v24, v55
	v_pk_add_f32 v[56:57], v[24:25], v[52:53] neg_lo:[0,1] neg_hi:[0,1]
	v_mov_b32_e32 v13, v56
	v_pk_add_f32 v[64:65], v[60:61], v[12:13] neg_lo:[0,1] neg_hi:[0,1]
	v_mov_b32_e32 v54, v61
	v_mov_b32_e32 v60, v53
	;; [unrolled: 1-line block ×4, first 2 shown]
	v_pk_add_f32 v[54:55], v[54:55], v[60:61] neg_lo:[0,1] neg_hi:[0,1]
	v_mov_b32_e32 v56, v59
	v_mov_b32_e32 v57, v52
	v_pk_add_f32 v[52:53], v[56:57], v[54:55] neg_lo:[0,1] neg_hi:[0,1]
	v_mov_b32_e32 v64, v62
	v_pk_add_f32 v[54:55], v[64:65], v[52:53]
	v_mov_b32_e32 v56, v55
	v_pk_add_f32 v[56:57], v[54:55], v[56:57]
	v_pk_add_f32 v[58:59], v[24:25], v[56:57]
	v_mov_b32_e32 v55, v58
	v_pk_add_f32 v[60:61], v[54:55], v[62:63] neg_lo:[0,1] neg_hi:[0,1]
	v_mov_b32_e32 v53, v56
	v_sub_f32_e32 v13, v54, v60
	v_pk_add_f32 v[52:53], v[52:53], v[60:61] neg_lo:[0,1] neg_hi:[0,1]
	v_sub_f32_e32 v13, v62, v13
	v_add_f32_e32 v13, v52, v13
	v_add_f32_e32 v13, v13, v53
	;; [unrolled: 1-line block ×3, first 2 shown]
	v_cmp_eq_f32_e32 vcc, s60, v50
	v_cndmask_b32_e32 v13, v13, v50, vcc
	v_cmp_ngt_f32_e32 vcc, -1.0, v50
	v_cndmask_b32_e32 v13, v43, v13, vcc
	v_cmp_neq_f32_e32 vcc, -1.0, v50
	v_cndmask_b32_e32 v13, v44, v13, vcc
	v_cmp_lt_f32_e64 vcc, |v50|, s69
	v_cndmask_b32_e32 v15, v13, v50, vcc
.LBB57_219:                             ;   in Loop: Header=BB57_5 Depth=1
	s_andn2_saveexec_b64 s[46:47], s[46:47]
	s_cbranch_execz .LBB57_225
; %bb.220:                              ;   in Loop: Header=BB57_5 Depth=1
	v_cmp_nlt_f32_e64 s[6:7], |v2|, 1.0
                                        ; implicit-def: $vgpr15
	s_and_saveexec_b64 s[48:49], s[6:7]
	s_xor_b64 s[48:49], exec, s[48:49]
	s_cbranch_execz .LBB57_222
; %bb.221:                              ;   in Loop: Header=BB57_5 Depth=1
	v_mul_f32_e32 v13, v23, v22
	v_mul_f32_e32 v15, 0x4f800000, v13
	v_cmp_gt_f32_e32 vcc, s62, v13
	v_cndmask_b32_e32 v13, v13, v15, vcc
	v_sqrt_f32_e32 v15, v13
	v_add_u32_e32 v17, -1, v15
	v_fma_f32 v49, -v17, v15, v13
	v_add_u32_e32 v24, 1, v15
	v_cmp_ge_f32_e64 s[6:7], 0, v49
	v_cndmask_b32_e64 v17, v15, v17, s[6:7]
	v_fma_f32 v15, -v24, v15, v13
	v_cmp_lt_f32_e64 s[6:7], 0, v15
	v_cndmask_b32_e64 v15, v17, v24, s[6:7]
	v_mul_f32_e32 v17, 0x37800000, v15
	v_cndmask_b32_e32 v15, v15, v17, vcc
	v_cmp_class_f32_e32 vcc, v13, v28
	v_cndmask_b32_e32 v13, v15, v13, vcc
	v_add_f32_e32 v50, v23, v13
	v_add_f32_e32 v53, 1.0, v50
	v_add_f32_e32 v51, -1.0, v53
	v_mov_b32_e32 v52, v51
	v_pk_add_f32 v[54:55], v[50:51], v[52:53] neg_lo:[0,1] neg_hi:[0,1]
	v_add_f32_e32 v13, 1.0, v55
	v_add_f32_e32 v13, v54, v13
	v_frexp_mant_f32_e32 v15, v53
	v_cvt_f64_f32_e32 v[54:55], v53
	v_frexp_exp_i32_f64_e32 v17, v[54:55]
	v_cmp_gt_f32_e32 vcc, s67, v15
	v_subbrev_co_u32_e32 v15, vcc, 0, v17, vcc
	v_sub_u32_e32 v17, 0, v15
	v_ldexp_f32 v24, v53, v17
	v_ldexp_f32 v13, v13, v17
	v_add_f32_e32 v17, -1.0, v24
	v_add_f32_e32 v51, 1.0, v24
	v_add_f32_e32 v49, 1.0, v17
	v_add_f32_e32 v52, -1.0, v51
	v_sub_f32_e32 v49, v24, v49
	v_sub_f32_e32 v24, v24, v52
	v_add_f32_e32 v49, v13, v49
	v_add_f32_e32 v13, v13, v24
	;; [unrolled: 1-line block ×3, first 2 shown]
	v_sub_f32_e32 v51, v24, v51
	v_sub_f32_e32 v13, v13, v51
	v_rcp_f32_e32 v51, v24
	v_add_f32_e32 v53, v17, v49
	v_sub_f32_e32 v17, v53, v17
	v_sub_f32_e32 v17, v49, v17
	v_mul_f32_e32 v49, v53, v51
	v_mul_f32_e32 v54, v24, v49
	v_fma_f32 v56, v49, v24, -v54
	v_fmac_f32_e32 v56, v49, v13
	v_add_f32_e32 v52, v54, v56
	v_sub_f32_e32 v55, v53, v52
	v_pk_add_f32 v[58:59], v[52:53], v[54:55] neg_lo:[0,1] neg_hi:[0,1]
	v_mov_b32_e32 v57, v52
	v_pk_add_f32 v[52:53], v[58:59], v[56:57] neg_lo:[0,1] neg_hi:[0,1]
	v_add_f32_e32 v17, v17, v53
	v_add_f32_e32 v17, v52, v17
	;; [unrolled: 1-line block ×3, first 2 shown]
	v_mul_f32_e32 v60, v51, v53
	v_mul_f32_e32 v54, v24, v60
	v_fma_f32 v56, v60, v24, -v54
	v_fmac_f32_e32 v56, v60, v13
	v_add_f32_e32 v52, v54, v56
	v_sub_f32_e32 v13, v55, v53
	v_sub_f32_e32 v55, v53, v52
	v_pk_add_f32 v[58:59], v[52:53], v[54:55] neg_lo:[0,1] neg_hi:[0,1]
	v_mov_b32_e32 v57, v52
	v_add_f32_e32 v13, v17, v13
	v_pk_add_f32 v[52:53], v[58:59], v[56:57] neg_lo:[0,1] neg_hi:[0,1]
	v_add_f32_e32 v13, v13, v53
	v_add_f32_e32 v13, v52, v13
	;; [unrolled: 1-line block ×4, first 2 shown]
	v_sub_f32_e32 v17, v24, v49
	v_mul_f32_e32 v13, v51, v13
	v_sub_f32_e32 v17, v60, v17
	v_add_f32_e32 v13, v17, v13
	v_add_f32_e32 v49, v24, v13
	v_cvt_f32_i32_e32 v52, v15
	v_mul_f32_e32 v51, v49, v49
	v_mov_b32_e32 v17, 0x3ecc95a3
	v_fmac_f32_e32 v17, 0x3e9b6dac, v51
	v_fma_f32 v17, v51, v17, v29
	v_mul_f32_e32 v53, v49, v51
	v_pk_mul_f32 v[56:57], v[52:53], v[16:17]
	v_fma_f32 v54, v52, s68, -v56
	v_ldexp_f32 v55, v49, 1
	v_fmac_f32_e32 v54, 0xb102e308, v52
	v_sub_f32_e32 v15, v49, v24
	v_pk_add_f32 v[52:53], v[56:57], v[54:55]
	v_sub_f32_e32 v13, v13, v15
	v_sub_f32_e32 v15, v53, v55
	v_ldexp_f32 v13, v13, 1
	v_sub_f32_e32 v15, v57, v15
	v_add_f32_e32 v59, v13, v15
	v_mov_b32_e32 v58, v56
	v_pk_add_f32 v[56:57], v[52:53], v[56:57] neg_lo:[0,1] neg_hi:[0,1]
	v_pk_add_f32 v[60:61], v[52:53], v[58:59]
	v_mov_b32_e32 v57, v61
	v_mov_b32_e32 v55, v52
	v_pk_add_f32 v[62:63], v[54:55], v[56:57] neg_lo:[0,1] neg_hi:[0,1]
	v_pk_add_f32 v[54:55], v[54:55], v[56:57]
	v_mov_b32_e32 v24, v55
	v_pk_add_f32 v[56:57], v[24:25], v[52:53] neg_lo:[0,1] neg_hi:[0,1]
	v_mov_b32_e32 v13, v56
	v_pk_add_f32 v[64:65], v[60:61], v[12:13] neg_lo:[0,1] neg_hi:[0,1]
	v_mov_b32_e32 v54, v61
	v_mov_b32_e32 v60, v53
	;; [unrolled: 1-line block ×4, first 2 shown]
	v_pk_add_f32 v[54:55], v[54:55], v[60:61] neg_lo:[0,1] neg_hi:[0,1]
	v_mov_b32_e32 v56, v59
	v_mov_b32_e32 v57, v52
	v_pk_add_f32 v[52:53], v[56:57], v[54:55] neg_lo:[0,1] neg_hi:[0,1]
	v_mov_b32_e32 v64, v62
	v_pk_add_f32 v[54:55], v[64:65], v[52:53]
	v_mov_b32_e32 v56, v55
	v_pk_add_f32 v[56:57], v[54:55], v[56:57]
	v_pk_add_f32 v[58:59], v[24:25], v[56:57]
	v_mov_b32_e32 v55, v58
	v_pk_add_f32 v[60:61], v[54:55], v[62:63] neg_lo:[0,1] neg_hi:[0,1]
	v_mov_b32_e32 v53, v56
	v_sub_f32_e32 v13, v54, v60
	v_pk_add_f32 v[52:53], v[52:53], v[60:61] neg_lo:[0,1] neg_hi:[0,1]
	v_sub_f32_e32 v13, v62, v13
	v_add_f32_e32 v13, v52, v13
	v_add_f32_e32 v13, v13, v53
	;; [unrolled: 1-line block ×3, first 2 shown]
	v_cmp_eq_f32_e32 vcc, s60, v50
	v_cndmask_b32_e32 v13, v13, v50, vcc
	v_cmp_ngt_f32_e32 vcc, -1.0, v50
	v_cndmask_b32_e32 v13, v43, v13, vcc
	v_cmp_neq_f32_e32 vcc, -1.0, v50
	v_cndmask_b32_e32 v13, v44, v13, vcc
	v_cmp_lt_f32_e64 vcc, |v50|, s69
	v_cndmask_b32_e32 v15, v13, v50, vcc
.LBB57_222:                             ;   in Loop: Header=BB57_5 Depth=1
	s_andn2_saveexec_b64 s[48:49], s[48:49]
	s_cbranch_execz .LBB57_224
; %bb.223:                              ;   in Loop: Header=BB57_5 Depth=1
	v_sub_f32_e64 v13, 1.0, |v2|
	v_mul_f32_e32 v13, v13, v22
	v_mul_f32_e32 v15, 0x4f800000, v13
	v_cmp_gt_f32_e32 vcc, s62, v13
	v_cndmask_b32_e32 v13, v13, v15, vcc
	v_sqrt_f32_e32 v15, v13
	v_add_u32_e32 v17, -1, v15
	v_fma_f32 v49, -v17, v15, v13
	v_add_u32_e32 v24, 1, v15
	v_cmp_ge_f32_e64 s[6:7], 0, v49
	v_cndmask_b32_e64 v17, v15, v17, s[6:7]
	v_fma_f32 v15, -v24, v15, v13
	v_cmp_lt_f32_e64 s[6:7], 0, v15
	v_cndmask_b32_e64 v15, v17, v24, s[6:7]
	v_mul_f32_e32 v17, 0x37800000, v15
	v_cndmask_b32_e32 v15, v15, v17, vcc
	v_cmp_class_f32_e32 vcc, v13, v28
	v_cndmask_b32_e32 v13, v15, v13, vcc
	v_and_b32_e32 v15, 0x7fffffff, v3
	v_div_scale_f32 v17, s[6:7], v13, v13, v15
	v_rcp_f32_e32 v24, v17
	v_div_scale_f32 v15, vcc, v15, v13, v15
	v_fma_f32 v49, -v17, v24, 1.0
	v_fmac_f32_e32 v24, v49, v24
	v_mul_f32_e32 v49, v15, v24
	v_fma_f32 v50, -v17, v49, v15
	v_fmac_f32_e32 v49, v50, v24
	v_fma_f32 v15, -v17, v49, v15
	v_div_fmas_f32 v15, v15, v24, v49
	v_div_fixup_f32 v15, v15, v13, |v3|
.LBB57_224:                             ;   in Loop: Header=BB57_5 Depth=1
	s_or_b64 exec, exec, s[48:49]
.LBB57_225:                             ;   in Loop: Header=BB57_5 Depth=1
	s_or_b64 exec, exec, s[46:47]
.LBB57_226:                             ;   in Loop: Header=BB57_5 Depth=1
	s_andn2_saveexec_b64 s[44:45], s[44:45]
	s_cbranch_execz .LBB57_228
; %bb.227:                              ;   in Loop: Header=BB57_5 Depth=1
	v_mul_f32_e64 v13, |v3|, s63
	v_cmp_lt_f32_e64 vcc, |v3|, s62
	v_cndmask_b32_e64 v13, |v3|, v13, vcc
	v_sqrt_f32_e32 v15, v13
	v_add_u32_e32 v17, -1, v15
	v_fma_f32 v49, -v17, v15, v13
	v_add_u32_e32 v24, 1, v15
	v_cmp_ge_f32_e64 s[6:7], 0, v49
	v_cndmask_b32_e64 v17, v15, v17, s[6:7]
	v_fma_f32 v15, -v24, v15, v13
	v_cmp_lt_f32_e64 s[6:7], 0, v15
	v_cndmask_b32_e64 v15, v17, v24, s[6:7]
	v_mul_f32_e32 v17, 0x37800000, v15
	v_cndmask_b32_e32 v15, v15, v17, vcc
	v_cmp_class_f32_e32 vcc, v13, v28
	v_cndmask_b32_e32 v15, v15, v13, vcc
.LBB57_228:                             ;   in Loop: Header=BB57_5 Depth=1
	s_or_b64 exec, exec, s[44:45]
.LBB57_229:                             ;   in Loop: Header=BB57_5 Depth=1
	s_or_b64 exec, exec, s[42:43]
	v_cmp_nlt_f32_e64 s[42:43], |v2|, s70
                                        ; implicit-def: $sgpr6_sgpr7
                                        ; implicit-def: $vgpr24
                                        ; implicit-def: $vgpr17
	s_and_saveexec_b64 s[44:45], s[42:43]
	s_xor_b64 s[42:43], exec, s[44:45]
	s_cbranch_execz .LBB57_253
; %bb.230:                              ;   in Loop: Header=BB57_5 Depth=1
	v_div_scale_f32 v13, s[6:7], v12, v12, v10
	v_rcp_f32_e32 v17, v13
	v_div_scale_f32 v24, vcc, v10, v12, v10
	s_mov_b64 s[6:7], 0
	v_fma_f32 v49, -v13, v17, 1.0
	v_fmac_f32_e32 v17, v49, v17
	v_mul_f32_e32 v49, v24, v17
	v_fma_f32 v50, -v13, v49, v24
	v_fmac_f32_e32 v49, v50, v17
	v_fma_f32 v13, -v13, v49, v24
	v_div_fmas_f32 v13, v13, v17, v49
	v_div_fixup_f32 v17, v13, v12, |v2|
	v_cmp_lt_f32_e32 vcc, s71, v17
                                        ; implicit-def: $vgpr24
	s_and_saveexec_b64 s[44:45], vcc
	s_cbranch_execz .LBB57_252
; %bb.231:                              ;   in Loop: Header=BB57_5 Depth=1
	v_cmp_neq_f32_e64 s[6:7], |v2|, 1.0
	v_cmp_nlt_f32_e64 s[46:47], |v3|, s72
	s_or_b64 s[6:7], s[6:7], s[46:47]
                                        ; implicit-def: $sgpr48_sgpr49
                                        ; implicit-def: $vgpr24
	s_and_saveexec_b64 s[46:47], s[6:7]
	s_xor_b64 s[46:47], exec, s[46:47]
	s_cbranch_execz .LBB57_249
; %bb.232:                              ;   in Loop: Header=BB57_5 Depth=1
	v_mul_f32_e32 v13, 0x34000000, v48
	v_cmp_le_f32_e64 s[6:7], v13, |v3|
                                        ; implicit-def: $vgpr24
                                        ; implicit-def: $sgpr48_sgpr49
	s_and_saveexec_b64 s[50:51], s[6:7]
	s_xor_b64 s[50:51], exec, s[50:51]
	s_cbranch_execz .LBB57_242
; %bb.233:                              ;   in Loop: Header=BB57_5 Depth=1
	v_cmp_neq_f32_e32 vcc, 0, v22
	v_mov_b32_e32 v13, v25
	s_and_saveexec_b64 s[6:7], vcc
	s_cbranch_execz .LBB57_235
; %bb.234:                              ;   in Loop: Header=BB57_5 Depth=1
	v_mul_f32_e32 v13, v3, v3
	v_add_f32_e32 v11, v22, v11
	v_div_scale_f32 v22, s[48:49], v11, v11, v13
	v_rcp_f32_e32 v24, v22
	v_fma_f32 v48, -v22, v24, 1.0
	v_fmac_f32_e32 v24, v48, v24
	v_div_scale_f32 v48, vcc, v13, v11, v13
	v_mul_f32_e32 v49, v48, v24
	v_fma_f32 v50, -v22, v49, v48
	v_fmac_f32_e32 v49, v50, v24
	v_fma_f32 v22, -v22, v49, v48
	v_div_fmas_f32 v22, v22, v24, v49
	v_div_fixup_f32 v13, v22, v11, v13
.LBB57_235:                             ;   in Loop: Header=BB57_5 Depth=1
	s_or_b64 exec, exec, s[6:7]
	v_cmp_ngt_f32_e32 vcc, 0, v23
	s_and_saveexec_b64 s[6:7], vcc
	s_xor_b64 s[6:7], exec, s[6:7]
	s_cbranch_execz .LBB57_239
; %bb.236:                              ;   in Loop: Header=BB57_5 Depth=1
	v_cmp_neq_f32_e32 vcc, 0, v23
	s_and_saveexec_b64 s[48:49], vcc
	s_cbranch_execz .LBB57_238
; %bb.237:                              ;   in Loop: Header=BB57_5 Depth=1
	v_mul_f32_e32 v11, v3, v3
	v_add_f32_e32 v1, v23, v1
	v_div_scale_f32 v22, s[52:53], v1, v1, v11
	v_rcp_f32_e32 v23, v22
	v_fma_f32 v24, -v22, v23, 1.0
	v_fmac_f32_e32 v23, v24, v23
	v_div_scale_f32 v24, vcc, v11, v1, v11
	v_mul_f32_e32 v25, v24, v23
	v_fma_f32 v48, -v22, v25, v24
	v_fmac_f32_e32 v25, v48, v23
	v_fma_f32 v22, -v22, v25, v24
	v_div_fmas_f32 v22, v22, v23, v25
	v_div_fixup_f32 v25, v22, v1, v11
.LBB57_238:                             ;   in Loop: Header=BB57_5 Depth=1
	s_or_b64 exec, exec, s[48:49]
                                        ; implicit-def: $vgpr1
                                        ; implicit-def: $vgpr22_vgpr23
.LBB57_239:                             ;   in Loop: Header=BB57_5 Depth=1
	s_andn2_saveexec_b64 s[6:7], s[6:7]
; %bb.240:                              ;   in Loop: Header=BB57_5 Depth=1
	v_sub_f32_e32 v25, v1, v23
; %bb.241:                              ;   in Loop: Header=BB57_5 Depth=1
	s_or_b64 exec, exec, s[6:7]
	v_mul_f32_e32 v11, 0.5, v13
	v_mul_f32_e32 v13, 0.5, v25
	v_pk_add_f32 v[12:13], v[10:11], v[12:13]
	v_mul_f32_e32 v1, v12, v13
	v_mul_f32_e32 v11, 0x4f800000, v1
	v_cmp_gt_f32_e32 vcc, s62, v1
	v_cndmask_b32_e32 v1, v1, v11, vcc
	v_sqrt_f32_e32 v11, v1
	s_mov_b64 s[48:49], -1
                                        ; implicit-def: $vgpr22_vgpr23
	v_add_u32_e32 v12, -1, v11
	v_fma_f32 v13, -v12, v11, v1
	v_cmp_ge_f32_e64 s[6:7], 0, v13
	v_add_u32_e32 v13, 1, v11
	v_cndmask_b32_e64 v12, v11, v12, s[6:7]
	v_fma_f32 v11, -v13, v11, v1
	v_cmp_lt_f32_e64 s[6:7], 0, v11
	v_cndmask_b32_e64 v11, v12, v13, s[6:7]
	v_mul_f32_e32 v12, 0x37800000, v11
	v_cndmask_b32_e32 v11, v11, v12, vcc
	v_cmp_class_f32_e32 vcc, v1, v28
	v_cndmask_b32_e32 v24, v11, v1, vcc
.LBB57_242:                             ;   in Loop: Header=BB57_5 Depth=1
	s_andn2_saveexec_b64 s[50:51], s[50:51]
	s_cbranch_execz .LBB57_248
; %bb.243:                              ;   in Loop: Header=BB57_5 Depth=1
	v_cmp_ngt_f32_e64 s[6:7], |v2|, 1.0
                                        ; implicit-def: $vgpr24
                                        ; implicit-def: $sgpr52_sgpr53
	s_and_saveexec_b64 s[54:55], s[6:7]
	s_xor_b64 s[54:55], exec, s[54:55]
	s_cbranch_execz .LBB57_245
; %bb.244:                              ;   in Loop: Header=BB57_5 Depth=1
	v_sub_f32_e64 v1, 1.0, |v2|
	v_mul_f32_e32 v1, v1, v22
	v_mul_f32_e32 v11, 0x4f800000, v1
	v_cmp_gt_f32_e32 vcc, s62, v1
	v_cndmask_b32_e32 v1, v1, v11, vcc
	v_sqrt_f32_e32 v11, v1
	s_mov_b64 s[52:53], -1
	v_add_u32_e32 v12, -1, v11
	v_fma_f32 v22, -v12, v11, v1
	v_add_u32_e32 v13, 1, v11
	v_cmp_ge_f32_e64 s[6:7], 0, v22
	v_cndmask_b32_e64 v12, v11, v12, s[6:7]
	v_fma_f32 v11, -v13, v11, v1
	v_cmp_lt_f32_e64 s[6:7], 0, v11
	v_cndmask_b32_e64 v11, v12, v13, s[6:7]
	v_mul_f32_e32 v12, 0x37800000, v11
	v_cndmask_b32_e32 v11, v11, v12, vcc
	v_cmp_class_f32_e32 vcc, v1, v28
	v_cndmask_b32_e32 v24, v11, v1, vcc
                                        ; implicit-def: $vgpr22_vgpr23
.LBB57_245:                             ;   in Loop: Header=BB57_5 Depth=1
	s_andn2_saveexec_b64 s[54:55], s[54:55]
	s_cbranch_execz .LBB57_247
; %bb.246:                              ;   in Loop: Header=BB57_5 Depth=1
	v_mul_f32_e32 v1, v22, v23
	v_mul_f32_e32 v10, 0x4f800000, v1
	v_cmp_gt_f32_e32 vcc, s62, v1
	v_cndmask_b32_e32 v1, v1, v10, vcc
	v_sqrt_f32_e32 v10, v1
	v_mul_f32_e64 v11, |v3|, s73
	v_mul_f32_e64 v11, |v2|, v11
	s_or_b64 s[52:53], s[52:53], exec
	v_add_u32_e32 v12, -1, v10
	v_fma_f32 v13, -v12, v10, v1
	v_cmp_ge_f32_e64 s[6:7], 0, v13
	v_add_u32_e32 v13, 1, v10
	v_cndmask_b32_e64 v12, v10, v12, s[6:7]
	v_fma_f32 v10, -v13, v10, v1
	v_cmp_lt_f32_e64 s[6:7], 0, v10
	v_cndmask_b32_e64 v10, v12, v13, s[6:7]
	v_mul_f32_e32 v12, 0x37800000, v10
	v_cndmask_b32_e32 v10, v10, v12, vcc
	v_cmp_class_f32_e32 vcc, v1, v28
	v_cndmask_b32_e32 v1, v10, v1, vcc
	v_div_scale_f32 v10, s[6:7], v1, v1, v11
	v_rcp_f32_e32 v12, v10
	v_fma_f32 v13, -v10, v12, 1.0
	v_fmac_f32_e32 v12, v13, v12
	v_div_scale_f32 v13, vcc, v11, v1, v11
	v_mul_f32_e32 v22, v13, v12
	v_fma_f32 v23, -v10, v22, v13
	v_fmac_f32_e32 v22, v23, v12
	v_fma_f32 v10, -v10, v22, v13
	v_div_fmas_f32 v10, v10, v12, v22
	v_div_fixup_f32 v24, v10, v1, v11
	v_mul_f32_e64 v10, |v2|, s73
.LBB57_247:                             ;   in Loop: Header=BB57_5 Depth=1
	s_or_b64 exec, exec, s[54:55]
	s_andn2_b64 s[6:7], s[48:49], exec
	s_and_b64 s[48:49], s[52:53], exec
	s_or_b64 s[48:49], s[6:7], s[48:49]
.LBB57_248:                             ;   in Loop: Header=BB57_5 Depth=1
	s_or_b64 exec, exec, s[50:51]
	s_and_b64 s[48:49], s[48:49], exec
                                        ; implicit-def: $vgpr12
.LBB57_249:                             ;   in Loop: Header=BB57_5 Depth=1
	s_andn2_saveexec_b64 s[46:47], s[46:47]
	s_cbranch_execz .LBB57_251
; %bb.250:                              ;   in Loop: Header=BB57_5 Depth=1
	v_mul_f32_e64 v1, |v3|, s63
	v_cmp_lt_f32_e64 vcc, |v3|, s62
	v_cndmask_b32_e64 v1, |v3|, v1, vcc
	v_sqrt_f32_e32 v10, v1
	v_add_f32_e32 v12, 1.0, v12
	v_mul_f32_e32 v12, 0.5, v12
	s_or_b64 s[48:49], s[48:49], exec
	v_add_u32_e32 v11, -1, v10
	v_fma_f32 v22, -v11, v10, v1
	v_add_u32_e32 v13, 1, v10
	v_cmp_ge_f32_e64 s[6:7], 0, v22
	v_cndmask_b32_e64 v11, v10, v11, s[6:7]
	v_fma_f32 v10, -v13, v10, v1
	v_cmp_lt_f32_e64 s[6:7], 0, v10
	v_cndmask_b32_e64 v10, v11, v13, s[6:7]
	v_mul_f32_e32 v13, 0x4f800000, v12
	v_cmp_gt_f32_e64 s[6:7], s62, v12
	v_cndmask_b32_e64 v12, v12, v13, s[6:7]
	v_sqrt_f32_e32 v13, v12
	v_mul_f32_e32 v11, 0x37800000, v10
	v_cndmask_b32_e32 v10, v10, v11, vcc
	v_cmp_class_f32_e32 vcc, v1, v28
	v_cndmask_b32_e32 v1, v10, v1, vcc
	v_add_u32_e32 v10, -1, v13
	v_fma_f32 v11, -v10, v13, v12
	v_cmp_ge_f32_e32 vcc, 0, v11
	v_add_u32_e32 v11, 1, v13
	v_cndmask_b32_e32 v10, v13, v10, vcc
	v_fma_f32 v13, -v11, v13, v12
	v_cmp_lt_f32_e32 vcc, 0, v13
	v_cndmask_b32_e32 v10, v10, v11, vcc
	v_mul_f32_e32 v11, 0x37800000, v10
	v_cndmask_b32_e64 v10, v10, v11, s[6:7]
	v_cmp_class_f32_e32 vcc, v12, v28
	v_cndmask_b32_e32 v10, v10, v12, vcc
	v_mul_f32_e32 v24, v1, v10
	v_mov_b32_e32 v10, 1.0
.LBB57_251:                             ;   in Loop: Header=BB57_5 Depth=1
	s_or_b64 exec, exec, s[46:47]
	s_and_b64 s[6:7], s[48:49], exec
.LBB57_252:                             ;   in Loop: Header=BB57_5 Depth=1
	s_or_b64 exec, exec, s[44:45]
	s_and_b64 s[6:7], s[6:7], exec
                                        ; implicit-def: $vgpr12
.LBB57_253:                             ;   in Loop: Header=BB57_5 Depth=1
	s_andn2_saveexec_b64 s[42:43], s[42:43]
; %bb.254:                              ;   in Loop: Header=BB57_5 Depth=1
	v_mov_b32_e32 v13, v10
	v_pk_mul_f32 v[24:25], v[12:13], s[30:31] op_sel_hi:[1,0]
	s_or_b64 s[6:7], s[6:7], exec
	v_mov_b32_e32 v10, v25
                                        ; implicit-def: $vgpr17
; %bb.255:                              ;   in Loop: Header=BB57_5 Depth=1
	s_or_b64 exec, exec, s[42:43]
	s_xor_b64 s[6:7], s[6:7], -1
                                        ; implicit-def: $vgpr1
	s_and_saveexec_b64 s[42:43], s[6:7]
	s_xor_b64 s[6:7], exec, s[42:43]
	s_cbranch_execz .LBB57_257
; %bb.256:                              ;   in Loop: Header=BB57_5 Depth=1
	v_fma_f32 v1, |v17|, -0.5, 0.5
	v_mul_f32_e32 v10, v17, v17
	v_cmp_ge_f32_e64 vcc, |v17|, 0.5
	v_cndmask_b32_e32 v1, v10, v1, vcc
	v_mov_b32_e32 v10, 0x3c5fc5da
	v_fmac_f32_e32 v10, 0x3d1c21a7, v1
	v_fma_f32 v10, v1, v10, v30
	v_fma_f32 v10, v1, v10, v31
	v_sqrt_f32_e32 v11, v1
	v_fma_f32 v10, v1, v10, v32
	v_fma_f32 v10, v1, v10, v33
	v_mul_f32_e32 v1, v1, v10
	v_fmac_f32_e32 v11, v11, v1
	v_add_f32_e32 v10, v11, v11
	v_sub_f32_e32 v10, 0x3fc90fdb, v10
	v_fma_f32 v1, |v17|, v1, |v17|
	v_cmp_lt_f32_e64 vcc, |v17|, 0.5
	v_cndmask_b32_e32 v1, v10, v1, vcc
	v_bfi_b32 v1, s59, v1, v17
                                        ; implicit-def: $vgpr10
                                        ; implicit-def: $vgpr24
.LBB57_257:                             ;   in Loop: Header=BB57_5 Depth=1
	s_andn2_saveexec_b64 s[42:43], s[6:7]
	s_cbranch_execz .LBB57_259
; %bb.258:                              ;   in Loop: Header=BB57_5 Depth=1
	v_max_f32_e32 v1, v10, v10
	v_max_f32_e64 v11, |v24|, |v24|
	v_min_f32_e32 v12, v11, v1
	v_max_f32_e32 v1, v11, v1
	v_frexp_mant_f32_e32 v11, v1
	v_rcp_f32_e32 v11, v11
	v_frexp_exp_i32_f32_e32 v1, v1
	v_frexp_exp_i32_f32_e32 v13, v12
	v_frexp_mant_f32_e32 v12, v12
	v_mul_f32_e32 v11, v12, v11
	v_sub_u32_e32 v1, v13, v1
	v_ldexp_f32 v1, v11, v1
	v_mul_f32_e32 v11, v1, v1
	v_mov_b32_e32 v12, 0xbc7a590c
	v_fmac_f32_e32 v12, 0x3b2d2a58, v11
	v_fma_f32 v12, v11, v12, v34
	v_fma_f32 v12, v11, v12, v35
	;; [unrolled: 1-line block ×6, first 2 shown]
	v_mul_f32_e32 v11, v11, v12
	v_fmac_f32_e32 v1, v1, v11
	v_sub_f32_e32 v11, 0x3fc90fdb, v1
	v_cmp_gt_f32_e64 vcc, v10, |v24|
	v_cndmask_b32_e32 v1, v1, v11, vcc
	v_sub_f32_e32 v11, 0x40490fdb, v1
	v_cmp_gt_f32_e32 vcc, 0, v24
	v_cmp_gt_i32_e64 s[6:7], 0, v24
	v_cndmask_b32_e32 v1, v1, v11, vcc
	v_cndmask_b32_e64 v11, 0, v45, s[6:7]
	v_cmp_eq_f32_e64 s[6:7], 0, v10
	v_cndmask_b32_e64 v1, v1, v11, s[6:7]
	v_cndmask_b32_e32 v11, v46, v47, vcc
	v_cmp_class_f32_e64 s[6:7], v24, s74
	v_cmp_eq_f32_e32 vcc, s60, v10
	s_and_b64 vcc, vcc, s[6:7]
	v_cndmask_b32_e32 v1, v1, v11, vcc
	v_cmp_o_f32_e32 vcc, v24, v10
	v_cndmask_b32_e64 v1, v43, |v1|, vcc
.LBB57_259:                             ;   in Loop: Header=BB57_5 Depth=1
	s_or_b64 exec, exec, s[42:43]
	v_bfi_b32 v10, s59, v1, v2
	v_bfi_b32 v11, s59, v15, v3
.LBB57_260:                             ;   in Loop: Header=BB57_5 Depth=1
	s_or_b64 exec, exec, s[40:41]
.LBB57_261:                             ;   in Loop: Header=BB57_5 Depth=1
	s_or_b64 exec, exec, s[38:39]
                                        ; implicit-def: $vgpr1
                                        ; implicit-def: $vgpr13
                                        ; implicit-def: $vgpr12
.LBB57_262:                             ;   in Loop: Header=BB57_5 Depth=1
	s_andn2_saveexec_b64 s[38:39], s[8:9]
	s_cbranch_execz .LBB57_284
; %bb.263:                              ;   in Loop: Header=BB57_5 Depth=1
	v_cmp_lt_i32_e32 vcc, -1, v3
                                        ; implicit-def: $vgpr10
                                        ; implicit-def: $vgpr11
	s_and_saveexec_b64 s[6:7], vcc
	s_xor_b64 s[40:41], exec, s[6:7]
	s_cbranch_execz .LBB57_273
; %bb.264:                              ;   in Loop: Header=BB57_5 Depth=1
	v_cmp_lt_f32_e64 s[6:7], |v3|, |v2|
	v_cndmask_b32_e64 v15, |v3|, |v2|, s[6:7]
	v_cmp_nlt_f32_e32 vcc, s75, v15
                                        ; implicit-def: $vgpr10
                                        ; implicit-def: $vgpr11
	s_and_saveexec_b64 s[8:9], vcc
	s_xor_b64 s[42:43], exec, s[8:9]
	s_cbranch_execz .LBB57_270
; %bb.265:                              ;   in Loop: Header=BB57_5 Depth=1
	v_cndmask_b32_e64 v17, |v2|, |v3|, s[6:7]
	v_cmp_nlt_f32_e32 vcc, s76, v15
	v_cmp_ngt_f32_e64 s[8:9], s77, v17
	s_and_b64 s[8:9], vcc, s[8:9]
                                        ; implicit-def: $vgpr10
                                        ; implicit-def: $vgpr11
	s_and_saveexec_b64 s[44:45], s[8:9]
	s_xor_b64 s[8:9], exec, s[44:45]
	s_cbranch_execz .LBB57_267
; %bb.266:                              ;   in Loop: Header=BB57_5 Depth=1
	v_mul_f32_e32 v10, v17, v17
	v_fmac_f32_e32 v10, v15, v15
	v_cmp_gt_f32_e32 vcc, s64, v10
	v_cndmask_b32_e32 v11, 1.0, v41, vcc
	v_mul_f32_e32 v10, v10, v11
	v_log_f32_e32 v10, v10
	v_cndmask_b32_e32 v11, 0, v42, vcc
	v_min_f32_e32 v1, v1, v13
	v_frexp_exp_i32_f32_e32 v13, v1
	v_mul_f32_e32 v15, 0x3f317217, v10
	v_fma_f32 v17, v10, s65, -v15
	v_fmac_f32_e32 v17, 0x3377d1cf, v10
	v_add_f32_e32 v15, v15, v17
	v_cmp_lt_f32_e64 vcc, |v10|, s60
	v_cndmask_b32_e32 v10, v10, v15, vcc
	v_sub_f32_e32 v10, v10, v11
	v_frexp_mant_f32_e32 v11, v12
	v_rcp_f32_e32 v11, v11
	v_frexp_exp_i32_f32_e32 v12, v12
	v_frexp_mant_f32_e32 v1, v1
	v_mul_f32_e32 v10, 0.5, v10
	v_mul_f32_e32 v1, v1, v11
	v_sub_u32_e32 v11, v13, v12
	v_ldexp_f32 v11, v1, v11
	v_mul_f32_e32 v1, v11, v11
	v_mov_b32_e32 v12, 0xbc7a590c
	v_fmac_f32_e32 v12, 0x3b2d2a58, v1
	v_fma_f32 v12, v1, v12, v34
	v_fma_f32 v12, v1, v12, v35
	;; [unrolled: 1-line block ×6, first 2 shown]
	v_mul_f32_e32 v1, v1, v12
	v_fmac_f32_e32 v11, v11, v1
                                        ; implicit-def: $vgpr12
                                        ; implicit-def: $vgpr1
                                        ; implicit-def: $vgpr13
.LBB57_267:                             ;   in Loop: Header=BB57_5 Depth=1
	s_andn2_saveexec_b64 s[8:9], s[8:9]
	s_cbranch_execz .LBB57_269
; %bb.268:                              ;   in Loop: Header=BB57_5 Depth=1
	v_cvt_f64_f32_e32 v[10:11], v12
	v_frexp_exp_i32_f64_e32 v10, v[10:11]
	v_sub_u32_e32 v11, 0, v10
	v_ldexp_f32 v15, |v3|, v11
	v_ldexp_f32 v11, |v2|, v11
	v_mul_f32_e32 v11, v11, v11
	v_fmac_f32_e32 v11, v15, v15
	v_sqrt_f32_e32 v11, v11
	v_cmp_neq_f32_e32 vcc, s60, v12
	v_min_f32_e32 v1, v1, v13
	v_ldexp_f32 v10, v11, v10
	v_cndmask_b32_e32 v10, v40, v10, vcc
	v_cmp_gt_f32_e32 vcc, s64, v10
	v_cndmask_b32_e32 v11, 1.0, v41, vcc
	v_mul_f32_e32 v10, v10, v11
	v_log_f32_e32 v10, v10
	v_cndmask_b32_e32 v11, 0, v42, vcc
	v_mul_f32_e32 v13, 0x3f317217, v10
	v_fma_f32 v15, v10, s65, -v13
	v_fmac_f32_e32 v15, 0x3377d1cf, v10
	v_add_f32_e32 v13, v13, v15
	v_cmp_lt_f32_e64 vcc, |v10|, s60
	v_cndmask_b32_e32 v10, v10, v13, vcc
	v_sub_f32_e32 v10, v10, v11
	v_frexp_mant_f32_e32 v11, v12
	v_rcp_f32_e32 v11, v11
	v_frexp_exp_i32_f32_e32 v12, v12
	v_frexp_exp_i32_f32_e32 v13, v1
	v_frexp_mant_f32_e32 v1, v1
	v_mul_f32_e32 v1, v1, v11
	v_sub_u32_e32 v11, v13, v12
	v_ldexp_f32 v11, v1, v11
	v_mul_f32_e32 v1, v11, v11
	v_mov_b32_e32 v12, 0xbc7a590c
	v_fmac_f32_e32 v12, 0x3b2d2a58, v1
	v_fma_f32 v12, v1, v12, v34
	v_fma_f32 v12, v1, v12, v35
	;; [unrolled: 1-line block ×6, first 2 shown]
	v_mul_f32_e32 v1, v1, v12
	v_fmac_f32_e32 v11, v11, v1
.LBB57_269:                             ;   in Loop: Header=BB57_5 Depth=1
	s_or_b64 exec, exec, s[8:9]
                                        ; implicit-def: $vgpr1
                                        ; implicit-def: $vgpr13
                                        ; implicit-def: $vgpr12
.LBB57_270:                             ;   in Loop: Header=BB57_5 Depth=1
	s_andn2_saveexec_b64 s[42:43], s[42:43]
	s_cbranch_execz .LBB57_272
; %bb.271:                              ;   in Loop: Header=BB57_5 Depth=1
	v_div_scale_f32 v10, s[8:9], s78, s78, v3
	v_rcp_f32_e32 v11, v10
	v_div_scale_f32 v15, vcc, v3, s78, v3
	v_min_f32_e32 v1, v1, v13
	v_fma_f32 v17, -v10, v11, 1.0
	v_fmac_f32_e32 v11, v17, v11
	v_mul_f32_e32 v17, v15, v11
	v_fma_f32 v22, -v10, v17, v15
	v_fmac_f32_e32 v17, v22, v11
	v_fma_f32 v10, -v10, v17, v15
	v_div_scale_f32 v15, s[8:9], s78, s78, v2
	v_rcp_f32_e32 v22, v15
	v_div_fmas_f32 v10, v10, v11, v17
	v_div_fixup_f32 v17, v10, s78, v3
	v_frexp_exp_i32_f32_e32 v13, v1
	v_fma_f32 v10, -v15, v22, 1.0
	v_fmac_f32_e32 v22, v10, v22
	v_div_scale_f32 v10, vcc, v2, s78, v2
	v_mul_f32_e32 v11, v10, v22
	v_fma_f32 v23, -v15, v11, v10
	v_fmac_f32_e32 v11, v23, v22
	v_fma_f32 v10, -v15, v11, v10
	v_div_fmas_f32 v10, v10, v22, v11
	v_div_fixup_f32 v15, v10, s78, v2
	v_max_f32_e64 v22, |v17|, |v15|
	v_cvt_f64_f32_e32 v[10:11], v22
	v_frexp_exp_i32_f64_e32 v10, v[10:11]
	v_sub_u32_e32 v11, 0, v10
	v_ldexp_f32 v17, |v17|, v11
	v_ldexp_f32 v11, |v15|, v11
	v_mul_f32_e32 v11, v11, v11
	v_fmac_f32_e32 v11, v17, v17
	v_sqrt_f32_e32 v11, v11
	v_cmp_neq_f32_e32 vcc, s60, v22
	v_frexp_mant_f32_e32 v1, v1
	v_ldexp_f32 v10, v11, v10
	v_cndmask_b32_e32 v10, v40, v10, vcc
	v_cmp_gt_f32_e32 vcc, s64, v10
	v_cndmask_b32_e32 v11, 1.0, v41, vcc
	v_mul_f32_e32 v10, v10, v11
	v_log_f32_e32 v10, v10
	v_mul_f32_e32 v11, 0x3f317217, v10
	v_fma_f32 v15, v10, s65, -v11
	v_fmac_f32_e32 v15, 0x3377d1cf, v10
	v_add_f32_e32 v11, v11, v15
	v_cmp_lt_f32_e64 s[8:9], |v10|, s60
	v_cndmask_b32_e64 v10, v10, v11, s[8:9]
	v_cndmask_b32_e32 v11, 0, v42, vcc
	v_sub_f32_e32 v10, v10, v11
	v_frexp_mant_f32_e32 v11, v12
	v_rcp_f32_e32 v11, v11
	v_frexp_exp_i32_f32_e32 v12, v12
	v_add_f32_e32 v10, 1.0, v10
	v_mul_f32_e32 v1, v1, v11
	v_sub_u32_e32 v11, v13, v12
	v_ldexp_f32 v11, v1, v11
	v_mul_f32_e32 v1, v11, v11
	v_mov_b32_e32 v12, 0xbc7a590c
	v_fmac_f32_e32 v12, 0x3b2d2a58, v1
	v_fma_f32 v12, v1, v12, v34
	v_fma_f32 v12, v1, v12, v35
	;; [unrolled: 1-line block ×6, first 2 shown]
	v_mul_f32_e32 v1, v1, v12
	v_fmac_f32_e32 v11, v11, v1
.LBB57_272:                             ;   in Loop: Header=BB57_5 Depth=1
	s_or_b64 exec, exec, s[42:43]
	v_sub_f32_e32 v1, 0x3fc90fdb, v11
	v_cndmask_b32_e64 v11, v11, v1, s[6:7]
                                        ; implicit-def: $vgpr1
                                        ; implicit-def: $vgpr13
                                        ; implicit-def: $vgpr12
.LBB57_273:                             ;   in Loop: Header=BB57_5 Depth=1
	s_andn2_saveexec_b64 s[40:41], s[40:41]
	s_cbranch_execz .LBB57_283
; %bb.274:                              ;   in Loop: Header=BB57_5 Depth=1
	v_cmp_lt_f32_e64 s[6:7], |v3|, |v2|
	v_cndmask_b32_e64 v15, |v3|, |v2|, s[6:7]
	v_cmp_nlt_f32_e32 vcc, s75, v15
                                        ; implicit-def: $vgpr10
                                        ; implicit-def: $vgpr11
	s_and_saveexec_b64 s[8:9], vcc
	s_xor_b64 s[42:43], exec, s[8:9]
	s_cbranch_execz .LBB57_280
; %bb.275:                              ;   in Loop: Header=BB57_5 Depth=1
	v_cndmask_b32_e64 v17, |v2|, |v3|, s[6:7]
	v_cmp_nlt_f32_e32 vcc, s76, v15
	v_cmp_ngt_f32_e64 s[8:9], s77, v17
	s_and_b64 s[8:9], vcc, s[8:9]
                                        ; implicit-def: $vgpr10
                                        ; implicit-def: $vgpr11
	s_and_saveexec_b64 s[44:45], s[8:9]
	s_xor_b64 s[8:9], exec, s[44:45]
	s_cbranch_execz .LBB57_277
; %bb.276:                              ;   in Loop: Header=BB57_5 Depth=1
	v_mul_f32_e32 v10, v17, v17
	v_fmac_f32_e32 v10, v15, v15
	v_cmp_gt_f32_e32 vcc, s64, v10
	v_cndmask_b32_e32 v11, 1.0, v41, vcc
	v_mul_f32_e32 v10, v10, v11
	v_log_f32_e32 v10, v10
	v_cndmask_b32_e32 v11, 0, v42, vcc
	v_min_f32_e32 v1, v1, v13
	v_frexp_exp_i32_f32_e32 v13, v1
	v_mul_f32_e32 v15, 0x3f317217, v10
	v_fma_f32 v17, v10, s65, -v15
	v_fmac_f32_e32 v17, 0x3377d1cf, v10
	v_add_f32_e32 v15, v15, v17
	v_cmp_lt_f32_e64 vcc, |v10|, s60
	v_cndmask_b32_e32 v10, v10, v15, vcc
	v_sub_f32_e32 v10, v10, v11
	v_frexp_mant_f32_e32 v11, v12
	v_rcp_f32_e32 v11, v11
	v_frexp_exp_i32_f32_e32 v12, v12
	v_frexp_mant_f32_e32 v1, v1
	v_mul_f32_e32 v10, 0.5, v10
	v_mul_f32_e32 v1, v1, v11
	v_sub_u32_e32 v11, v13, v12
	v_ldexp_f32 v11, v1, v11
	v_mul_f32_e32 v1, v11, v11
	v_mov_b32_e32 v12, 0xbc7a590c
	v_fmac_f32_e32 v12, 0x3b2d2a58, v1
	v_fma_f32 v12, v1, v12, v34
	v_fma_f32 v12, v1, v12, v35
	;; [unrolled: 1-line block ×6, first 2 shown]
	v_mul_f32_e32 v1, v1, v12
	v_fmac_f32_e32 v11, v11, v1
                                        ; implicit-def: $vgpr12
                                        ; implicit-def: $vgpr1
                                        ; implicit-def: $vgpr13
.LBB57_277:                             ;   in Loop: Header=BB57_5 Depth=1
	s_andn2_saveexec_b64 s[8:9], s[8:9]
	s_cbranch_execz .LBB57_279
; %bb.278:                              ;   in Loop: Header=BB57_5 Depth=1
	v_cvt_f64_f32_e32 v[10:11], v12
	v_frexp_exp_i32_f64_e32 v10, v[10:11]
	v_sub_u32_e32 v11, 0, v10
	v_ldexp_f32 v15, |v3|, v11
	v_ldexp_f32 v11, |v2|, v11
	v_mul_f32_e32 v11, v11, v11
	v_fmac_f32_e32 v11, v15, v15
	v_sqrt_f32_e32 v11, v11
	v_cmp_neq_f32_e32 vcc, s60, v12
	v_min_f32_e32 v1, v1, v13
	v_ldexp_f32 v10, v11, v10
	v_cndmask_b32_e32 v10, v40, v10, vcc
	v_cmp_gt_f32_e32 vcc, s64, v10
	v_cndmask_b32_e32 v11, 1.0, v41, vcc
	v_mul_f32_e32 v10, v10, v11
	v_log_f32_e32 v10, v10
	v_cndmask_b32_e32 v11, 0, v42, vcc
	v_mul_f32_e32 v13, 0x3f317217, v10
	v_fma_f32 v15, v10, s65, -v13
	v_fmac_f32_e32 v15, 0x3377d1cf, v10
	v_add_f32_e32 v13, v13, v15
	v_cmp_lt_f32_e64 vcc, |v10|, s60
	v_cndmask_b32_e32 v10, v10, v13, vcc
	v_sub_f32_e32 v10, v10, v11
	v_frexp_mant_f32_e32 v11, v12
	v_rcp_f32_e32 v11, v11
	v_frexp_exp_i32_f32_e32 v12, v12
	v_frexp_exp_i32_f32_e32 v13, v1
	v_frexp_mant_f32_e32 v1, v1
	v_mul_f32_e32 v1, v1, v11
	v_sub_u32_e32 v11, v13, v12
	v_ldexp_f32 v11, v1, v11
	v_mul_f32_e32 v1, v11, v11
	v_mov_b32_e32 v12, 0xbc7a590c
	v_fmac_f32_e32 v12, 0x3b2d2a58, v1
	v_fma_f32 v12, v1, v12, v34
	v_fma_f32 v12, v1, v12, v35
	;; [unrolled: 1-line block ×6, first 2 shown]
	v_mul_f32_e32 v1, v1, v12
	v_fmac_f32_e32 v11, v11, v1
.LBB57_279:                             ;   in Loop: Header=BB57_5 Depth=1
	s_or_b64 exec, exec, s[8:9]
                                        ; implicit-def: $vgpr1
                                        ; implicit-def: $vgpr13
                                        ; implicit-def: $vgpr12
.LBB57_280:                             ;   in Loop: Header=BB57_5 Depth=1
	s_andn2_saveexec_b64 s[42:43], s[42:43]
	s_cbranch_execz .LBB57_282
; %bb.281:                              ;   in Loop: Header=BB57_5 Depth=1
	v_div_scale_f32 v10, s[8:9], s79, s79, v3
	v_rcp_f32_e32 v11, v10
	v_div_scale_f32 v15, vcc, v3, s79, v3
	v_min_f32_e32 v1, v1, v13
	v_fma_f32 v17, -v10, v11, 1.0
	v_fmac_f32_e32 v11, v17, v11
	v_mul_f32_e32 v17, v15, v11
	v_fma_f32 v22, -v10, v17, v15
	v_fmac_f32_e32 v17, v22, v11
	v_fma_f32 v10, -v10, v17, v15
	v_div_scale_f32 v15, s[8:9], s79, s79, v2
	v_rcp_f32_e32 v22, v15
	v_div_fmas_f32 v10, v10, v11, v17
	v_div_fixup_f32 v17, v10, s79, v3
	v_frexp_exp_i32_f32_e32 v13, v1
	v_fma_f32 v10, -v15, v22, 1.0
	v_fmac_f32_e32 v22, v10, v22
	v_div_scale_f32 v10, vcc, v2, s79, v2
	v_mul_f32_e32 v11, v10, v22
	v_fma_f32 v23, -v15, v11, v10
	v_fmac_f32_e32 v11, v23, v22
	v_fma_f32 v10, -v15, v11, v10
	v_div_fmas_f32 v10, v10, v22, v11
	v_div_fixup_f32 v15, v10, s79, v2
	v_max_f32_e64 v22, |v17|, |v15|
	v_cvt_f64_f32_e32 v[10:11], v22
	v_frexp_exp_i32_f64_e32 v10, v[10:11]
	v_sub_u32_e32 v11, 0, v10
	v_ldexp_f32 v17, |v17|, v11
	v_ldexp_f32 v11, |v15|, v11
	v_mul_f32_e32 v11, v11, v11
	v_fmac_f32_e32 v11, v17, v17
	v_sqrt_f32_e32 v11, v11
	v_cmp_neq_f32_e32 vcc, s60, v22
	v_frexp_mant_f32_e32 v1, v1
	v_ldexp_f32 v10, v11, v10
	v_cndmask_b32_e32 v10, v40, v10, vcc
	v_cmp_gt_f32_e32 vcc, s64, v10
	v_cndmask_b32_e32 v11, 1.0, v41, vcc
	v_mul_f32_e32 v10, v10, v11
	v_log_f32_e32 v10, v10
	v_mul_f32_e32 v11, 0x3f317217, v10
	v_fma_f32 v15, v10, s65, -v11
	v_fmac_f32_e32 v15, 0x3377d1cf, v10
	v_add_f32_e32 v11, v11, v15
	v_cmp_lt_f32_e64 s[8:9], |v10|, s60
	v_cndmask_b32_e64 v10, v10, v11, s[8:9]
	v_cndmask_b32_e32 v11, 0, v42, vcc
	v_sub_f32_e32 v10, v10, v11
	v_frexp_mant_f32_e32 v11, v12
	v_rcp_f32_e32 v11, v11
	v_frexp_exp_i32_f32_e32 v12, v12
	v_add_f32_e32 v10, 1.0, v10
	v_mul_f32_e32 v1, v1, v11
	v_sub_u32_e32 v11, v13, v12
	v_ldexp_f32 v11, v1, v11
	v_mul_f32_e32 v1, v11, v11
	v_mov_b32_e32 v12, 0xbc7a590c
	v_fmac_f32_e32 v12, 0x3b2d2a58, v1
	v_fma_f32 v12, v1, v12, v34
	v_fma_f32 v12, v1, v12, v35
	;; [unrolled: 1-line block ×6, first 2 shown]
	v_mul_f32_e32 v1, v1, v12
	v_fmac_f32_e32 v11, v11, v1
.LBB57_282:                             ;   in Loop: Header=BB57_5 Depth=1
	s_or_b64 exec, exec, s[42:43]
	v_sub_f32_e32 v1, 0x3fc90fdb, v11
	v_cndmask_b32_e64 v11, v11, v1, s[6:7]
.LBB57_283:                             ;   in Loop: Header=BB57_5 Depth=1
	s_or_b64 exec, exec, s[40:41]
	v_cmp_neq_f32_e32 vcc, 0, v2
	v_cmp_class_f32_e64 s[6:7], v3, s74
	v_cmp_class_f32_e64 s[8:9], v2, s74
	v_cndmask_b32_e32 v1, 0, v11, vcc
	s_and_b64 vcc, s[8:9], s[6:7]
	v_cndmask_b32_e32 v1, v1, v46, vcc
	v_cmp_o_f32_e32 vcc, v2, v3
	v_cndmask_b32_e32 v1, v43, v1, vcc
	v_add_f32_e32 v11, 0x3f317218, v10
	v_bfi_b32 v10, s59, v1, v2
	v_bfi_b32 v11, s59, v11, v3
.LBB57_284:                             ;   in Loop: Header=BB57_5 Depth=1
	s_or_b64 exec, exec, s[38:39]
.LBB57_285:                             ;   in Loop: Header=BB57_5 Depth=1
	s_andn2_saveexec_b64 s[6:7], s[36:37]
	s_cbranch_execz .LBB57_299
; %bb.286:                              ;   in Loop: Header=BB57_5 Depth=1
	v_cmp_neq_f32_e64 s[8:9], |v3|, s60
                                        ; implicit-def: $vgpr11
	s_and_saveexec_b64 s[36:37], s[8:9]
	s_xor_b64 s[8:9], exec, s[36:37]
	s_cbranch_execz .LBB57_296
; %bb.287:                              ;   in Loop: Header=BB57_5 Depth=1
	v_cmp_neq_f32_e64 s[36:37], |v2|, s60
                                        ; implicit-def: $vgpr11
	s_and_saveexec_b64 s[38:39], s[36:37]
	s_xor_b64 s[36:37], exec, s[38:39]
	s_cbranch_execz .LBB57_293
; %bb.288:                              ;   in Loop: Header=BB57_5 Depth=1
	v_cmp_neq_f32_e32 vcc, 0, v2
                                        ; implicit-def: $vgpr11
	s_and_saveexec_b64 s[38:39], vcc
	s_xor_b64 s[38:39], exec, s[38:39]
; %bb.289:                              ;   in Loop: Header=BB57_5 Depth=1
	v_add_f32_e32 v1, 0, v3
	v_add_f32_e32 v11, v2, v1
; %bb.290:                              ;   in Loop: Header=BB57_5 Depth=1
	s_or_saveexec_b64 s[38:39], s[38:39]
	v_mov_b32_e32 v10, v11
	s_xor_b64 exec, exec, s[38:39]
; %bb.291:                              ;   in Loop: Header=BB57_5 Depth=1
	v_pk_add_f32 v[10:11], v[2:3], v[2:3]
	v_mov_b32_e32 v10, v2
; %bb.292:                              ;   in Loop: Header=BB57_5 Depth=1
	s_or_b64 exec, exec, s[38:39]
.LBB57_293:                             ;   in Loop: Header=BB57_5 Depth=1
	s_andn2_saveexec_b64 s[36:37], s[36:37]
; %bb.294:                              ;   in Loop: Header=BB57_5 Depth=1
	v_add_f32_e32 v10, v3, v3
	v_mov_b32_e32 v11, v2
; %bb.295:                              ;   in Loop: Header=BB57_5 Depth=1
	s_or_b64 exec, exec, s[36:37]
.LBB57_296:                             ;   in Loop: Header=BB57_5 Depth=1
	s_andn2_saveexec_b64 s[8:9], s[8:9]
; %bb.297:                              ;   in Loop: Header=BB57_5 Depth=1
	v_add_f32_e32 v10, v2, v2
	v_mov_b32_e32 v11, v3
; %bb.298:                              ;   in Loop: Header=BB57_5 Depth=1
	s_or_b64 exec, exec, s[8:9]
.LBB57_299:                             ;   in Loop: Header=BB57_5 Depth=1
	s_or_b64 exec, exec, s[6:7]
	v_cmp_o_f32_e32 vcc, v5, v5
	v_cmp_o_f32_e64 s[6:7], v4, v4
	s_and_b64 s[6:7], vcc, s[6:7]
	s_and_saveexec_b64 s[8:9], s[6:7]
	s_xor_b64 s[36:37], exec, s[8:9]
	s_cbranch_execz .LBB57_383
; %bb.300:                              ;   in Loop: Header=BB57_5 Depth=1
	v_max_f32_e64 v1, |v5|, |v5|
	v_max_f32_e64 v3, |v4|, |v4|
	v_max_f32_e32 v2, v3, v1
	v_cmp_nlt_f32_e32 vcc, s57, v2
	s_and_saveexec_b64 s[6:7], vcc
	s_xor_b64 s[8:9], exec, s[6:7]
	s_cbranch_execz .LBB57_360
; %bb.301:                              ;   in Loop: Header=BB57_5 Depth=1
	v_cmp_neq_f32_e32 vcc, 0, v5
	v_cmp_neq_f32_e64 s[6:7], 0, v4
	s_or_b64 s[6:7], vcc, s[6:7]
	s_and_saveexec_b64 s[38:39], s[6:7]
	s_cbranch_execz .LBB57_359
; %bb.302:                              ;   in Loop: Header=BB57_5 Depth=1
	v_pk_mov_b32 v[2:3], s[22:23], s[22:23] op_sel:[0,1]
	flat_store_dword v[2:3], v27
	s_waitcnt vmcnt(0)
	flat_load_dword v2, v[2:3] glc
	s_waitcnt vmcnt(0)
	v_cmp_nlt_f32_e64 s[6:7], |v5|, s58
	v_cmp_nlt_f32_e64 s[40:41], |v4|, s58
	s_or_b64 s[6:7], s[40:41], s[6:7]
	s_waitcnt lgkmcnt(0)
	v_add_f32_e32 v12, 1.0, v2
	v_pk_mov_b32 v[2:3], s[24:25], s[24:25] op_sel:[0,1]
	flat_store_dword v[2:3], v12
	s_waitcnt vmcnt(0)
	flat_load_dword v2, v[2:3] glc
	s_waitcnt vmcnt(0)
	s_and_saveexec_b64 s[40:41], s[6:7]
	s_cbranch_execz .LBB57_358
; %bb.303:                              ;   in Loop: Header=BB57_5 Depth=1
	s_waitcnt lgkmcnt(0)
	v_and_b32_e32 v2, 0x7fffffff, v4
	v_pk_add_f32 v[22:23], v[2:3], s[28:29] op_sel_hi:[0,1]
	v_max_f32_e64 v15, v1, |v22|
	v_cvt_f64_f32_e32 v[12:13], v15
	v_max_f32_e64 v3, v1, |v23|
	v_frexp_exp_i32_f64_e32 v1, v[12:13]
	v_sub_u32_e32 v12, 0, v1
	v_ldexp_f32 v13, |v5|, v12
	v_ldexp_f32 v12, |v22|, v12
	v_mul_f32_e32 v12, v12, v12
	v_fmac_f32_e32 v12, v13, v13
	v_sqrt_f32_e32 v17, v12
	v_cvt_f64_f32_e32 v[12:13], v3
	v_frexp_exp_i32_f64_e32 v12, v[12:13]
	v_sub_u32_e32 v13, 0, v12
	v_ldexp_f32 v24, |v5|, v13
	v_ldexp_f32 v13, |v23|, v13
	v_mul_f32_e32 v13, v13, v13
	v_fmac_f32_e32 v13, v24, v24
	v_sqrt_f32_e32 v13, v13
	v_ldexp_f32 v17, v17, v1
	v_cmp_neq_f32_e32 vcc, s60, v3
	v_ldexp_f32 v1, v13, v12
	v_cndmask_b32_e32 v1, v40, v1, vcc
	v_cmp_neq_f32_e32 vcc, s60, v15
	v_cndmask_b32_e32 v3, v40, v17, vcc
	v_add_f32_e32 v12, v3, v1
	v_mul_f32_e32 v12, 0.5, v12
	v_cmp_ngt_f32_e32 vcc, 1.0, v12
	v_cndmask_b32_e32 v12, 1.0, v12, vcc
	v_cmp_ngt_f32_e32 vcc, s61, v12
                                        ; implicit-def: $vgpr15
	s_and_saveexec_b64 s[6:7], vcc
	s_xor_b64 s[42:43], exec, s[6:7]
	s_cbranch_execz .LBB57_305
; %bb.304:                              ;   in Loop: Header=BB57_5 Depth=1
	v_fma_f32 v13, v12, v12, -1.0
	v_mul_f32_e32 v15, 0x4f800000, v13
	v_cmp_gt_f32_e32 vcc, s62, v13
	v_cndmask_b32_e32 v13, v13, v15, vcc
	v_sqrt_f32_e32 v15, v13
	v_add_u32_e32 v17, -1, v15
	v_fma_f32 v25, -v17, v15, v13
	v_add_u32_e32 v24, 1, v15
	v_cmp_ge_f32_e64 s[6:7], 0, v25
	v_cndmask_b32_e64 v17, v15, v17, s[6:7]
	v_fma_f32 v15, -v24, v15, v13
	v_cmp_lt_f32_e64 s[6:7], 0, v15
	v_cndmask_b32_e64 v15, v17, v24, s[6:7]
	v_mul_f32_e32 v17, 0x37800000, v15
	v_cndmask_b32_e32 v15, v15, v17, vcc
	v_cmp_class_f32_e32 vcc, v13, v28
	v_cndmask_b32_e32 v13, v15, v13, vcc
	v_add_f32_e32 v13, v12, v13
	v_cmp_gt_f32_e32 vcc, s64, v13
	v_cndmask_b32_e32 v15, 1.0, v41, vcc
	v_mul_f32_e32 v13, v13, v15
	v_log_f32_e32 v13, v13
	v_mul_f32_e32 v15, 0x3f317217, v13
	v_fma_f32 v17, v13, s65, -v15
	v_fmac_f32_e32 v17, 0x3377d1cf, v13
	v_add_f32_e32 v15, v15, v17
	v_cmp_lt_f32_e64 s[6:7], |v13|, s60
	v_cndmask_b32_e64 v13, v13, v15, s[6:7]
	v_cndmask_b32_e32 v15, 0, v42, vcc
	v_sub_f32_e32 v15, v13, v15
.LBB57_305:                             ;   in Loop: Header=BB57_5 Depth=1
	s_or_saveexec_b64 s[42:43], s[42:43]
	v_and_b32_e32 v25, 0x7fffffff, v5
	v_and_b32_e32 v48, 0x7fffffff, v23
	s_xor_b64 exec, exec, s[42:43]
	s_cbranch_execz .LBB57_327
; %bb.306:                              ;   in Loop: Header=BB57_5 Depth=1
	v_cmp_neq_f32_e64 s[6:7], |v4|, 1.0
	v_cmp_nlt_f32_e64 s[44:45], |v5|, s66
	s_or_b64 s[6:7], s[6:7], s[44:45]
                                        ; implicit-def: $vgpr15
	s_and_saveexec_b64 s[44:45], s[6:7]
	s_xor_b64 s[44:45], exec, s[44:45]
	s_cbranch_execz .LBB57_324
; %bb.307:                              ;   in Loop: Header=BB57_5 Depth=1
	v_mul_f32_e32 v13, 0x34000000, v48
	v_cmp_le_f32_e64 s[6:7], v13, |v5|
                                        ; implicit-def: $vgpr15
	s_and_saveexec_b64 s[46:47], s[6:7]
	s_xor_b64 s[46:47], exec, s[46:47]
	s_cbranch_execz .LBB57_317
; %bb.308:                              ;   in Loop: Header=BB57_5 Depth=1
	v_cmp_neq_f32_e32 vcc, 0, v22
	v_mov_b32_e32 v13, v25
	s_and_saveexec_b64 s[6:7], vcc
	s_cbranch_execz .LBB57_310
; %bb.309:                              ;   in Loop: Header=BB57_5 Depth=1
	v_mul_f32_e32 v13, v5, v5
	v_add_f32_e32 v15, v22, v3
	v_div_scale_f32 v17, s[48:49], v15, v15, v13
	v_rcp_f32_e32 v24, v17
	v_fma_f32 v49, -v17, v24, 1.0
	v_fmac_f32_e32 v24, v49, v24
	v_div_scale_f32 v49, vcc, v13, v15, v13
	v_mul_f32_e32 v50, v49, v24
	v_fma_f32 v51, -v17, v50, v49
	v_fmac_f32_e32 v50, v51, v24
	v_fma_f32 v17, -v17, v50, v49
	v_div_fmas_f32 v17, v17, v24, v50
	v_div_fixup_f32 v13, v17, v15, v13
.LBB57_310:                             ;   in Loop: Header=BB57_5 Depth=1
	s_or_b64 exec, exec, s[6:7]
	v_sub_f32_e64 v17, 1.0, |v4|
	v_cmp_ngt_f32_e32 vcc, 0, v17
                                        ; implicit-def: $vgpr15
	s_and_saveexec_b64 s[6:7], vcc
	s_xor_b64 s[6:7], exec, s[6:7]
	s_cbranch_execz .LBB57_314
; %bb.311:                              ;   in Loop: Header=BB57_5 Depth=1
	v_cmp_neq_f32_e32 vcc, 0, v17
	v_mov_b32_e32 v15, v25
	s_and_saveexec_b64 s[48:49], vcc
	s_cbranch_execz .LBB57_313
; %bb.312:                              ;   in Loop: Header=BB57_5 Depth=1
	v_mul_f32_e32 v15, v5, v5
	v_add_f32_e32 v17, v17, v1
	v_div_scale_f32 v24, s[50:51], v17, v17, v15
	v_rcp_f32_e32 v49, v24
	v_fma_f32 v50, -v24, v49, 1.0
	v_fmac_f32_e32 v49, v50, v49
	v_div_scale_f32 v50, vcc, v15, v17, v15
	v_mul_f32_e32 v51, v50, v49
	v_fma_f32 v52, -v24, v51, v50
	v_fmac_f32_e32 v51, v52, v49
	v_fma_f32 v24, -v24, v51, v50
	v_div_fmas_f32 v24, v24, v49, v51
	v_div_fixup_f32 v15, v24, v17, v15
.LBB57_313:                             ;   in Loop: Header=BB57_5 Depth=1
	s_or_b64 exec, exec, s[48:49]
                                        ; implicit-def: $vgpr17
.LBB57_314:                             ;   in Loop: Header=BB57_5 Depth=1
	s_andn2_saveexec_b64 s[6:7], s[6:7]
; %bb.315:                              ;   in Loop: Header=BB57_5 Depth=1
	v_sub_f32_e32 v15, v1, v17
; %bb.316:                              ;   in Loop: Header=BB57_5 Depth=1
	s_or_b64 exec, exec, s[6:7]
	v_mul_f32_e32 v13, 0.5, v13
	v_mul_f32_e32 v15, 0.5, v15
	v_pk_add_f32 v[50:51], v[12:13], v[14:15]
	v_mul_f32_e32 v13, v50, v51
	v_mul_f32_e32 v15, 0x4f800000, v13
	v_cmp_gt_f32_e32 vcc, s62, v13
	v_cndmask_b32_e32 v13, v13, v15, vcc
	v_sqrt_f32_e32 v15, v13
	v_add_u32_e32 v17, -1, v15
	v_fma_f32 v24, -v17, v15, v13
	v_cmp_ge_f32_e64 s[6:7], 0, v24
	v_add_u32_e32 v24, 1, v15
	v_cndmask_b32_e64 v17, v15, v17, s[6:7]
	v_fma_f32 v15, -v24, v15, v13
	v_cmp_lt_f32_e64 s[6:7], 0, v15
	v_cndmask_b32_e64 v15, v17, v24, s[6:7]
	v_mul_f32_e32 v17, 0x37800000, v15
	v_cndmask_b32_e32 v15, v15, v17, vcc
	v_cmp_class_f32_e32 vcc, v13, v28
	v_cndmask_b32_e32 v13, v15, v13, vcc
	v_add_f32_e32 v50, v51, v13
	v_add_f32_e32 v53, 1.0, v50
	v_add_f32_e32 v51, -1.0, v53
	v_mov_b32_e32 v52, v51
	v_pk_add_f32 v[54:55], v[50:51], v[52:53] neg_lo:[0,1] neg_hi:[0,1]
	v_add_f32_e32 v13, 1.0, v55
	v_add_f32_e32 v13, v54, v13
	v_frexp_mant_f32_e32 v15, v53
	v_cvt_f64_f32_e32 v[54:55], v53
	v_frexp_exp_i32_f64_e32 v17, v[54:55]
	v_cmp_gt_f32_e32 vcc, s67, v15
	v_subbrev_co_u32_e32 v15, vcc, 0, v17, vcc
	v_sub_u32_e32 v17, 0, v15
	v_ldexp_f32 v24, v53, v17
	v_ldexp_f32 v13, v13, v17
	v_add_f32_e32 v17, -1.0, v24
	v_add_f32_e32 v51, 1.0, v24
	v_add_f32_e32 v49, 1.0, v17
	v_add_f32_e32 v52, -1.0, v51
	v_sub_f32_e32 v49, v24, v49
	v_sub_f32_e32 v24, v24, v52
	v_add_f32_e32 v49, v13, v49
	v_add_f32_e32 v13, v13, v24
	;; [unrolled: 1-line block ×3, first 2 shown]
	v_sub_f32_e32 v51, v24, v51
	v_sub_f32_e32 v13, v13, v51
	v_rcp_f32_e32 v51, v24
	v_add_f32_e32 v53, v17, v49
	v_sub_f32_e32 v17, v53, v17
	v_sub_f32_e32 v17, v49, v17
	v_mul_f32_e32 v49, v53, v51
	v_mul_f32_e32 v54, v24, v49
	v_fma_f32 v56, v49, v24, -v54
	v_fmac_f32_e32 v56, v49, v13
	v_add_f32_e32 v52, v54, v56
	v_sub_f32_e32 v55, v53, v52
	v_pk_add_f32 v[58:59], v[52:53], v[54:55] neg_lo:[0,1] neg_hi:[0,1]
	v_mov_b32_e32 v57, v52
	v_pk_add_f32 v[52:53], v[58:59], v[56:57] neg_lo:[0,1] neg_hi:[0,1]
	v_add_f32_e32 v17, v17, v53
	v_add_f32_e32 v17, v52, v17
	;; [unrolled: 1-line block ×3, first 2 shown]
	v_mul_f32_e32 v60, v51, v53
	v_mul_f32_e32 v54, v24, v60
	v_fma_f32 v56, v60, v24, -v54
	v_fmac_f32_e32 v56, v60, v13
	v_add_f32_e32 v52, v54, v56
	v_sub_f32_e32 v13, v55, v53
	v_sub_f32_e32 v55, v53, v52
	v_pk_add_f32 v[58:59], v[52:53], v[54:55] neg_lo:[0,1] neg_hi:[0,1]
	v_mov_b32_e32 v57, v52
	v_add_f32_e32 v13, v17, v13
	v_pk_add_f32 v[52:53], v[58:59], v[56:57] neg_lo:[0,1] neg_hi:[0,1]
	v_add_f32_e32 v13, v13, v53
	v_add_f32_e32 v13, v52, v13
	;; [unrolled: 1-line block ×4, first 2 shown]
	v_sub_f32_e32 v17, v24, v49
	v_mul_f32_e32 v13, v51, v13
	v_sub_f32_e32 v17, v60, v17
	v_add_f32_e32 v13, v17, v13
	v_add_f32_e32 v49, v24, v13
	v_cvt_f32_i32_e32 v52, v15
	v_mul_f32_e32 v51, v49, v49
	v_mov_b32_e32 v17, 0x3ecc95a3
	v_fmac_f32_e32 v17, 0x3e9b6dac, v51
	v_fma_f32 v17, v51, v17, v29
	v_mul_f32_e32 v53, v49, v51
	v_pk_mul_f32 v[56:57], v[52:53], v[16:17]
	v_fma_f32 v54, v52, s68, -v56
	v_ldexp_f32 v55, v49, 1
	v_fmac_f32_e32 v54, 0xb102e308, v52
	v_sub_f32_e32 v15, v49, v24
	v_pk_add_f32 v[52:53], v[56:57], v[54:55]
	v_sub_f32_e32 v13, v13, v15
	v_sub_f32_e32 v15, v53, v55
	v_ldexp_f32 v13, v13, 1
	v_sub_f32_e32 v15, v57, v15
	v_add_f32_e32 v59, v13, v15
	v_mov_b32_e32 v58, v56
	v_pk_add_f32 v[56:57], v[52:53], v[56:57] neg_lo:[0,1] neg_hi:[0,1]
	v_pk_add_f32 v[60:61], v[52:53], v[58:59]
	v_mov_b32_e32 v57, v61
	v_mov_b32_e32 v55, v52
	v_pk_add_f32 v[62:63], v[54:55], v[56:57] neg_lo:[0,1] neg_hi:[0,1]
	v_pk_add_f32 v[54:55], v[54:55], v[56:57]
	v_mov_b32_e32 v24, v55
	v_pk_add_f32 v[56:57], v[24:25], v[52:53] neg_lo:[0,1] neg_hi:[0,1]
	v_mov_b32_e32 v13, v56
	v_pk_add_f32 v[64:65], v[60:61], v[12:13] neg_lo:[0,1] neg_hi:[0,1]
	v_mov_b32_e32 v54, v61
	v_mov_b32_e32 v60, v53
	;; [unrolled: 1-line block ×4, first 2 shown]
	v_pk_add_f32 v[54:55], v[54:55], v[60:61] neg_lo:[0,1] neg_hi:[0,1]
	v_mov_b32_e32 v56, v59
	v_mov_b32_e32 v57, v52
	v_pk_add_f32 v[52:53], v[56:57], v[54:55] neg_lo:[0,1] neg_hi:[0,1]
	v_mov_b32_e32 v64, v62
	v_pk_add_f32 v[54:55], v[64:65], v[52:53]
	v_mov_b32_e32 v56, v55
	v_pk_add_f32 v[56:57], v[54:55], v[56:57]
	v_pk_add_f32 v[58:59], v[24:25], v[56:57]
	v_mov_b32_e32 v55, v58
	v_pk_add_f32 v[60:61], v[54:55], v[62:63] neg_lo:[0,1] neg_hi:[0,1]
	v_mov_b32_e32 v53, v56
	v_sub_f32_e32 v13, v54, v60
	v_pk_add_f32 v[52:53], v[52:53], v[60:61] neg_lo:[0,1] neg_hi:[0,1]
	v_sub_f32_e32 v13, v62, v13
	v_add_f32_e32 v13, v52, v13
	v_add_f32_e32 v13, v13, v53
	;; [unrolled: 1-line block ×3, first 2 shown]
	v_cmp_eq_f32_e32 vcc, s60, v50
	v_cndmask_b32_e32 v13, v13, v50, vcc
	v_cmp_ngt_f32_e32 vcc, -1.0, v50
	v_cndmask_b32_e32 v13, v43, v13, vcc
	v_cmp_neq_f32_e32 vcc, -1.0, v50
	v_cndmask_b32_e32 v13, v44, v13, vcc
	v_cmp_lt_f32_e64 vcc, |v50|, s69
	v_cndmask_b32_e32 v15, v13, v50, vcc
.LBB57_317:                             ;   in Loop: Header=BB57_5 Depth=1
	s_andn2_saveexec_b64 s[46:47], s[46:47]
	s_cbranch_execz .LBB57_323
; %bb.318:                              ;   in Loop: Header=BB57_5 Depth=1
	v_cmp_nlt_f32_e64 s[6:7], |v4|, 1.0
                                        ; implicit-def: $vgpr15
	s_and_saveexec_b64 s[48:49], s[6:7]
	s_xor_b64 s[48:49], exec, s[48:49]
	s_cbranch_execz .LBB57_320
; %bb.319:                              ;   in Loop: Header=BB57_5 Depth=1
	v_mul_f32_e32 v13, v23, v22
	v_mul_f32_e32 v15, 0x4f800000, v13
	v_cmp_gt_f32_e32 vcc, s62, v13
	v_cndmask_b32_e32 v13, v13, v15, vcc
	v_sqrt_f32_e32 v15, v13
	v_add_u32_e32 v17, -1, v15
	v_fma_f32 v49, -v17, v15, v13
	v_add_u32_e32 v24, 1, v15
	v_cmp_ge_f32_e64 s[6:7], 0, v49
	v_cndmask_b32_e64 v17, v15, v17, s[6:7]
	v_fma_f32 v15, -v24, v15, v13
	v_cmp_lt_f32_e64 s[6:7], 0, v15
	v_cndmask_b32_e64 v15, v17, v24, s[6:7]
	v_mul_f32_e32 v17, 0x37800000, v15
	v_cndmask_b32_e32 v15, v15, v17, vcc
	v_cmp_class_f32_e32 vcc, v13, v28
	v_cndmask_b32_e32 v13, v15, v13, vcc
	v_add_f32_e32 v50, v23, v13
	v_add_f32_e32 v53, 1.0, v50
	v_add_f32_e32 v51, -1.0, v53
	v_mov_b32_e32 v52, v51
	v_pk_add_f32 v[54:55], v[50:51], v[52:53] neg_lo:[0,1] neg_hi:[0,1]
	v_add_f32_e32 v13, 1.0, v55
	v_add_f32_e32 v13, v54, v13
	v_frexp_mant_f32_e32 v15, v53
	v_cvt_f64_f32_e32 v[54:55], v53
	v_frexp_exp_i32_f64_e32 v17, v[54:55]
	v_cmp_gt_f32_e32 vcc, s67, v15
	v_subbrev_co_u32_e32 v15, vcc, 0, v17, vcc
	v_sub_u32_e32 v17, 0, v15
	v_ldexp_f32 v24, v53, v17
	v_ldexp_f32 v13, v13, v17
	v_add_f32_e32 v17, -1.0, v24
	v_add_f32_e32 v51, 1.0, v24
	v_add_f32_e32 v49, 1.0, v17
	v_add_f32_e32 v52, -1.0, v51
	v_sub_f32_e32 v49, v24, v49
	v_sub_f32_e32 v24, v24, v52
	v_add_f32_e32 v49, v13, v49
	v_add_f32_e32 v13, v13, v24
	;; [unrolled: 1-line block ×3, first 2 shown]
	v_sub_f32_e32 v51, v24, v51
	v_sub_f32_e32 v13, v13, v51
	v_rcp_f32_e32 v51, v24
	v_add_f32_e32 v53, v17, v49
	v_sub_f32_e32 v17, v53, v17
	v_sub_f32_e32 v17, v49, v17
	v_mul_f32_e32 v49, v53, v51
	v_mul_f32_e32 v54, v24, v49
	v_fma_f32 v56, v49, v24, -v54
	v_fmac_f32_e32 v56, v49, v13
	v_add_f32_e32 v52, v54, v56
	v_sub_f32_e32 v55, v53, v52
	v_pk_add_f32 v[58:59], v[52:53], v[54:55] neg_lo:[0,1] neg_hi:[0,1]
	v_mov_b32_e32 v57, v52
	v_pk_add_f32 v[52:53], v[58:59], v[56:57] neg_lo:[0,1] neg_hi:[0,1]
	v_add_f32_e32 v17, v17, v53
	v_add_f32_e32 v17, v52, v17
	;; [unrolled: 1-line block ×3, first 2 shown]
	v_mul_f32_e32 v60, v51, v53
	v_mul_f32_e32 v54, v24, v60
	v_fma_f32 v56, v60, v24, -v54
	v_fmac_f32_e32 v56, v60, v13
	v_add_f32_e32 v52, v54, v56
	v_sub_f32_e32 v13, v55, v53
	v_sub_f32_e32 v55, v53, v52
	v_pk_add_f32 v[58:59], v[52:53], v[54:55] neg_lo:[0,1] neg_hi:[0,1]
	v_mov_b32_e32 v57, v52
	v_add_f32_e32 v13, v17, v13
	v_pk_add_f32 v[52:53], v[58:59], v[56:57] neg_lo:[0,1] neg_hi:[0,1]
	v_add_f32_e32 v13, v13, v53
	v_add_f32_e32 v13, v52, v13
	;; [unrolled: 1-line block ×4, first 2 shown]
	v_sub_f32_e32 v17, v24, v49
	v_mul_f32_e32 v13, v51, v13
	v_sub_f32_e32 v17, v60, v17
	v_add_f32_e32 v13, v17, v13
	v_add_f32_e32 v49, v24, v13
	v_cvt_f32_i32_e32 v52, v15
	v_mul_f32_e32 v51, v49, v49
	v_mov_b32_e32 v17, 0x3ecc95a3
	v_fmac_f32_e32 v17, 0x3e9b6dac, v51
	v_fma_f32 v17, v51, v17, v29
	v_mul_f32_e32 v53, v49, v51
	v_pk_mul_f32 v[56:57], v[52:53], v[16:17]
	v_fma_f32 v54, v52, s68, -v56
	v_ldexp_f32 v55, v49, 1
	v_fmac_f32_e32 v54, 0xb102e308, v52
	v_sub_f32_e32 v15, v49, v24
	v_pk_add_f32 v[52:53], v[56:57], v[54:55]
	v_sub_f32_e32 v13, v13, v15
	v_sub_f32_e32 v15, v53, v55
	v_ldexp_f32 v13, v13, 1
	v_sub_f32_e32 v15, v57, v15
	v_add_f32_e32 v59, v13, v15
	v_mov_b32_e32 v58, v56
	v_pk_add_f32 v[56:57], v[52:53], v[56:57] neg_lo:[0,1] neg_hi:[0,1]
	v_pk_add_f32 v[60:61], v[52:53], v[58:59]
	v_mov_b32_e32 v57, v61
	v_mov_b32_e32 v55, v52
	v_pk_add_f32 v[62:63], v[54:55], v[56:57] neg_lo:[0,1] neg_hi:[0,1]
	v_pk_add_f32 v[54:55], v[54:55], v[56:57]
	v_mov_b32_e32 v24, v55
	v_pk_add_f32 v[56:57], v[24:25], v[52:53] neg_lo:[0,1] neg_hi:[0,1]
	v_mov_b32_e32 v13, v56
	v_pk_add_f32 v[64:65], v[60:61], v[12:13] neg_lo:[0,1] neg_hi:[0,1]
	v_mov_b32_e32 v54, v61
	v_mov_b32_e32 v60, v53
	;; [unrolled: 1-line block ×4, first 2 shown]
	v_pk_add_f32 v[54:55], v[54:55], v[60:61] neg_lo:[0,1] neg_hi:[0,1]
	v_mov_b32_e32 v56, v59
	v_mov_b32_e32 v57, v52
	v_pk_add_f32 v[52:53], v[56:57], v[54:55] neg_lo:[0,1] neg_hi:[0,1]
	v_mov_b32_e32 v64, v62
	v_pk_add_f32 v[54:55], v[64:65], v[52:53]
	v_mov_b32_e32 v56, v55
	v_pk_add_f32 v[56:57], v[54:55], v[56:57]
	v_pk_add_f32 v[58:59], v[24:25], v[56:57]
	v_mov_b32_e32 v55, v58
	v_pk_add_f32 v[60:61], v[54:55], v[62:63] neg_lo:[0,1] neg_hi:[0,1]
	v_mov_b32_e32 v53, v56
	v_sub_f32_e32 v13, v54, v60
	v_pk_add_f32 v[52:53], v[52:53], v[60:61] neg_lo:[0,1] neg_hi:[0,1]
	v_sub_f32_e32 v13, v62, v13
	v_add_f32_e32 v13, v52, v13
	v_add_f32_e32 v13, v13, v53
	v_add_f32_e32 v13, v58, v13
	v_cmp_eq_f32_e32 vcc, s60, v50
	v_cndmask_b32_e32 v13, v13, v50, vcc
	v_cmp_ngt_f32_e32 vcc, -1.0, v50
	v_cndmask_b32_e32 v13, v43, v13, vcc
	v_cmp_neq_f32_e32 vcc, -1.0, v50
	v_cndmask_b32_e32 v13, v44, v13, vcc
	v_cmp_lt_f32_e64 vcc, |v50|, s69
	v_cndmask_b32_e32 v15, v13, v50, vcc
.LBB57_320:                             ;   in Loop: Header=BB57_5 Depth=1
	s_andn2_saveexec_b64 s[48:49], s[48:49]
	s_cbranch_execz .LBB57_322
; %bb.321:                              ;   in Loop: Header=BB57_5 Depth=1
	v_sub_f32_e64 v13, 1.0, |v4|
	v_mul_f32_e32 v13, v13, v22
	v_mul_f32_e32 v15, 0x4f800000, v13
	v_cmp_gt_f32_e32 vcc, s62, v13
	v_cndmask_b32_e32 v13, v13, v15, vcc
	v_sqrt_f32_e32 v15, v13
	v_add_u32_e32 v17, -1, v15
	v_fma_f32 v49, -v17, v15, v13
	v_add_u32_e32 v24, 1, v15
	v_cmp_ge_f32_e64 s[6:7], 0, v49
	v_cndmask_b32_e64 v17, v15, v17, s[6:7]
	v_fma_f32 v15, -v24, v15, v13
	v_cmp_lt_f32_e64 s[6:7], 0, v15
	v_cndmask_b32_e64 v15, v17, v24, s[6:7]
	v_mul_f32_e32 v17, 0x37800000, v15
	v_cndmask_b32_e32 v15, v15, v17, vcc
	v_cmp_class_f32_e32 vcc, v13, v28
	v_cndmask_b32_e32 v13, v15, v13, vcc
	v_and_b32_e32 v15, 0x7fffffff, v5
	v_div_scale_f32 v17, s[6:7], v13, v13, v15
	v_rcp_f32_e32 v24, v17
	v_div_scale_f32 v15, vcc, v15, v13, v15
	v_fma_f32 v49, -v17, v24, 1.0
	v_fmac_f32_e32 v24, v49, v24
	v_mul_f32_e32 v49, v15, v24
	v_fma_f32 v50, -v17, v49, v15
	v_fmac_f32_e32 v49, v50, v24
	v_fma_f32 v15, -v17, v49, v15
	v_div_fmas_f32 v15, v15, v24, v49
	v_div_fixup_f32 v15, v15, v13, |v5|
.LBB57_322:                             ;   in Loop: Header=BB57_5 Depth=1
	s_or_b64 exec, exec, s[48:49]
.LBB57_323:                             ;   in Loop: Header=BB57_5 Depth=1
	s_or_b64 exec, exec, s[46:47]
.LBB57_324:                             ;   in Loop: Header=BB57_5 Depth=1
	s_andn2_saveexec_b64 s[44:45], s[44:45]
	s_cbranch_execz .LBB57_326
; %bb.325:                              ;   in Loop: Header=BB57_5 Depth=1
	v_mul_f32_e64 v13, |v5|, s63
	v_cmp_lt_f32_e64 vcc, |v5|, s62
	v_cndmask_b32_e64 v13, |v5|, v13, vcc
	v_sqrt_f32_e32 v15, v13
	v_add_u32_e32 v17, -1, v15
	v_fma_f32 v49, -v17, v15, v13
	v_add_u32_e32 v24, 1, v15
	v_cmp_ge_f32_e64 s[6:7], 0, v49
	v_cndmask_b32_e64 v17, v15, v17, s[6:7]
	v_fma_f32 v15, -v24, v15, v13
	v_cmp_lt_f32_e64 s[6:7], 0, v15
	v_cndmask_b32_e64 v15, v17, v24, s[6:7]
	v_mul_f32_e32 v17, 0x37800000, v15
	v_cndmask_b32_e32 v15, v15, v17, vcc
	v_cmp_class_f32_e32 vcc, v13, v28
	v_cndmask_b32_e32 v15, v15, v13, vcc
.LBB57_326:                             ;   in Loop: Header=BB57_5 Depth=1
	s_or_b64 exec, exec, s[44:45]
.LBB57_327:                             ;   in Loop: Header=BB57_5 Depth=1
	s_or_b64 exec, exec, s[42:43]
	v_cmp_nlt_f32_e64 s[42:43], |v4|, s70
                                        ; implicit-def: $sgpr6_sgpr7
                                        ; implicit-def: $vgpr24
                                        ; implicit-def: $vgpr17
	s_and_saveexec_b64 s[44:45], s[42:43]
	s_xor_b64 s[42:43], exec, s[44:45]
	s_cbranch_execz .LBB57_351
; %bb.328:                              ;   in Loop: Header=BB57_5 Depth=1
	v_div_scale_f32 v13, s[6:7], v12, v12, v2
	v_rcp_f32_e32 v17, v13
	v_div_scale_f32 v24, vcc, v2, v12, v2
	s_mov_b64 s[6:7], 0
	v_fma_f32 v49, -v13, v17, 1.0
	v_fmac_f32_e32 v17, v49, v17
	v_mul_f32_e32 v49, v24, v17
	v_fma_f32 v50, -v13, v49, v24
	v_fmac_f32_e32 v49, v50, v17
	v_fma_f32 v13, -v13, v49, v24
	v_div_fmas_f32 v13, v13, v17, v49
	v_div_fixup_f32 v17, v13, v12, |v4|
	v_cmp_lt_f32_e32 vcc, s71, v17
                                        ; implicit-def: $vgpr24
	s_and_saveexec_b64 s[44:45], vcc
	s_cbranch_execz .LBB57_350
; %bb.329:                              ;   in Loop: Header=BB57_5 Depth=1
	v_cmp_neq_f32_e64 s[6:7], |v4|, 1.0
	v_cmp_nlt_f32_e64 s[46:47], |v5|, s72
	s_or_b64 s[6:7], s[6:7], s[46:47]
                                        ; implicit-def: $sgpr48_sgpr49
                                        ; implicit-def: $vgpr24
	s_and_saveexec_b64 s[46:47], s[6:7]
	s_xor_b64 s[46:47], exec, s[46:47]
	s_cbranch_execz .LBB57_347
; %bb.330:                              ;   in Loop: Header=BB57_5 Depth=1
	v_mul_f32_e32 v13, 0x34000000, v48
	v_cmp_le_f32_e64 s[6:7], v13, |v5|
                                        ; implicit-def: $vgpr24
                                        ; implicit-def: $sgpr48_sgpr49
	s_and_saveexec_b64 s[50:51], s[6:7]
	s_xor_b64 s[50:51], exec, s[50:51]
	s_cbranch_execz .LBB57_340
; %bb.331:                              ;   in Loop: Header=BB57_5 Depth=1
	v_cmp_neq_f32_e32 vcc, 0, v22
	v_mov_b32_e32 v13, v25
	s_and_saveexec_b64 s[6:7], vcc
	s_cbranch_execz .LBB57_333
; %bb.332:                              ;   in Loop: Header=BB57_5 Depth=1
	v_mul_f32_e32 v13, v5, v5
	v_add_f32_e32 v3, v22, v3
	v_div_scale_f32 v22, s[48:49], v3, v3, v13
	v_rcp_f32_e32 v24, v22
	v_fma_f32 v48, -v22, v24, 1.0
	v_fmac_f32_e32 v24, v48, v24
	v_div_scale_f32 v48, vcc, v13, v3, v13
	v_mul_f32_e32 v49, v48, v24
	v_fma_f32 v50, -v22, v49, v48
	v_fmac_f32_e32 v49, v50, v24
	v_fma_f32 v22, -v22, v49, v48
	v_div_fmas_f32 v22, v22, v24, v49
	v_div_fixup_f32 v13, v22, v3, v13
.LBB57_333:                             ;   in Loop: Header=BB57_5 Depth=1
	s_or_b64 exec, exec, s[6:7]
	v_cmp_ngt_f32_e32 vcc, 0, v23
	s_and_saveexec_b64 s[6:7], vcc
	s_xor_b64 s[6:7], exec, s[6:7]
	s_cbranch_execz .LBB57_337
; %bb.334:                              ;   in Loop: Header=BB57_5 Depth=1
	v_cmp_neq_f32_e32 vcc, 0, v23
	s_and_saveexec_b64 s[48:49], vcc
	s_cbranch_execz .LBB57_336
; %bb.335:                              ;   in Loop: Header=BB57_5 Depth=1
	v_mul_f32_e32 v3, v5, v5
	v_add_f32_e32 v1, v23, v1
	v_div_scale_f32 v22, s[52:53], v1, v1, v3
	v_rcp_f32_e32 v23, v22
	v_fma_f32 v24, -v22, v23, 1.0
	v_fmac_f32_e32 v23, v24, v23
	v_div_scale_f32 v24, vcc, v3, v1, v3
	v_mul_f32_e32 v25, v24, v23
	v_fma_f32 v48, -v22, v25, v24
	v_fmac_f32_e32 v25, v48, v23
	v_fma_f32 v22, -v22, v25, v24
	v_div_fmas_f32 v22, v22, v23, v25
	v_div_fixup_f32 v25, v22, v1, v3
.LBB57_336:                             ;   in Loop: Header=BB57_5 Depth=1
	s_or_b64 exec, exec, s[48:49]
                                        ; implicit-def: $vgpr1
                                        ; implicit-def: $vgpr22_vgpr23
.LBB57_337:                             ;   in Loop: Header=BB57_5 Depth=1
	s_andn2_saveexec_b64 s[6:7], s[6:7]
; %bb.338:                              ;   in Loop: Header=BB57_5 Depth=1
	v_sub_f32_e32 v25, v1, v23
; %bb.339:                              ;   in Loop: Header=BB57_5 Depth=1
	s_or_b64 exec, exec, s[6:7]
	v_mul_f32_e32 v3, 0.5, v13
	v_mul_f32_e32 v13, 0.5, v25
	v_pk_add_f32 v[12:13], v[2:3], v[12:13]
	v_mul_f32_e32 v1, v12, v13
	v_mul_f32_e32 v3, 0x4f800000, v1
	v_cmp_gt_f32_e32 vcc, s62, v1
	v_cndmask_b32_e32 v1, v1, v3, vcc
	v_sqrt_f32_e32 v3, v1
	s_mov_b64 s[48:49], -1
                                        ; implicit-def: $vgpr22_vgpr23
	v_add_u32_e32 v12, -1, v3
	v_fma_f32 v13, -v12, v3, v1
	v_cmp_ge_f32_e64 s[6:7], 0, v13
	v_add_u32_e32 v13, 1, v3
	v_cndmask_b32_e64 v12, v3, v12, s[6:7]
	v_fma_f32 v3, -v13, v3, v1
	v_cmp_lt_f32_e64 s[6:7], 0, v3
	v_cndmask_b32_e64 v3, v12, v13, s[6:7]
	v_mul_f32_e32 v12, 0x37800000, v3
	v_cndmask_b32_e32 v3, v3, v12, vcc
	v_cmp_class_f32_e32 vcc, v1, v28
	v_cndmask_b32_e32 v24, v3, v1, vcc
.LBB57_340:                             ;   in Loop: Header=BB57_5 Depth=1
	s_andn2_saveexec_b64 s[50:51], s[50:51]
	s_cbranch_execz .LBB57_346
; %bb.341:                              ;   in Loop: Header=BB57_5 Depth=1
	v_cmp_ngt_f32_e64 s[6:7], |v4|, 1.0
                                        ; implicit-def: $vgpr24
                                        ; implicit-def: $sgpr52_sgpr53
	s_and_saveexec_b64 s[54:55], s[6:7]
	s_xor_b64 s[54:55], exec, s[54:55]
	s_cbranch_execz .LBB57_343
; %bb.342:                              ;   in Loop: Header=BB57_5 Depth=1
	v_sub_f32_e64 v1, 1.0, |v4|
	v_mul_f32_e32 v1, v1, v22
	v_mul_f32_e32 v3, 0x4f800000, v1
	v_cmp_gt_f32_e32 vcc, s62, v1
	v_cndmask_b32_e32 v1, v1, v3, vcc
	v_sqrt_f32_e32 v3, v1
	s_mov_b64 s[52:53], -1
	v_add_u32_e32 v12, -1, v3
	v_fma_f32 v22, -v12, v3, v1
	v_add_u32_e32 v13, 1, v3
	v_cmp_ge_f32_e64 s[6:7], 0, v22
	v_cndmask_b32_e64 v12, v3, v12, s[6:7]
	v_fma_f32 v3, -v13, v3, v1
	v_cmp_lt_f32_e64 s[6:7], 0, v3
	v_cndmask_b32_e64 v3, v12, v13, s[6:7]
	v_mul_f32_e32 v12, 0x37800000, v3
	v_cndmask_b32_e32 v3, v3, v12, vcc
	v_cmp_class_f32_e32 vcc, v1, v28
	v_cndmask_b32_e32 v24, v3, v1, vcc
                                        ; implicit-def: $vgpr22_vgpr23
.LBB57_343:                             ;   in Loop: Header=BB57_5 Depth=1
	s_andn2_saveexec_b64 s[54:55], s[54:55]
	s_cbranch_execz .LBB57_345
; %bb.344:                              ;   in Loop: Header=BB57_5 Depth=1
	v_mul_f32_e32 v1, v22, v23
	v_mul_f32_e32 v2, 0x4f800000, v1
	v_cmp_gt_f32_e32 vcc, s62, v1
	v_cndmask_b32_e32 v1, v1, v2, vcc
	v_sqrt_f32_e32 v2, v1
	v_mul_f32_e64 v3, |v5|, s73
	v_mul_f32_e64 v3, |v4|, v3
	s_or_b64 s[52:53], s[52:53], exec
	v_add_u32_e32 v12, -1, v2
	v_fma_f32 v13, -v12, v2, v1
	v_cmp_ge_f32_e64 s[6:7], 0, v13
	v_add_u32_e32 v13, 1, v2
	v_cndmask_b32_e64 v12, v2, v12, s[6:7]
	v_fma_f32 v2, -v13, v2, v1
	v_cmp_lt_f32_e64 s[6:7], 0, v2
	v_cndmask_b32_e64 v2, v12, v13, s[6:7]
	v_mul_f32_e32 v12, 0x37800000, v2
	v_cndmask_b32_e32 v2, v2, v12, vcc
	v_cmp_class_f32_e32 vcc, v1, v28
	v_cndmask_b32_e32 v1, v2, v1, vcc
	v_div_scale_f32 v2, s[6:7], v1, v1, v3
	v_rcp_f32_e32 v12, v2
	v_fma_f32 v13, -v2, v12, 1.0
	v_fmac_f32_e32 v12, v13, v12
	v_div_scale_f32 v13, vcc, v3, v1, v3
	v_mul_f32_e32 v22, v13, v12
	v_fma_f32 v23, -v2, v22, v13
	v_fmac_f32_e32 v22, v23, v12
	v_fma_f32 v2, -v2, v22, v13
	v_div_fmas_f32 v2, v2, v12, v22
	v_div_fixup_f32 v24, v2, v1, v3
	v_mul_f32_e64 v2, |v4|, s73
.LBB57_345:                             ;   in Loop: Header=BB57_5 Depth=1
	s_or_b64 exec, exec, s[54:55]
	s_andn2_b64 s[6:7], s[48:49], exec
	s_and_b64 s[48:49], s[52:53], exec
	s_or_b64 s[48:49], s[6:7], s[48:49]
.LBB57_346:                             ;   in Loop: Header=BB57_5 Depth=1
	s_or_b64 exec, exec, s[50:51]
	s_and_b64 s[48:49], s[48:49], exec
                                        ; implicit-def: $vgpr12
.LBB57_347:                             ;   in Loop: Header=BB57_5 Depth=1
	s_andn2_saveexec_b64 s[46:47], s[46:47]
	s_cbranch_execz .LBB57_349
; %bb.348:                              ;   in Loop: Header=BB57_5 Depth=1
	v_mul_f32_e64 v1, |v5|, s63
	v_cmp_lt_f32_e64 vcc, |v5|, s62
	v_cndmask_b32_e64 v1, |v5|, v1, vcc
	v_sqrt_f32_e32 v2, v1
	v_add_f32_e32 v12, 1.0, v12
	v_mul_f32_e32 v12, 0.5, v12
	s_or_b64 s[48:49], s[48:49], exec
	v_add_u32_e32 v3, -1, v2
	v_fma_f32 v22, -v3, v2, v1
	v_add_u32_e32 v13, 1, v2
	v_cmp_ge_f32_e64 s[6:7], 0, v22
	v_cndmask_b32_e64 v3, v2, v3, s[6:7]
	v_fma_f32 v2, -v13, v2, v1
	v_cmp_lt_f32_e64 s[6:7], 0, v2
	v_cndmask_b32_e64 v2, v3, v13, s[6:7]
	v_mul_f32_e32 v13, 0x4f800000, v12
	v_cmp_gt_f32_e64 s[6:7], s62, v12
	v_cndmask_b32_e64 v12, v12, v13, s[6:7]
	v_sqrt_f32_e32 v13, v12
	v_mul_f32_e32 v3, 0x37800000, v2
	v_cndmask_b32_e32 v2, v2, v3, vcc
	v_cmp_class_f32_e32 vcc, v1, v28
	v_cndmask_b32_e32 v1, v2, v1, vcc
	v_add_u32_e32 v2, -1, v13
	v_fma_f32 v3, -v2, v13, v12
	v_cmp_ge_f32_e32 vcc, 0, v3
	v_add_u32_e32 v3, 1, v13
	v_cndmask_b32_e32 v2, v13, v2, vcc
	v_fma_f32 v13, -v3, v13, v12
	v_cmp_lt_f32_e32 vcc, 0, v13
	v_cndmask_b32_e32 v2, v2, v3, vcc
	v_mul_f32_e32 v3, 0x37800000, v2
	v_cndmask_b32_e64 v2, v2, v3, s[6:7]
	v_cmp_class_f32_e32 vcc, v12, v28
	v_cndmask_b32_e32 v2, v2, v12, vcc
	v_mul_f32_e32 v24, v1, v2
	v_mov_b32_e32 v2, 1.0
.LBB57_349:                             ;   in Loop: Header=BB57_5 Depth=1
	s_or_b64 exec, exec, s[46:47]
	s_and_b64 s[6:7], s[48:49], exec
.LBB57_350:                             ;   in Loop: Header=BB57_5 Depth=1
	s_or_b64 exec, exec, s[44:45]
	s_and_b64 s[6:7], s[6:7], exec
                                        ; implicit-def: $vgpr12
.LBB57_351:                             ;   in Loop: Header=BB57_5 Depth=1
	s_andn2_saveexec_b64 s[42:43], s[42:43]
; %bb.352:                              ;   in Loop: Header=BB57_5 Depth=1
	v_mov_b32_e32 v13, v2
	v_pk_mul_f32 v[24:25], v[12:13], s[30:31] op_sel_hi:[1,0]
	s_or_b64 s[6:7], s[6:7], exec
	v_mov_b32_e32 v2, v25
                                        ; implicit-def: $vgpr17
; %bb.353:                              ;   in Loop: Header=BB57_5 Depth=1
	s_or_b64 exec, exec, s[42:43]
	s_xor_b64 s[6:7], s[6:7], -1
                                        ; implicit-def: $vgpr1
	s_and_saveexec_b64 s[42:43], s[6:7]
	s_xor_b64 s[6:7], exec, s[42:43]
	s_cbranch_execz .LBB57_355
; %bb.354:                              ;   in Loop: Header=BB57_5 Depth=1
	v_fma_f32 v1, |v17|, -0.5, 0.5
	v_mul_f32_e32 v2, v17, v17
	v_cmp_ge_f32_e64 vcc, |v17|, 0.5
	v_cndmask_b32_e32 v1, v2, v1, vcc
	v_mov_b32_e32 v2, 0x3c5fc5da
	v_fmac_f32_e32 v2, 0x3d1c21a7, v1
	v_fma_f32 v2, v1, v2, v30
	v_fma_f32 v2, v1, v2, v31
	v_sqrt_f32_e32 v3, v1
	v_fma_f32 v2, v1, v2, v32
	v_fma_f32 v2, v1, v2, v33
	v_mul_f32_e32 v1, v1, v2
	v_fmac_f32_e32 v3, v3, v1
	v_add_f32_e32 v2, v3, v3
	v_sub_f32_e32 v2, 0x3fc90fdb, v2
	v_fma_f32 v1, |v17|, v1, |v17|
	v_cmp_lt_f32_e64 vcc, |v17|, 0.5
	v_cndmask_b32_e32 v1, v2, v1, vcc
	v_bfi_b32 v1, s59, v1, v17
                                        ; implicit-def: $vgpr2
                                        ; implicit-def: $vgpr24
.LBB57_355:                             ;   in Loop: Header=BB57_5 Depth=1
	s_andn2_saveexec_b64 s[42:43], s[6:7]
	s_cbranch_execz .LBB57_357
; %bb.356:                              ;   in Loop: Header=BB57_5 Depth=1
	v_max_f32_e32 v1, v2, v2
	v_max_f32_e64 v3, |v24|, |v24|
	v_min_f32_e32 v12, v3, v1
	v_max_f32_e32 v1, v3, v1
	v_frexp_mant_f32_e32 v3, v1
	v_rcp_f32_e32 v3, v3
	v_frexp_exp_i32_f32_e32 v1, v1
	v_frexp_exp_i32_f32_e32 v13, v12
	v_frexp_mant_f32_e32 v12, v12
	v_mul_f32_e32 v3, v12, v3
	v_sub_u32_e32 v1, v13, v1
	v_ldexp_f32 v1, v3, v1
	v_mul_f32_e32 v3, v1, v1
	v_mov_b32_e32 v12, 0xbc7a590c
	v_fmac_f32_e32 v12, 0x3b2d2a58, v3
	v_fma_f32 v12, v3, v12, v34
	v_fma_f32 v12, v3, v12, v35
	;; [unrolled: 1-line block ×6, first 2 shown]
	v_mul_f32_e32 v3, v3, v12
	v_fmac_f32_e32 v1, v1, v3
	v_sub_f32_e32 v3, 0x3fc90fdb, v1
	v_cmp_gt_f32_e64 vcc, v2, |v24|
	v_cndmask_b32_e32 v1, v1, v3, vcc
	v_sub_f32_e32 v3, 0x40490fdb, v1
	v_cmp_gt_f32_e32 vcc, 0, v24
	v_cmp_gt_i32_e64 s[6:7], 0, v24
	v_cndmask_b32_e32 v1, v1, v3, vcc
	v_cndmask_b32_e64 v3, 0, v45, s[6:7]
	v_cmp_eq_f32_e64 s[6:7], 0, v2
	v_cndmask_b32_e64 v1, v1, v3, s[6:7]
	v_cndmask_b32_e32 v3, v46, v47, vcc
	v_cmp_class_f32_e64 s[6:7], v24, s74
	v_cmp_eq_f32_e32 vcc, s60, v2
	s_and_b64 vcc, vcc, s[6:7]
	v_cndmask_b32_e32 v1, v1, v3, vcc
	v_cmp_o_f32_e32 vcc, v24, v2
	v_cndmask_b32_e64 v1, v43, |v1|, vcc
.LBB57_357:                             ;   in Loop: Header=BB57_5 Depth=1
	s_or_b64 exec, exec, s[42:43]
	v_bfi_b32 v4, s59, v1, v4
	v_bfi_b32 v5, s59, v15, v5
.LBB57_358:                             ;   in Loop: Header=BB57_5 Depth=1
	s_or_b64 exec, exec, s[40:41]
.LBB57_359:                             ;   in Loop: Header=BB57_5 Depth=1
	s_or_b64 exec, exec, s[38:39]
	v_mov_b32_e32 v13, v5
	v_mov_b32_e32 v12, v4
                                        ; implicit-def: $vgpr2_vgpr3_vgpr4_vgpr5
                                        ; implicit-def: $vgpr1
                                        ; implicit-def: $vgpr3
                                        ; implicit-def: $vgpr2
.LBB57_360:                             ;   in Loop: Header=BB57_5 Depth=1
	s_andn2_saveexec_b64 s[38:39], s[8:9]
	s_cbranch_execz .LBB57_382
; %bb.361:                              ;   in Loop: Header=BB57_5 Depth=1
	v_cmp_lt_i32_e32 vcc, -1, v5
                                        ; implicit-def: $vgpr12
                                        ; implicit-def: $vgpr13
	s_and_saveexec_b64 s[6:7], vcc
	s_xor_b64 s[40:41], exec, s[6:7]
	s_cbranch_execz .LBB57_371
; %bb.362:                              ;   in Loop: Header=BB57_5 Depth=1
	v_cmp_lt_f32_e64 s[6:7], |v5|, |v4|
	v_cndmask_b32_e64 v15, |v5|, |v4|, s[6:7]
	v_cmp_nlt_f32_e32 vcc, s75, v15
                                        ; implicit-def: $vgpr12
                                        ; implicit-def: $vgpr13
	s_and_saveexec_b64 s[8:9], vcc
	s_xor_b64 s[42:43], exec, s[8:9]
	s_cbranch_execz .LBB57_368
; %bb.363:                              ;   in Loop: Header=BB57_5 Depth=1
	v_cndmask_b32_e64 v17, |v4|, |v5|, s[6:7]
	v_cmp_nlt_f32_e32 vcc, s76, v15
	v_cmp_ngt_f32_e64 s[8:9], s77, v17
	s_and_b64 s[8:9], vcc, s[8:9]
                                        ; implicit-def: $vgpr12
                                        ; implicit-def: $vgpr13
	s_and_saveexec_b64 s[44:45], s[8:9]
	s_xor_b64 s[8:9], exec, s[44:45]
	s_cbranch_execz .LBB57_365
; %bb.364:                              ;   in Loop: Header=BB57_5 Depth=1
	v_mul_f32_e32 v12, v17, v17
	v_fmac_f32_e32 v12, v15, v15
	v_cmp_gt_f32_e32 vcc, s64, v12
	v_cndmask_b32_e32 v13, 1.0, v41, vcc
	v_mul_f32_e32 v12, v12, v13
	v_log_f32_e32 v12, v12
	v_min_f32_e32 v1, v1, v3
	s_waitcnt lgkmcnt(0)
	v_frexp_mant_f32_e32 v3, v2
	v_rcp_f32_e32 v3, v3
	v_mul_f32_e32 v15, 0x3f317217, v12
	v_fma_f32 v17, v12, s65, -v15
	v_fmac_f32_e32 v17, 0x3377d1cf, v12
	v_cndmask_b32_e32 v13, 0, v42, vcc
	v_add_f32_e32 v15, v15, v17
	v_cmp_lt_f32_e64 vcc, |v12|, s60
	v_cndmask_b32_e32 v12, v12, v15, vcc
	v_sub_f32_e32 v12, v12, v13
	v_frexp_exp_i32_f32_e32 v2, v2
	v_frexp_exp_i32_f32_e32 v13, v1
	v_frexp_mant_f32_e32 v1, v1
	v_mul_f32_e32 v1, v1, v3
	v_sub_u32_e32 v2, v13, v2
	v_ldexp_f32 v13, v1, v2
	v_mul_f32_e32 v1, v13, v13
	v_mov_b32_e32 v2, 0xbc7a590c
	v_fmac_f32_e32 v2, 0x3b2d2a58, v1
	v_fma_f32 v2, v1, v2, v34
	v_fma_f32 v2, v1, v2, v35
	;; [unrolled: 1-line block ×6, first 2 shown]
	v_mul_f32_e32 v1, v1, v2
	v_mul_f32_e32 v12, 0.5, v12
	v_fmac_f32_e32 v13, v13, v1
                                        ; implicit-def: $vgpr2
                                        ; implicit-def: $vgpr1
                                        ; implicit-def: $vgpr3
.LBB57_365:                             ;   in Loop: Header=BB57_5 Depth=1
	s_andn2_saveexec_b64 s[8:9], s[8:9]
	s_cbranch_execz .LBB57_367
; %bb.366:                              ;   in Loop: Header=BB57_5 Depth=1
	s_waitcnt lgkmcnt(0)
	v_cvt_f64_f32_e32 v[12:13], v2
	v_frexp_exp_i32_f64_e32 v12, v[12:13]
	v_sub_u32_e32 v13, 0, v12
	v_ldexp_f32 v15, |v5|, v13
	v_ldexp_f32 v13, |v4|, v13
	v_mul_f32_e32 v13, v13, v13
	v_fmac_f32_e32 v13, v15, v15
	v_sqrt_f32_e32 v13, v13
	v_cmp_neq_f32_e32 vcc, s60, v2
	v_min_f32_e32 v1, v1, v3
	v_ldexp_f32 v12, v13, v12
	v_cndmask_b32_e32 v12, v40, v12, vcc
	v_cmp_gt_f32_e32 vcc, s64, v12
	v_cndmask_b32_e32 v13, 1.0, v41, vcc
	v_mul_f32_e32 v12, v12, v13
	v_log_f32_e32 v12, v12
	v_cndmask_b32_e32 v3, 0, v42, vcc
	v_mul_f32_e32 v13, 0x3f317217, v12
	v_fma_f32 v15, v12, s65, -v13
	v_fmac_f32_e32 v15, 0x3377d1cf, v12
	v_add_f32_e32 v13, v13, v15
	v_cmp_lt_f32_e64 vcc, |v12|, s60
	v_cndmask_b32_e32 v12, v12, v13, vcc
	v_sub_f32_e32 v12, v12, v3
	v_frexp_mant_f32_e32 v3, v2
	v_rcp_f32_e32 v3, v3
	v_frexp_exp_i32_f32_e32 v2, v2
	v_frexp_exp_i32_f32_e32 v13, v1
	v_frexp_mant_f32_e32 v1, v1
	v_mul_f32_e32 v1, v1, v3
	v_sub_u32_e32 v2, v13, v2
	v_ldexp_f32 v13, v1, v2
	v_mul_f32_e32 v1, v13, v13
	v_mov_b32_e32 v2, 0xbc7a590c
	v_fmac_f32_e32 v2, 0x3b2d2a58, v1
	v_fma_f32 v2, v1, v2, v34
	v_fma_f32 v2, v1, v2, v35
	;; [unrolled: 1-line block ×6, first 2 shown]
	v_mul_f32_e32 v1, v1, v2
	v_fmac_f32_e32 v13, v13, v1
.LBB57_367:                             ;   in Loop: Header=BB57_5 Depth=1
	s_or_b64 exec, exec, s[8:9]
                                        ; implicit-def: $vgpr1
                                        ; implicit-def: $vgpr3
                                        ; implicit-def: $vgpr2
.LBB57_368:                             ;   in Loop: Header=BB57_5 Depth=1
	s_andn2_saveexec_b64 s[42:43], s[42:43]
	s_cbranch_execz .LBB57_370
; %bb.369:                              ;   in Loop: Header=BB57_5 Depth=1
	v_div_scale_f32 v12, s[8:9], s78, s78, v5
	v_rcp_f32_e32 v13, v12
	v_div_scale_f32 v15, vcc, v5, s78, v5
	v_min_f32_e32 v1, v1, v3
	v_fma_f32 v17, -v12, v13, 1.0
	v_fmac_f32_e32 v13, v17, v13
	v_mul_f32_e32 v17, v15, v13
	v_fma_f32 v22, -v12, v17, v15
	v_fmac_f32_e32 v17, v22, v13
	v_fma_f32 v12, -v12, v17, v15
	v_div_scale_f32 v15, s[8:9], s78, s78, v4
	v_rcp_f32_e32 v22, v15
	v_div_fmas_f32 v12, v12, v13, v17
	v_div_fixup_f32 v17, v12, s78, v5
	s_waitcnt lgkmcnt(0)
	v_frexp_mant_f32_e32 v3, v2
	v_fma_f32 v12, -v15, v22, 1.0
	v_fmac_f32_e32 v22, v12, v22
	v_div_scale_f32 v12, vcc, v4, s78, v4
	v_mul_f32_e32 v13, v12, v22
	v_fma_f32 v23, -v15, v13, v12
	v_fmac_f32_e32 v13, v23, v22
	v_fma_f32 v12, -v15, v13, v12
	v_div_fmas_f32 v12, v12, v22, v13
	v_div_fixup_f32 v15, v12, s78, v4
	v_max_f32_e64 v22, |v17|, |v15|
	v_cvt_f64_f32_e32 v[12:13], v22
	v_frexp_exp_i32_f64_e32 v12, v[12:13]
	v_sub_u32_e32 v13, 0, v12
	v_ldexp_f32 v17, |v17|, v13
	v_ldexp_f32 v13, |v15|, v13
	v_mul_f32_e32 v13, v13, v13
	v_fmac_f32_e32 v13, v17, v17
	v_sqrt_f32_e32 v13, v13
	v_cmp_neq_f32_e32 vcc, s60, v22
	v_rcp_f32_e32 v3, v3
	v_frexp_exp_i32_f32_e32 v2, v2
	v_ldexp_f32 v12, v13, v12
	v_cndmask_b32_e32 v12, v40, v12, vcc
	v_cmp_gt_f32_e32 vcc, s64, v12
	v_cndmask_b32_e32 v13, 1.0, v41, vcc
	v_mul_f32_e32 v12, v12, v13
	v_log_f32_e32 v12, v12
	v_mul_f32_e32 v13, 0x3f317217, v12
	v_fma_f32 v15, v12, s65, -v13
	v_fmac_f32_e32 v15, 0x3377d1cf, v12
	v_add_f32_e32 v13, v13, v15
	v_cmp_lt_f32_e64 s[8:9], |v12|, s60
	v_cndmask_b32_e64 v12, v12, v13, s[8:9]
	v_cndmask_b32_e32 v13, 0, v42, vcc
	v_sub_f32_e32 v12, v12, v13
	v_frexp_exp_i32_f32_e32 v13, v1
	v_frexp_mant_f32_e32 v1, v1
	v_mul_f32_e32 v1, v1, v3
	v_sub_u32_e32 v2, v13, v2
	v_ldexp_f32 v13, v1, v2
	v_mul_f32_e32 v1, v13, v13
	v_mov_b32_e32 v2, 0xbc7a590c
	v_fmac_f32_e32 v2, 0x3b2d2a58, v1
	v_fma_f32 v2, v1, v2, v34
	v_fma_f32 v2, v1, v2, v35
	v_fma_f32 v2, v1, v2, v36
	v_fma_f32 v2, v1, v2, v37
	v_fma_f32 v2, v1, v2, v38
	v_fma_f32 v2, v1, v2, v39
	v_mul_f32_e32 v1, v1, v2
	v_add_f32_e32 v12, 1.0, v12
	v_fmac_f32_e32 v13, v13, v1
.LBB57_370:                             ;   in Loop: Header=BB57_5 Depth=1
	s_or_b64 exec, exec, s[42:43]
	v_sub_f32_e32 v1, 0x3fc90fdb, v13
	v_cndmask_b32_e64 v13, v13, v1, s[6:7]
                                        ; implicit-def: $vgpr1
                                        ; implicit-def: $vgpr3
                                        ; implicit-def: $vgpr2
.LBB57_371:                             ;   in Loop: Header=BB57_5 Depth=1
	s_andn2_saveexec_b64 s[40:41], s[40:41]
	s_cbranch_execz .LBB57_381
; %bb.372:                              ;   in Loop: Header=BB57_5 Depth=1
	v_cmp_lt_f32_e64 s[6:7], |v5|, |v4|
	v_cndmask_b32_e64 v15, |v5|, |v4|, s[6:7]
	v_cmp_nlt_f32_e32 vcc, s75, v15
                                        ; implicit-def: $vgpr12
                                        ; implicit-def: $vgpr13
	s_and_saveexec_b64 s[8:9], vcc
	s_xor_b64 s[42:43], exec, s[8:9]
	s_cbranch_execz .LBB57_378
; %bb.373:                              ;   in Loop: Header=BB57_5 Depth=1
	v_cndmask_b32_e64 v17, |v4|, |v5|, s[6:7]
	v_cmp_nlt_f32_e32 vcc, s76, v15
	v_cmp_ngt_f32_e64 s[8:9], s77, v17
	s_and_b64 s[8:9], vcc, s[8:9]
                                        ; implicit-def: $vgpr12
                                        ; implicit-def: $vgpr13
	s_and_saveexec_b64 s[44:45], s[8:9]
	s_xor_b64 s[8:9], exec, s[44:45]
	s_cbranch_execz .LBB57_375
; %bb.374:                              ;   in Loop: Header=BB57_5 Depth=1
	v_mul_f32_e32 v12, v17, v17
	v_fmac_f32_e32 v12, v15, v15
	v_cmp_gt_f32_e32 vcc, s64, v12
	v_cndmask_b32_e32 v13, 1.0, v41, vcc
	v_mul_f32_e32 v12, v12, v13
	v_log_f32_e32 v12, v12
	v_min_f32_e32 v1, v1, v3
	s_waitcnt lgkmcnt(0)
	v_frexp_mant_f32_e32 v3, v2
	v_rcp_f32_e32 v3, v3
	v_mul_f32_e32 v15, 0x3f317217, v12
	v_fma_f32 v17, v12, s65, -v15
	v_fmac_f32_e32 v17, 0x3377d1cf, v12
	v_cndmask_b32_e32 v13, 0, v42, vcc
	v_add_f32_e32 v15, v15, v17
	v_cmp_lt_f32_e64 vcc, |v12|, s60
	v_cndmask_b32_e32 v12, v12, v15, vcc
	v_sub_f32_e32 v12, v12, v13
	v_frexp_exp_i32_f32_e32 v2, v2
	v_frexp_exp_i32_f32_e32 v13, v1
	v_frexp_mant_f32_e32 v1, v1
	v_mul_f32_e32 v1, v1, v3
	v_sub_u32_e32 v2, v13, v2
	v_ldexp_f32 v13, v1, v2
	v_mul_f32_e32 v1, v13, v13
	v_mov_b32_e32 v2, 0xbc7a590c
	v_fmac_f32_e32 v2, 0x3b2d2a58, v1
	v_fma_f32 v2, v1, v2, v34
	v_fma_f32 v2, v1, v2, v35
	;; [unrolled: 1-line block ×6, first 2 shown]
	v_mul_f32_e32 v1, v1, v2
	v_mul_f32_e32 v12, 0.5, v12
	v_fmac_f32_e32 v13, v13, v1
                                        ; implicit-def: $vgpr2
                                        ; implicit-def: $vgpr1
                                        ; implicit-def: $vgpr3
.LBB57_375:                             ;   in Loop: Header=BB57_5 Depth=1
	s_andn2_saveexec_b64 s[8:9], s[8:9]
	s_cbranch_execz .LBB57_377
; %bb.376:                              ;   in Loop: Header=BB57_5 Depth=1
	s_waitcnt lgkmcnt(0)
	v_cvt_f64_f32_e32 v[12:13], v2
	v_frexp_exp_i32_f64_e32 v12, v[12:13]
	v_sub_u32_e32 v13, 0, v12
	v_ldexp_f32 v15, |v5|, v13
	v_ldexp_f32 v13, |v4|, v13
	v_mul_f32_e32 v13, v13, v13
	v_fmac_f32_e32 v13, v15, v15
	v_sqrt_f32_e32 v13, v13
	v_cmp_neq_f32_e32 vcc, s60, v2
	v_min_f32_e32 v1, v1, v3
	v_ldexp_f32 v12, v13, v12
	v_cndmask_b32_e32 v12, v40, v12, vcc
	v_cmp_gt_f32_e32 vcc, s64, v12
	v_cndmask_b32_e32 v13, 1.0, v41, vcc
	v_mul_f32_e32 v12, v12, v13
	v_log_f32_e32 v12, v12
	v_cndmask_b32_e32 v3, 0, v42, vcc
	v_mul_f32_e32 v13, 0x3f317217, v12
	v_fma_f32 v15, v12, s65, -v13
	v_fmac_f32_e32 v15, 0x3377d1cf, v12
	v_add_f32_e32 v13, v13, v15
	v_cmp_lt_f32_e64 vcc, |v12|, s60
	v_cndmask_b32_e32 v12, v12, v13, vcc
	v_sub_f32_e32 v12, v12, v3
	v_frexp_mant_f32_e32 v3, v2
	v_rcp_f32_e32 v3, v3
	v_frexp_exp_i32_f32_e32 v2, v2
	v_frexp_exp_i32_f32_e32 v13, v1
	v_frexp_mant_f32_e32 v1, v1
	v_mul_f32_e32 v1, v1, v3
	v_sub_u32_e32 v2, v13, v2
	v_ldexp_f32 v13, v1, v2
	v_mul_f32_e32 v1, v13, v13
	v_mov_b32_e32 v2, 0xbc7a590c
	v_fmac_f32_e32 v2, 0x3b2d2a58, v1
	v_fma_f32 v2, v1, v2, v34
	v_fma_f32 v2, v1, v2, v35
	;; [unrolled: 1-line block ×6, first 2 shown]
	v_mul_f32_e32 v1, v1, v2
	v_fmac_f32_e32 v13, v13, v1
.LBB57_377:                             ;   in Loop: Header=BB57_5 Depth=1
	s_or_b64 exec, exec, s[8:9]
                                        ; implicit-def: $vgpr1
                                        ; implicit-def: $vgpr3
                                        ; implicit-def: $vgpr2
.LBB57_378:                             ;   in Loop: Header=BB57_5 Depth=1
	s_andn2_saveexec_b64 s[42:43], s[42:43]
	s_cbranch_execz .LBB57_380
; %bb.379:                              ;   in Loop: Header=BB57_5 Depth=1
	v_div_scale_f32 v12, s[8:9], s79, s79, v5
	v_rcp_f32_e32 v13, v12
	v_div_scale_f32 v15, vcc, v5, s79, v5
	v_min_f32_e32 v1, v1, v3
	v_fma_f32 v17, -v12, v13, 1.0
	v_fmac_f32_e32 v13, v17, v13
	v_mul_f32_e32 v17, v15, v13
	v_fma_f32 v22, -v12, v17, v15
	v_fmac_f32_e32 v17, v22, v13
	v_fma_f32 v12, -v12, v17, v15
	v_div_scale_f32 v15, s[8:9], s79, s79, v4
	v_rcp_f32_e32 v22, v15
	v_div_fmas_f32 v12, v12, v13, v17
	v_div_fixup_f32 v17, v12, s79, v5
	s_waitcnt lgkmcnt(0)
	v_frexp_mant_f32_e32 v3, v2
	v_fma_f32 v12, -v15, v22, 1.0
	v_fmac_f32_e32 v22, v12, v22
	v_div_scale_f32 v12, vcc, v4, s79, v4
	v_mul_f32_e32 v13, v12, v22
	v_fma_f32 v23, -v15, v13, v12
	v_fmac_f32_e32 v13, v23, v22
	v_fma_f32 v12, -v15, v13, v12
	v_div_fmas_f32 v12, v12, v22, v13
	v_div_fixup_f32 v15, v12, s79, v4
	v_max_f32_e64 v22, |v17|, |v15|
	v_cvt_f64_f32_e32 v[12:13], v22
	v_frexp_exp_i32_f64_e32 v12, v[12:13]
	v_sub_u32_e32 v13, 0, v12
	v_ldexp_f32 v17, |v17|, v13
	v_ldexp_f32 v13, |v15|, v13
	v_mul_f32_e32 v13, v13, v13
	v_fmac_f32_e32 v13, v17, v17
	v_sqrt_f32_e32 v13, v13
	v_cmp_neq_f32_e32 vcc, s60, v22
	v_rcp_f32_e32 v3, v3
	v_frexp_exp_i32_f32_e32 v2, v2
	v_ldexp_f32 v12, v13, v12
	v_cndmask_b32_e32 v12, v40, v12, vcc
	v_cmp_gt_f32_e32 vcc, s64, v12
	v_cndmask_b32_e32 v13, 1.0, v41, vcc
	v_mul_f32_e32 v12, v12, v13
	v_log_f32_e32 v12, v12
	v_mul_f32_e32 v13, 0x3f317217, v12
	v_fma_f32 v15, v12, s65, -v13
	v_fmac_f32_e32 v15, 0x3377d1cf, v12
	v_add_f32_e32 v13, v13, v15
	v_cmp_lt_f32_e64 s[8:9], |v12|, s60
	v_cndmask_b32_e64 v12, v12, v13, s[8:9]
	v_cndmask_b32_e32 v13, 0, v42, vcc
	v_sub_f32_e32 v12, v12, v13
	v_frexp_exp_i32_f32_e32 v13, v1
	v_frexp_mant_f32_e32 v1, v1
	v_mul_f32_e32 v1, v1, v3
	v_sub_u32_e32 v2, v13, v2
	v_ldexp_f32 v13, v1, v2
	v_mul_f32_e32 v1, v13, v13
	v_mov_b32_e32 v2, 0xbc7a590c
	v_fmac_f32_e32 v2, 0x3b2d2a58, v1
	v_fma_f32 v2, v1, v2, v34
	v_fma_f32 v2, v1, v2, v35
	;; [unrolled: 1-line block ×6, first 2 shown]
	v_mul_f32_e32 v1, v1, v2
	v_add_f32_e32 v12, 1.0, v12
	v_fmac_f32_e32 v13, v13, v1
.LBB57_380:                             ;   in Loop: Header=BB57_5 Depth=1
	s_or_b64 exec, exec, s[42:43]
	v_sub_f32_e32 v1, 0x3fc90fdb, v13
	v_cndmask_b32_e64 v13, v13, v1, s[6:7]
.LBB57_381:                             ;   in Loop: Header=BB57_5 Depth=1
	s_or_b64 exec, exec, s[40:41]
	v_cmp_neq_f32_e32 vcc, 0, v4
	v_cmp_class_f32_e64 s[6:7], v5, s74
	v_cmp_class_f32_e64 s[8:9], v4, s74
	v_cndmask_b32_e32 v1, 0, v13, vcc
	s_and_b64 vcc, s[8:9], s[6:7]
	v_cndmask_b32_e32 v1, v1, v46, vcc
	v_cmp_o_f32_e32 vcc, v4, v5
	v_cndmask_b32_e32 v1, v43, v1, vcc
	s_waitcnt lgkmcnt(0)
	v_add_f32_e32 v2, 0x3f317218, v12
	v_bfi_b32 v12, s59, v1, v4
	v_bfi_b32 v13, s59, v2, v5
.LBB57_382:                             ;   in Loop: Header=BB57_5 Depth=1
	s_or_b64 exec, exec, s[38:39]
                                        ; implicit-def: $vgpr4_vgpr5
.LBB57_383:                             ;   in Loop: Header=BB57_5 Depth=1
	s_andn2_saveexec_b64 s[6:7], s[36:37]
	s_cbranch_execz .LBB57_4
; %bb.384:                              ;   in Loop: Header=BB57_5 Depth=1
	v_cmp_neq_f32_e64 s[8:9], |v5|, s60
	s_and_saveexec_b64 s[36:37], s[8:9]
	s_xor_b64 s[8:9], exec, s[36:37]
	s_cbranch_execz .LBB57_394
; %bb.385:                              ;   in Loop: Header=BB57_5 Depth=1
	v_cmp_neq_f32_e64 s[36:37], |v4|, s60
	s_and_saveexec_b64 s[38:39], s[36:37]
	s_xor_b64 s[36:37], exec, s[38:39]
	s_cbranch_execz .LBB57_391
; %bb.386:                              ;   in Loop: Header=BB57_5 Depth=1
	v_cmp_neq_f32_e32 vcc, 0, v4
	s_and_saveexec_b64 s[38:39], vcc
	s_xor_b64 s[38:39], exec, s[38:39]
; %bb.387:                              ;   in Loop: Header=BB57_5 Depth=1
	v_add_f32_e32 v1, 0, v5
	v_add_f32_e32 v13, v4, v1
                                        ; implicit-def: $vgpr4_vgpr5
; %bb.388:                              ;   in Loop: Header=BB57_5 Depth=1
	s_or_saveexec_b64 s[38:39], s[38:39]
	v_mov_b32_e32 v12, v13
	s_xor_b64 exec, exec, s[38:39]
; %bb.389:                              ;   in Loop: Header=BB57_5 Depth=1
	v_pk_add_f32 v[12:13], v[4:5], v[4:5]
	v_mov_b32_e32 v12, v4
; %bb.390:                              ;   in Loop: Header=BB57_5 Depth=1
	s_or_b64 exec, exec, s[38:39]
                                        ; implicit-def: $vgpr4_vgpr5
.LBB57_391:                             ;   in Loop: Header=BB57_5 Depth=1
	s_andn2_saveexec_b64 s[36:37], s[36:37]
; %bb.392:                              ;   in Loop: Header=BB57_5 Depth=1
	v_add_f32_e32 v12, v5, v5
	v_mov_b32_e32 v13, v4
; %bb.393:                              ;   in Loop: Header=BB57_5 Depth=1
	s_or_b64 exec, exec, s[36:37]
                                        ; implicit-def: $vgpr4_vgpr5
.LBB57_394:                             ;   in Loop: Header=BB57_5 Depth=1
	s_andn2_saveexec_b64 s[8:9], s[8:9]
	s_cbranch_execz .LBB57_3
; %bb.395:                              ;   in Loop: Header=BB57_5 Depth=1
	v_add_f32_e32 v12, v4, v4
	v_mov_b32_e32 v13, v5
	s_branch .LBB57_3
.LBB57_396:
	s_or_b64 exec, exec, s[14:15]
	s_mov_b64 s[6:7], 0
.LBB57_397:
	s_andn2_b64 vcc, exec, s[6:7]
	s_cbranch_vccnz .LBB57_809
; %bb.398:
	v_cmp_lt_i64_e64 s[6:7], s[18:19], 1
	s_and_b64 vcc, exec, s[6:7]
	s_cbranch_vccnz .LBB57_809
; %bb.399:
	s_load_dword s4, s[4:5], 0xc5c
	v_mov_b32_e32 v2, 0x10000
	v_mov_b32_e32 v3, 0
	v_cmp_lt_u64_e32 vcc, s[18:19], v[2:3]
	v_lshlrev_b32_e32 v10, 3, v0
	s_waitcnt lgkmcnt(0)
	s_and_b32 s6, s4, 0xffff
	s_and_b64 s[4:5], vcc, exec
	v_mov_b32_e32 v13, s13
	v_add_co_u32_e32 v2, vcc, s12, v10
	v_addc_co_u32_e32 v1, vcc, 0, v13, vcc
	v_mov_b32_e32 v11, 0
	v_mov_b32_e32 v15, s11
	v_add_co_u32_e32 v4, vcc, s10, v10
	v_addc_co_u32_e32 v3, vcc, 0, v15, vcc
	v_mad_u64_u32 v[8:9], s[4:5], s6, 24, v[10:11]
	v_add_co_u32_e32 v6, vcc, s12, v8
	v_addc_co_u32_e32 v5, vcc, v13, v9, vcc
	v_add_co_u32_e32 v8, vcc, s10, v8
	s_mul_i32 s8, s6, 3
	v_addc_co_u32_e32 v7, vcc, v15, v9, vcc
	v_add_co_u32_e32 v17, vcc, s8, v0
	v_addc_co_u32_e64 v38, s[4:5], 0, 0, vcc
	s_cselect_b32 s21, s19, 0
	s_cselect_b32 s20, s18, 0x10000
	s_lshl_b32 s4, s6, 4
	v_add_co_u32_e32 v11, vcc, s4, v10
	v_addc_co_u32_e64 v14, s[4:5], 0, 0, vcc
	v_add_co_u32_e32 v10, vcc, s12, v11
	v_addc_co_u32_e32 v9, vcc, v13, v14, vcc
	v_add_co_u32_e32 v12, vcc, s10, v11
	s_lshl_b32 s7, s6, 1
	v_addc_co_u32_e32 v11, vcc, v15, v14, vcc
	v_add_co_u32_e32 v39, vcc, s7, v0
	v_addc_co_u32_e64 v40, s[4:5], 0, 0, vcc
	v_add_co_u32_e32 v41, vcc, s6, v0
	v_lshlrev_b32_e32 v16, 3, v41
	v_addc_co_u32_e64 v42, s[4:5], 0, 0, vcc
	v_add_co_u32_e32 v14, vcc, s12, v16
	v_addc_co_u32_e32 v13, vcc, 0, v13, vcc
	s_mov_b64 s[22:23], src_private_base
	v_add_co_u32_e32 v16, vcc, s10, v16
	s_mov_b32 s28, 1.0
	s_mov_b32 s31, 0
	s_lshl_b32 s33, s6, 2
	s_mov_b32 s22, 0
	s_mov_b32 s24, 4
	;; [unrolled: 1-line block ×3, first 2 shown]
	s_lshl_b32 s54, s6, 5
	v_addc_co_u32_e32 v15, vcc, 0, v15, vcc
	s_mov_b64 s[26:27], 0
	s_mov_b32 s55, 0x4b000000
	v_mov_b32_e32 v43, 0xd800000
	s_mov_b32 s29, -1.0
	s_mov_b32 s56, 0x395db3d7
	s_brev_b32 s57, -2
	s_mov_b32 s58, 0x7f800000
	s_mov_b32 s59, 0x41200000
	;; [unrolled: 1-line block ×4, first 2 shown]
	v_mov_b32_e32 v44, 0x260
	s_mov_b32 s62, 0x800000
	s_mov_b32 s63, 0x3f317217
	;; [unrolled: 1-line block ×4, first 2 shown]
	v_mov_b32_e32 v45, 0x3f2aaada
	s_mov_b32 s66, 0x3f317218
	s_mov_b32 s67, 0x33800000
	s_mov_b32 s68, 0x21000000
	s_mov_b32 s69, 0x3f244674
	s_mov_b32 s70, 0x30800000
	s_mov_b32 s71, 0x57800000
	s_mov_b32 s30, 0x4b800000
	v_mov_b32_e32 v46, 0x3d034c3c
	v_mov_b32_e32 v47, 0x3d3641b1
	;; [unrolled: 1-line block ×10, first 2 shown]
	s_movk_i32 s72, 0x204
	s_mov_b32 s73, 0x7effffff
	s_mov_b32 s74, 0x5e000000
	s_brev_b32 s75, 4
	s_mov_b32 s76, 0x402df854
	s_mov_b32 s77, 0xc02df854
	v_mov_b32_e32 v56, 0x7f800000
	v_mov_b32_e32 v57, 0x4f800000
	v_mov_b32_e32 v58, 0x41b17218
	v_mov_b32_e32 v59, 0x7fc00000
	v_mov_b32_e32 v60, 0xff800000
	v_mov_b32_e32 v61, 0x40490fdb
	v_mov_b32_e32 v62, 0x3f490fdb
	v_mov_b32_e32 v63, 0x4016cbe4
	v_mov_b32_e32 v18, 1.0
	v_mov_b32_e32 v20, 0x3f317218
	s_branch .LBB57_401
.LBB57_400:                             ;   in Loop: Header=BB57_401 Depth=1
	s_or_b64 exec, exec, s[4:5]
	s_add_u32 s26, s26, s33
	s_addc_u32 s27, s27, 0
	v_pk_mov_b32 v[22:23], s[18:19], s[18:19] op_sel:[0,1]
	v_cmp_ge_i64_e32 vcc, s[26:27], v[22:23]
	v_mov_b32_e32 v22, 0xffff
	v_mov_b32_e32 v23, 0
	v_cmp_gt_u64_e64 s[4:5], s[26:27], v[22:23]
	s_or_b64 s[4:5], vcc, s[4:5]
	v_mov_b32_e32 v19, s31
	v_add_co_u32_e32 v2, vcc, s54, v2
	v_addc_co_u32_e32 v1, vcc, v1, v19, vcc
	v_add_co_u32_e32 v4, vcc, s54, v4
	v_addc_co_u32_e32 v3, vcc, v3, v19, vcc
	;; [unrolled: 2-line block ×8, first 2 shown]
	s_and_b64 vcc, exec, s[4:5]
	s_cbranch_vccnz .LBB57_809
.LBB57_401:                             ; =>This Inner Loop Header: Depth=1
	v_mov_b32_e32 v19, s27
	v_add_co_u32_e32 v22, vcc, s26, v0
	v_addc_co_u32_e32 v23, vcc, 0, v19, vcc
	v_cmp_gt_u64_e64 s[4:5], s[20:21], v[22:23]
	v_mov_b32_e32 v24, 0
	v_mov_b32_e32 v25, 0
	s_and_saveexec_b64 s[6:7], s[4:5]
	s_cbranch_execz .LBB57_403
; %bb.402:                              ;   in Loop: Header=BB57_401 Depth=1
	v_mov_b32_e32 v19, s17
	v_add_co_u32_e32 v22, vcc, s16, v2
	v_addc_co_u32_e32 v23, vcc, v1, v19, vcc
	global_load_dwordx2 v[24:25], v[22:23], off
.LBB57_403:                             ;   in Loop: Header=BB57_401 Depth=1
	s_or_b64 exec, exec, s[6:7]
	v_mov_b32_e32 v19, s27
	v_add_co_u32_e32 v22, vcc, s26, v41
	v_addc_co_u32_e32 v23, vcc, v42, v19, vcc
	v_cmp_gt_u64_e64 s[6:7], s[20:21], v[22:23]
	v_mov_b32_e32 v22, 0
	v_mov_b32_e32 v26, 0
	;; [unrolled: 1-line block ×3, first 2 shown]
	s_and_saveexec_b64 s[8:9], s[6:7]
	s_cbranch_execz .LBB57_405
; %bb.404:                              ;   in Loop: Header=BB57_401 Depth=1
	v_mov_b32_e32 v19, s17
	v_add_co_u32_e32 v26, vcc, s16, v14
	v_addc_co_u32_e32 v27, vcc, v13, v19, vcc
	global_load_dwordx2 v[26:27], v[26:27], off
.LBB57_405:                             ;   in Loop: Header=BB57_401 Depth=1
	s_or_b64 exec, exec, s[8:9]
	v_mov_b32_e32 v19, s27
	v_add_co_u32_e32 v28, vcc, s26, v39
	v_addc_co_u32_e32 v29, vcc, v40, v19, vcc
	v_cmp_gt_u64_e64 s[8:9], s[20:21], v[28:29]
	v_mov_b32_e32 v23, 0
	s_and_saveexec_b64 s[10:11], s[8:9]
	s_cbranch_execz .LBB57_407
; %bb.406:                              ;   in Loop: Header=BB57_401 Depth=1
	v_mov_b32_e32 v19, s17
	v_add_co_u32_e32 v22, vcc, s16, v10
	v_addc_co_u32_e32 v23, vcc, v9, v19, vcc
	global_load_dwordx2 v[22:23], v[22:23], off
.LBB57_407:                             ;   in Loop: Header=BB57_401 Depth=1
	s_or_b64 exec, exec, s[10:11]
	v_mov_b32_e32 v19, s27
	v_add_co_u32_e32 v28, vcc, s26, v17
	v_addc_co_u32_e32 v29, vcc, v38, v19, vcc
	v_cmp_gt_u64_e64 s[10:11], s[20:21], v[28:29]
	v_mov_b32_e32 v28, 0
	v_mov_b32_e32 v29, 0
	s_and_saveexec_b64 s[12:13], s[10:11]
	s_cbranch_execz .LBB57_409
; %bb.408:                              ;   in Loop: Header=BB57_401 Depth=1
	v_mov_b32_e32 v19, s17
	v_add_co_u32_e32 v28, vcc, s16, v6
	v_addc_co_u32_e32 v29, vcc, v5, v19, vcc
	global_load_dwordx2 v[28:29], v[28:29], off
.LBB57_409:                             ;   in Loop: Header=BB57_401 Depth=1
	s_or_b64 exec, exec, s[12:13]
	s_waitcnt vmcnt(0)
	v_cmp_o_f32_e32 vcc, v25, v25
	v_cmp_o_f32_e64 s[12:13], v24, v24
	s_and_b64 s[12:13], vcc, s[12:13]
	s_and_saveexec_b64 s[14:15], s[12:13]
	s_xor_b64 s[34:35], exec, s[14:15]
	s_cbranch_execz .LBB57_493
; %bb.410:                              ;   in Loop: Header=BB57_401 Depth=1
	v_max_f32_e64 v30, |v24|, |v24|
	v_max_f32_e64 v19, |v25|, |v25|
	s_waitcnt lgkmcnt(0)
	v_max_f32_e32 v21, v19, v30
	v_cmp_nlt_f32_e32 vcc, s55, v21
	s_and_saveexec_b64 s[12:13], vcc
	s_xor_b64 s[14:15], exec, s[12:13]
	s_cbranch_execz .LBB57_470
; %bb.411:                              ;   in Loop: Header=BB57_401 Depth=1
	v_cmp_neq_f32_e32 vcc, 0, v25
	v_cmp_neq_f32_e64 s[12:13], 0, v24
	s_or_b64 s[12:13], vcc, s[12:13]
	s_and_saveexec_b64 s[36:37], s[12:13]
	s_cbranch_execz .LBB57_469
; %bb.412:                              ;   in Loop: Header=BB57_401 Depth=1
	v_pk_mov_b32 v[30:31], s[22:23], s[22:23] op_sel:[0,1]
	flat_store_dword v[30:31], v43
	s_waitcnt vmcnt(0)
	flat_load_dword v21, v[30:31] glc
	s_waitcnt vmcnt(0)
	v_pk_mov_b32 v[30:31], s[24:25], s[24:25] op_sel:[0,1]
	v_cmp_nlt_f32_e64 s[12:13], |v25|, s56
	v_cmp_nlt_f32_e64 s[38:39], |v24|, s56
	s_or_b64 s[12:13], s[12:13], s[38:39]
	s_waitcnt lgkmcnt(0)
	v_add_f32_e32 v21, 1.0, v21
	flat_store_dword v[30:31], v21
	s_waitcnt vmcnt(0)
	flat_load_dword v21, v[30:31] glc
	s_waitcnt vmcnt(0)
	s_and_saveexec_b64 s[38:39], s[12:13]
	s_cbranch_execz .LBB57_468
; %bb.413:                              ;   in Loop: Header=BB57_401 Depth=1
	v_and_b32_e32 v30, 0x7fffffff, v24
	v_pk_add_f32 v[34:35], v[30:31], s[28:29] op_sel_hi:[0,1]
	s_waitcnt lgkmcnt(0)
	v_max_f32_e64 v21, v19, |v35|
	v_max_f32_e64 v19, v19, |v34|
	v_cvt_f64_f32_e32 v[32:33], v19
	v_frexp_exp_i32_f64_e32 v31, v[32:33]
	v_sub_u32_e32 v32, 0, v31
	v_ldexp_f32 v33, |v25|, v32
	v_ldexp_f32 v32, |v34|, v32
	v_mul_f32_e32 v32, v32, v32
	v_fmac_f32_e32 v32, v33, v33
	v_sqrt_f32_e32 v36, v32
	v_cvt_f64_f32_e32 v[32:33], v21
	v_frexp_exp_i32_f64_e32 v32, v[32:33]
	v_sub_u32_e32 v33, 0, v32
	v_ldexp_f32 v37, |v25|, v33
	v_ldexp_f32 v33, |v35|, v33
	v_mul_f32_e32 v33, v33, v33
	v_fmac_f32_e32 v33, v37, v37
	v_sqrt_f32_e32 v33, v33
	v_ldexp_f32 v36, v36, v31
	v_cmp_neq_f32_e32 vcc, s58, v21
	v_ldexp_f32 v31, v33, v32
	v_cndmask_b32_e32 v31, v56, v31, vcc
	v_cmp_neq_f32_e32 vcc, s58, v19
	v_cndmask_b32_e32 v64, v56, v36, vcc
	v_add_f32_e32 v19, v64, v31
	v_mul_f32_e32 v19, 0.5, v19
	v_cmp_ngt_f32_e32 vcc, 1.0, v19
	v_cndmask_b32_e32 v32, 1.0, v19, vcc
	v_cmp_ngt_f32_e32 vcc, s59, v32
                                        ; implicit-def: $vgpr19
	s_and_saveexec_b64 s[12:13], vcc
	s_xor_b64 s[40:41], exec, s[12:13]
	s_cbranch_execz .LBB57_415
; %bb.414:                              ;   in Loop: Header=BB57_401 Depth=1
	v_fma_f32 v19, v32, v32, -1.0
	v_mul_f32_e32 v21, 0x4f800000, v19
	v_cmp_gt_f32_e32 vcc, s60, v19
	v_cndmask_b32_e32 v19, v19, v21, vcc
	v_sqrt_f32_e32 v21, v19
	v_add_u32_e32 v33, -1, v21
	v_fma_f32 v37, -v33, v21, v19
	v_add_u32_e32 v36, 1, v21
	v_cmp_ge_f32_e64 s[12:13], 0, v37
	v_cndmask_b32_e64 v33, v21, v33, s[12:13]
	v_fma_f32 v21, -v36, v21, v19
	v_cmp_lt_f32_e64 s[12:13], 0, v21
	v_cndmask_b32_e64 v21, v33, v36, s[12:13]
	v_mul_f32_e32 v33, 0x37800000, v21
	v_cndmask_b32_e32 v21, v21, v33, vcc
	v_cmp_class_f32_e32 vcc, v19, v44
	v_cndmask_b32_e32 v19, v21, v19, vcc
	v_add_f32_e32 v19, v32, v19
	v_cmp_gt_f32_e32 vcc, s62, v19
	v_cndmask_b32_e32 v21, 1.0, v57, vcc
	v_mul_f32_e32 v19, v19, v21
	v_log_f32_e32 v19, v19
	v_mul_f32_e32 v21, 0x3f317217, v19
	v_fma_f32 v33, v19, s63, -v21
	v_fmac_f32_e32 v33, 0x3377d1cf, v19
	v_add_f32_e32 v21, v21, v33
	v_cmp_lt_f32_e64 s[12:13], |v19|, s58
	v_cndmask_b32_e64 v19, v19, v21, s[12:13]
	v_cndmask_b32_e32 v21, 0, v58, vcc
	v_sub_f32_e32 v19, v19, v21
.LBB57_415:                             ;   in Loop: Header=BB57_401 Depth=1
	s_or_saveexec_b64 s[40:41], s[40:41]
	v_and_b32_e32 v37, 0x7fffffff, v25
	v_and_b32_e32 v65, 0x7fffffff, v35
	s_xor_b64 exec, exec, s[40:41]
	s_cbranch_execz .LBB57_437
; %bb.416:                              ;   in Loop: Header=BB57_401 Depth=1
	v_cmp_neq_f32_e64 s[12:13], |v24|, 1.0
	v_cmp_nlt_f32_e64 s[42:43], |v25|, s64
	s_or_b64 s[12:13], s[42:43], s[12:13]
                                        ; implicit-def: $vgpr19
	s_and_saveexec_b64 s[42:43], s[12:13]
	s_xor_b64 s[42:43], exec, s[42:43]
	s_cbranch_execz .LBB57_434
; %bb.417:                              ;   in Loop: Header=BB57_401 Depth=1
	v_mul_f32_e32 v19, 0x34000000, v65
	v_cmp_le_f32_e64 s[12:13], v19, |v25|
                                        ; implicit-def: $vgpr19
	s_and_saveexec_b64 s[44:45], s[12:13]
	s_xor_b64 s[44:45], exec, s[44:45]
	s_cbranch_execz .LBB57_427
; %bb.418:                              ;   in Loop: Header=BB57_401 Depth=1
	v_cmp_neq_f32_e32 vcc, 0, v34
	v_mov_b32_e32 v19, v37
	s_and_saveexec_b64 s[12:13], vcc
	s_cbranch_execz .LBB57_420
; %bb.419:                              ;   in Loop: Header=BB57_401 Depth=1
	v_mul_f32_e32 v19, v25, v25
	v_add_f32_e32 v21, v34, v64
	v_div_scale_f32 v33, s[46:47], v21, v21, v19
	v_rcp_f32_e32 v36, v33
	v_fma_f32 v66, -v33, v36, 1.0
	v_fmac_f32_e32 v36, v66, v36
	v_div_scale_f32 v66, vcc, v19, v21, v19
	v_mul_f32_e32 v67, v66, v36
	v_fma_f32 v68, -v33, v67, v66
	v_fmac_f32_e32 v67, v68, v36
	v_fma_f32 v33, -v33, v67, v66
	v_div_fmas_f32 v33, v33, v36, v67
	v_div_fixup_f32 v19, v33, v21, v19
.LBB57_420:                             ;   in Loop: Header=BB57_401 Depth=1
	s_or_b64 exec, exec, s[12:13]
	v_sub_f32_e64 v33, 1.0, |v24|
	v_cmp_ngt_f32_e32 vcc, 0, v33
                                        ; implicit-def: $vgpr21
	s_and_saveexec_b64 s[12:13], vcc
	s_xor_b64 s[12:13], exec, s[12:13]
	s_cbranch_execz .LBB57_424
; %bb.421:                              ;   in Loop: Header=BB57_401 Depth=1
	v_cmp_neq_f32_e32 vcc, 0, v33
	v_mov_b32_e32 v21, v37
	s_and_saveexec_b64 s[46:47], vcc
	s_cbranch_execz .LBB57_423
; %bb.422:                              ;   in Loop: Header=BB57_401 Depth=1
	v_mul_f32_e32 v21, v25, v25
	v_add_f32_e32 v33, v33, v31
	v_div_scale_f32 v36, s[48:49], v33, v33, v21
	v_rcp_f32_e32 v66, v36
	v_fma_f32 v67, -v36, v66, 1.0
	v_fmac_f32_e32 v66, v67, v66
	v_div_scale_f32 v67, vcc, v21, v33, v21
	v_mul_f32_e32 v68, v67, v66
	v_fma_f32 v69, -v36, v68, v67
	v_fmac_f32_e32 v68, v69, v66
	v_fma_f32 v36, -v36, v68, v67
	v_div_fmas_f32 v36, v36, v66, v68
	v_div_fixup_f32 v21, v36, v33, v21
.LBB57_423:                             ;   in Loop: Header=BB57_401 Depth=1
	s_or_b64 exec, exec, s[46:47]
                                        ; implicit-def: $vgpr33
.LBB57_424:                             ;   in Loop: Header=BB57_401 Depth=1
	s_andn2_saveexec_b64 s[12:13], s[12:13]
; %bb.425:                              ;   in Loop: Header=BB57_401 Depth=1
	v_sub_f32_e32 v21, v31, v33
; %bb.426:                              ;   in Loop: Header=BB57_401 Depth=1
	s_or_b64 exec, exec, s[12:13]
	v_mul_f32_e32 v33, 0.5, v19
	v_mul_f32_e32 v19, 0.5, v21
	v_pk_add_f32 v[66:67], v[32:33], v[18:19]
	v_mul_f32_e32 v19, v66, v67
	v_mul_f32_e32 v21, 0x4f800000, v19
	v_cmp_gt_f32_e32 vcc, s60, v19
	v_cndmask_b32_e32 v19, v19, v21, vcc
	v_sqrt_f32_e32 v21, v19
	v_add_u32_e32 v33, -1, v21
	v_fma_f32 v66, -v33, v21, v19
	v_add_u32_e32 v36, 1, v21
	v_cmp_ge_f32_e64 s[12:13], 0, v66
	v_cndmask_b32_e64 v33, v21, v33, s[12:13]
	v_fma_f32 v21, -v36, v21, v19
	v_cmp_lt_f32_e64 s[12:13], 0, v21
	v_cndmask_b32_e64 v21, v33, v36, s[12:13]
	v_mul_f32_e32 v33, 0x37800000, v21
	v_cndmask_b32_e32 v21, v21, v33, vcc
	v_cmp_class_f32_e32 vcc, v19, v44
	v_cndmask_b32_e32 v19, v21, v19, vcc
	v_add_f32_e32 v66, v67, v19
	v_add_f32_e32 v69, 1.0, v66
	v_add_f32_e32 v67, -1.0, v69
	v_mov_b32_e32 v68, v67
	v_pk_add_f32 v[70:71], v[66:67], v[68:69] neg_lo:[0,1] neg_hi:[0,1]
	v_add_f32_e32 v19, 1.0, v71
	v_add_f32_e32 v19, v70, v19
	v_frexp_mant_f32_e32 v21, v69
	v_cvt_f64_f32_e32 v[70:71], v69
	v_frexp_exp_i32_f64_e32 v33, v[70:71]
	v_cmp_gt_f32_e32 vcc, s65, v21
	v_subbrev_co_u32_e32 v33, vcc, 0, v33, vcc
	v_sub_u32_e32 v21, 0, v33
	v_ldexp_f32 v36, v69, v21
	v_ldexp_f32 v19, v19, v21
	v_add_f32_e32 v21, -1.0, v36
	v_add_f32_e32 v68, 1.0, v36
	v_add_f32_e32 v67, 1.0, v21
	v_add_f32_e32 v69, -1.0, v68
	v_sub_f32_e32 v67, v36, v67
	v_sub_f32_e32 v36, v36, v69
	v_add_f32_e32 v67, v19, v67
	v_add_f32_e32 v19, v19, v36
	;; [unrolled: 1-line block ×3, first 2 shown]
	v_rcp_f32_e32 v76, v36
	v_add_f32_e32 v69, v21, v67
	v_sub_f32_e32 v21, v69, v21
	v_sub_f32_e32 v21, v67, v21
	v_mul_f32_e32 v67, v69, v76
	v_sub_f32_e32 v68, v36, v68
	v_mul_f32_e32 v70, v36, v67
	v_sub_f32_e32 v19, v19, v68
	v_fma_f32 v72, v67, v36, -v70
	v_fmac_f32_e32 v72, v67, v19
	v_add_f32_e32 v68, v70, v72
	v_sub_f32_e32 v71, v69, v68
	v_pk_add_f32 v[74:75], v[68:69], v[70:71] neg_lo:[0,1] neg_hi:[0,1]
	v_mov_b32_e32 v73, v68
	v_pk_add_f32 v[68:69], v[74:75], v[72:73] neg_lo:[0,1] neg_hi:[0,1]
	v_add_f32_e32 v21, v21, v69
	v_add_f32_e32 v21, v68, v21
	;; [unrolled: 1-line block ×3, first 2 shown]
	v_mul_f32_e32 v77, v76, v69
	v_mul_f32_e32 v70, v36, v77
	v_fma_f32 v72, v77, v36, -v70
	v_fmac_f32_e32 v72, v77, v19
	v_add_f32_e32 v68, v70, v72
	v_sub_f32_e32 v19, v71, v69
	v_sub_f32_e32 v71, v69, v68
	v_pk_add_f32 v[74:75], v[68:69], v[70:71] neg_lo:[0,1] neg_hi:[0,1]
	v_mov_b32_e32 v73, v68
	v_add_f32_e32 v19, v21, v19
	v_pk_add_f32 v[68:69], v[74:75], v[72:73] neg_lo:[0,1] neg_hi:[0,1]
	v_add_f32_e32 v19, v19, v69
	v_add_f32_e32 v19, v68, v19
	;; [unrolled: 1-line block ×4, first 2 shown]
	v_sub_f32_e32 v21, v36, v67
	v_mul_f32_e32 v19, v76, v19
	v_sub_f32_e32 v21, v77, v21
	v_add_f32_e32 v19, v21, v19
	v_add_f32_e32 v67, v36, v19
	v_cvt_f32_i32_e32 v68, v33
	v_mul_f32_e32 v69, v67, v67
	v_mov_b32_e32 v21, 0x3ecc95a3
	v_fmac_f32_e32 v21, 0x3e9b6dac, v69
	v_fma_f32 v21, v69, v21, v45
	v_mul_f32_e32 v69, v67, v69
	v_pk_mul_f32 v[72:73], v[68:69], v[20:21]
	v_fma_f32 v70, v68, s66, -v72
	v_ldexp_f32 v71, v67, 1
	v_fmac_f32_e32 v70, 0xb102e308, v68
	v_sub_f32_e32 v33, v67, v36
	v_pk_add_f32 v[68:69], v[72:73], v[70:71]
	v_sub_f32_e32 v19, v19, v33
	v_sub_f32_e32 v21, v69, v71
	v_ldexp_f32 v19, v19, 1
	v_sub_f32_e32 v21, v73, v21
	v_add_f32_e32 v75, v19, v21
	v_mov_b32_e32 v74, v72
	v_pk_add_f32 v[72:73], v[68:69], v[72:73] neg_lo:[0,1] neg_hi:[0,1]
	v_pk_add_f32 v[76:77], v[68:69], v[74:75]
	v_mov_b32_e32 v73, v77
	v_mov_b32_e32 v71, v68
	v_pk_add_f32 v[78:79], v[70:71], v[72:73] neg_lo:[0,1] neg_hi:[0,1]
	v_pk_add_f32 v[70:71], v[70:71], v[72:73]
	v_mov_b32_e32 v36, v71
	v_pk_add_f32 v[72:73], v[36:37], v[68:69] neg_lo:[0,1] neg_hi:[0,1]
	v_mov_b32_e32 v19, v72
	v_pk_add_f32 v[80:81], v[76:77], v[18:19] neg_lo:[0,1] neg_hi:[0,1]
	v_mov_b32_e32 v70, v77
	v_mov_b32_e32 v76, v69
	;; [unrolled: 1-line block ×4, first 2 shown]
	v_pk_add_f32 v[70:71], v[70:71], v[76:77] neg_lo:[0,1] neg_hi:[0,1]
	v_mov_b32_e32 v72, v75
	v_mov_b32_e32 v73, v68
	v_pk_add_f32 v[68:69], v[72:73], v[70:71] neg_lo:[0,1] neg_hi:[0,1]
	v_mov_b32_e32 v80, v78
	v_pk_add_f32 v[70:71], v[80:81], v[68:69]
	v_mov_b32_e32 v72, v71
	v_pk_add_f32 v[72:73], v[70:71], v[72:73]
	v_pk_add_f32 v[74:75], v[36:37], v[72:73]
	v_mov_b32_e32 v71, v74
	v_pk_add_f32 v[76:77], v[70:71], v[78:79] neg_lo:[0,1] neg_hi:[0,1]
	v_mov_b32_e32 v69, v72
	v_sub_f32_e32 v19, v70, v76
	v_pk_add_f32 v[68:69], v[68:69], v[76:77] neg_lo:[0,1] neg_hi:[0,1]
	v_sub_f32_e32 v19, v78, v19
	v_add_f32_e32 v19, v68, v19
	v_add_f32_e32 v19, v19, v69
	;; [unrolled: 1-line block ×3, first 2 shown]
	v_cmp_eq_f32_e32 vcc, s58, v66
	v_cndmask_b32_e32 v19, v19, v66, vcc
	v_cmp_ngt_f32_e32 vcc, -1.0, v66
	v_cndmask_b32_e32 v19, v59, v19, vcc
	v_cmp_neq_f32_e32 vcc, -1.0, v66
	v_cndmask_b32_e32 v19, v60, v19, vcc
	v_cmp_lt_f32_e64 vcc, |v66|, s67
	v_cndmask_b32_e32 v19, v19, v66, vcc
.LBB57_427:                             ;   in Loop: Header=BB57_401 Depth=1
	s_andn2_saveexec_b64 s[44:45], s[44:45]
	s_cbranch_execz .LBB57_433
; %bb.428:                              ;   in Loop: Header=BB57_401 Depth=1
	v_cmp_nlt_f32_e64 s[12:13], |v24|, 1.0
                                        ; implicit-def: $vgpr19
	s_and_saveexec_b64 s[46:47], s[12:13]
	s_xor_b64 s[46:47], exec, s[46:47]
	s_cbranch_execz .LBB57_430
; %bb.429:                              ;   in Loop: Header=BB57_401 Depth=1
	v_mul_f32_e32 v19, v35, v34
	v_mul_f32_e32 v21, 0x4f800000, v19
	v_cmp_gt_f32_e32 vcc, s60, v19
	v_cndmask_b32_e32 v19, v19, v21, vcc
	v_sqrt_f32_e32 v21, v19
	v_add_u32_e32 v33, -1, v21
	v_fma_f32 v66, -v33, v21, v19
	v_add_u32_e32 v36, 1, v21
	v_cmp_ge_f32_e64 s[12:13], 0, v66
	v_cndmask_b32_e64 v33, v21, v33, s[12:13]
	v_fma_f32 v21, -v36, v21, v19
	v_cmp_lt_f32_e64 s[12:13], 0, v21
	v_cndmask_b32_e64 v21, v33, v36, s[12:13]
	v_mul_f32_e32 v33, 0x37800000, v21
	v_cndmask_b32_e32 v21, v21, v33, vcc
	v_cmp_class_f32_e32 vcc, v19, v44
	v_cndmask_b32_e32 v19, v21, v19, vcc
	v_add_f32_e32 v66, v35, v19
	v_add_f32_e32 v69, 1.0, v66
	v_add_f32_e32 v67, -1.0, v69
	v_mov_b32_e32 v68, v67
	v_pk_add_f32 v[70:71], v[66:67], v[68:69] neg_lo:[0,1] neg_hi:[0,1]
	v_add_f32_e32 v19, 1.0, v71
	v_add_f32_e32 v19, v70, v19
	v_frexp_mant_f32_e32 v21, v69
	v_cvt_f64_f32_e32 v[70:71], v69
	v_frexp_exp_i32_f64_e32 v33, v[70:71]
	v_cmp_gt_f32_e32 vcc, s65, v21
	v_subbrev_co_u32_e32 v33, vcc, 0, v33, vcc
	v_sub_u32_e32 v21, 0, v33
	v_ldexp_f32 v36, v69, v21
	v_ldexp_f32 v19, v19, v21
	v_add_f32_e32 v21, -1.0, v36
	v_add_f32_e32 v68, 1.0, v36
	v_add_f32_e32 v67, 1.0, v21
	v_add_f32_e32 v69, -1.0, v68
	v_sub_f32_e32 v67, v36, v67
	v_sub_f32_e32 v36, v36, v69
	v_add_f32_e32 v67, v19, v67
	v_add_f32_e32 v19, v19, v36
	v_add_f32_e32 v36, v68, v19
	v_rcp_f32_e32 v76, v36
	v_add_f32_e32 v69, v21, v67
	v_sub_f32_e32 v21, v69, v21
	v_sub_f32_e32 v21, v67, v21
	v_mul_f32_e32 v67, v69, v76
	v_sub_f32_e32 v68, v36, v68
	v_mul_f32_e32 v70, v36, v67
	v_sub_f32_e32 v19, v19, v68
	v_fma_f32 v72, v67, v36, -v70
	v_fmac_f32_e32 v72, v67, v19
	v_add_f32_e32 v68, v70, v72
	v_sub_f32_e32 v71, v69, v68
	v_pk_add_f32 v[74:75], v[68:69], v[70:71] neg_lo:[0,1] neg_hi:[0,1]
	v_mov_b32_e32 v73, v68
	v_pk_add_f32 v[68:69], v[74:75], v[72:73] neg_lo:[0,1] neg_hi:[0,1]
	v_add_f32_e32 v21, v21, v69
	v_add_f32_e32 v21, v68, v21
	;; [unrolled: 1-line block ×3, first 2 shown]
	v_mul_f32_e32 v77, v76, v69
	v_mul_f32_e32 v70, v36, v77
	v_fma_f32 v72, v77, v36, -v70
	v_fmac_f32_e32 v72, v77, v19
	v_add_f32_e32 v68, v70, v72
	v_sub_f32_e32 v19, v71, v69
	v_sub_f32_e32 v71, v69, v68
	v_pk_add_f32 v[74:75], v[68:69], v[70:71] neg_lo:[0,1] neg_hi:[0,1]
	v_mov_b32_e32 v73, v68
	v_add_f32_e32 v19, v21, v19
	v_pk_add_f32 v[68:69], v[74:75], v[72:73] neg_lo:[0,1] neg_hi:[0,1]
	v_add_f32_e32 v19, v19, v69
	v_add_f32_e32 v19, v68, v19
	;; [unrolled: 1-line block ×4, first 2 shown]
	v_sub_f32_e32 v21, v36, v67
	v_mul_f32_e32 v19, v76, v19
	v_sub_f32_e32 v21, v77, v21
	v_add_f32_e32 v19, v21, v19
	v_add_f32_e32 v67, v36, v19
	v_cvt_f32_i32_e32 v68, v33
	v_mul_f32_e32 v69, v67, v67
	v_mov_b32_e32 v21, 0x3ecc95a3
	v_fmac_f32_e32 v21, 0x3e9b6dac, v69
	v_fma_f32 v21, v69, v21, v45
	v_mul_f32_e32 v69, v67, v69
	v_pk_mul_f32 v[72:73], v[68:69], v[20:21]
	v_fma_f32 v70, v68, s66, -v72
	v_ldexp_f32 v71, v67, 1
	v_fmac_f32_e32 v70, 0xb102e308, v68
	v_sub_f32_e32 v33, v67, v36
	v_pk_add_f32 v[68:69], v[72:73], v[70:71]
	v_sub_f32_e32 v19, v19, v33
	v_sub_f32_e32 v21, v69, v71
	v_ldexp_f32 v19, v19, 1
	v_sub_f32_e32 v21, v73, v21
	v_add_f32_e32 v75, v19, v21
	v_mov_b32_e32 v74, v72
	v_pk_add_f32 v[72:73], v[68:69], v[72:73] neg_lo:[0,1] neg_hi:[0,1]
	v_pk_add_f32 v[76:77], v[68:69], v[74:75]
	v_mov_b32_e32 v73, v77
	v_mov_b32_e32 v71, v68
	v_pk_add_f32 v[78:79], v[70:71], v[72:73] neg_lo:[0,1] neg_hi:[0,1]
	v_pk_add_f32 v[70:71], v[70:71], v[72:73]
	v_mov_b32_e32 v36, v71
	v_pk_add_f32 v[72:73], v[36:37], v[68:69] neg_lo:[0,1] neg_hi:[0,1]
	v_mov_b32_e32 v19, v72
	v_pk_add_f32 v[80:81], v[76:77], v[18:19] neg_lo:[0,1] neg_hi:[0,1]
	v_mov_b32_e32 v70, v77
	v_mov_b32_e32 v76, v69
	;; [unrolled: 1-line block ×4, first 2 shown]
	v_pk_add_f32 v[70:71], v[70:71], v[76:77] neg_lo:[0,1] neg_hi:[0,1]
	v_mov_b32_e32 v72, v75
	v_mov_b32_e32 v73, v68
	v_pk_add_f32 v[68:69], v[72:73], v[70:71] neg_lo:[0,1] neg_hi:[0,1]
	v_mov_b32_e32 v80, v78
	v_pk_add_f32 v[70:71], v[80:81], v[68:69]
	v_mov_b32_e32 v72, v71
	v_pk_add_f32 v[72:73], v[70:71], v[72:73]
	v_pk_add_f32 v[74:75], v[36:37], v[72:73]
	v_mov_b32_e32 v71, v74
	v_pk_add_f32 v[76:77], v[70:71], v[78:79] neg_lo:[0,1] neg_hi:[0,1]
	v_mov_b32_e32 v69, v72
	v_sub_f32_e32 v19, v70, v76
	v_pk_add_f32 v[68:69], v[68:69], v[76:77] neg_lo:[0,1] neg_hi:[0,1]
	v_sub_f32_e32 v19, v78, v19
	v_add_f32_e32 v19, v68, v19
	v_add_f32_e32 v19, v19, v69
	;; [unrolled: 1-line block ×3, first 2 shown]
	v_cmp_eq_f32_e32 vcc, s58, v66
	v_cndmask_b32_e32 v19, v19, v66, vcc
	v_cmp_ngt_f32_e32 vcc, -1.0, v66
	v_cndmask_b32_e32 v19, v59, v19, vcc
	v_cmp_neq_f32_e32 vcc, -1.0, v66
	v_cndmask_b32_e32 v19, v60, v19, vcc
	v_cmp_lt_f32_e64 vcc, |v66|, s67
	v_cndmask_b32_e32 v19, v19, v66, vcc
.LBB57_430:                             ;   in Loop: Header=BB57_401 Depth=1
	s_andn2_saveexec_b64 s[46:47], s[46:47]
	s_cbranch_execz .LBB57_432
; %bb.431:                              ;   in Loop: Header=BB57_401 Depth=1
	v_sub_f32_e64 v19, 1.0, |v24|
	v_mul_f32_e32 v19, v19, v34
	v_mul_f32_e32 v21, 0x4f800000, v19
	v_cmp_gt_f32_e32 vcc, s60, v19
	v_cndmask_b32_e32 v19, v19, v21, vcc
	v_sqrt_f32_e32 v21, v19
	v_add_u32_e32 v33, -1, v21
	v_fma_f32 v66, -v33, v21, v19
	v_add_u32_e32 v36, 1, v21
	v_cmp_ge_f32_e64 s[12:13], 0, v66
	v_cndmask_b32_e64 v33, v21, v33, s[12:13]
	v_fma_f32 v21, -v36, v21, v19
	v_cmp_lt_f32_e64 s[12:13], 0, v21
	v_cndmask_b32_e64 v21, v33, v36, s[12:13]
	v_mul_f32_e32 v33, 0x37800000, v21
	v_cndmask_b32_e32 v21, v21, v33, vcc
	v_cmp_class_f32_e32 vcc, v19, v44
	v_cndmask_b32_e32 v19, v21, v19, vcc
	v_and_b32_e32 v21, 0x7fffffff, v25
	v_div_scale_f32 v33, s[12:13], v19, v19, v21
	v_rcp_f32_e32 v36, v33
	v_div_scale_f32 v21, vcc, v21, v19, v21
	v_fma_f32 v66, -v33, v36, 1.0
	v_fmac_f32_e32 v36, v66, v36
	v_mul_f32_e32 v66, v21, v36
	v_fma_f32 v67, -v33, v66, v21
	v_fmac_f32_e32 v66, v67, v36
	v_fma_f32 v21, -v33, v66, v21
	v_div_fmas_f32 v21, v21, v36, v66
	v_div_fixup_f32 v19, v21, v19, |v25|
.LBB57_432:                             ;   in Loop: Header=BB57_401 Depth=1
	s_or_b64 exec, exec, s[46:47]
.LBB57_433:                             ;   in Loop: Header=BB57_401 Depth=1
	s_or_b64 exec, exec, s[44:45]
.LBB57_434:                             ;   in Loop: Header=BB57_401 Depth=1
	s_andn2_saveexec_b64 s[42:43], s[42:43]
	s_cbranch_execz .LBB57_436
; %bb.435:                              ;   in Loop: Header=BB57_401 Depth=1
	v_mul_f32_e64 v19, |v25|, s61
	v_cmp_lt_f32_e64 vcc, |v25|, s60
	v_cndmask_b32_e64 v19, |v25|, v19, vcc
	v_sqrt_f32_e32 v21, v19
	v_add_u32_e32 v33, -1, v21
	v_fma_f32 v66, -v33, v21, v19
	v_add_u32_e32 v36, 1, v21
	v_cmp_ge_f32_e64 s[12:13], 0, v66
	v_cndmask_b32_e64 v33, v21, v33, s[12:13]
	v_fma_f32 v21, -v36, v21, v19
	v_cmp_lt_f32_e64 s[12:13], 0, v21
	v_cndmask_b32_e64 v21, v33, v36, s[12:13]
	v_mul_f32_e32 v33, 0x37800000, v21
	v_cndmask_b32_e32 v21, v21, v33, vcc
	v_cmp_class_f32_e32 vcc, v19, v44
	v_cndmask_b32_e32 v19, v21, v19, vcc
.LBB57_436:                             ;   in Loop: Header=BB57_401 Depth=1
	s_or_b64 exec, exec, s[42:43]
.LBB57_437:                             ;   in Loop: Header=BB57_401 Depth=1
	s_or_b64 exec, exec, s[40:41]
	v_cmp_nlt_f32_e64 s[40:41], |v24|, s68
                                        ; implicit-def: $sgpr12_sgpr13
                                        ; implicit-def: $vgpr36
                                        ; implicit-def: $vgpr21
	s_and_saveexec_b64 s[42:43], s[40:41]
	s_xor_b64 s[40:41], exec, s[42:43]
	s_cbranch_execz .LBB57_461
; %bb.438:                              ;   in Loop: Header=BB57_401 Depth=1
	v_div_scale_f32 v21, s[12:13], v32, v32, v30
	v_rcp_f32_e32 v33, v21
	v_div_scale_f32 v36, vcc, v30, v32, v30
	s_mov_b64 s[12:13], 0
	v_fma_f32 v66, -v21, v33, 1.0
	v_fmac_f32_e32 v33, v66, v33
	v_mul_f32_e32 v66, v36, v33
	v_fma_f32 v67, -v21, v66, v36
	v_fmac_f32_e32 v66, v67, v33
	v_fma_f32 v21, -v21, v66, v36
	v_div_fmas_f32 v21, v21, v33, v66
	v_div_fixup_f32 v21, v21, v32, |v24|
	v_cmp_lt_f32_e32 vcc, s69, v21
                                        ; implicit-def: $vgpr36
	s_and_saveexec_b64 s[42:43], vcc
	s_cbranch_execz .LBB57_460
; %bb.439:                              ;   in Loop: Header=BB57_401 Depth=1
	v_cmp_neq_f32_e64 s[12:13], |v24|, 1.0
	v_cmp_nlt_f32_e64 s[44:45], |v25|, s70
	s_or_b64 s[12:13], s[44:45], s[12:13]
                                        ; implicit-def: $sgpr46_sgpr47
                                        ; implicit-def: $vgpr36
	s_and_saveexec_b64 s[44:45], s[12:13]
	s_xor_b64 s[44:45], exec, s[44:45]
	s_cbranch_execz .LBB57_457
; %bb.440:                              ;   in Loop: Header=BB57_401 Depth=1
	v_mul_f32_e32 v33, 0x34000000, v65
	v_cmp_le_f32_e64 s[12:13], v33, |v25|
                                        ; implicit-def: $vgpr36
                                        ; implicit-def: $sgpr46_sgpr47
	s_and_saveexec_b64 s[48:49], s[12:13]
	s_xor_b64 s[48:49], exec, s[48:49]
	s_cbranch_execz .LBB57_450
; %bb.441:                              ;   in Loop: Header=BB57_401 Depth=1
	v_cmp_neq_f32_e32 vcc, 0, v34
	v_mov_b32_e32 v33, v37
	s_and_saveexec_b64 s[12:13], vcc
	s_cbranch_execz .LBB57_443
; %bb.442:                              ;   in Loop: Header=BB57_401 Depth=1
	v_mul_f32_e32 v33, v25, v25
	v_add_f32_e32 v34, v34, v64
	v_div_scale_f32 v36, s[46:47], v34, v34, v33
	v_rcp_f32_e32 v64, v36
	v_fma_f32 v65, -v36, v64, 1.0
	v_fmac_f32_e32 v64, v65, v64
	v_div_scale_f32 v65, vcc, v33, v34, v33
	v_mul_f32_e32 v66, v65, v64
	v_fma_f32 v67, -v36, v66, v65
	v_fmac_f32_e32 v66, v67, v64
	v_fma_f32 v36, -v36, v66, v65
	v_div_fmas_f32 v36, v36, v64, v66
	v_div_fixup_f32 v33, v36, v34, v33
.LBB57_443:                             ;   in Loop: Header=BB57_401 Depth=1
	s_or_b64 exec, exec, s[12:13]
	v_cmp_ngt_f32_e32 vcc, 0, v35
	s_and_saveexec_b64 s[12:13], vcc
	s_xor_b64 s[12:13], exec, s[12:13]
	s_cbranch_execz .LBB57_447
; %bb.444:                              ;   in Loop: Header=BB57_401 Depth=1
	v_cmp_neq_f32_e32 vcc, 0, v35
	s_and_saveexec_b64 s[46:47], vcc
	s_cbranch_execz .LBB57_446
; %bb.445:                              ;   in Loop: Header=BB57_401 Depth=1
	v_mul_f32_e32 v34, v25, v25
	v_add_f32_e32 v31, v35, v31
	v_div_scale_f32 v35, s[50:51], v31, v31, v34
	v_rcp_f32_e32 v36, v35
	v_fma_f32 v37, -v35, v36, 1.0
	v_fmac_f32_e32 v36, v37, v36
	v_div_scale_f32 v37, vcc, v34, v31, v34
	v_mul_f32_e32 v64, v37, v36
	v_fma_f32 v65, -v35, v64, v37
	v_fmac_f32_e32 v64, v65, v36
	v_fma_f32 v35, -v35, v64, v37
	v_div_fmas_f32 v35, v35, v36, v64
	v_div_fixup_f32 v37, v35, v31, v34
.LBB57_446:                             ;   in Loop: Header=BB57_401 Depth=1
	s_or_b64 exec, exec, s[46:47]
                                        ; implicit-def: $vgpr31
                                        ; implicit-def: $vgpr34_vgpr35
.LBB57_447:                             ;   in Loop: Header=BB57_401 Depth=1
	s_andn2_saveexec_b64 s[12:13], s[12:13]
; %bb.448:                              ;   in Loop: Header=BB57_401 Depth=1
	v_sub_f32_e32 v37, v31, v35
; %bb.449:                              ;   in Loop: Header=BB57_401 Depth=1
	s_or_b64 exec, exec, s[12:13]
	v_mul_f32_e32 v31, 0.5, v33
	v_mul_f32_e32 v33, 0.5, v37
	v_pk_add_f32 v[32:33], v[30:31], v[32:33]
	v_mul_f32_e32 v31, v32, v33
	v_mul_f32_e32 v32, 0x4f800000, v31
	v_cmp_gt_f32_e32 vcc, s60, v31
	v_cndmask_b32_e32 v31, v31, v32, vcc
	v_sqrt_f32_e32 v32, v31
	s_mov_b64 s[46:47], -1
	v_add_u32_e32 v33, -1, v32
	v_fma_f32 v34, -v33, v32, v31
	v_cmp_ge_f32_e64 s[12:13], 0, v34
	v_add_u32_e32 v34, 1, v32
	v_cndmask_b32_e64 v33, v32, v33, s[12:13]
	v_fma_f32 v32, -v34, v32, v31
	v_cmp_lt_f32_e64 s[12:13], 0, v32
	v_cndmask_b32_e64 v32, v33, v34, s[12:13]
	v_mul_f32_e32 v33, 0x37800000, v32
	v_cndmask_b32_e32 v32, v32, v33, vcc
	v_cmp_class_f32_e32 vcc, v31, v44
	v_cndmask_b32_e32 v36, v32, v31, vcc
                                        ; implicit-def: $vgpr34_vgpr35
.LBB57_450:                             ;   in Loop: Header=BB57_401 Depth=1
	s_andn2_saveexec_b64 s[48:49], s[48:49]
	s_cbranch_execz .LBB57_456
; %bb.451:                              ;   in Loop: Header=BB57_401 Depth=1
	v_cmp_ngt_f32_e64 s[12:13], |v24|, 1.0
                                        ; implicit-def: $vgpr36
                                        ; implicit-def: $sgpr50_sgpr51
	s_and_saveexec_b64 s[52:53], s[12:13]
	s_xor_b64 s[52:53], exec, s[52:53]
	s_cbranch_execz .LBB57_453
; %bb.452:                              ;   in Loop: Header=BB57_401 Depth=1
	v_sub_f32_e64 v31, 1.0, |v24|
	v_mul_f32_e32 v31, v31, v34
	v_mul_f32_e32 v32, 0x4f800000, v31
	v_cmp_gt_f32_e32 vcc, s60, v31
	v_cndmask_b32_e32 v31, v31, v32, vcc
	v_sqrt_f32_e32 v32, v31
	s_mov_b64 s[50:51], -1
	v_add_u32_e32 v33, -1, v32
	v_fma_f32 v35, -v33, v32, v31
	v_add_u32_e32 v34, 1, v32
	v_cmp_ge_f32_e64 s[12:13], 0, v35
	v_cndmask_b32_e64 v33, v32, v33, s[12:13]
	v_fma_f32 v32, -v34, v32, v31
	v_cmp_lt_f32_e64 s[12:13], 0, v32
	v_cndmask_b32_e64 v32, v33, v34, s[12:13]
	v_mul_f32_e32 v33, 0x37800000, v32
	v_cndmask_b32_e32 v32, v32, v33, vcc
	v_cmp_class_f32_e32 vcc, v31, v44
	v_cndmask_b32_e32 v36, v32, v31, vcc
                                        ; implicit-def: $vgpr34_vgpr35
.LBB57_453:                             ;   in Loop: Header=BB57_401 Depth=1
	s_andn2_saveexec_b64 s[52:53], s[52:53]
	s_cbranch_execz .LBB57_455
; %bb.454:                              ;   in Loop: Header=BB57_401 Depth=1
	v_mul_f32_e32 v30, v34, v35
	v_mul_f32_e32 v31, 0x4f800000, v30
	v_cmp_gt_f32_e32 vcc, s60, v30
	v_cndmask_b32_e32 v30, v30, v31, vcc
	v_sqrt_f32_e32 v31, v30
	v_mul_f32_e64 v32, |v25|, s71
	v_mul_f32_e64 v32, |v24|, v32
	s_or_b64 s[50:51], s[50:51], exec
	v_add_u32_e32 v33, -1, v31
	v_fma_f32 v34, -v33, v31, v30
	v_cmp_ge_f32_e64 s[12:13], 0, v34
	v_add_u32_e32 v34, 1, v31
	v_cndmask_b32_e64 v33, v31, v33, s[12:13]
	v_fma_f32 v31, -v34, v31, v30
	v_cmp_lt_f32_e64 s[12:13], 0, v31
	v_cndmask_b32_e64 v31, v33, v34, s[12:13]
	v_mul_f32_e32 v33, 0x37800000, v31
	v_cndmask_b32_e32 v31, v31, v33, vcc
	v_cmp_class_f32_e32 vcc, v30, v44
	v_cndmask_b32_e32 v30, v31, v30, vcc
	v_div_scale_f32 v31, s[12:13], v30, v30, v32
	v_rcp_f32_e32 v33, v31
	v_fma_f32 v34, -v31, v33, 1.0
	v_fmac_f32_e32 v33, v34, v33
	v_div_scale_f32 v34, vcc, v32, v30, v32
	v_mul_f32_e32 v35, v34, v33
	v_fma_f32 v36, -v31, v35, v34
	v_fmac_f32_e32 v35, v36, v33
	v_fma_f32 v31, -v31, v35, v34
	v_div_fmas_f32 v31, v31, v33, v35
	v_div_fixup_f32 v36, v31, v30, v32
	v_mul_f32_e64 v30, |v24|, s71
.LBB57_455:                             ;   in Loop: Header=BB57_401 Depth=1
	s_or_b64 exec, exec, s[52:53]
	s_andn2_b64 s[12:13], s[46:47], exec
	s_and_b64 s[46:47], s[50:51], exec
	s_or_b64 s[46:47], s[12:13], s[46:47]
.LBB57_456:                             ;   in Loop: Header=BB57_401 Depth=1
	s_or_b64 exec, exec, s[48:49]
	s_and_b64 s[46:47], s[46:47], exec
                                        ; implicit-def: $vgpr32
.LBB57_457:                             ;   in Loop: Header=BB57_401 Depth=1
	s_andn2_saveexec_b64 s[44:45], s[44:45]
	s_cbranch_execz .LBB57_459
; %bb.458:                              ;   in Loop: Header=BB57_401 Depth=1
	v_mul_f32_e64 v30, |v25|, s61
	v_cmp_lt_f32_e64 vcc, |v25|, s60
	v_cndmask_b32_e64 v30, |v25|, v30, vcc
	v_sqrt_f32_e32 v31, v30
	v_add_f32_e32 v32, 1.0, v32
	v_mul_f32_e32 v32, 0.5, v32
	s_or_b64 s[46:47], s[46:47], exec
	v_add_u32_e32 v33, -1, v31
	v_fma_f32 v35, -v33, v31, v30
	v_add_u32_e32 v34, 1, v31
	v_cmp_ge_f32_e64 s[12:13], 0, v35
	v_cndmask_b32_e64 v33, v31, v33, s[12:13]
	v_fma_f32 v31, -v34, v31, v30
	v_cmp_lt_f32_e64 s[12:13], 0, v31
	v_cndmask_b32_e64 v31, v33, v34, s[12:13]
	v_mul_f32_e32 v34, 0x4f800000, v32
	v_cmp_gt_f32_e64 s[12:13], s60, v32
	v_cndmask_b32_e64 v32, v32, v34, s[12:13]
	v_sqrt_f32_e32 v34, v32
	v_mul_f32_e32 v33, 0x37800000, v31
	v_cndmask_b32_e32 v31, v31, v33, vcc
	v_cmp_class_f32_e32 vcc, v30, v44
	v_cndmask_b32_e32 v30, v31, v30, vcc
	v_add_u32_e32 v31, -1, v34
	v_fma_f32 v33, -v31, v34, v32
	v_cmp_ge_f32_e32 vcc, 0, v33
	v_add_u32_e32 v33, 1, v34
	v_cndmask_b32_e32 v31, v34, v31, vcc
	v_fma_f32 v34, -v33, v34, v32
	v_cmp_lt_f32_e32 vcc, 0, v34
	v_cndmask_b32_e32 v31, v31, v33, vcc
	v_mul_f32_e32 v33, 0x37800000, v31
	v_cndmask_b32_e64 v31, v31, v33, s[12:13]
	v_cmp_class_f32_e32 vcc, v32, v44
	v_cndmask_b32_e32 v31, v31, v32, vcc
	v_mul_f32_e32 v36, v30, v31
	v_mov_b32_e32 v30, 1.0
.LBB57_459:                             ;   in Loop: Header=BB57_401 Depth=1
	s_or_b64 exec, exec, s[44:45]
	s_and_b64 s[12:13], s[46:47], exec
.LBB57_460:                             ;   in Loop: Header=BB57_401 Depth=1
	s_or_b64 exec, exec, s[42:43]
	s_and_b64 s[12:13], s[12:13], exec
                                        ; implicit-def: $vgpr32
.LBB57_461:                             ;   in Loop: Header=BB57_401 Depth=1
	s_andn2_saveexec_b64 s[40:41], s[40:41]
; %bb.462:                              ;   in Loop: Header=BB57_401 Depth=1
	v_mov_b32_e32 v33, v30
	v_pk_mul_f32 v[36:37], v[32:33], s[30:31] op_sel_hi:[1,0]
	s_or_b64 s[12:13], s[12:13], exec
	v_mov_b32_e32 v30, v37
                                        ; implicit-def: $vgpr21
; %bb.463:                              ;   in Loop: Header=BB57_401 Depth=1
	s_or_b64 exec, exec, s[40:41]
	s_xor_b64 s[12:13], s[12:13], -1
                                        ; implicit-def: $vgpr31
	s_and_saveexec_b64 s[40:41], s[12:13]
	s_xor_b64 s[12:13], exec, s[40:41]
	s_cbranch_execz .LBB57_465
; %bb.464:                              ;   in Loop: Header=BB57_401 Depth=1
	v_fma_f32 v30, |v21|, -0.5, 0.5
	v_mul_f32_e32 v31, v21, v21
	v_cmp_ge_f32_e64 vcc, |v21|, 0.5
	v_cndmask_b32_e32 v30, v31, v30, vcc
	v_mov_b32_e32 v31, 0x3c5fc5da
	v_fmac_f32_e32 v31, 0x3d1c21a7, v30
	v_fma_f32 v31, v30, v31, v46
	v_fma_f32 v31, v30, v31, v47
	v_sqrt_f32_e32 v32, v30
	v_fma_f32 v31, v30, v31, v48
	v_fma_f32 v31, v30, v31, v49
	v_mul_f32_e32 v30, v30, v31
	v_fmac_f32_e32 v32, v32, v30
	v_add_f32_e32 v31, v32, v32
	v_sub_f32_e32 v31, 0x3fc90fdb, v31
	v_fma_f32 v30, |v21|, v30, |v21|
	v_cmp_lt_f32_e64 vcc, |v21|, 0.5
	v_cndmask_b32_e32 v30, v31, v30, vcc
	v_bfi_b32 v31, s57, v30, v21
                                        ; implicit-def: $vgpr30
                                        ; implicit-def: $vgpr36
.LBB57_465:                             ;   in Loop: Header=BB57_401 Depth=1
	s_andn2_saveexec_b64 s[40:41], s[12:13]
	s_cbranch_execz .LBB57_467
; %bb.466:                              ;   in Loop: Header=BB57_401 Depth=1
	v_max_f32_e32 v21, v30, v30
	v_max_f32_e64 v31, |v36|, |v36|
	v_min_f32_e32 v32, v31, v21
	v_max_f32_e32 v21, v31, v21
	v_frexp_mant_f32_e32 v31, v21
	v_rcp_f32_e32 v31, v31
	v_frexp_exp_i32_f32_e32 v21, v21
	v_frexp_exp_i32_f32_e32 v33, v32
	v_frexp_mant_f32_e32 v32, v32
	v_mul_f32_e32 v31, v32, v31
	v_sub_u32_e32 v21, v33, v21
	v_ldexp_f32 v21, v31, v21
	v_mul_f32_e32 v31, v21, v21
	v_mov_b32_e32 v32, 0xbc7a590c
	v_fmac_f32_e32 v32, 0x3b2d2a58, v31
	v_fma_f32 v32, v31, v32, v50
	v_fma_f32 v32, v31, v32, v51
	;; [unrolled: 1-line block ×6, first 2 shown]
	v_mul_f32_e32 v31, v31, v32
	v_fmac_f32_e32 v21, v21, v31
	v_sub_f32_e32 v31, 0x3fc90fdb, v21
	v_cmp_gt_f32_e64 vcc, v30, |v36|
	v_cndmask_b32_e32 v21, v21, v31, vcc
	v_sub_f32_e32 v31, 0x40490fdb, v21
	v_cmp_gt_f32_e32 vcc, 0, v36
	v_cmp_gt_i32_e64 s[12:13], 0, v36
	v_cndmask_b32_e32 v21, v21, v31, vcc
	v_cndmask_b32_e64 v31, 0, v61, s[12:13]
	v_cmp_eq_f32_e64 s[12:13], 0, v30
	v_cndmask_b32_e64 v21, v21, v31, s[12:13]
	v_cndmask_b32_e32 v31, v62, v63, vcc
	v_cmp_class_f32_e64 s[12:13], v36, s72
	v_cmp_eq_f32_e32 vcc, s58, v30
	s_and_b64 vcc, vcc, s[12:13]
	v_cndmask_b32_e32 v21, v21, v31, vcc
	v_cmp_o_f32_e32 vcc, v36, v30
	v_cndmask_b32_e64 v31, v59, |v21|, vcc
.LBB57_467:                             ;   in Loop: Header=BB57_401 Depth=1
	s_or_b64 exec, exec, s[40:41]
	v_bfi_b32 v24, s57, v31, v24
	v_bfi_b32 v25, s57, v19, v25
.LBB57_468:                             ;   in Loop: Header=BB57_401 Depth=1
	s_or_b64 exec, exec, s[38:39]
.LBB57_469:                             ;   in Loop: Header=BB57_401 Depth=1
	s_or_b64 exec, exec, s[36:37]
                                        ; implicit-def: $vgpr19
                                        ; implicit-def: $vgpr30
                                        ; implicit-def: $vgpr21
.LBB57_470:                             ;   in Loop: Header=BB57_401 Depth=1
	s_andn2_saveexec_b64 s[36:37], s[14:15]
	s_cbranch_execz .LBB57_492
; %bb.471:                              ;   in Loop: Header=BB57_401 Depth=1
	v_cmp_lt_i32_e32 vcc, -1, v25
                                        ; implicit-def: $vgpr31
                                        ; implicit-def: $vgpr32
	s_and_saveexec_b64 s[12:13], vcc
	s_xor_b64 s[38:39], exec, s[12:13]
	s_cbranch_execz .LBB57_481
; %bb.472:                              ;   in Loop: Header=BB57_401 Depth=1
	v_cmp_lt_f32_e64 s[12:13], |v25|, |v24|
	v_cndmask_b32_e64 v33, |v25|, |v24|, s[12:13]
	v_cmp_nlt_f32_e32 vcc, s73, v33
                                        ; implicit-def: $vgpr31
                                        ; implicit-def: $vgpr32
	s_and_saveexec_b64 s[14:15], vcc
	s_xor_b64 s[40:41], exec, s[14:15]
	s_cbranch_execz .LBB57_478
; %bb.473:                              ;   in Loop: Header=BB57_401 Depth=1
	v_cndmask_b32_e64 v34, |v24|, |v25|, s[12:13]
	v_cmp_nlt_f32_e32 vcc, s74, v33
	v_cmp_ngt_f32_e64 s[14:15], s75, v34
	s_and_b64 s[14:15], vcc, s[14:15]
                                        ; implicit-def: $vgpr31
                                        ; implicit-def: $vgpr32
	s_and_saveexec_b64 s[42:43], s[14:15]
	s_xor_b64 s[14:15], exec, s[42:43]
	s_cbranch_execz .LBB57_475
; %bb.474:                              ;   in Loop: Header=BB57_401 Depth=1
	v_mul_f32_e32 v31, v34, v34
	v_fmac_f32_e32 v31, v33, v33
	v_cmp_gt_f32_e32 vcc, s62, v31
	v_cndmask_b32_e32 v32, 1.0, v57, vcc
	v_mul_f32_e32 v31, v31, v32
	v_log_f32_e32 v31, v31
	v_min_f32_e32 v19, v19, v30
	s_waitcnt lgkmcnt(0)
	v_frexp_mant_f32_e32 v30, v21
	v_rcp_f32_e32 v30, v30
	v_mul_f32_e32 v33, 0x3f317217, v31
	v_fma_f32 v34, v31, s63, -v33
	v_fmac_f32_e32 v34, 0x3377d1cf, v31
	v_cndmask_b32_e32 v32, 0, v58, vcc
	v_add_f32_e32 v33, v33, v34
	v_cmp_lt_f32_e64 vcc, |v31|, s58
	v_cndmask_b32_e32 v31, v31, v33, vcc
	v_sub_f32_e32 v31, v31, v32
	v_frexp_exp_i32_f32_e32 v21, v21
	v_frexp_exp_i32_f32_e32 v32, v19
	v_frexp_mant_f32_e32 v19, v19
	v_mul_f32_e32 v19, v19, v30
	v_sub_u32_e32 v21, v32, v21
	v_ldexp_f32 v32, v19, v21
	v_mul_f32_e32 v19, v32, v32
	v_mov_b32_e32 v21, 0xbc7a590c
	v_fmac_f32_e32 v21, 0x3b2d2a58, v19
	v_fma_f32 v21, v19, v21, v50
	v_fma_f32 v21, v19, v21, v51
	;; [unrolled: 1-line block ×6, first 2 shown]
	v_mul_f32_e32 v19, v19, v21
	v_mul_f32_e32 v31, 0.5, v31
	v_fmac_f32_e32 v32, v32, v19
                                        ; implicit-def: $vgpr21
                                        ; implicit-def: $vgpr19
                                        ; implicit-def: $vgpr30
.LBB57_475:                             ;   in Loop: Header=BB57_401 Depth=1
	s_andn2_saveexec_b64 s[14:15], s[14:15]
	s_cbranch_execz .LBB57_477
; %bb.476:                              ;   in Loop: Header=BB57_401 Depth=1
	s_waitcnt lgkmcnt(0)
	v_cvt_f64_f32_e32 v[32:33], v21
	v_frexp_exp_i32_f64_e32 v31, v[32:33]
	v_sub_u32_e32 v32, 0, v31
	v_ldexp_f32 v33, |v25|, v32
	v_ldexp_f32 v32, |v24|, v32
	v_mul_f32_e32 v32, v32, v32
	v_fmac_f32_e32 v32, v33, v33
	v_sqrt_f32_e32 v32, v32
	v_cmp_neq_f32_e32 vcc, s58, v21
	v_min_f32_e32 v19, v19, v30
	v_ldexp_f32 v31, v32, v31
	v_cndmask_b32_e32 v31, v56, v31, vcc
	v_cmp_gt_f32_e32 vcc, s62, v31
	v_cndmask_b32_e32 v32, 1.0, v57, vcc
	v_mul_f32_e32 v31, v31, v32
	v_log_f32_e32 v31, v31
	v_cndmask_b32_e32 v30, 0, v58, vcc
	v_mul_f32_e32 v32, 0x3f317217, v31
	v_fma_f32 v33, v31, s63, -v32
	v_fmac_f32_e32 v33, 0x3377d1cf, v31
	v_add_f32_e32 v32, v32, v33
	v_cmp_lt_f32_e64 vcc, |v31|, s58
	v_cndmask_b32_e32 v31, v31, v32, vcc
	v_sub_f32_e32 v31, v31, v30
	v_frexp_mant_f32_e32 v30, v21
	v_rcp_f32_e32 v30, v30
	v_frexp_exp_i32_f32_e32 v21, v21
	v_frexp_exp_i32_f32_e32 v32, v19
	v_frexp_mant_f32_e32 v19, v19
	v_mul_f32_e32 v19, v19, v30
	v_sub_u32_e32 v21, v32, v21
	v_ldexp_f32 v32, v19, v21
	v_mul_f32_e32 v19, v32, v32
	v_mov_b32_e32 v21, 0xbc7a590c
	v_fmac_f32_e32 v21, 0x3b2d2a58, v19
	v_fma_f32 v21, v19, v21, v50
	v_fma_f32 v21, v19, v21, v51
	v_fma_f32 v21, v19, v21, v52
	v_fma_f32 v21, v19, v21, v53
	v_fma_f32 v21, v19, v21, v54
	v_fma_f32 v21, v19, v21, v55
	v_mul_f32_e32 v19, v19, v21
	v_fmac_f32_e32 v32, v32, v19
.LBB57_477:                             ;   in Loop: Header=BB57_401 Depth=1
	s_or_b64 exec, exec, s[14:15]
                                        ; implicit-def: $vgpr19
                                        ; implicit-def: $vgpr30
                                        ; implicit-def: $vgpr21
.LBB57_478:                             ;   in Loop: Header=BB57_401 Depth=1
	s_andn2_saveexec_b64 s[40:41], s[40:41]
	s_cbranch_execz .LBB57_480
; %bb.479:                              ;   in Loop: Header=BB57_401 Depth=1
	v_div_scale_f32 v31, s[14:15], s76, s76, v25
	v_rcp_f32_e32 v32, v31
	v_div_scale_f32 v33, vcc, v25, s76, v25
	v_min_f32_e32 v19, v19, v30
	v_fma_f32 v34, -v31, v32, 1.0
	v_fmac_f32_e32 v32, v34, v32
	v_mul_f32_e32 v34, v33, v32
	v_fma_f32 v35, -v31, v34, v33
	v_fmac_f32_e32 v34, v35, v32
	v_fma_f32 v31, -v31, v34, v33
	v_div_scale_f32 v33, s[14:15], s76, s76, v24
	v_rcp_f32_e32 v35, v33
	v_div_fmas_f32 v31, v31, v32, v34
	v_div_fixup_f32 v31, v31, s76, v25
	s_waitcnt lgkmcnt(0)
	v_frexp_mant_f32_e32 v30, v21
	v_fma_f32 v32, -v33, v35, 1.0
	v_fmac_f32_e32 v35, v32, v35
	v_div_scale_f32 v32, vcc, v24, s76, v24
	v_mul_f32_e32 v34, v32, v35
	v_fma_f32 v36, -v33, v34, v32
	v_fmac_f32_e32 v34, v36, v35
	v_fma_f32 v32, -v33, v34, v32
	v_div_fmas_f32 v32, v32, v35, v34
	v_div_fixup_f32 v34, v32, s76, v24
	v_max_f32_e64 v35, |v31|, |v34|
	v_cvt_f64_f32_e32 v[32:33], v35
	v_frexp_exp_i32_f64_e32 v32, v[32:33]
	v_sub_u32_e32 v33, 0, v32
	v_ldexp_f32 v31, |v31|, v33
	v_ldexp_f32 v33, |v34|, v33
	v_mul_f32_e32 v33, v33, v33
	v_fmac_f32_e32 v33, v31, v31
	v_sqrt_f32_e32 v31, v33
	v_cmp_neq_f32_e32 vcc, s58, v35
	v_rcp_f32_e32 v30, v30
	v_frexp_exp_i32_f32_e32 v21, v21
	v_ldexp_f32 v31, v31, v32
	v_cndmask_b32_e32 v31, v56, v31, vcc
	v_cmp_gt_f32_e32 vcc, s62, v31
	v_cndmask_b32_e32 v32, 1.0, v57, vcc
	v_mul_f32_e32 v31, v31, v32
	v_log_f32_e32 v31, v31
	v_mul_f32_e32 v32, 0x3f317217, v31
	v_fma_f32 v33, v31, s63, -v32
	v_fmac_f32_e32 v33, 0x3377d1cf, v31
	v_add_f32_e32 v32, v32, v33
	v_cmp_lt_f32_e64 s[14:15], |v31|, s58
	v_cndmask_b32_e64 v31, v31, v32, s[14:15]
	v_cndmask_b32_e32 v32, 0, v58, vcc
	v_sub_f32_e32 v31, v31, v32
	v_frexp_exp_i32_f32_e32 v32, v19
	v_frexp_mant_f32_e32 v19, v19
	v_mul_f32_e32 v19, v19, v30
	v_sub_u32_e32 v21, v32, v21
	v_ldexp_f32 v32, v19, v21
	v_mul_f32_e32 v19, v32, v32
	v_mov_b32_e32 v21, 0xbc7a590c
	v_fmac_f32_e32 v21, 0x3b2d2a58, v19
	v_fma_f32 v21, v19, v21, v50
	v_fma_f32 v21, v19, v21, v51
	;; [unrolled: 1-line block ×6, first 2 shown]
	v_mul_f32_e32 v19, v19, v21
	v_add_f32_e32 v31, 1.0, v31
	v_fmac_f32_e32 v32, v32, v19
.LBB57_480:                             ;   in Loop: Header=BB57_401 Depth=1
	s_or_b64 exec, exec, s[40:41]
	v_sub_f32_e32 v19, 0x3fc90fdb, v32
	v_cndmask_b32_e64 v32, v32, v19, s[12:13]
                                        ; implicit-def: $vgpr19
                                        ; implicit-def: $vgpr30
                                        ; implicit-def: $vgpr21
.LBB57_481:                             ;   in Loop: Header=BB57_401 Depth=1
	s_andn2_saveexec_b64 s[38:39], s[38:39]
	s_cbranch_execz .LBB57_491
; %bb.482:                              ;   in Loop: Header=BB57_401 Depth=1
	v_cmp_lt_f32_e64 s[12:13], |v25|, |v24|
	v_cndmask_b32_e64 v33, |v25|, |v24|, s[12:13]
	v_cmp_nlt_f32_e32 vcc, s73, v33
                                        ; implicit-def: $vgpr31
                                        ; implicit-def: $vgpr32
	s_and_saveexec_b64 s[14:15], vcc
	s_xor_b64 s[40:41], exec, s[14:15]
	s_cbranch_execz .LBB57_488
; %bb.483:                              ;   in Loop: Header=BB57_401 Depth=1
	v_cndmask_b32_e64 v34, |v24|, |v25|, s[12:13]
	v_cmp_nlt_f32_e32 vcc, s74, v33
	v_cmp_ngt_f32_e64 s[14:15], s75, v34
	s_and_b64 s[14:15], vcc, s[14:15]
                                        ; implicit-def: $vgpr31
                                        ; implicit-def: $vgpr32
	s_and_saveexec_b64 s[42:43], s[14:15]
	s_xor_b64 s[14:15], exec, s[42:43]
	s_cbranch_execz .LBB57_485
; %bb.484:                              ;   in Loop: Header=BB57_401 Depth=1
	v_mul_f32_e32 v31, v34, v34
	v_fmac_f32_e32 v31, v33, v33
	v_cmp_gt_f32_e32 vcc, s62, v31
	v_cndmask_b32_e32 v32, 1.0, v57, vcc
	v_mul_f32_e32 v31, v31, v32
	v_log_f32_e32 v31, v31
	v_min_f32_e32 v19, v19, v30
	s_waitcnt lgkmcnt(0)
	v_frexp_mant_f32_e32 v30, v21
	v_rcp_f32_e32 v30, v30
	v_mul_f32_e32 v33, 0x3f317217, v31
	v_fma_f32 v34, v31, s63, -v33
	v_fmac_f32_e32 v34, 0x3377d1cf, v31
	v_cndmask_b32_e32 v32, 0, v58, vcc
	v_add_f32_e32 v33, v33, v34
	v_cmp_lt_f32_e64 vcc, |v31|, s58
	v_cndmask_b32_e32 v31, v31, v33, vcc
	v_sub_f32_e32 v31, v31, v32
	v_frexp_exp_i32_f32_e32 v21, v21
	v_frexp_exp_i32_f32_e32 v32, v19
	v_frexp_mant_f32_e32 v19, v19
	v_mul_f32_e32 v19, v19, v30
	v_sub_u32_e32 v21, v32, v21
	v_ldexp_f32 v32, v19, v21
	v_mul_f32_e32 v19, v32, v32
	v_mov_b32_e32 v21, 0xbc7a590c
	v_fmac_f32_e32 v21, 0x3b2d2a58, v19
	v_fma_f32 v21, v19, v21, v50
	v_fma_f32 v21, v19, v21, v51
	;; [unrolled: 1-line block ×6, first 2 shown]
	v_mul_f32_e32 v19, v19, v21
	v_mul_f32_e32 v31, 0.5, v31
	v_fmac_f32_e32 v32, v32, v19
                                        ; implicit-def: $vgpr21
                                        ; implicit-def: $vgpr19
                                        ; implicit-def: $vgpr30
.LBB57_485:                             ;   in Loop: Header=BB57_401 Depth=1
	s_andn2_saveexec_b64 s[14:15], s[14:15]
	s_cbranch_execz .LBB57_487
; %bb.486:                              ;   in Loop: Header=BB57_401 Depth=1
	s_waitcnt lgkmcnt(0)
	v_cvt_f64_f32_e32 v[32:33], v21
	v_frexp_exp_i32_f64_e32 v31, v[32:33]
	v_sub_u32_e32 v32, 0, v31
	v_ldexp_f32 v33, |v25|, v32
	v_ldexp_f32 v32, |v24|, v32
	v_mul_f32_e32 v32, v32, v32
	v_fmac_f32_e32 v32, v33, v33
	v_sqrt_f32_e32 v32, v32
	v_cmp_neq_f32_e32 vcc, s58, v21
	v_min_f32_e32 v19, v19, v30
	v_ldexp_f32 v31, v32, v31
	v_cndmask_b32_e32 v31, v56, v31, vcc
	v_cmp_gt_f32_e32 vcc, s62, v31
	v_cndmask_b32_e32 v32, 1.0, v57, vcc
	v_mul_f32_e32 v31, v31, v32
	v_log_f32_e32 v31, v31
	v_cndmask_b32_e32 v30, 0, v58, vcc
	v_mul_f32_e32 v32, 0x3f317217, v31
	v_fma_f32 v33, v31, s63, -v32
	v_fmac_f32_e32 v33, 0x3377d1cf, v31
	v_add_f32_e32 v32, v32, v33
	v_cmp_lt_f32_e64 vcc, |v31|, s58
	v_cndmask_b32_e32 v31, v31, v32, vcc
	v_sub_f32_e32 v31, v31, v30
	v_frexp_mant_f32_e32 v30, v21
	v_rcp_f32_e32 v30, v30
	v_frexp_exp_i32_f32_e32 v21, v21
	v_frexp_exp_i32_f32_e32 v32, v19
	v_frexp_mant_f32_e32 v19, v19
	v_mul_f32_e32 v19, v19, v30
	v_sub_u32_e32 v21, v32, v21
	v_ldexp_f32 v32, v19, v21
	v_mul_f32_e32 v19, v32, v32
	v_mov_b32_e32 v21, 0xbc7a590c
	v_fmac_f32_e32 v21, 0x3b2d2a58, v19
	v_fma_f32 v21, v19, v21, v50
	v_fma_f32 v21, v19, v21, v51
	;; [unrolled: 1-line block ×6, first 2 shown]
	v_mul_f32_e32 v19, v19, v21
	v_fmac_f32_e32 v32, v32, v19
.LBB57_487:                             ;   in Loop: Header=BB57_401 Depth=1
	s_or_b64 exec, exec, s[14:15]
                                        ; implicit-def: $vgpr19
                                        ; implicit-def: $vgpr30
                                        ; implicit-def: $vgpr21
.LBB57_488:                             ;   in Loop: Header=BB57_401 Depth=1
	s_andn2_saveexec_b64 s[40:41], s[40:41]
	s_cbranch_execz .LBB57_490
; %bb.489:                              ;   in Loop: Header=BB57_401 Depth=1
	v_div_scale_f32 v31, s[14:15], s77, s77, v25
	v_rcp_f32_e32 v32, v31
	v_div_scale_f32 v33, vcc, v25, s77, v25
	v_min_f32_e32 v19, v19, v30
	v_fma_f32 v34, -v31, v32, 1.0
	v_fmac_f32_e32 v32, v34, v32
	v_mul_f32_e32 v34, v33, v32
	v_fma_f32 v35, -v31, v34, v33
	v_fmac_f32_e32 v34, v35, v32
	v_fma_f32 v31, -v31, v34, v33
	v_div_scale_f32 v33, s[14:15], s77, s77, v24
	v_rcp_f32_e32 v35, v33
	v_div_fmas_f32 v31, v31, v32, v34
	v_div_fixup_f32 v31, v31, s77, v25
	s_waitcnt lgkmcnt(0)
	v_frexp_mant_f32_e32 v30, v21
	v_fma_f32 v32, -v33, v35, 1.0
	v_fmac_f32_e32 v35, v32, v35
	v_div_scale_f32 v32, vcc, v24, s77, v24
	v_mul_f32_e32 v34, v32, v35
	v_fma_f32 v36, -v33, v34, v32
	v_fmac_f32_e32 v34, v36, v35
	v_fma_f32 v32, -v33, v34, v32
	v_div_fmas_f32 v32, v32, v35, v34
	v_div_fixup_f32 v34, v32, s77, v24
	v_max_f32_e64 v35, |v31|, |v34|
	v_cvt_f64_f32_e32 v[32:33], v35
	v_frexp_exp_i32_f64_e32 v32, v[32:33]
	v_sub_u32_e32 v33, 0, v32
	v_ldexp_f32 v31, |v31|, v33
	v_ldexp_f32 v33, |v34|, v33
	v_mul_f32_e32 v33, v33, v33
	v_fmac_f32_e32 v33, v31, v31
	v_sqrt_f32_e32 v31, v33
	v_cmp_neq_f32_e32 vcc, s58, v35
	v_rcp_f32_e32 v30, v30
	v_frexp_exp_i32_f32_e32 v21, v21
	v_ldexp_f32 v31, v31, v32
	v_cndmask_b32_e32 v31, v56, v31, vcc
	v_cmp_gt_f32_e32 vcc, s62, v31
	v_cndmask_b32_e32 v32, 1.0, v57, vcc
	v_mul_f32_e32 v31, v31, v32
	v_log_f32_e32 v31, v31
	v_mul_f32_e32 v32, 0x3f317217, v31
	v_fma_f32 v33, v31, s63, -v32
	v_fmac_f32_e32 v33, 0x3377d1cf, v31
	v_add_f32_e32 v32, v32, v33
	v_cmp_lt_f32_e64 s[14:15], |v31|, s58
	v_cndmask_b32_e64 v31, v31, v32, s[14:15]
	v_cndmask_b32_e32 v32, 0, v58, vcc
	v_sub_f32_e32 v31, v31, v32
	v_frexp_exp_i32_f32_e32 v32, v19
	v_frexp_mant_f32_e32 v19, v19
	v_mul_f32_e32 v19, v19, v30
	v_sub_u32_e32 v21, v32, v21
	v_ldexp_f32 v32, v19, v21
	v_mul_f32_e32 v19, v32, v32
	v_mov_b32_e32 v21, 0xbc7a590c
	v_fmac_f32_e32 v21, 0x3b2d2a58, v19
	v_fma_f32 v21, v19, v21, v50
	v_fma_f32 v21, v19, v21, v51
	;; [unrolled: 1-line block ×6, first 2 shown]
	v_mul_f32_e32 v19, v19, v21
	v_add_f32_e32 v31, 1.0, v31
	v_fmac_f32_e32 v32, v32, v19
.LBB57_490:                             ;   in Loop: Header=BB57_401 Depth=1
	s_or_b64 exec, exec, s[40:41]
	v_sub_f32_e32 v19, 0x3fc90fdb, v32
	v_cndmask_b32_e64 v32, v32, v19, s[12:13]
.LBB57_491:                             ;   in Loop: Header=BB57_401 Depth=1
	s_or_b64 exec, exec, s[38:39]
	v_cmp_neq_f32_e32 vcc, 0, v24
	v_cmp_class_f32_e64 s[12:13], v25, s72
	v_cmp_class_f32_e64 s[14:15], v24, s72
	v_cndmask_b32_e32 v19, 0, v32, vcc
	s_and_b64 vcc, s[12:13], s[14:15]
	v_cndmask_b32_e32 v19, v19, v62, vcc
	v_cmp_o_f32_e32 vcc, v24, v25
	v_cndmask_b32_e32 v19, v59, v19, vcc
	s_waitcnt lgkmcnt(0)
	v_add_f32_e32 v21, 0x3f317218, v31
	v_bfi_b32 v24, s57, v19, v24
	v_bfi_b32 v25, s57, v21, v25
.LBB57_492:                             ;   in Loop: Header=BB57_401 Depth=1
	s_or_b64 exec, exec, s[36:37]
.LBB57_493:                             ;   in Loop: Header=BB57_401 Depth=1
	s_andn2_saveexec_b64 s[12:13], s[34:35]
	s_cbranch_execz .LBB57_507
; %bb.494:                              ;   in Loop: Header=BB57_401 Depth=1
	v_cmp_neq_f32_e64 s[14:15], |v25|, s58
                                        ; implicit-def: $vgpr19
	s_and_saveexec_b64 s[34:35], s[14:15]
	s_xor_b64 s[14:15], exec, s[34:35]
	s_cbranch_execz .LBB57_504
; %bb.495:                              ;   in Loop: Header=BB57_401 Depth=1
	v_cmp_neq_f32_e64 s[34:35], |v24|, s58
                                        ; implicit-def: $vgpr19
	s_and_saveexec_b64 s[36:37], s[34:35]
	s_xor_b64 s[34:35], exec, s[36:37]
	s_cbranch_execz .LBB57_501
; %bb.496:                              ;   in Loop: Header=BB57_401 Depth=1
	v_cmp_neq_f32_e32 vcc, 0, v24
	s_and_saveexec_b64 s[36:37], vcc
	s_xor_b64 s[36:37], exec, s[36:37]
; %bb.497:                              ;   in Loop: Header=BB57_401 Depth=1
	v_add_f32_e32 v19, 0, v25
	v_add_f32_e32 v25, v24, v19
; %bb.498:                              ;   in Loop: Header=BB57_401 Depth=1
	s_or_saveexec_b64 s[36:37], s[36:37]
	v_mov_b32_e32 v19, v25
	s_xor_b64 exec, exec, s[36:37]
; %bb.499:                              ;   in Loop: Header=BB57_401 Depth=1
	v_add_f32_e32 v25, v25, v25
	v_mov_b32_e32 v19, v24
; %bb.500:                              ;   in Loop: Header=BB57_401 Depth=1
	s_or_b64 exec, exec, s[36:37]
.LBB57_501:                             ;   in Loop: Header=BB57_401 Depth=1
	s_andn2_saveexec_b64 s[34:35], s[34:35]
; %bb.502:                              ;   in Loop: Header=BB57_401 Depth=1
	v_add_f32_e32 v19, v25, v25
	v_mov_b32_e32 v25, v24
; %bb.503:                              ;   in Loop: Header=BB57_401 Depth=1
	s_or_b64 exec, exec, s[34:35]
.LBB57_504:                             ;   in Loop: Header=BB57_401 Depth=1
	s_andn2_saveexec_b64 s[14:15], s[14:15]
; %bb.505:                              ;   in Loop: Header=BB57_401 Depth=1
	v_add_f32_e32 v19, v24, v24
; %bb.506:                              ;   in Loop: Header=BB57_401 Depth=1
	s_or_b64 exec, exec, s[14:15]
	v_mov_b32_e32 v24, v19
.LBB57_507:                             ;   in Loop: Header=BB57_401 Depth=1
	s_or_b64 exec, exec, s[12:13]
	v_cmp_o_f32_e32 vcc, v27, v27
	v_cmp_o_f32_e64 s[12:13], v26, v26
	s_and_b64 s[12:13], vcc, s[12:13]
	s_and_saveexec_b64 s[14:15], s[12:13]
	s_xor_b64 s[34:35], exec, s[14:15]
	s_cbranch_execz .LBB57_591
; %bb.508:                              ;   in Loop: Header=BB57_401 Depth=1
	v_max_f32_e64 v30, |v26|, |v26|
	v_max_f32_e64 v19, |v27|, |v27|
	s_waitcnt lgkmcnt(0)
	v_max_f32_e32 v21, v19, v30
	v_cmp_nlt_f32_e32 vcc, s55, v21
	s_and_saveexec_b64 s[12:13], vcc
	s_xor_b64 s[14:15], exec, s[12:13]
	s_cbranch_execz .LBB57_568
; %bb.509:                              ;   in Loop: Header=BB57_401 Depth=1
	v_cmp_neq_f32_e32 vcc, 0, v27
	v_cmp_neq_f32_e64 s[12:13], 0, v26
	s_or_b64 s[12:13], vcc, s[12:13]
	s_and_saveexec_b64 s[36:37], s[12:13]
	s_cbranch_execz .LBB57_567
; %bb.510:                              ;   in Loop: Header=BB57_401 Depth=1
	v_pk_mov_b32 v[30:31], s[22:23], s[22:23] op_sel:[0,1]
	flat_store_dword v[30:31], v43
	s_waitcnt vmcnt(0)
	flat_load_dword v21, v[30:31] glc
	s_waitcnt vmcnt(0)
	v_pk_mov_b32 v[30:31], s[24:25], s[24:25] op_sel:[0,1]
	v_cmp_nlt_f32_e64 s[12:13], |v27|, s56
	v_cmp_nlt_f32_e64 s[38:39], |v26|, s56
	s_or_b64 s[12:13], s[12:13], s[38:39]
	s_waitcnt lgkmcnt(0)
	v_add_f32_e32 v21, 1.0, v21
	flat_store_dword v[30:31], v21
	s_waitcnt vmcnt(0)
	flat_load_dword v21, v[30:31] glc
	s_waitcnt vmcnt(0)
	s_and_saveexec_b64 s[38:39], s[12:13]
	s_cbranch_execz .LBB57_566
; %bb.511:                              ;   in Loop: Header=BB57_401 Depth=1
	v_and_b32_e32 v30, 0x7fffffff, v26
	v_pk_add_f32 v[34:35], v[30:31], s[28:29] op_sel_hi:[0,1]
	s_waitcnt lgkmcnt(0)
	v_max_f32_e64 v21, v19, |v35|
	v_max_f32_e64 v19, v19, |v34|
	v_cvt_f64_f32_e32 v[32:33], v19
	v_frexp_exp_i32_f64_e32 v31, v[32:33]
	v_sub_u32_e32 v32, 0, v31
	v_ldexp_f32 v33, |v27|, v32
	v_ldexp_f32 v32, |v34|, v32
	v_mul_f32_e32 v32, v32, v32
	v_fmac_f32_e32 v32, v33, v33
	v_sqrt_f32_e32 v36, v32
	v_cvt_f64_f32_e32 v[32:33], v21
	v_frexp_exp_i32_f64_e32 v32, v[32:33]
	v_sub_u32_e32 v33, 0, v32
	v_ldexp_f32 v37, |v27|, v33
	v_ldexp_f32 v33, |v35|, v33
	v_mul_f32_e32 v33, v33, v33
	v_fmac_f32_e32 v33, v37, v37
	v_sqrt_f32_e32 v33, v33
	v_ldexp_f32 v36, v36, v31
	v_cmp_neq_f32_e32 vcc, s58, v21
	v_ldexp_f32 v31, v33, v32
	v_cndmask_b32_e32 v31, v56, v31, vcc
	v_cmp_neq_f32_e32 vcc, s58, v19
	v_cndmask_b32_e32 v64, v56, v36, vcc
	v_add_f32_e32 v19, v64, v31
	v_mul_f32_e32 v19, 0.5, v19
	v_cmp_ngt_f32_e32 vcc, 1.0, v19
	v_cndmask_b32_e32 v32, 1.0, v19, vcc
	v_cmp_ngt_f32_e32 vcc, s59, v32
                                        ; implicit-def: $vgpr19
	s_and_saveexec_b64 s[12:13], vcc
	s_xor_b64 s[40:41], exec, s[12:13]
	s_cbranch_execz .LBB57_513
; %bb.512:                              ;   in Loop: Header=BB57_401 Depth=1
	v_fma_f32 v19, v32, v32, -1.0
	v_mul_f32_e32 v21, 0x4f800000, v19
	v_cmp_gt_f32_e32 vcc, s60, v19
	v_cndmask_b32_e32 v19, v19, v21, vcc
	v_sqrt_f32_e32 v21, v19
	v_add_u32_e32 v33, -1, v21
	v_fma_f32 v37, -v33, v21, v19
	v_add_u32_e32 v36, 1, v21
	v_cmp_ge_f32_e64 s[12:13], 0, v37
	v_cndmask_b32_e64 v33, v21, v33, s[12:13]
	v_fma_f32 v21, -v36, v21, v19
	v_cmp_lt_f32_e64 s[12:13], 0, v21
	v_cndmask_b32_e64 v21, v33, v36, s[12:13]
	v_mul_f32_e32 v33, 0x37800000, v21
	v_cndmask_b32_e32 v21, v21, v33, vcc
	v_cmp_class_f32_e32 vcc, v19, v44
	v_cndmask_b32_e32 v19, v21, v19, vcc
	v_add_f32_e32 v19, v32, v19
	v_cmp_gt_f32_e32 vcc, s62, v19
	v_cndmask_b32_e32 v21, 1.0, v57, vcc
	v_mul_f32_e32 v19, v19, v21
	v_log_f32_e32 v19, v19
	v_mul_f32_e32 v21, 0x3f317217, v19
	v_fma_f32 v33, v19, s63, -v21
	v_fmac_f32_e32 v33, 0x3377d1cf, v19
	v_add_f32_e32 v21, v21, v33
	v_cmp_lt_f32_e64 s[12:13], |v19|, s58
	v_cndmask_b32_e64 v19, v19, v21, s[12:13]
	v_cndmask_b32_e32 v21, 0, v58, vcc
	v_sub_f32_e32 v19, v19, v21
.LBB57_513:                             ;   in Loop: Header=BB57_401 Depth=1
	s_or_saveexec_b64 s[40:41], s[40:41]
	v_and_b32_e32 v37, 0x7fffffff, v27
	v_and_b32_e32 v65, 0x7fffffff, v35
	s_xor_b64 exec, exec, s[40:41]
	s_cbranch_execz .LBB57_535
; %bb.514:                              ;   in Loop: Header=BB57_401 Depth=1
	v_cmp_neq_f32_e64 s[12:13], |v26|, 1.0
	v_cmp_nlt_f32_e64 s[42:43], |v27|, s64
	s_or_b64 s[12:13], s[42:43], s[12:13]
                                        ; implicit-def: $vgpr19
	s_and_saveexec_b64 s[42:43], s[12:13]
	s_xor_b64 s[42:43], exec, s[42:43]
	s_cbranch_execz .LBB57_532
; %bb.515:                              ;   in Loop: Header=BB57_401 Depth=1
	v_mul_f32_e32 v19, 0x34000000, v65
	v_cmp_le_f32_e64 s[12:13], v19, |v27|
                                        ; implicit-def: $vgpr19
	s_and_saveexec_b64 s[44:45], s[12:13]
	s_xor_b64 s[44:45], exec, s[44:45]
	s_cbranch_execz .LBB57_525
; %bb.516:                              ;   in Loop: Header=BB57_401 Depth=1
	v_cmp_neq_f32_e32 vcc, 0, v34
	v_mov_b32_e32 v19, v37
	s_and_saveexec_b64 s[12:13], vcc
	s_cbranch_execz .LBB57_518
; %bb.517:                              ;   in Loop: Header=BB57_401 Depth=1
	v_mul_f32_e32 v19, v27, v27
	v_add_f32_e32 v21, v34, v64
	v_div_scale_f32 v33, s[46:47], v21, v21, v19
	v_rcp_f32_e32 v36, v33
	v_fma_f32 v66, -v33, v36, 1.0
	v_fmac_f32_e32 v36, v66, v36
	v_div_scale_f32 v66, vcc, v19, v21, v19
	v_mul_f32_e32 v67, v66, v36
	v_fma_f32 v68, -v33, v67, v66
	v_fmac_f32_e32 v67, v68, v36
	v_fma_f32 v33, -v33, v67, v66
	v_div_fmas_f32 v33, v33, v36, v67
	v_div_fixup_f32 v19, v33, v21, v19
.LBB57_518:                             ;   in Loop: Header=BB57_401 Depth=1
	s_or_b64 exec, exec, s[12:13]
	v_sub_f32_e64 v33, 1.0, |v26|
	v_cmp_ngt_f32_e32 vcc, 0, v33
                                        ; implicit-def: $vgpr21
	s_and_saveexec_b64 s[12:13], vcc
	s_xor_b64 s[12:13], exec, s[12:13]
	s_cbranch_execz .LBB57_522
; %bb.519:                              ;   in Loop: Header=BB57_401 Depth=1
	v_cmp_neq_f32_e32 vcc, 0, v33
	v_mov_b32_e32 v21, v37
	s_and_saveexec_b64 s[46:47], vcc
	s_cbranch_execz .LBB57_521
; %bb.520:                              ;   in Loop: Header=BB57_401 Depth=1
	v_mul_f32_e32 v21, v27, v27
	v_add_f32_e32 v33, v33, v31
	v_div_scale_f32 v36, s[48:49], v33, v33, v21
	v_rcp_f32_e32 v66, v36
	v_fma_f32 v67, -v36, v66, 1.0
	v_fmac_f32_e32 v66, v67, v66
	v_div_scale_f32 v67, vcc, v21, v33, v21
	v_mul_f32_e32 v68, v67, v66
	v_fma_f32 v69, -v36, v68, v67
	v_fmac_f32_e32 v68, v69, v66
	v_fma_f32 v36, -v36, v68, v67
	v_div_fmas_f32 v36, v36, v66, v68
	v_div_fixup_f32 v21, v36, v33, v21
.LBB57_521:                             ;   in Loop: Header=BB57_401 Depth=1
	s_or_b64 exec, exec, s[46:47]
                                        ; implicit-def: $vgpr33
.LBB57_522:                             ;   in Loop: Header=BB57_401 Depth=1
	s_andn2_saveexec_b64 s[12:13], s[12:13]
; %bb.523:                              ;   in Loop: Header=BB57_401 Depth=1
	v_sub_f32_e32 v21, v31, v33
; %bb.524:                              ;   in Loop: Header=BB57_401 Depth=1
	s_or_b64 exec, exec, s[12:13]
	v_mul_f32_e32 v33, 0.5, v19
	v_mul_f32_e32 v19, 0.5, v21
	v_pk_add_f32 v[66:67], v[32:33], v[18:19]
	v_mul_f32_e32 v19, v66, v67
	v_mul_f32_e32 v21, 0x4f800000, v19
	v_cmp_gt_f32_e32 vcc, s60, v19
	v_cndmask_b32_e32 v19, v19, v21, vcc
	v_sqrt_f32_e32 v21, v19
	v_add_u32_e32 v33, -1, v21
	v_fma_f32 v36, -v33, v21, v19
	v_cmp_ge_f32_e64 s[12:13], 0, v36
	v_add_u32_e32 v36, 1, v21
	v_cndmask_b32_e64 v33, v21, v33, s[12:13]
	v_fma_f32 v21, -v36, v21, v19
	v_cmp_lt_f32_e64 s[12:13], 0, v21
	v_cndmask_b32_e64 v21, v33, v36, s[12:13]
	v_mul_f32_e32 v33, 0x37800000, v21
	v_cndmask_b32_e32 v21, v21, v33, vcc
	v_cmp_class_f32_e32 vcc, v19, v44
	v_cndmask_b32_e32 v19, v21, v19, vcc
	v_add_f32_e32 v66, v67, v19
	v_add_f32_e32 v69, 1.0, v66
	v_add_f32_e32 v67, -1.0, v69
	v_mov_b32_e32 v68, v67
	v_pk_add_f32 v[70:71], v[66:67], v[68:69] neg_lo:[0,1] neg_hi:[0,1]
	v_add_f32_e32 v19, 1.0, v71
	v_add_f32_e32 v19, v70, v19
	v_frexp_mant_f32_e32 v21, v69
	v_cvt_f64_f32_e32 v[70:71], v69
	v_frexp_exp_i32_f64_e32 v33, v[70:71]
	v_cmp_gt_f32_e32 vcc, s65, v21
	v_subbrev_co_u32_e32 v33, vcc, 0, v33, vcc
	v_sub_u32_e32 v21, 0, v33
	v_ldexp_f32 v36, v69, v21
	v_ldexp_f32 v19, v19, v21
	v_add_f32_e32 v21, -1.0, v36
	v_add_f32_e32 v68, 1.0, v36
	v_add_f32_e32 v67, 1.0, v21
	v_add_f32_e32 v69, -1.0, v68
	v_sub_f32_e32 v67, v36, v67
	v_sub_f32_e32 v36, v36, v69
	v_add_f32_e32 v67, v19, v67
	v_add_f32_e32 v19, v19, v36
	;; [unrolled: 1-line block ×3, first 2 shown]
	v_rcp_f32_e32 v76, v36
	v_add_f32_e32 v69, v21, v67
	v_sub_f32_e32 v21, v69, v21
	v_sub_f32_e32 v21, v67, v21
	v_mul_f32_e32 v67, v69, v76
	v_sub_f32_e32 v68, v36, v68
	v_mul_f32_e32 v70, v36, v67
	v_sub_f32_e32 v19, v19, v68
	v_fma_f32 v72, v67, v36, -v70
	v_fmac_f32_e32 v72, v67, v19
	v_add_f32_e32 v68, v70, v72
	v_sub_f32_e32 v71, v69, v68
	v_pk_add_f32 v[74:75], v[68:69], v[70:71] neg_lo:[0,1] neg_hi:[0,1]
	v_mov_b32_e32 v73, v68
	v_pk_add_f32 v[68:69], v[74:75], v[72:73] neg_lo:[0,1] neg_hi:[0,1]
	v_add_f32_e32 v21, v21, v69
	v_add_f32_e32 v21, v68, v21
	;; [unrolled: 1-line block ×3, first 2 shown]
	v_mul_f32_e32 v77, v76, v69
	v_mul_f32_e32 v70, v36, v77
	v_fma_f32 v72, v77, v36, -v70
	v_fmac_f32_e32 v72, v77, v19
	v_add_f32_e32 v68, v70, v72
	v_sub_f32_e32 v19, v71, v69
	v_sub_f32_e32 v71, v69, v68
	v_pk_add_f32 v[74:75], v[68:69], v[70:71] neg_lo:[0,1] neg_hi:[0,1]
	v_mov_b32_e32 v73, v68
	v_add_f32_e32 v19, v21, v19
	v_pk_add_f32 v[68:69], v[74:75], v[72:73] neg_lo:[0,1] neg_hi:[0,1]
	v_add_f32_e32 v19, v19, v69
	v_add_f32_e32 v19, v68, v19
	;; [unrolled: 1-line block ×4, first 2 shown]
	v_sub_f32_e32 v21, v36, v67
	v_mul_f32_e32 v19, v76, v19
	v_sub_f32_e32 v21, v77, v21
	v_add_f32_e32 v19, v21, v19
	v_add_f32_e32 v67, v36, v19
	v_cvt_f32_i32_e32 v68, v33
	v_mul_f32_e32 v69, v67, v67
	v_mov_b32_e32 v21, 0x3ecc95a3
	v_fmac_f32_e32 v21, 0x3e9b6dac, v69
	v_fma_f32 v21, v69, v21, v45
	v_mul_f32_e32 v69, v67, v69
	v_pk_mul_f32 v[72:73], v[68:69], v[20:21]
	v_fma_f32 v70, v68, s66, -v72
	v_ldexp_f32 v71, v67, 1
	v_fmac_f32_e32 v70, 0xb102e308, v68
	v_sub_f32_e32 v33, v67, v36
	v_pk_add_f32 v[68:69], v[72:73], v[70:71]
	v_sub_f32_e32 v19, v19, v33
	v_sub_f32_e32 v21, v69, v71
	v_ldexp_f32 v19, v19, 1
	v_sub_f32_e32 v21, v73, v21
	v_add_f32_e32 v75, v19, v21
	v_mov_b32_e32 v74, v72
	v_pk_add_f32 v[72:73], v[68:69], v[72:73] neg_lo:[0,1] neg_hi:[0,1]
	v_pk_add_f32 v[76:77], v[68:69], v[74:75]
	v_mov_b32_e32 v73, v77
	v_mov_b32_e32 v71, v68
	v_pk_add_f32 v[78:79], v[70:71], v[72:73] neg_lo:[0,1] neg_hi:[0,1]
	v_pk_add_f32 v[70:71], v[70:71], v[72:73]
	v_mov_b32_e32 v36, v71
	v_pk_add_f32 v[72:73], v[36:37], v[68:69] neg_lo:[0,1] neg_hi:[0,1]
	v_mov_b32_e32 v19, v72
	v_pk_add_f32 v[80:81], v[76:77], v[18:19] neg_lo:[0,1] neg_hi:[0,1]
	v_mov_b32_e32 v70, v77
	v_mov_b32_e32 v76, v69
	;; [unrolled: 1-line block ×4, first 2 shown]
	v_pk_add_f32 v[70:71], v[70:71], v[76:77] neg_lo:[0,1] neg_hi:[0,1]
	v_mov_b32_e32 v72, v75
	v_mov_b32_e32 v73, v68
	v_pk_add_f32 v[68:69], v[72:73], v[70:71] neg_lo:[0,1] neg_hi:[0,1]
	v_mov_b32_e32 v80, v78
	v_pk_add_f32 v[70:71], v[80:81], v[68:69]
	v_mov_b32_e32 v72, v71
	v_pk_add_f32 v[72:73], v[70:71], v[72:73]
	v_pk_add_f32 v[74:75], v[36:37], v[72:73]
	v_mov_b32_e32 v71, v74
	v_pk_add_f32 v[76:77], v[70:71], v[78:79] neg_lo:[0,1] neg_hi:[0,1]
	v_mov_b32_e32 v69, v72
	v_sub_f32_e32 v19, v70, v76
	v_pk_add_f32 v[68:69], v[68:69], v[76:77] neg_lo:[0,1] neg_hi:[0,1]
	v_sub_f32_e32 v19, v78, v19
	v_add_f32_e32 v19, v68, v19
	v_add_f32_e32 v19, v19, v69
	;; [unrolled: 1-line block ×3, first 2 shown]
	v_cmp_eq_f32_e32 vcc, s58, v66
	v_cndmask_b32_e32 v19, v19, v66, vcc
	v_cmp_ngt_f32_e32 vcc, -1.0, v66
	v_cndmask_b32_e32 v19, v59, v19, vcc
	v_cmp_neq_f32_e32 vcc, -1.0, v66
	v_cndmask_b32_e32 v19, v60, v19, vcc
	v_cmp_lt_f32_e64 vcc, |v66|, s67
	v_cndmask_b32_e32 v19, v19, v66, vcc
.LBB57_525:                             ;   in Loop: Header=BB57_401 Depth=1
	s_andn2_saveexec_b64 s[44:45], s[44:45]
	s_cbranch_execz .LBB57_531
; %bb.526:                              ;   in Loop: Header=BB57_401 Depth=1
	v_cmp_nlt_f32_e64 s[12:13], |v26|, 1.0
                                        ; implicit-def: $vgpr19
	s_and_saveexec_b64 s[46:47], s[12:13]
	s_xor_b64 s[46:47], exec, s[46:47]
	s_cbranch_execz .LBB57_528
; %bb.527:                              ;   in Loop: Header=BB57_401 Depth=1
	v_mul_f32_e32 v19, v35, v34
	v_mul_f32_e32 v21, 0x4f800000, v19
	v_cmp_gt_f32_e32 vcc, s60, v19
	v_cndmask_b32_e32 v19, v19, v21, vcc
	v_sqrt_f32_e32 v21, v19
	v_add_u32_e32 v33, -1, v21
	v_fma_f32 v66, -v33, v21, v19
	v_add_u32_e32 v36, 1, v21
	v_cmp_ge_f32_e64 s[12:13], 0, v66
	v_cndmask_b32_e64 v33, v21, v33, s[12:13]
	v_fma_f32 v21, -v36, v21, v19
	v_cmp_lt_f32_e64 s[12:13], 0, v21
	v_cndmask_b32_e64 v21, v33, v36, s[12:13]
	v_mul_f32_e32 v33, 0x37800000, v21
	v_cndmask_b32_e32 v21, v21, v33, vcc
	v_cmp_class_f32_e32 vcc, v19, v44
	v_cndmask_b32_e32 v19, v21, v19, vcc
	v_add_f32_e32 v66, v35, v19
	v_add_f32_e32 v69, 1.0, v66
	v_add_f32_e32 v67, -1.0, v69
	v_mov_b32_e32 v68, v67
	v_pk_add_f32 v[70:71], v[66:67], v[68:69] neg_lo:[0,1] neg_hi:[0,1]
	v_add_f32_e32 v19, 1.0, v71
	v_add_f32_e32 v19, v70, v19
	v_frexp_mant_f32_e32 v21, v69
	v_cvt_f64_f32_e32 v[70:71], v69
	v_frexp_exp_i32_f64_e32 v33, v[70:71]
	v_cmp_gt_f32_e32 vcc, s65, v21
	v_subbrev_co_u32_e32 v33, vcc, 0, v33, vcc
	v_sub_u32_e32 v21, 0, v33
	v_ldexp_f32 v36, v69, v21
	v_ldexp_f32 v19, v19, v21
	v_add_f32_e32 v21, -1.0, v36
	v_add_f32_e32 v68, 1.0, v36
	v_add_f32_e32 v67, 1.0, v21
	v_add_f32_e32 v69, -1.0, v68
	v_sub_f32_e32 v67, v36, v67
	v_sub_f32_e32 v36, v36, v69
	v_add_f32_e32 v67, v19, v67
	v_add_f32_e32 v19, v19, v36
	;; [unrolled: 1-line block ×3, first 2 shown]
	v_rcp_f32_e32 v76, v36
	v_add_f32_e32 v69, v21, v67
	v_sub_f32_e32 v21, v69, v21
	v_sub_f32_e32 v21, v67, v21
	v_mul_f32_e32 v67, v69, v76
	v_sub_f32_e32 v68, v36, v68
	v_mul_f32_e32 v70, v36, v67
	v_sub_f32_e32 v19, v19, v68
	v_fma_f32 v72, v67, v36, -v70
	v_fmac_f32_e32 v72, v67, v19
	v_add_f32_e32 v68, v70, v72
	v_sub_f32_e32 v71, v69, v68
	v_pk_add_f32 v[74:75], v[68:69], v[70:71] neg_lo:[0,1] neg_hi:[0,1]
	v_mov_b32_e32 v73, v68
	v_pk_add_f32 v[68:69], v[74:75], v[72:73] neg_lo:[0,1] neg_hi:[0,1]
	v_add_f32_e32 v21, v21, v69
	v_add_f32_e32 v21, v68, v21
	;; [unrolled: 1-line block ×3, first 2 shown]
	v_mul_f32_e32 v77, v76, v69
	v_mul_f32_e32 v70, v36, v77
	v_fma_f32 v72, v77, v36, -v70
	v_fmac_f32_e32 v72, v77, v19
	v_add_f32_e32 v68, v70, v72
	v_sub_f32_e32 v19, v71, v69
	v_sub_f32_e32 v71, v69, v68
	v_pk_add_f32 v[74:75], v[68:69], v[70:71] neg_lo:[0,1] neg_hi:[0,1]
	v_mov_b32_e32 v73, v68
	v_add_f32_e32 v19, v21, v19
	v_pk_add_f32 v[68:69], v[74:75], v[72:73] neg_lo:[0,1] neg_hi:[0,1]
	v_add_f32_e32 v19, v19, v69
	v_add_f32_e32 v19, v68, v19
	;; [unrolled: 1-line block ×4, first 2 shown]
	v_sub_f32_e32 v21, v36, v67
	v_mul_f32_e32 v19, v76, v19
	v_sub_f32_e32 v21, v77, v21
	v_add_f32_e32 v19, v21, v19
	v_add_f32_e32 v67, v36, v19
	v_cvt_f32_i32_e32 v68, v33
	v_mul_f32_e32 v69, v67, v67
	v_mov_b32_e32 v21, 0x3ecc95a3
	v_fmac_f32_e32 v21, 0x3e9b6dac, v69
	v_fma_f32 v21, v69, v21, v45
	v_mul_f32_e32 v69, v67, v69
	v_pk_mul_f32 v[72:73], v[68:69], v[20:21]
	v_fma_f32 v70, v68, s66, -v72
	v_ldexp_f32 v71, v67, 1
	v_fmac_f32_e32 v70, 0xb102e308, v68
	v_sub_f32_e32 v33, v67, v36
	v_pk_add_f32 v[68:69], v[72:73], v[70:71]
	v_sub_f32_e32 v19, v19, v33
	v_sub_f32_e32 v21, v69, v71
	v_ldexp_f32 v19, v19, 1
	v_sub_f32_e32 v21, v73, v21
	v_add_f32_e32 v75, v19, v21
	v_mov_b32_e32 v74, v72
	v_pk_add_f32 v[72:73], v[68:69], v[72:73] neg_lo:[0,1] neg_hi:[0,1]
	v_pk_add_f32 v[76:77], v[68:69], v[74:75]
	v_mov_b32_e32 v73, v77
	v_mov_b32_e32 v71, v68
	v_pk_add_f32 v[78:79], v[70:71], v[72:73] neg_lo:[0,1] neg_hi:[0,1]
	v_pk_add_f32 v[70:71], v[70:71], v[72:73]
	v_mov_b32_e32 v36, v71
	v_pk_add_f32 v[72:73], v[36:37], v[68:69] neg_lo:[0,1] neg_hi:[0,1]
	v_mov_b32_e32 v19, v72
	v_pk_add_f32 v[80:81], v[76:77], v[18:19] neg_lo:[0,1] neg_hi:[0,1]
	v_mov_b32_e32 v70, v77
	v_mov_b32_e32 v76, v69
	;; [unrolled: 1-line block ×4, first 2 shown]
	v_pk_add_f32 v[70:71], v[70:71], v[76:77] neg_lo:[0,1] neg_hi:[0,1]
	v_mov_b32_e32 v72, v75
	v_mov_b32_e32 v73, v68
	v_pk_add_f32 v[68:69], v[72:73], v[70:71] neg_lo:[0,1] neg_hi:[0,1]
	v_mov_b32_e32 v80, v78
	v_pk_add_f32 v[70:71], v[80:81], v[68:69]
	v_mov_b32_e32 v72, v71
	v_pk_add_f32 v[72:73], v[70:71], v[72:73]
	v_pk_add_f32 v[74:75], v[36:37], v[72:73]
	v_mov_b32_e32 v71, v74
	v_pk_add_f32 v[76:77], v[70:71], v[78:79] neg_lo:[0,1] neg_hi:[0,1]
	v_mov_b32_e32 v69, v72
	v_sub_f32_e32 v19, v70, v76
	v_pk_add_f32 v[68:69], v[68:69], v[76:77] neg_lo:[0,1] neg_hi:[0,1]
	v_sub_f32_e32 v19, v78, v19
	v_add_f32_e32 v19, v68, v19
	v_add_f32_e32 v19, v19, v69
	;; [unrolled: 1-line block ×3, first 2 shown]
	v_cmp_eq_f32_e32 vcc, s58, v66
	v_cndmask_b32_e32 v19, v19, v66, vcc
	v_cmp_ngt_f32_e32 vcc, -1.0, v66
	v_cndmask_b32_e32 v19, v59, v19, vcc
	v_cmp_neq_f32_e32 vcc, -1.0, v66
	v_cndmask_b32_e32 v19, v60, v19, vcc
	v_cmp_lt_f32_e64 vcc, |v66|, s67
	v_cndmask_b32_e32 v19, v19, v66, vcc
.LBB57_528:                             ;   in Loop: Header=BB57_401 Depth=1
	s_andn2_saveexec_b64 s[46:47], s[46:47]
	s_cbranch_execz .LBB57_530
; %bb.529:                              ;   in Loop: Header=BB57_401 Depth=1
	v_sub_f32_e64 v19, 1.0, |v26|
	v_mul_f32_e32 v19, v19, v34
	v_mul_f32_e32 v21, 0x4f800000, v19
	v_cmp_gt_f32_e32 vcc, s60, v19
	v_cndmask_b32_e32 v19, v19, v21, vcc
	v_sqrt_f32_e32 v21, v19
	v_add_u32_e32 v33, -1, v21
	v_fma_f32 v66, -v33, v21, v19
	v_add_u32_e32 v36, 1, v21
	v_cmp_ge_f32_e64 s[12:13], 0, v66
	v_cndmask_b32_e64 v33, v21, v33, s[12:13]
	v_fma_f32 v21, -v36, v21, v19
	v_cmp_lt_f32_e64 s[12:13], 0, v21
	v_cndmask_b32_e64 v21, v33, v36, s[12:13]
	v_mul_f32_e32 v33, 0x37800000, v21
	v_cndmask_b32_e32 v21, v21, v33, vcc
	v_cmp_class_f32_e32 vcc, v19, v44
	v_cndmask_b32_e32 v19, v21, v19, vcc
	v_and_b32_e32 v21, 0x7fffffff, v27
	v_div_scale_f32 v33, s[12:13], v19, v19, v21
	v_rcp_f32_e32 v36, v33
	v_div_scale_f32 v21, vcc, v21, v19, v21
	v_fma_f32 v66, -v33, v36, 1.0
	v_fmac_f32_e32 v36, v66, v36
	v_mul_f32_e32 v66, v21, v36
	v_fma_f32 v67, -v33, v66, v21
	v_fmac_f32_e32 v66, v67, v36
	v_fma_f32 v21, -v33, v66, v21
	v_div_fmas_f32 v21, v21, v36, v66
	v_div_fixup_f32 v19, v21, v19, |v27|
.LBB57_530:                             ;   in Loop: Header=BB57_401 Depth=1
	s_or_b64 exec, exec, s[46:47]
.LBB57_531:                             ;   in Loop: Header=BB57_401 Depth=1
	s_or_b64 exec, exec, s[44:45]
.LBB57_532:                             ;   in Loop: Header=BB57_401 Depth=1
	s_andn2_saveexec_b64 s[42:43], s[42:43]
	s_cbranch_execz .LBB57_534
; %bb.533:                              ;   in Loop: Header=BB57_401 Depth=1
	v_mul_f32_e64 v19, |v27|, s61
	v_cmp_lt_f32_e64 vcc, |v27|, s60
	v_cndmask_b32_e64 v19, |v27|, v19, vcc
	v_sqrt_f32_e32 v21, v19
	v_add_u32_e32 v33, -1, v21
	v_fma_f32 v66, -v33, v21, v19
	v_add_u32_e32 v36, 1, v21
	v_cmp_ge_f32_e64 s[12:13], 0, v66
	v_cndmask_b32_e64 v33, v21, v33, s[12:13]
	v_fma_f32 v21, -v36, v21, v19
	v_cmp_lt_f32_e64 s[12:13], 0, v21
	v_cndmask_b32_e64 v21, v33, v36, s[12:13]
	v_mul_f32_e32 v33, 0x37800000, v21
	v_cndmask_b32_e32 v21, v21, v33, vcc
	v_cmp_class_f32_e32 vcc, v19, v44
	v_cndmask_b32_e32 v19, v21, v19, vcc
.LBB57_534:                             ;   in Loop: Header=BB57_401 Depth=1
	s_or_b64 exec, exec, s[42:43]
.LBB57_535:                             ;   in Loop: Header=BB57_401 Depth=1
	s_or_b64 exec, exec, s[40:41]
	v_cmp_nlt_f32_e64 s[40:41], |v26|, s68
                                        ; implicit-def: $sgpr12_sgpr13
                                        ; implicit-def: $vgpr36
                                        ; implicit-def: $vgpr21
	s_and_saveexec_b64 s[42:43], s[40:41]
	s_xor_b64 s[40:41], exec, s[42:43]
	s_cbranch_execz .LBB57_559
; %bb.536:                              ;   in Loop: Header=BB57_401 Depth=1
	v_div_scale_f32 v21, s[12:13], v32, v32, v30
	v_rcp_f32_e32 v33, v21
	v_div_scale_f32 v36, vcc, v30, v32, v30
	s_mov_b64 s[12:13], 0
	v_fma_f32 v66, -v21, v33, 1.0
	v_fmac_f32_e32 v33, v66, v33
	v_mul_f32_e32 v66, v36, v33
	v_fma_f32 v67, -v21, v66, v36
	v_fmac_f32_e32 v66, v67, v33
	v_fma_f32 v21, -v21, v66, v36
	v_div_fmas_f32 v21, v21, v33, v66
	v_div_fixup_f32 v21, v21, v32, |v26|
	v_cmp_lt_f32_e32 vcc, s69, v21
                                        ; implicit-def: $vgpr36
	s_and_saveexec_b64 s[42:43], vcc
	s_cbranch_execz .LBB57_558
; %bb.537:                              ;   in Loop: Header=BB57_401 Depth=1
	v_cmp_neq_f32_e64 s[12:13], |v26|, 1.0
	v_cmp_nlt_f32_e64 s[44:45], |v27|, s70
	s_or_b64 s[12:13], s[44:45], s[12:13]
                                        ; implicit-def: $sgpr46_sgpr47
                                        ; implicit-def: $vgpr36
	s_and_saveexec_b64 s[44:45], s[12:13]
	s_xor_b64 s[44:45], exec, s[44:45]
	s_cbranch_execz .LBB57_555
; %bb.538:                              ;   in Loop: Header=BB57_401 Depth=1
	v_mul_f32_e32 v33, 0x34000000, v65
	v_cmp_le_f32_e64 s[12:13], v33, |v27|
                                        ; implicit-def: $vgpr36
                                        ; implicit-def: $sgpr46_sgpr47
	s_and_saveexec_b64 s[48:49], s[12:13]
	s_xor_b64 s[48:49], exec, s[48:49]
	s_cbranch_execz .LBB57_548
; %bb.539:                              ;   in Loop: Header=BB57_401 Depth=1
	v_cmp_neq_f32_e32 vcc, 0, v34
	v_mov_b32_e32 v33, v37
	s_and_saveexec_b64 s[12:13], vcc
	s_cbranch_execz .LBB57_541
; %bb.540:                              ;   in Loop: Header=BB57_401 Depth=1
	v_mul_f32_e32 v33, v27, v27
	v_add_f32_e32 v34, v34, v64
	v_div_scale_f32 v36, s[46:47], v34, v34, v33
	v_rcp_f32_e32 v64, v36
	v_fma_f32 v65, -v36, v64, 1.0
	v_fmac_f32_e32 v64, v65, v64
	v_div_scale_f32 v65, vcc, v33, v34, v33
	v_mul_f32_e32 v66, v65, v64
	v_fma_f32 v67, -v36, v66, v65
	v_fmac_f32_e32 v66, v67, v64
	v_fma_f32 v36, -v36, v66, v65
	v_div_fmas_f32 v36, v36, v64, v66
	v_div_fixup_f32 v33, v36, v34, v33
.LBB57_541:                             ;   in Loop: Header=BB57_401 Depth=1
	s_or_b64 exec, exec, s[12:13]
	v_cmp_ngt_f32_e32 vcc, 0, v35
	s_and_saveexec_b64 s[12:13], vcc
	s_xor_b64 s[12:13], exec, s[12:13]
	s_cbranch_execz .LBB57_545
; %bb.542:                              ;   in Loop: Header=BB57_401 Depth=1
	v_cmp_neq_f32_e32 vcc, 0, v35
	s_and_saveexec_b64 s[46:47], vcc
	s_cbranch_execz .LBB57_544
; %bb.543:                              ;   in Loop: Header=BB57_401 Depth=1
	v_mul_f32_e32 v34, v27, v27
	v_add_f32_e32 v31, v35, v31
	v_div_scale_f32 v35, s[50:51], v31, v31, v34
	v_rcp_f32_e32 v36, v35
	v_fma_f32 v37, -v35, v36, 1.0
	v_fmac_f32_e32 v36, v37, v36
	v_div_scale_f32 v37, vcc, v34, v31, v34
	v_mul_f32_e32 v64, v37, v36
	v_fma_f32 v65, -v35, v64, v37
	v_fmac_f32_e32 v64, v65, v36
	v_fma_f32 v35, -v35, v64, v37
	v_div_fmas_f32 v35, v35, v36, v64
	v_div_fixup_f32 v37, v35, v31, v34
.LBB57_544:                             ;   in Loop: Header=BB57_401 Depth=1
	s_or_b64 exec, exec, s[46:47]
                                        ; implicit-def: $vgpr31
                                        ; implicit-def: $vgpr34_vgpr35
.LBB57_545:                             ;   in Loop: Header=BB57_401 Depth=1
	s_andn2_saveexec_b64 s[12:13], s[12:13]
; %bb.546:                              ;   in Loop: Header=BB57_401 Depth=1
	v_sub_f32_e32 v37, v31, v35
; %bb.547:                              ;   in Loop: Header=BB57_401 Depth=1
	s_or_b64 exec, exec, s[12:13]
	v_mul_f32_e32 v31, 0.5, v33
	v_mul_f32_e32 v33, 0.5, v37
	v_pk_add_f32 v[32:33], v[30:31], v[32:33]
	v_mul_f32_e32 v31, v32, v33
	v_mul_f32_e32 v32, 0x4f800000, v31
	v_cmp_gt_f32_e32 vcc, s60, v31
	v_cndmask_b32_e32 v31, v31, v32, vcc
	v_sqrt_f32_e32 v32, v31
	s_mov_b64 s[46:47], -1
	v_add_u32_e32 v33, -1, v32
	v_fma_f32 v34, -v33, v32, v31
	v_cmp_ge_f32_e64 s[12:13], 0, v34
	v_add_u32_e32 v34, 1, v32
	v_cndmask_b32_e64 v33, v32, v33, s[12:13]
	v_fma_f32 v32, -v34, v32, v31
	v_cmp_lt_f32_e64 s[12:13], 0, v32
	v_cndmask_b32_e64 v32, v33, v34, s[12:13]
	v_mul_f32_e32 v33, 0x37800000, v32
	v_cndmask_b32_e32 v32, v32, v33, vcc
	v_cmp_class_f32_e32 vcc, v31, v44
	v_cndmask_b32_e32 v36, v32, v31, vcc
                                        ; implicit-def: $vgpr34_vgpr35
.LBB57_548:                             ;   in Loop: Header=BB57_401 Depth=1
	s_andn2_saveexec_b64 s[48:49], s[48:49]
	s_cbranch_execz .LBB57_554
; %bb.549:                              ;   in Loop: Header=BB57_401 Depth=1
	v_cmp_ngt_f32_e64 s[12:13], |v26|, 1.0
                                        ; implicit-def: $vgpr36
                                        ; implicit-def: $sgpr50_sgpr51
	s_and_saveexec_b64 s[52:53], s[12:13]
	s_xor_b64 s[52:53], exec, s[52:53]
	s_cbranch_execz .LBB57_551
; %bb.550:                              ;   in Loop: Header=BB57_401 Depth=1
	v_sub_f32_e64 v31, 1.0, |v26|
	v_mul_f32_e32 v31, v31, v34
	v_mul_f32_e32 v32, 0x4f800000, v31
	v_cmp_gt_f32_e32 vcc, s60, v31
	v_cndmask_b32_e32 v31, v31, v32, vcc
	v_sqrt_f32_e32 v32, v31
	s_mov_b64 s[50:51], -1
	v_add_u32_e32 v33, -1, v32
	v_fma_f32 v35, -v33, v32, v31
	v_add_u32_e32 v34, 1, v32
	v_cmp_ge_f32_e64 s[12:13], 0, v35
	v_cndmask_b32_e64 v33, v32, v33, s[12:13]
	v_fma_f32 v32, -v34, v32, v31
	v_cmp_lt_f32_e64 s[12:13], 0, v32
	v_cndmask_b32_e64 v32, v33, v34, s[12:13]
	v_mul_f32_e32 v33, 0x37800000, v32
	v_cndmask_b32_e32 v32, v32, v33, vcc
	v_cmp_class_f32_e32 vcc, v31, v44
	v_cndmask_b32_e32 v36, v32, v31, vcc
                                        ; implicit-def: $vgpr34_vgpr35
.LBB57_551:                             ;   in Loop: Header=BB57_401 Depth=1
	s_andn2_saveexec_b64 s[52:53], s[52:53]
	s_cbranch_execz .LBB57_553
; %bb.552:                              ;   in Loop: Header=BB57_401 Depth=1
	v_mul_f32_e32 v30, v34, v35
	v_mul_f32_e32 v31, 0x4f800000, v30
	v_cmp_gt_f32_e32 vcc, s60, v30
	v_cndmask_b32_e32 v30, v30, v31, vcc
	v_sqrt_f32_e32 v31, v30
	v_mul_f32_e64 v32, |v27|, s71
	v_mul_f32_e64 v32, |v26|, v32
	s_or_b64 s[50:51], s[50:51], exec
	v_add_u32_e32 v33, -1, v31
	v_fma_f32 v34, -v33, v31, v30
	v_cmp_ge_f32_e64 s[12:13], 0, v34
	v_add_u32_e32 v34, 1, v31
	v_cndmask_b32_e64 v33, v31, v33, s[12:13]
	v_fma_f32 v31, -v34, v31, v30
	v_cmp_lt_f32_e64 s[12:13], 0, v31
	v_cndmask_b32_e64 v31, v33, v34, s[12:13]
	v_mul_f32_e32 v33, 0x37800000, v31
	v_cndmask_b32_e32 v31, v31, v33, vcc
	v_cmp_class_f32_e32 vcc, v30, v44
	v_cndmask_b32_e32 v30, v31, v30, vcc
	v_div_scale_f32 v31, s[12:13], v30, v30, v32
	v_rcp_f32_e32 v33, v31
	v_fma_f32 v34, -v31, v33, 1.0
	v_fmac_f32_e32 v33, v34, v33
	v_div_scale_f32 v34, vcc, v32, v30, v32
	v_mul_f32_e32 v35, v34, v33
	v_fma_f32 v36, -v31, v35, v34
	v_fmac_f32_e32 v35, v36, v33
	v_fma_f32 v31, -v31, v35, v34
	v_div_fmas_f32 v31, v31, v33, v35
	v_div_fixup_f32 v36, v31, v30, v32
	v_mul_f32_e64 v30, |v26|, s71
.LBB57_553:                             ;   in Loop: Header=BB57_401 Depth=1
	s_or_b64 exec, exec, s[52:53]
	s_andn2_b64 s[12:13], s[46:47], exec
	s_and_b64 s[46:47], s[50:51], exec
	s_or_b64 s[46:47], s[12:13], s[46:47]
.LBB57_554:                             ;   in Loop: Header=BB57_401 Depth=1
	s_or_b64 exec, exec, s[48:49]
	s_and_b64 s[46:47], s[46:47], exec
                                        ; implicit-def: $vgpr32
.LBB57_555:                             ;   in Loop: Header=BB57_401 Depth=1
	s_andn2_saveexec_b64 s[44:45], s[44:45]
	s_cbranch_execz .LBB57_557
; %bb.556:                              ;   in Loop: Header=BB57_401 Depth=1
	v_mul_f32_e64 v30, |v27|, s61
	v_cmp_lt_f32_e64 vcc, |v27|, s60
	v_cndmask_b32_e64 v30, |v27|, v30, vcc
	v_sqrt_f32_e32 v31, v30
	v_add_f32_e32 v32, 1.0, v32
	v_mul_f32_e32 v32, 0.5, v32
	s_or_b64 s[46:47], s[46:47], exec
	v_add_u32_e32 v33, -1, v31
	v_fma_f32 v35, -v33, v31, v30
	v_add_u32_e32 v34, 1, v31
	v_cmp_ge_f32_e64 s[12:13], 0, v35
	v_cndmask_b32_e64 v33, v31, v33, s[12:13]
	v_fma_f32 v31, -v34, v31, v30
	v_cmp_lt_f32_e64 s[12:13], 0, v31
	v_cndmask_b32_e64 v31, v33, v34, s[12:13]
	v_mul_f32_e32 v34, 0x4f800000, v32
	v_cmp_gt_f32_e64 s[12:13], s60, v32
	v_cndmask_b32_e64 v32, v32, v34, s[12:13]
	v_sqrt_f32_e32 v34, v32
	v_mul_f32_e32 v33, 0x37800000, v31
	v_cndmask_b32_e32 v31, v31, v33, vcc
	v_cmp_class_f32_e32 vcc, v30, v44
	v_cndmask_b32_e32 v30, v31, v30, vcc
	v_add_u32_e32 v31, -1, v34
	v_fma_f32 v33, -v31, v34, v32
	v_cmp_ge_f32_e32 vcc, 0, v33
	v_add_u32_e32 v33, 1, v34
	v_cndmask_b32_e32 v31, v34, v31, vcc
	v_fma_f32 v34, -v33, v34, v32
	v_cmp_lt_f32_e32 vcc, 0, v34
	v_cndmask_b32_e32 v31, v31, v33, vcc
	v_mul_f32_e32 v33, 0x37800000, v31
	v_cndmask_b32_e64 v31, v31, v33, s[12:13]
	v_cmp_class_f32_e32 vcc, v32, v44
	v_cndmask_b32_e32 v31, v31, v32, vcc
	v_mul_f32_e32 v36, v30, v31
	v_mov_b32_e32 v30, 1.0
.LBB57_557:                             ;   in Loop: Header=BB57_401 Depth=1
	s_or_b64 exec, exec, s[44:45]
	s_and_b64 s[12:13], s[46:47], exec
.LBB57_558:                             ;   in Loop: Header=BB57_401 Depth=1
	s_or_b64 exec, exec, s[42:43]
	s_and_b64 s[12:13], s[12:13], exec
                                        ; implicit-def: $vgpr32
.LBB57_559:                             ;   in Loop: Header=BB57_401 Depth=1
	s_andn2_saveexec_b64 s[40:41], s[40:41]
; %bb.560:                              ;   in Loop: Header=BB57_401 Depth=1
	v_mov_b32_e32 v33, v30
	v_pk_mul_f32 v[36:37], v[32:33], s[30:31] op_sel_hi:[1,0]
	s_or_b64 s[12:13], s[12:13], exec
	v_mov_b32_e32 v30, v37
                                        ; implicit-def: $vgpr21
; %bb.561:                              ;   in Loop: Header=BB57_401 Depth=1
	s_or_b64 exec, exec, s[40:41]
	s_xor_b64 s[12:13], s[12:13], -1
                                        ; implicit-def: $vgpr31
	s_and_saveexec_b64 s[40:41], s[12:13]
	s_xor_b64 s[12:13], exec, s[40:41]
	s_cbranch_execz .LBB57_563
; %bb.562:                              ;   in Loop: Header=BB57_401 Depth=1
	v_fma_f32 v30, |v21|, -0.5, 0.5
	v_mul_f32_e32 v31, v21, v21
	v_cmp_ge_f32_e64 vcc, |v21|, 0.5
	v_cndmask_b32_e32 v30, v31, v30, vcc
	v_mov_b32_e32 v31, 0x3c5fc5da
	v_fmac_f32_e32 v31, 0x3d1c21a7, v30
	v_fma_f32 v31, v30, v31, v46
	v_fma_f32 v31, v30, v31, v47
	v_sqrt_f32_e32 v32, v30
	v_fma_f32 v31, v30, v31, v48
	v_fma_f32 v31, v30, v31, v49
	v_mul_f32_e32 v30, v30, v31
	v_fmac_f32_e32 v32, v32, v30
	v_add_f32_e32 v31, v32, v32
	v_sub_f32_e32 v31, 0x3fc90fdb, v31
	v_fma_f32 v30, |v21|, v30, |v21|
	v_cmp_lt_f32_e64 vcc, |v21|, 0.5
	v_cndmask_b32_e32 v30, v31, v30, vcc
	v_bfi_b32 v31, s57, v30, v21
                                        ; implicit-def: $vgpr30
                                        ; implicit-def: $vgpr36
.LBB57_563:                             ;   in Loop: Header=BB57_401 Depth=1
	s_andn2_saveexec_b64 s[40:41], s[12:13]
	s_cbranch_execz .LBB57_565
; %bb.564:                              ;   in Loop: Header=BB57_401 Depth=1
	v_max_f32_e32 v21, v30, v30
	v_max_f32_e64 v31, |v36|, |v36|
	v_min_f32_e32 v32, v31, v21
	v_max_f32_e32 v21, v31, v21
	v_frexp_mant_f32_e32 v31, v21
	v_rcp_f32_e32 v31, v31
	v_frexp_exp_i32_f32_e32 v21, v21
	v_frexp_exp_i32_f32_e32 v33, v32
	v_frexp_mant_f32_e32 v32, v32
	v_mul_f32_e32 v31, v32, v31
	v_sub_u32_e32 v21, v33, v21
	v_ldexp_f32 v21, v31, v21
	v_mul_f32_e32 v31, v21, v21
	v_mov_b32_e32 v32, 0xbc7a590c
	v_fmac_f32_e32 v32, 0x3b2d2a58, v31
	v_fma_f32 v32, v31, v32, v50
	v_fma_f32 v32, v31, v32, v51
	;; [unrolled: 1-line block ×6, first 2 shown]
	v_mul_f32_e32 v31, v31, v32
	v_fmac_f32_e32 v21, v21, v31
	v_sub_f32_e32 v31, 0x3fc90fdb, v21
	v_cmp_gt_f32_e64 vcc, v30, |v36|
	v_cndmask_b32_e32 v21, v21, v31, vcc
	v_sub_f32_e32 v31, 0x40490fdb, v21
	v_cmp_gt_f32_e32 vcc, 0, v36
	v_cmp_gt_i32_e64 s[12:13], 0, v36
	v_cndmask_b32_e32 v21, v21, v31, vcc
	v_cndmask_b32_e64 v31, 0, v61, s[12:13]
	v_cmp_eq_f32_e64 s[12:13], 0, v30
	v_cndmask_b32_e64 v21, v21, v31, s[12:13]
	v_cndmask_b32_e32 v31, v62, v63, vcc
	v_cmp_class_f32_e64 s[12:13], v36, s72
	v_cmp_eq_f32_e32 vcc, s58, v30
	s_and_b64 vcc, vcc, s[12:13]
	v_cndmask_b32_e32 v21, v21, v31, vcc
	v_cmp_o_f32_e32 vcc, v36, v30
	v_cndmask_b32_e64 v31, v59, |v21|, vcc
.LBB57_565:                             ;   in Loop: Header=BB57_401 Depth=1
	s_or_b64 exec, exec, s[40:41]
	v_bfi_b32 v26, s57, v31, v26
	v_bfi_b32 v27, s57, v19, v27
.LBB57_566:                             ;   in Loop: Header=BB57_401 Depth=1
	s_or_b64 exec, exec, s[38:39]
.LBB57_567:                             ;   in Loop: Header=BB57_401 Depth=1
	s_or_b64 exec, exec, s[36:37]
                                        ; implicit-def: $vgpr19
                                        ; implicit-def: $vgpr30
                                        ; implicit-def: $vgpr21
.LBB57_568:                             ;   in Loop: Header=BB57_401 Depth=1
	s_andn2_saveexec_b64 s[36:37], s[14:15]
	s_cbranch_execz .LBB57_590
; %bb.569:                              ;   in Loop: Header=BB57_401 Depth=1
	v_cmp_lt_i32_e32 vcc, -1, v27
                                        ; implicit-def: $vgpr31
                                        ; implicit-def: $vgpr32
	s_and_saveexec_b64 s[12:13], vcc
	s_xor_b64 s[38:39], exec, s[12:13]
	s_cbranch_execz .LBB57_579
; %bb.570:                              ;   in Loop: Header=BB57_401 Depth=1
	v_cmp_lt_f32_e64 s[12:13], |v27|, |v26|
	v_cndmask_b32_e64 v33, |v27|, |v26|, s[12:13]
	v_cmp_nlt_f32_e32 vcc, s73, v33
                                        ; implicit-def: $vgpr31
                                        ; implicit-def: $vgpr32
	s_and_saveexec_b64 s[14:15], vcc
	s_xor_b64 s[40:41], exec, s[14:15]
	s_cbranch_execz .LBB57_576
; %bb.571:                              ;   in Loop: Header=BB57_401 Depth=1
	v_cndmask_b32_e64 v34, |v26|, |v27|, s[12:13]
	v_cmp_nlt_f32_e32 vcc, s74, v33
	v_cmp_ngt_f32_e64 s[14:15], s75, v34
	s_and_b64 s[14:15], vcc, s[14:15]
                                        ; implicit-def: $vgpr31
                                        ; implicit-def: $vgpr32
	s_and_saveexec_b64 s[42:43], s[14:15]
	s_xor_b64 s[14:15], exec, s[42:43]
	s_cbranch_execz .LBB57_573
; %bb.572:                              ;   in Loop: Header=BB57_401 Depth=1
	v_mul_f32_e32 v31, v34, v34
	v_fmac_f32_e32 v31, v33, v33
	v_cmp_gt_f32_e32 vcc, s62, v31
	v_cndmask_b32_e32 v32, 1.0, v57, vcc
	v_mul_f32_e32 v31, v31, v32
	v_log_f32_e32 v31, v31
	v_min_f32_e32 v19, v19, v30
	s_waitcnt lgkmcnt(0)
	v_frexp_mant_f32_e32 v30, v21
	v_rcp_f32_e32 v30, v30
	v_mul_f32_e32 v33, 0x3f317217, v31
	v_fma_f32 v34, v31, s63, -v33
	v_fmac_f32_e32 v34, 0x3377d1cf, v31
	v_cndmask_b32_e32 v32, 0, v58, vcc
	v_add_f32_e32 v33, v33, v34
	v_cmp_lt_f32_e64 vcc, |v31|, s58
	v_cndmask_b32_e32 v31, v31, v33, vcc
	v_sub_f32_e32 v31, v31, v32
	v_frexp_exp_i32_f32_e32 v21, v21
	v_frexp_exp_i32_f32_e32 v32, v19
	v_frexp_mant_f32_e32 v19, v19
	v_mul_f32_e32 v19, v19, v30
	v_sub_u32_e32 v21, v32, v21
	v_ldexp_f32 v32, v19, v21
	v_mul_f32_e32 v19, v32, v32
	v_mov_b32_e32 v21, 0xbc7a590c
	v_fmac_f32_e32 v21, 0x3b2d2a58, v19
	v_fma_f32 v21, v19, v21, v50
	v_fma_f32 v21, v19, v21, v51
	v_fma_f32 v21, v19, v21, v52
	v_fma_f32 v21, v19, v21, v53
	v_fma_f32 v21, v19, v21, v54
	v_fma_f32 v21, v19, v21, v55
	v_mul_f32_e32 v19, v19, v21
	v_mul_f32_e32 v31, 0.5, v31
	v_fmac_f32_e32 v32, v32, v19
                                        ; implicit-def: $vgpr21
                                        ; implicit-def: $vgpr19
                                        ; implicit-def: $vgpr30
.LBB57_573:                             ;   in Loop: Header=BB57_401 Depth=1
	s_andn2_saveexec_b64 s[14:15], s[14:15]
	s_cbranch_execz .LBB57_575
; %bb.574:                              ;   in Loop: Header=BB57_401 Depth=1
	s_waitcnt lgkmcnt(0)
	v_cvt_f64_f32_e32 v[32:33], v21
	v_frexp_exp_i32_f64_e32 v31, v[32:33]
	v_sub_u32_e32 v32, 0, v31
	v_ldexp_f32 v33, |v27|, v32
	v_ldexp_f32 v32, |v26|, v32
	v_mul_f32_e32 v32, v32, v32
	v_fmac_f32_e32 v32, v33, v33
	v_sqrt_f32_e32 v32, v32
	v_cmp_neq_f32_e32 vcc, s58, v21
	v_min_f32_e32 v19, v19, v30
	v_ldexp_f32 v31, v32, v31
	v_cndmask_b32_e32 v31, v56, v31, vcc
	v_cmp_gt_f32_e32 vcc, s62, v31
	v_cndmask_b32_e32 v32, 1.0, v57, vcc
	v_mul_f32_e32 v31, v31, v32
	v_log_f32_e32 v31, v31
	v_cndmask_b32_e32 v30, 0, v58, vcc
	v_mul_f32_e32 v32, 0x3f317217, v31
	v_fma_f32 v33, v31, s63, -v32
	v_fmac_f32_e32 v33, 0x3377d1cf, v31
	v_add_f32_e32 v32, v32, v33
	v_cmp_lt_f32_e64 vcc, |v31|, s58
	v_cndmask_b32_e32 v31, v31, v32, vcc
	v_sub_f32_e32 v31, v31, v30
	v_frexp_mant_f32_e32 v30, v21
	v_rcp_f32_e32 v30, v30
	v_frexp_exp_i32_f32_e32 v21, v21
	v_frexp_exp_i32_f32_e32 v32, v19
	v_frexp_mant_f32_e32 v19, v19
	v_mul_f32_e32 v19, v19, v30
	v_sub_u32_e32 v21, v32, v21
	v_ldexp_f32 v32, v19, v21
	v_mul_f32_e32 v19, v32, v32
	v_mov_b32_e32 v21, 0xbc7a590c
	v_fmac_f32_e32 v21, 0x3b2d2a58, v19
	v_fma_f32 v21, v19, v21, v50
	v_fma_f32 v21, v19, v21, v51
	;; [unrolled: 1-line block ×6, first 2 shown]
	v_mul_f32_e32 v19, v19, v21
	v_fmac_f32_e32 v32, v32, v19
.LBB57_575:                             ;   in Loop: Header=BB57_401 Depth=1
	s_or_b64 exec, exec, s[14:15]
                                        ; implicit-def: $vgpr19
                                        ; implicit-def: $vgpr30
                                        ; implicit-def: $vgpr21
.LBB57_576:                             ;   in Loop: Header=BB57_401 Depth=1
	s_andn2_saveexec_b64 s[40:41], s[40:41]
	s_cbranch_execz .LBB57_578
; %bb.577:                              ;   in Loop: Header=BB57_401 Depth=1
	v_div_scale_f32 v31, s[14:15], s76, s76, v27
	v_rcp_f32_e32 v32, v31
	v_div_scale_f32 v33, vcc, v27, s76, v27
	v_min_f32_e32 v19, v19, v30
	v_fma_f32 v34, -v31, v32, 1.0
	v_fmac_f32_e32 v32, v34, v32
	v_mul_f32_e32 v34, v33, v32
	v_fma_f32 v35, -v31, v34, v33
	v_fmac_f32_e32 v34, v35, v32
	v_fma_f32 v31, -v31, v34, v33
	v_div_scale_f32 v33, s[14:15], s76, s76, v26
	v_rcp_f32_e32 v35, v33
	v_div_fmas_f32 v31, v31, v32, v34
	v_div_fixup_f32 v31, v31, s76, v27
	s_waitcnt lgkmcnt(0)
	v_frexp_mant_f32_e32 v30, v21
	v_fma_f32 v32, -v33, v35, 1.0
	v_fmac_f32_e32 v35, v32, v35
	v_div_scale_f32 v32, vcc, v26, s76, v26
	v_mul_f32_e32 v34, v32, v35
	v_fma_f32 v36, -v33, v34, v32
	v_fmac_f32_e32 v34, v36, v35
	v_fma_f32 v32, -v33, v34, v32
	v_div_fmas_f32 v32, v32, v35, v34
	v_div_fixup_f32 v34, v32, s76, v26
	v_max_f32_e64 v35, |v31|, |v34|
	v_cvt_f64_f32_e32 v[32:33], v35
	v_frexp_exp_i32_f64_e32 v32, v[32:33]
	v_sub_u32_e32 v33, 0, v32
	v_ldexp_f32 v31, |v31|, v33
	v_ldexp_f32 v33, |v34|, v33
	v_mul_f32_e32 v33, v33, v33
	v_fmac_f32_e32 v33, v31, v31
	v_sqrt_f32_e32 v31, v33
	v_cmp_neq_f32_e32 vcc, s58, v35
	v_rcp_f32_e32 v30, v30
	v_frexp_exp_i32_f32_e32 v21, v21
	v_ldexp_f32 v31, v31, v32
	v_cndmask_b32_e32 v31, v56, v31, vcc
	v_cmp_gt_f32_e32 vcc, s62, v31
	v_cndmask_b32_e32 v32, 1.0, v57, vcc
	v_mul_f32_e32 v31, v31, v32
	v_log_f32_e32 v31, v31
	v_mul_f32_e32 v32, 0x3f317217, v31
	v_fma_f32 v33, v31, s63, -v32
	v_fmac_f32_e32 v33, 0x3377d1cf, v31
	v_add_f32_e32 v32, v32, v33
	v_cmp_lt_f32_e64 s[14:15], |v31|, s58
	v_cndmask_b32_e64 v31, v31, v32, s[14:15]
	v_cndmask_b32_e32 v32, 0, v58, vcc
	v_sub_f32_e32 v31, v31, v32
	v_frexp_exp_i32_f32_e32 v32, v19
	v_frexp_mant_f32_e32 v19, v19
	v_mul_f32_e32 v19, v19, v30
	v_sub_u32_e32 v21, v32, v21
	v_ldexp_f32 v32, v19, v21
	v_mul_f32_e32 v19, v32, v32
	v_mov_b32_e32 v21, 0xbc7a590c
	v_fmac_f32_e32 v21, 0x3b2d2a58, v19
	v_fma_f32 v21, v19, v21, v50
	v_fma_f32 v21, v19, v21, v51
	;; [unrolled: 1-line block ×6, first 2 shown]
	v_mul_f32_e32 v19, v19, v21
	v_add_f32_e32 v31, 1.0, v31
	v_fmac_f32_e32 v32, v32, v19
.LBB57_578:                             ;   in Loop: Header=BB57_401 Depth=1
	s_or_b64 exec, exec, s[40:41]
	v_sub_f32_e32 v19, 0x3fc90fdb, v32
	v_cndmask_b32_e64 v32, v32, v19, s[12:13]
                                        ; implicit-def: $vgpr19
                                        ; implicit-def: $vgpr30
                                        ; implicit-def: $vgpr21
.LBB57_579:                             ;   in Loop: Header=BB57_401 Depth=1
	s_andn2_saveexec_b64 s[38:39], s[38:39]
	s_cbranch_execz .LBB57_589
; %bb.580:                              ;   in Loop: Header=BB57_401 Depth=1
	v_cmp_lt_f32_e64 s[12:13], |v27|, |v26|
	v_cndmask_b32_e64 v33, |v27|, |v26|, s[12:13]
	v_cmp_nlt_f32_e32 vcc, s73, v33
                                        ; implicit-def: $vgpr31
                                        ; implicit-def: $vgpr32
	s_and_saveexec_b64 s[14:15], vcc
	s_xor_b64 s[40:41], exec, s[14:15]
	s_cbranch_execz .LBB57_586
; %bb.581:                              ;   in Loop: Header=BB57_401 Depth=1
	v_cndmask_b32_e64 v34, |v26|, |v27|, s[12:13]
	v_cmp_nlt_f32_e32 vcc, s74, v33
	v_cmp_ngt_f32_e64 s[14:15], s75, v34
	s_and_b64 s[14:15], vcc, s[14:15]
                                        ; implicit-def: $vgpr31
                                        ; implicit-def: $vgpr32
	s_and_saveexec_b64 s[42:43], s[14:15]
	s_xor_b64 s[14:15], exec, s[42:43]
	s_cbranch_execz .LBB57_583
; %bb.582:                              ;   in Loop: Header=BB57_401 Depth=1
	v_mul_f32_e32 v31, v34, v34
	v_fmac_f32_e32 v31, v33, v33
	v_cmp_gt_f32_e32 vcc, s62, v31
	v_cndmask_b32_e32 v32, 1.0, v57, vcc
	v_mul_f32_e32 v31, v31, v32
	v_log_f32_e32 v31, v31
	v_min_f32_e32 v19, v19, v30
	s_waitcnt lgkmcnt(0)
	v_frexp_mant_f32_e32 v30, v21
	v_rcp_f32_e32 v30, v30
	v_mul_f32_e32 v33, 0x3f317217, v31
	v_fma_f32 v34, v31, s63, -v33
	v_fmac_f32_e32 v34, 0x3377d1cf, v31
	v_cndmask_b32_e32 v32, 0, v58, vcc
	v_add_f32_e32 v33, v33, v34
	v_cmp_lt_f32_e64 vcc, |v31|, s58
	v_cndmask_b32_e32 v31, v31, v33, vcc
	v_sub_f32_e32 v31, v31, v32
	v_frexp_exp_i32_f32_e32 v21, v21
	v_frexp_exp_i32_f32_e32 v32, v19
	v_frexp_mant_f32_e32 v19, v19
	v_mul_f32_e32 v19, v19, v30
	v_sub_u32_e32 v21, v32, v21
	v_ldexp_f32 v32, v19, v21
	v_mul_f32_e32 v19, v32, v32
	v_mov_b32_e32 v21, 0xbc7a590c
	v_fmac_f32_e32 v21, 0x3b2d2a58, v19
	v_fma_f32 v21, v19, v21, v50
	v_fma_f32 v21, v19, v21, v51
	;; [unrolled: 1-line block ×6, first 2 shown]
	v_mul_f32_e32 v19, v19, v21
	v_mul_f32_e32 v31, 0.5, v31
	v_fmac_f32_e32 v32, v32, v19
                                        ; implicit-def: $vgpr21
                                        ; implicit-def: $vgpr19
                                        ; implicit-def: $vgpr30
.LBB57_583:                             ;   in Loop: Header=BB57_401 Depth=1
	s_andn2_saveexec_b64 s[14:15], s[14:15]
	s_cbranch_execz .LBB57_585
; %bb.584:                              ;   in Loop: Header=BB57_401 Depth=1
	s_waitcnt lgkmcnt(0)
	v_cvt_f64_f32_e32 v[32:33], v21
	v_frexp_exp_i32_f64_e32 v31, v[32:33]
	v_sub_u32_e32 v32, 0, v31
	v_ldexp_f32 v33, |v27|, v32
	v_ldexp_f32 v32, |v26|, v32
	v_mul_f32_e32 v32, v32, v32
	v_fmac_f32_e32 v32, v33, v33
	v_sqrt_f32_e32 v32, v32
	v_cmp_neq_f32_e32 vcc, s58, v21
	v_min_f32_e32 v19, v19, v30
	v_ldexp_f32 v31, v32, v31
	v_cndmask_b32_e32 v31, v56, v31, vcc
	v_cmp_gt_f32_e32 vcc, s62, v31
	v_cndmask_b32_e32 v32, 1.0, v57, vcc
	v_mul_f32_e32 v31, v31, v32
	v_log_f32_e32 v31, v31
	v_cndmask_b32_e32 v30, 0, v58, vcc
	v_mul_f32_e32 v32, 0x3f317217, v31
	v_fma_f32 v33, v31, s63, -v32
	v_fmac_f32_e32 v33, 0x3377d1cf, v31
	v_add_f32_e32 v32, v32, v33
	v_cmp_lt_f32_e64 vcc, |v31|, s58
	v_cndmask_b32_e32 v31, v31, v32, vcc
	v_sub_f32_e32 v31, v31, v30
	v_frexp_mant_f32_e32 v30, v21
	v_rcp_f32_e32 v30, v30
	v_frexp_exp_i32_f32_e32 v21, v21
	v_frexp_exp_i32_f32_e32 v32, v19
	v_frexp_mant_f32_e32 v19, v19
	v_mul_f32_e32 v19, v19, v30
	v_sub_u32_e32 v21, v32, v21
	v_ldexp_f32 v32, v19, v21
	v_mul_f32_e32 v19, v32, v32
	v_mov_b32_e32 v21, 0xbc7a590c
	v_fmac_f32_e32 v21, 0x3b2d2a58, v19
	v_fma_f32 v21, v19, v21, v50
	v_fma_f32 v21, v19, v21, v51
	;; [unrolled: 1-line block ×6, first 2 shown]
	v_mul_f32_e32 v19, v19, v21
	v_fmac_f32_e32 v32, v32, v19
.LBB57_585:                             ;   in Loop: Header=BB57_401 Depth=1
	s_or_b64 exec, exec, s[14:15]
                                        ; implicit-def: $vgpr19
                                        ; implicit-def: $vgpr30
                                        ; implicit-def: $vgpr21
.LBB57_586:                             ;   in Loop: Header=BB57_401 Depth=1
	s_andn2_saveexec_b64 s[40:41], s[40:41]
	s_cbranch_execz .LBB57_588
; %bb.587:                              ;   in Loop: Header=BB57_401 Depth=1
	v_div_scale_f32 v31, s[14:15], s77, s77, v27
	v_rcp_f32_e32 v32, v31
	v_div_scale_f32 v33, vcc, v27, s77, v27
	v_min_f32_e32 v19, v19, v30
	v_fma_f32 v34, -v31, v32, 1.0
	v_fmac_f32_e32 v32, v34, v32
	v_mul_f32_e32 v34, v33, v32
	v_fma_f32 v35, -v31, v34, v33
	v_fmac_f32_e32 v34, v35, v32
	v_fma_f32 v31, -v31, v34, v33
	v_div_scale_f32 v33, s[14:15], s77, s77, v26
	v_rcp_f32_e32 v35, v33
	v_div_fmas_f32 v31, v31, v32, v34
	v_div_fixup_f32 v31, v31, s77, v27
	s_waitcnt lgkmcnt(0)
	v_frexp_mant_f32_e32 v30, v21
	v_fma_f32 v32, -v33, v35, 1.0
	v_fmac_f32_e32 v35, v32, v35
	v_div_scale_f32 v32, vcc, v26, s77, v26
	v_mul_f32_e32 v34, v32, v35
	v_fma_f32 v36, -v33, v34, v32
	v_fmac_f32_e32 v34, v36, v35
	v_fma_f32 v32, -v33, v34, v32
	v_div_fmas_f32 v32, v32, v35, v34
	v_div_fixup_f32 v34, v32, s77, v26
	v_max_f32_e64 v35, |v31|, |v34|
	v_cvt_f64_f32_e32 v[32:33], v35
	v_frexp_exp_i32_f64_e32 v32, v[32:33]
	v_sub_u32_e32 v33, 0, v32
	v_ldexp_f32 v31, |v31|, v33
	v_ldexp_f32 v33, |v34|, v33
	v_mul_f32_e32 v33, v33, v33
	v_fmac_f32_e32 v33, v31, v31
	v_sqrt_f32_e32 v31, v33
	v_cmp_neq_f32_e32 vcc, s58, v35
	v_rcp_f32_e32 v30, v30
	v_frexp_exp_i32_f32_e32 v21, v21
	v_ldexp_f32 v31, v31, v32
	v_cndmask_b32_e32 v31, v56, v31, vcc
	v_cmp_gt_f32_e32 vcc, s62, v31
	v_cndmask_b32_e32 v32, 1.0, v57, vcc
	v_mul_f32_e32 v31, v31, v32
	v_log_f32_e32 v31, v31
	v_mul_f32_e32 v32, 0x3f317217, v31
	v_fma_f32 v33, v31, s63, -v32
	v_fmac_f32_e32 v33, 0x3377d1cf, v31
	v_add_f32_e32 v32, v32, v33
	v_cmp_lt_f32_e64 s[14:15], |v31|, s58
	v_cndmask_b32_e64 v31, v31, v32, s[14:15]
	v_cndmask_b32_e32 v32, 0, v58, vcc
	v_sub_f32_e32 v31, v31, v32
	v_frexp_exp_i32_f32_e32 v32, v19
	v_frexp_mant_f32_e32 v19, v19
	v_mul_f32_e32 v19, v19, v30
	v_sub_u32_e32 v21, v32, v21
	v_ldexp_f32 v32, v19, v21
	v_mul_f32_e32 v19, v32, v32
	v_mov_b32_e32 v21, 0xbc7a590c
	v_fmac_f32_e32 v21, 0x3b2d2a58, v19
	v_fma_f32 v21, v19, v21, v50
	v_fma_f32 v21, v19, v21, v51
	;; [unrolled: 1-line block ×6, first 2 shown]
	v_mul_f32_e32 v19, v19, v21
	v_add_f32_e32 v31, 1.0, v31
	v_fmac_f32_e32 v32, v32, v19
.LBB57_588:                             ;   in Loop: Header=BB57_401 Depth=1
	s_or_b64 exec, exec, s[40:41]
	v_sub_f32_e32 v19, 0x3fc90fdb, v32
	v_cndmask_b32_e64 v32, v32, v19, s[12:13]
.LBB57_589:                             ;   in Loop: Header=BB57_401 Depth=1
	s_or_b64 exec, exec, s[38:39]
	v_cmp_neq_f32_e32 vcc, 0, v26
	v_cmp_class_f32_e64 s[12:13], v27, s72
	v_cmp_class_f32_e64 s[14:15], v26, s72
	v_cndmask_b32_e32 v19, 0, v32, vcc
	s_and_b64 vcc, s[12:13], s[14:15]
	v_cndmask_b32_e32 v19, v19, v62, vcc
	v_cmp_o_f32_e32 vcc, v26, v27
	v_cndmask_b32_e32 v19, v59, v19, vcc
	s_waitcnt lgkmcnt(0)
	v_add_f32_e32 v21, 0x3f317218, v31
	v_bfi_b32 v26, s57, v19, v26
	v_bfi_b32 v27, s57, v21, v27
.LBB57_590:                             ;   in Loop: Header=BB57_401 Depth=1
	s_or_b64 exec, exec, s[36:37]
.LBB57_591:                             ;   in Loop: Header=BB57_401 Depth=1
	s_andn2_saveexec_b64 s[12:13], s[34:35]
	s_cbranch_execz .LBB57_605
; %bb.592:                              ;   in Loop: Header=BB57_401 Depth=1
	v_cmp_neq_f32_e64 s[14:15], |v27|, s58
                                        ; implicit-def: $vgpr19
	s_and_saveexec_b64 s[34:35], s[14:15]
	s_xor_b64 s[14:15], exec, s[34:35]
	s_cbranch_execz .LBB57_602
; %bb.593:                              ;   in Loop: Header=BB57_401 Depth=1
	v_cmp_neq_f32_e64 s[34:35], |v26|, s58
                                        ; implicit-def: $vgpr19
	s_and_saveexec_b64 s[36:37], s[34:35]
	s_xor_b64 s[34:35], exec, s[36:37]
	s_cbranch_execz .LBB57_599
; %bb.594:                              ;   in Loop: Header=BB57_401 Depth=1
	v_cmp_neq_f32_e32 vcc, 0, v26
	s_and_saveexec_b64 s[36:37], vcc
	s_xor_b64 s[36:37], exec, s[36:37]
; %bb.595:                              ;   in Loop: Header=BB57_401 Depth=1
	v_add_f32_e32 v19, 0, v27
	v_add_f32_e32 v27, v26, v19
; %bb.596:                              ;   in Loop: Header=BB57_401 Depth=1
	s_or_saveexec_b64 s[36:37], s[36:37]
	v_mov_b32_e32 v19, v27
	s_xor_b64 exec, exec, s[36:37]
; %bb.597:                              ;   in Loop: Header=BB57_401 Depth=1
	v_add_f32_e32 v27, v27, v27
	v_mov_b32_e32 v19, v26
; %bb.598:                              ;   in Loop: Header=BB57_401 Depth=1
	s_or_b64 exec, exec, s[36:37]
.LBB57_599:                             ;   in Loop: Header=BB57_401 Depth=1
	s_andn2_saveexec_b64 s[34:35], s[34:35]
; %bb.600:                              ;   in Loop: Header=BB57_401 Depth=1
	v_add_f32_e32 v19, v27, v27
	v_mov_b32_e32 v27, v26
; %bb.601:                              ;   in Loop: Header=BB57_401 Depth=1
	s_or_b64 exec, exec, s[34:35]
.LBB57_602:                             ;   in Loop: Header=BB57_401 Depth=1
	s_andn2_saveexec_b64 s[14:15], s[14:15]
; %bb.603:                              ;   in Loop: Header=BB57_401 Depth=1
	v_add_f32_e32 v19, v26, v26
; %bb.604:                              ;   in Loop: Header=BB57_401 Depth=1
	s_or_b64 exec, exec, s[14:15]
	v_mov_b32_e32 v26, v19
.LBB57_605:                             ;   in Loop: Header=BB57_401 Depth=1
	s_or_b64 exec, exec, s[12:13]
	v_cmp_o_f32_e32 vcc, v23, v23
	v_cmp_o_f32_e64 s[12:13], v22, v22
	s_and_b64 s[12:13], vcc, s[12:13]
	s_and_saveexec_b64 s[14:15], s[12:13]
	s_xor_b64 s[34:35], exec, s[14:15]
	s_cbranch_execz .LBB57_689
; %bb.606:                              ;   in Loop: Header=BB57_401 Depth=1
	v_max_f32_e64 v30, |v22|, |v22|
	v_max_f32_e64 v19, |v23|, |v23|
	s_waitcnt lgkmcnt(0)
	v_max_f32_e32 v21, v19, v30
	v_cmp_nlt_f32_e32 vcc, s55, v21
	s_and_saveexec_b64 s[12:13], vcc
	s_xor_b64 s[14:15], exec, s[12:13]
	s_cbranch_execz .LBB57_666
; %bb.607:                              ;   in Loop: Header=BB57_401 Depth=1
	v_cmp_neq_f32_e32 vcc, 0, v23
	v_cmp_neq_f32_e64 s[12:13], 0, v22
	s_or_b64 s[12:13], vcc, s[12:13]
	s_and_saveexec_b64 s[36:37], s[12:13]
	s_cbranch_execz .LBB57_665
; %bb.608:                              ;   in Loop: Header=BB57_401 Depth=1
	v_pk_mov_b32 v[30:31], s[22:23], s[22:23] op_sel:[0,1]
	flat_store_dword v[30:31], v43
	s_waitcnt vmcnt(0)
	flat_load_dword v21, v[30:31] glc
	s_waitcnt vmcnt(0)
	v_pk_mov_b32 v[30:31], s[24:25], s[24:25] op_sel:[0,1]
	v_cmp_nlt_f32_e64 s[12:13], |v23|, s56
	v_cmp_nlt_f32_e64 s[38:39], |v22|, s56
	s_or_b64 s[12:13], s[12:13], s[38:39]
	s_waitcnt lgkmcnt(0)
	v_add_f32_e32 v21, 1.0, v21
	flat_store_dword v[30:31], v21
	s_waitcnt vmcnt(0)
	flat_load_dword v21, v[30:31] glc
	s_waitcnt vmcnt(0)
	s_and_saveexec_b64 s[38:39], s[12:13]
	s_cbranch_execz .LBB57_664
; %bb.609:                              ;   in Loop: Header=BB57_401 Depth=1
	v_and_b32_e32 v30, 0x7fffffff, v22
	v_pk_add_f32 v[34:35], v[30:31], s[28:29] op_sel_hi:[0,1]
	s_waitcnt lgkmcnt(0)
	v_max_f32_e64 v21, v19, |v35|
	v_max_f32_e64 v19, v19, |v34|
	v_cvt_f64_f32_e32 v[32:33], v19
	v_frexp_exp_i32_f64_e32 v31, v[32:33]
	v_sub_u32_e32 v32, 0, v31
	v_ldexp_f32 v33, |v23|, v32
	v_ldexp_f32 v32, |v34|, v32
	v_mul_f32_e32 v32, v32, v32
	v_fmac_f32_e32 v32, v33, v33
	v_sqrt_f32_e32 v36, v32
	v_cvt_f64_f32_e32 v[32:33], v21
	v_frexp_exp_i32_f64_e32 v32, v[32:33]
	v_sub_u32_e32 v33, 0, v32
	v_ldexp_f32 v37, |v23|, v33
	v_ldexp_f32 v33, |v35|, v33
	v_mul_f32_e32 v33, v33, v33
	v_fmac_f32_e32 v33, v37, v37
	v_sqrt_f32_e32 v33, v33
	v_ldexp_f32 v36, v36, v31
	v_cmp_neq_f32_e32 vcc, s58, v21
	v_ldexp_f32 v31, v33, v32
	v_cndmask_b32_e32 v31, v56, v31, vcc
	v_cmp_neq_f32_e32 vcc, s58, v19
	v_cndmask_b32_e32 v64, v56, v36, vcc
	v_add_f32_e32 v19, v64, v31
	v_mul_f32_e32 v19, 0.5, v19
	v_cmp_ngt_f32_e32 vcc, 1.0, v19
	v_cndmask_b32_e32 v32, 1.0, v19, vcc
	v_cmp_ngt_f32_e32 vcc, s59, v32
                                        ; implicit-def: $vgpr19
	s_and_saveexec_b64 s[12:13], vcc
	s_xor_b64 s[40:41], exec, s[12:13]
	s_cbranch_execz .LBB57_611
; %bb.610:                              ;   in Loop: Header=BB57_401 Depth=1
	v_fma_f32 v19, v32, v32, -1.0
	v_mul_f32_e32 v21, 0x4f800000, v19
	v_cmp_gt_f32_e32 vcc, s60, v19
	v_cndmask_b32_e32 v19, v19, v21, vcc
	v_sqrt_f32_e32 v21, v19
	v_add_u32_e32 v33, -1, v21
	v_fma_f32 v37, -v33, v21, v19
	v_add_u32_e32 v36, 1, v21
	v_cmp_ge_f32_e64 s[12:13], 0, v37
	v_cndmask_b32_e64 v33, v21, v33, s[12:13]
	v_fma_f32 v21, -v36, v21, v19
	v_cmp_lt_f32_e64 s[12:13], 0, v21
	v_cndmask_b32_e64 v21, v33, v36, s[12:13]
	v_mul_f32_e32 v33, 0x37800000, v21
	v_cndmask_b32_e32 v21, v21, v33, vcc
	v_cmp_class_f32_e32 vcc, v19, v44
	v_cndmask_b32_e32 v19, v21, v19, vcc
	v_add_f32_e32 v19, v32, v19
	v_cmp_gt_f32_e32 vcc, s62, v19
	v_cndmask_b32_e32 v21, 1.0, v57, vcc
	v_mul_f32_e32 v19, v19, v21
	v_log_f32_e32 v19, v19
	v_mul_f32_e32 v21, 0x3f317217, v19
	v_fma_f32 v33, v19, s63, -v21
	v_fmac_f32_e32 v33, 0x3377d1cf, v19
	v_add_f32_e32 v21, v21, v33
	v_cmp_lt_f32_e64 s[12:13], |v19|, s58
	v_cndmask_b32_e64 v19, v19, v21, s[12:13]
	v_cndmask_b32_e32 v21, 0, v58, vcc
	v_sub_f32_e32 v19, v19, v21
.LBB57_611:                             ;   in Loop: Header=BB57_401 Depth=1
	s_or_saveexec_b64 s[40:41], s[40:41]
	v_and_b32_e32 v37, 0x7fffffff, v23
	v_and_b32_e32 v65, 0x7fffffff, v35
	s_xor_b64 exec, exec, s[40:41]
	s_cbranch_execz .LBB57_633
; %bb.612:                              ;   in Loop: Header=BB57_401 Depth=1
	v_cmp_neq_f32_e64 s[12:13], |v22|, 1.0
	v_cmp_nlt_f32_e64 s[42:43], |v23|, s64
	s_or_b64 s[12:13], s[42:43], s[12:13]
                                        ; implicit-def: $vgpr19
	s_and_saveexec_b64 s[42:43], s[12:13]
	s_xor_b64 s[42:43], exec, s[42:43]
	s_cbranch_execz .LBB57_630
; %bb.613:                              ;   in Loop: Header=BB57_401 Depth=1
	v_mul_f32_e32 v19, 0x34000000, v65
	v_cmp_le_f32_e64 s[12:13], v19, |v23|
                                        ; implicit-def: $vgpr19
	s_and_saveexec_b64 s[44:45], s[12:13]
	s_xor_b64 s[44:45], exec, s[44:45]
	s_cbranch_execz .LBB57_623
; %bb.614:                              ;   in Loop: Header=BB57_401 Depth=1
	v_cmp_neq_f32_e32 vcc, 0, v34
	v_mov_b32_e32 v19, v37
	s_and_saveexec_b64 s[12:13], vcc
	s_cbranch_execz .LBB57_616
; %bb.615:                              ;   in Loop: Header=BB57_401 Depth=1
	v_mul_f32_e32 v19, v23, v23
	v_add_f32_e32 v21, v34, v64
	v_div_scale_f32 v33, s[46:47], v21, v21, v19
	v_rcp_f32_e32 v36, v33
	v_fma_f32 v66, -v33, v36, 1.0
	v_fmac_f32_e32 v36, v66, v36
	v_div_scale_f32 v66, vcc, v19, v21, v19
	v_mul_f32_e32 v67, v66, v36
	v_fma_f32 v68, -v33, v67, v66
	v_fmac_f32_e32 v67, v68, v36
	v_fma_f32 v33, -v33, v67, v66
	v_div_fmas_f32 v33, v33, v36, v67
	v_div_fixup_f32 v19, v33, v21, v19
.LBB57_616:                             ;   in Loop: Header=BB57_401 Depth=1
	s_or_b64 exec, exec, s[12:13]
	v_sub_f32_e64 v33, 1.0, |v22|
	v_cmp_ngt_f32_e32 vcc, 0, v33
                                        ; implicit-def: $vgpr21
	s_and_saveexec_b64 s[12:13], vcc
	s_xor_b64 s[12:13], exec, s[12:13]
	s_cbranch_execz .LBB57_620
; %bb.617:                              ;   in Loop: Header=BB57_401 Depth=1
	v_cmp_neq_f32_e32 vcc, 0, v33
	v_mov_b32_e32 v21, v37
	s_and_saveexec_b64 s[46:47], vcc
	s_cbranch_execz .LBB57_619
; %bb.618:                              ;   in Loop: Header=BB57_401 Depth=1
	v_mul_f32_e32 v21, v23, v23
	v_add_f32_e32 v33, v33, v31
	v_div_scale_f32 v36, s[48:49], v33, v33, v21
	v_rcp_f32_e32 v66, v36
	v_fma_f32 v67, -v36, v66, 1.0
	v_fmac_f32_e32 v66, v67, v66
	v_div_scale_f32 v67, vcc, v21, v33, v21
	v_mul_f32_e32 v68, v67, v66
	v_fma_f32 v69, -v36, v68, v67
	v_fmac_f32_e32 v68, v69, v66
	v_fma_f32 v36, -v36, v68, v67
	v_div_fmas_f32 v36, v36, v66, v68
	v_div_fixup_f32 v21, v36, v33, v21
.LBB57_619:                             ;   in Loop: Header=BB57_401 Depth=1
	s_or_b64 exec, exec, s[46:47]
                                        ; implicit-def: $vgpr33
.LBB57_620:                             ;   in Loop: Header=BB57_401 Depth=1
	s_andn2_saveexec_b64 s[12:13], s[12:13]
; %bb.621:                              ;   in Loop: Header=BB57_401 Depth=1
	v_sub_f32_e32 v21, v31, v33
; %bb.622:                              ;   in Loop: Header=BB57_401 Depth=1
	s_or_b64 exec, exec, s[12:13]
	v_mul_f32_e32 v33, 0.5, v19
	v_mul_f32_e32 v19, 0.5, v21
	v_pk_add_f32 v[66:67], v[32:33], v[18:19]
	v_mul_f32_e32 v19, v66, v67
	v_mul_f32_e32 v21, 0x4f800000, v19
	v_cmp_gt_f32_e32 vcc, s60, v19
	v_cndmask_b32_e32 v19, v19, v21, vcc
	v_sqrt_f32_e32 v21, v19
	v_add_u32_e32 v33, -1, v21
	v_fma_f32 v36, -v33, v21, v19
	v_cmp_ge_f32_e64 s[12:13], 0, v36
	v_add_u32_e32 v36, 1, v21
	v_cndmask_b32_e64 v33, v21, v33, s[12:13]
	v_fma_f32 v21, -v36, v21, v19
	v_cmp_lt_f32_e64 s[12:13], 0, v21
	v_cndmask_b32_e64 v21, v33, v36, s[12:13]
	v_mul_f32_e32 v33, 0x37800000, v21
	v_cndmask_b32_e32 v21, v21, v33, vcc
	v_cmp_class_f32_e32 vcc, v19, v44
	v_cndmask_b32_e32 v19, v21, v19, vcc
	v_add_f32_e32 v66, v67, v19
	v_add_f32_e32 v69, 1.0, v66
	v_add_f32_e32 v67, -1.0, v69
	v_mov_b32_e32 v68, v67
	v_pk_add_f32 v[70:71], v[66:67], v[68:69] neg_lo:[0,1] neg_hi:[0,1]
	v_add_f32_e32 v19, 1.0, v71
	v_add_f32_e32 v19, v70, v19
	v_frexp_mant_f32_e32 v21, v69
	v_cvt_f64_f32_e32 v[70:71], v69
	v_frexp_exp_i32_f64_e32 v33, v[70:71]
	v_cmp_gt_f32_e32 vcc, s65, v21
	v_subbrev_co_u32_e32 v33, vcc, 0, v33, vcc
	v_sub_u32_e32 v21, 0, v33
	v_ldexp_f32 v36, v69, v21
	v_ldexp_f32 v19, v19, v21
	v_add_f32_e32 v21, -1.0, v36
	v_add_f32_e32 v68, 1.0, v36
	v_add_f32_e32 v67, 1.0, v21
	v_add_f32_e32 v69, -1.0, v68
	v_sub_f32_e32 v67, v36, v67
	v_sub_f32_e32 v36, v36, v69
	v_add_f32_e32 v67, v19, v67
	v_add_f32_e32 v19, v19, v36
	;; [unrolled: 1-line block ×3, first 2 shown]
	v_rcp_f32_e32 v76, v36
	v_add_f32_e32 v69, v21, v67
	v_sub_f32_e32 v21, v69, v21
	v_sub_f32_e32 v21, v67, v21
	v_mul_f32_e32 v67, v69, v76
	v_sub_f32_e32 v68, v36, v68
	v_mul_f32_e32 v70, v36, v67
	v_sub_f32_e32 v19, v19, v68
	v_fma_f32 v72, v67, v36, -v70
	v_fmac_f32_e32 v72, v67, v19
	v_add_f32_e32 v68, v70, v72
	v_sub_f32_e32 v71, v69, v68
	v_pk_add_f32 v[74:75], v[68:69], v[70:71] neg_lo:[0,1] neg_hi:[0,1]
	v_mov_b32_e32 v73, v68
	v_pk_add_f32 v[68:69], v[74:75], v[72:73] neg_lo:[0,1] neg_hi:[0,1]
	v_add_f32_e32 v21, v21, v69
	v_add_f32_e32 v21, v68, v21
	;; [unrolled: 1-line block ×3, first 2 shown]
	v_mul_f32_e32 v77, v76, v69
	v_mul_f32_e32 v70, v36, v77
	v_fma_f32 v72, v77, v36, -v70
	v_fmac_f32_e32 v72, v77, v19
	v_add_f32_e32 v68, v70, v72
	v_sub_f32_e32 v19, v71, v69
	v_sub_f32_e32 v71, v69, v68
	v_pk_add_f32 v[74:75], v[68:69], v[70:71] neg_lo:[0,1] neg_hi:[0,1]
	v_mov_b32_e32 v73, v68
	v_add_f32_e32 v19, v21, v19
	v_pk_add_f32 v[68:69], v[74:75], v[72:73] neg_lo:[0,1] neg_hi:[0,1]
	v_add_f32_e32 v19, v19, v69
	v_add_f32_e32 v19, v68, v19
	;; [unrolled: 1-line block ×4, first 2 shown]
	v_sub_f32_e32 v21, v36, v67
	v_mul_f32_e32 v19, v76, v19
	v_sub_f32_e32 v21, v77, v21
	v_add_f32_e32 v19, v21, v19
	v_add_f32_e32 v67, v36, v19
	v_cvt_f32_i32_e32 v68, v33
	v_mul_f32_e32 v69, v67, v67
	v_mov_b32_e32 v21, 0x3ecc95a3
	v_fmac_f32_e32 v21, 0x3e9b6dac, v69
	v_fma_f32 v21, v69, v21, v45
	v_mul_f32_e32 v69, v67, v69
	v_pk_mul_f32 v[72:73], v[68:69], v[20:21]
	v_fma_f32 v70, v68, s66, -v72
	v_ldexp_f32 v71, v67, 1
	v_fmac_f32_e32 v70, 0xb102e308, v68
	v_sub_f32_e32 v33, v67, v36
	v_pk_add_f32 v[68:69], v[72:73], v[70:71]
	v_sub_f32_e32 v19, v19, v33
	v_sub_f32_e32 v21, v69, v71
	v_ldexp_f32 v19, v19, 1
	v_sub_f32_e32 v21, v73, v21
	v_add_f32_e32 v75, v19, v21
	v_mov_b32_e32 v74, v72
	v_pk_add_f32 v[72:73], v[68:69], v[72:73] neg_lo:[0,1] neg_hi:[0,1]
	v_pk_add_f32 v[76:77], v[68:69], v[74:75]
	v_mov_b32_e32 v73, v77
	v_mov_b32_e32 v71, v68
	v_pk_add_f32 v[78:79], v[70:71], v[72:73] neg_lo:[0,1] neg_hi:[0,1]
	v_pk_add_f32 v[70:71], v[70:71], v[72:73]
	v_mov_b32_e32 v36, v71
	v_pk_add_f32 v[72:73], v[36:37], v[68:69] neg_lo:[0,1] neg_hi:[0,1]
	v_mov_b32_e32 v19, v72
	v_pk_add_f32 v[80:81], v[76:77], v[18:19] neg_lo:[0,1] neg_hi:[0,1]
	v_mov_b32_e32 v70, v77
	v_mov_b32_e32 v76, v69
	;; [unrolled: 1-line block ×4, first 2 shown]
	v_pk_add_f32 v[70:71], v[70:71], v[76:77] neg_lo:[0,1] neg_hi:[0,1]
	v_mov_b32_e32 v72, v75
	v_mov_b32_e32 v73, v68
	v_pk_add_f32 v[68:69], v[72:73], v[70:71] neg_lo:[0,1] neg_hi:[0,1]
	v_mov_b32_e32 v80, v78
	v_pk_add_f32 v[70:71], v[80:81], v[68:69]
	v_mov_b32_e32 v72, v71
	v_pk_add_f32 v[72:73], v[70:71], v[72:73]
	v_pk_add_f32 v[74:75], v[36:37], v[72:73]
	v_mov_b32_e32 v71, v74
	v_pk_add_f32 v[76:77], v[70:71], v[78:79] neg_lo:[0,1] neg_hi:[0,1]
	v_mov_b32_e32 v69, v72
	v_sub_f32_e32 v19, v70, v76
	v_pk_add_f32 v[68:69], v[68:69], v[76:77] neg_lo:[0,1] neg_hi:[0,1]
	v_sub_f32_e32 v19, v78, v19
	v_add_f32_e32 v19, v68, v19
	v_add_f32_e32 v19, v19, v69
	;; [unrolled: 1-line block ×3, first 2 shown]
	v_cmp_eq_f32_e32 vcc, s58, v66
	v_cndmask_b32_e32 v19, v19, v66, vcc
	v_cmp_ngt_f32_e32 vcc, -1.0, v66
	v_cndmask_b32_e32 v19, v59, v19, vcc
	v_cmp_neq_f32_e32 vcc, -1.0, v66
	v_cndmask_b32_e32 v19, v60, v19, vcc
	v_cmp_lt_f32_e64 vcc, |v66|, s67
	v_cndmask_b32_e32 v19, v19, v66, vcc
.LBB57_623:                             ;   in Loop: Header=BB57_401 Depth=1
	s_andn2_saveexec_b64 s[44:45], s[44:45]
	s_cbranch_execz .LBB57_629
; %bb.624:                              ;   in Loop: Header=BB57_401 Depth=1
	v_cmp_nlt_f32_e64 s[12:13], |v22|, 1.0
                                        ; implicit-def: $vgpr19
	s_and_saveexec_b64 s[46:47], s[12:13]
	s_xor_b64 s[46:47], exec, s[46:47]
	s_cbranch_execz .LBB57_626
; %bb.625:                              ;   in Loop: Header=BB57_401 Depth=1
	v_mul_f32_e32 v19, v35, v34
	v_mul_f32_e32 v21, 0x4f800000, v19
	v_cmp_gt_f32_e32 vcc, s60, v19
	v_cndmask_b32_e32 v19, v19, v21, vcc
	v_sqrt_f32_e32 v21, v19
	v_add_u32_e32 v33, -1, v21
	v_fma_f32 v66, -v33, v21, v19
	v_add_u32_e32 v36, 1, v21
	v_cmp_ge_f32_e64 s[12:13], 0, v66
	v_cndmask_b32_e64 v33, v21, v33, s[12:13]
	v_fma_f32 v21, -v36, v21, v19
	v_cmp_lt_f32_e64 s[12:13], 0, v21
	v_cndmask_b32_e64 v21, v33, v36, s[12:13]
	v_mul_f32_e32 v33, 0x37800000, v21
	v_cndmask_b32_e32 v21, v21, v33, vcc
	v_cmp_class_f32_e32 vcc, v19, v44
	v_cndmask_b32_e32 v19, v21, v19, vcc
	v_add_f32_e32 v66, v35, v19
	v_add_f32_e32 v69, 1.0, v66
	v_add_f32_e32 v67, -1.0, v69
	v_mov_b32_e32 v68, v67
	v_pk_add_f32 v[70:71], v[66:67], v[68:69] neg_lo:[0,1] neg_hi:[0,1]
	v_add_f32_e32 v19, 1.0, v71
	v_add_f32_e32 v19, v70, v19
	v_frexp_mant_f32_e32 v21, v69
	v_cvt_f64_f32_e32 v[70:71], v69
	v_frexp_exp_i32_f64_e32 v33, v[70:71]
	v_cmp_gt_f32_e32 vcc, s65, v21
	v_subbrev_co_u32_e32 v33, vcc, 0, v33, vcc
	v_sub_u32_e32 v21, 0, v33
	v_ldexp_f32 v36, v69, v21
	v_ldexp_f32 v19, v19, v21
	v_add_f32_e32 v21, -1.0, v36
	v_add_f32_e32 v68, 1.0, v36
	v_add_f32_e32 v67, 1.0, v21
	v_add_f32_e32 v69, -1.0, v68
	v_sub_f32_e32 v67, v36, v67
	v_sub_f32_e32 v36, v36, v69
	v_add_f32_e32 v67, v19, v67
	v_add_f32_e32 v19, v19, v36
	;; [unrolled: 1-line block ×3, first 2 shown]
	v_rcp_f32_e32 v76, v36
	v_add_f32_e32 v69, v21, v67
	v_sub_f32_e32 v21, v69, v21
	v_sub_f32_e32 v21, v67, v21
	v_mul_f32_e32 v67, v69, v76
	v_sub_f32_e32 v68, v36, v68
	v_mul_f32_e32 v70, v36, v67
	v_sub_f32_e32 v19, v19, v68
	v_fma_f32 v72, v67, v36, -v70
	v_fmac_f32_e32 v72, v67, v19
	v_add_f32_e32 v68, v70, v72
	v_sub_f32_e32 v71, v69, v68
	v_pk_add_f32 v[74:75], v[68:69], v[70:71] neg_lo:[0,1] neg_hi:[0,1]
	v_mov_b32_e32 v73, v68
	v_pk_add_f32 v[68:69], v[74:75], v[72:73] neg_lo:[0,1] neg_hi:[0,1]
	v_add_f32_e32 v21, v21, v69
	v_add_f32_e32 v21, v68, v21
	;; [unrolled: 1-line block ×3, first 2 shown]
	v_mul_f32_e32 v77, v76, v69
	v_mul_f32_e32 v70, v36, v77
	v_fma_f32 v72, v77, v36, -v70
	v_fmac_f32_e32 v72, v77, v19
	v_add_f32_e32 v68, v70, v72
	v_sub_f32_e32 v19, v71, v69
	v_sub_f32_e32 v71, v69, v68
	v_pk_add_f32 v[74:75], v[68:69], v[70:71] neg_lo:[0,1] neg_hi:[0,1]
	v_mov_b32_e32 v73, v68
	v_add_f32_e32 v19, v21, v19
	v_pk_add_f32 v[68:69], v[74:75], v[72:73] neg_lo:[0,1] neg_hi:[0,1]
	v_add_f32_e32 v19, v19, v69
	v_add_f32_e32 v19, v68, v19
	;; [unrolled: 1-line block ×4, first 2 shown]
	v_sub_f32_e32 v21, v36, v67
	v_mul_f32_e32 v19, v76, v19
	v_sub_f32_e32 v21, v77, v21
	v_add_f32_e32 v19, v21, v19
	v_add_f32_e32 v67, v36, v19
	v_cvt_f32_i32_e32 v68, v33
	v_mul_f32_e32 v69, v67, v67
	v_mov_b32_e32 v21, 0x3ecc95a3
	v_fmac_f32_e32 v21, 0x3e9b6dac, v69
	v_fma_f32 v21, v69, v21, v45
	v_mul_f32_e32 v69, v67, v69
	v_pk_mul_f32 v[72:73], v[68:69], v[20:21]
	v_fma_f32 v70, v68, s66, -v72
	v_ldexp_f32 v71, v67, 1
	v_fmac_f32_e32 v70, 0xb102e308, v68
	v_sub_f32_e32 v33, v67, v36
	v_pk_add_f32 v[68:69], v[72:73], v[70:71]
	v_sub_f32_e32 v19, v19, v33
	v_sub_f32_e32 v21, v69, v71
	v_ldexp_f32 v19, v19, 1
	v_sub_f32_e32 v21, v73, v21
	v_add_f32_e32 v75, v19, v21
	v_mov_b32_e32 v74, v72
	v_pk_add_f32 v[72:73], v[68:69], v[72:73] neg_lo:[0,1] neg_hi:[0,1]
	v_pk_add_f32 v[76:77], v[68:69], v[74:75]
	v_mov_b32_e32 v73, v77
	v_mov_b32_e32 v71, v68
	v_pk_add_f32 v[78:79], v[70:71], v[72:73] neg_lo:[0,1] neg_hi:[0,1]
	v_pk_add_f32 v[70:71], v[70:71], v[72:73]
	v_mov_b32_e32 v36, v71
	v_pk_add_f32 v[72:73], v[36:37], v[68:69] neg_lo:[0,1] neg_hi:[0,1]
	v_mov_b32_e32 v19, v72
	v_pk_add_f32 v[80:81], v[76:77], v[18:19] neg_lo:[0,1] neg_hi:[0,1]
	v_mov_b32_e32 v70, v77
	v_mov_b32_e32 v76, v69
	;; [unrolled: 1-line block ×4, first 2 shown]
	v_pk_add_f32 v[70:71], v[70:71], v[76:77] neg_lo:[0,1] neg_hi:[0,1]
	v_mov_b32_e32 v72, v75
	v_mov_b32_e32 v73, v68
	v_pk_add_f32 v[68:69], v[72:73], v[70:71] neg_lo:[0,1] neg_hi:[0,1]
	v_mov_b32_e32 v80, v78
	v_pk_add_f32 v[70:71], v[80:81], v[68:69]
	v_mov_b32_e32 v72, v71
	v_pk_add_f32 v[72:73], v[70:71], v[72:73]
	v_pk_add_f32 v[74:75], v[36:37], v[72:73]
	v_mov_b32_e32 v71, v74
	v_pk_add_f32 v[76:77], v[70:71], v[78:79] neg_lo:[0,1] neg_hi:[0,1]
	v_mov_b32_e32 v69, v72
	v_sub_f32_e32 v19, v70, v76
	v_pk_add_f32 v[68:69], v[68:69], v[76:77] neg_lo:[0,1] neg_hi:[0,1]
	v_sub_f32_e32 v19, v78, v19
	v_add_f32_e32 v19, v68, v19
	v_add_f32_e32 v19, v19, v69
	;; [unrolled: 1-line block ×3, first 2 shown]
	v_cmp_eq_f32_e32 vcc, s58, v66
	v_cndmask_b32_e32 v19, v19, v66, vcc
	v_cmp_ngt_f32_e32 vcc, -1.0, v66
	v_cndmask_b32_e32 v19, v59, v19, vcc
	v_cmp_neq_f32_e32 vcc, -1.0, v66
	v_cndmask_b32_e32 v19, v60, v19, vcc
	v_cmp_lt_f32_e64 vcc, |v66|, s67
	v_cndmask_b32_e32 v19, v19, v66, vcc
.LBB57_626:                             ;   in Loop: Header=BB57_401 Depth=1
	s_andn2_saveexec_b64 s[46:47], s[46:47]
	s_cbranch_execz .LBB57_628
; %bb.627:                              ;   in Loop: Header=BB57_401 Depth=1
	v_sub_f32_e64 v19, 1.0, |v22|
	v_mul_f32_e32 v19, v19, v34
	v_mul_f32_e32 v21, 0x4f800000, v19
	v_cmp_gt_f32_e32 vcc, s60, v19
	v_cndmask_b32_e32 v19, v19, v21, vcc
	v_sqrt_f32_e32 v21, v19
	v_add_u32_e32 v33, -1, v21
	v_fma_f32 v66, -v33, v21, v19
	v_add_u32_e32 v36, 1, v21
	v_cmp_ge_f32_e64 s[12:13], 0, v66
	v_cndmask_b32_e64 v33, v21, v33, s[12:13]
	v_fma_f32 v21, -v36, v21, v19
	v_cmp_lt_f32_e64 s[12:13], 0, v21
	v_cndmask_b32_e64 v21, v33, v36, s[12:13]
	v_mul_f32_e32 v33, 0x37800000, v21
	v_cndmask_b32_e32 v21, v21, v33, vcc
	v_cmp_class_f32_e32 vcc, v19, v44
	v_cndmask_b32_e32 v19, v21, v19, vcc
	v_and_b32_e32 v21, 0x7fffffff, v23
	v_div_scale_f32 v33, s[12:13], v19, v19, v21
	v_rcp_f32_e32 v36, v33
	v_div_scale_f32 v21, vcc, v21, v19, v21
	v_fma_f32 v66, -v33, v36, 1.0
	v_fmac_f32_e32 v36, v66, v36
	v_mul_f32_e32 v66, v21, v36
	v_fma_f32 v67, -v33, v66, v21
	v_fmac_f32_e32 v66, v67, v36
	v_fma_f32 v21, -v33, v66, v21
	v_div_fmas_f32 v21, v21, v36, v66
	v_div_fixup_f32 v19, v21, v19, |v23|
.LBB57_628:                             ;   in Loop: Header=BB57_401 Depth=1
	s_or_b64 exec, exec, s[46:47]
.LBB57_629:                             ;   in Loop: Header=BB57_401 Depth=1
	s_or_b64 exec, exec, s[44:45]
.LBB57_630:                             ;   in Loop: Header=BB57_401 Depth=1
	s_andn2_saveexec_b64 s[42:43], s[42:43]
	s_cbranch_execz .LBB57_632
; %bb.631:                              ;   in Loop: Header=BB57_401 Depth=1
	v_mul_f32_e64 v19, |v23|, s61
	v_cmp_lt_f32_e64 vcc, |v23|, s60
	v_cndmask_b32_e64 v19, |v23|, v19, vcc
	v_sqrt_f32_e32 v21, v19
	v_add_u32_e32 v33, -1, v21
	v_fma_f32 v66, -v33, v21, v19
	v_add_u32_e32 v36, 1, v21
	v_cmp_ge_f32_e64 s[12:13], 0, v66
	v_cndmask_b32_e64 v33, v21, v33, s[12:13]
	v_fma_f32 v21, -v36, v21, v19
	v_cmp_lt_f32_e64 s[12:13], 0, v21
	v_cndmask_b32_e64 v21, v33, v36, s[12:13]
	v_mul_f32_e32 v33, 0x37800000, v21
	v_cndmask_b32_e32 v21, v21, v33, vcc
	v_cmp_class_f32_e32 vcc, v19, v44
	v_cndmask_b32_e32 v19, v21, v19, vcc
.LBB57_632:                             ;   in Loop: Header=BB57_401 Depth=1
	s_or_b64 exec, exec, s[42:43]
.LBB57_633:                             ;   in Loop: Header=BB57_401 Depth=1
	s_or_b64 exec, exec, s[40:41]
	v_cmp_nlt_f32_e64 s[40:41], |v22|, s68
                                        ; implicit-def: $sgpr12_sgpr13
                                        ; implicit-def: $vgpr36
                                        ; implicit-def: $vgpr21
	s_and_saveexec_b64 s[42:43], s[40:41]
	s_xor_b64 s[40:41], exec, s[42:43]
	s_cbranch_execz .LBB57_657
; %bb.634:                              ;   in Loop: Header=BB57_401 Depth=1
	v_div_scale_f32 v21, s[12:13], v32, v32, v30
	v_rcp_f32_e32 v33, v21
	v_div_scale_f32 v36, vcc, v30, v32, v30
	s_mov_b64 s[12:13], 0
	v_fma_f32 v66, -v21, v33, 1.0
	v_fmac_f32_e32 v33, v66, v33
	v_mul_f32_e32 v66, v36, v33
	v_fma_f32 v67, -v21, v66, v36
	v_fmac_f32_e32 v66, v67, v33
	v_fma_f32 v21, -v21, v66, v36
	v_div_fmas_f32 v21, v21, v33, v66
	v_div_fixup_f32 v21, v21, v32, |v22|
	v_cmp_lt_f32_e32 vcc, s69, v21
                                        ; implicit-def: $vgpr36
	s_and_saveexec_b64 s[42:43], vcc
	s_cbranch_execz .LBB57_656
; %bb.635:                              ;   in Loop: Header=BB57_401 Depth=1
	v_cmp_neq_f32_e64 s[12:13], |v22|, 1.0
	v_cmp_nlt_f32_e64 s[44:45], |v23|, s70
	s_or_b64 s[12:13], s[44:45], s[12:13]
                                        ; implicit-def: $sgpr46_sgpr47
                                        ; implicit-def: $vgpr36
	s_and_saveexec_b64 s[44:45], s[12:13]
	s_xor_b64 s[44:45], exec, s[44:45]
	s_cbranch_execz .LBB57_653
; %bb.636:                              ;   in Loop: Header=BB57_401 Depth=1
	v_mul_f32_e32 v33, 0x34000000, v65
	v_cmp_le_f32_e64 s[12:13], v33, |v23|
                                        ; implicit-def: $vgpr36
                                        ; implicit-def: $sgpr46_sgpr47
	s_and_saveexec_b64 s[48:49], s[12:13]
	s_xor_b64 s[48:49], exec, s[48:49]
	s_cbranch_execz .LBB57_646
; %bb.637:                              ;   in Loop: Header=BB57_401 Depth=1
	v_cmp_neq_f32_e32 vcc, 0, v34
	v_mov_b32_e32 v33, v37
	s_and_saveexec_b64 s[12:13], vcc
	s_cbranch_execz .LBB57_639
; %bb.638:                              ;   in Loop: Header=BB57_401 Depth=1
	v_mul_f32_e32 v33, v23, v23
	v_add_f32_e32 v34, v34, v64
	v_div_scale_f32 v36, s[46:47], v34, v34, v33
	v_rcp_f32_e32 v64, v36
	v_fma_f32 v65, -v36, v64, 1.0
	v_fmac_f32_e32 v64, v65, v64
	v_div_scale_f32 v65, vcc, v33, v34, v33
	v_mul_f32_e32 v66, v65, v64
	v_fma_f32 v67, -v36, v66, v65
	v_fmac_f32_e32 v66, v67, v64
	v_fma_f32 v36, -v36, v66, v65
	v_div_fmas_f32 v36, v36, v64, v66
	v_div_fixup_f32 v33, v36, v34, v33
.LBB57_639:                             ;   in Loop: Header=BB57_401 Depth=1
	s_or_b64 exec, exec, s[12:13]
	v_cmp_ngt_f32_e32 vcc, 0, v35
	s_and_saveexec_b64 s[12:13], vcc
	s_xor_b64 s[12:13], exec, s[12:13]
	s_cbranch_execz .LBB57_643
; %bb.640:                              ;   in Loop: Header=BB57_401 Depth=1
	v_cmp_neq_f32_e32 vcc, 0, v35
	s_and_saveexec_b64 s[46:47], vcc
	s_cbranch_execz .LBB57_642
; %bb.641:                              ;   in Loop: Header=BB57_401 Depth=1
	v_mul_f32_e32 v34, v23, v23
	v_add_f32_e32 v31, v35, v31
	v_div_scale_f32 v35, s[50:51], v31, v31, v34
	v_rcp_f32_e32 v36, v35
	v_fma_f32 v37, -v35, v36, 1.0
	v_fmac_f32_e32 v36, v37, v36
	v_div_scale_f32 v37, vcc, v34, v31, v34
	v_mul_f32_e32 v64, v37, v36
	v_fma_f32 v65, -v35, v64, v37
	v_fmac_f32_e32 v64, v65, v36
	v_fma_f32 v35, -v35, v64, v37
	v_div_fmas_f32 v35, v35, v36, v64
	v_div_fixup_f32 v37, v35, v31, v34
.LBB57_642:                             ;   in Loop: Header=BB57_401 Depth=1
	s_or_b64 exec, exec, s[46:47]
                                        ; implicit-def: $vgpr31
                                        ; implicit-def: $vgpr34_vgpr35
.LBB57_643:                             ;   in Loop: Header=BB57_401 Depth=1
	s_andn2_saveexec_b64 s[12:13], s[12:13]
; %bb.644:                              ;   in Loop: Header=BB57_401 Depth=1
	v_sub_f32_e32 v37, v31, v35
; %bb.645:                              ;   in Loop: Header=BB57_401 Depth=1
	s_or_b64 exec, exec, s[12:13]
	v_mul_f32_e32 v31, 0.5, v33
	v_mul_f32_e32 v33, 0.5, v37
	v_pk_add_f32 v[32:33], v[30:31], v[32:33]
	v_mul_f32_e32 v31, v32, v33
	v_mul_f32_e32 v32, 0x4f800000, v31
	v_cmp_gt_f32_e32 vcc, s60, v31
	v_cndmask_b32_e32 v31, v31, v32, vcc
	v_sqrt_f32_e32 v32, v31
	s_mov_b64 s[46:47], -1
	v_add_u32_e32 v33, -1, v32
	v_fma_f32 v34, -v33, v32, v31
	v_cmp_ge_f32_e64 s[12:13], 0, v34
	v_add_u32_e32 v34, 1, v32
	v_cndmask_b32_e64 v33, v32, v33, s[12:13]
	v_fma_f32 v32, -v34, v32, v31
	v_cmp_lt_f32_e64 s[12:13], 0, v32
	v_cndmask_b32_e64 v32, v33, v34, s[12:13]
	v_mul_f32_e32 v33, 0x37800000, v32
	v_cndmask_b32_e32 v32, v32, v33, vcc
	v_cmp_class_f32_e32 vcc, v31, v44
	v_cndmask_b32_e32 v36, v32, v31, vcc
                                        ; implicit-def: $vgpr34_vgpr35
.LBB57_646:                             ;   in Loop: Header=BB57_401 Depth=1
	s_andn2_saveexec_b64 s[48:49], s[48:49]
	s_cbranch_execz .LBB57_652
; %bb.647:                              ;   in Loop: Header=BB57_401 Depth=1
	v_cmp_ngt_f32_e64 s[12:13], |v22|, 1.0
                                        ; implicit-def: $vgpr36
                                        ; implicit-def: $sgpr50_sgpr51
	s_and_saveexec_b64 s[52:53], s[12:13]
	s_xor_b64 s[52:53], exec, s[52:53]
	s_cbranch_execz .LBB57_649
; %bb.648:                              ;   in Loop: Header=BB57_401 Depth=1
	v_sub_f32_e64 v31, 1.0, |v22|
	v_mul_f32_e32 v31, v31, v34
	v_mul_f32_e32 v32, 0x4f800000, v31
	v_cmp_gt_f32_e32 vcc, s60, v31
	v_cndmask_b32_e32 v31, v31, v32, vcc
	v_sqrt_f32_e32 v32, v31
	s_mov_b64 s[50:51], -1
	v_add_u32_e32 v33, -1, v32
	v_fma_f32 v35, -v33, v32, v31
	v_add_u32_e32 v34, 1, v32
	v_cmp_ge_f32_e64 s[12:13], 0, v35
	v_cndmask_b32_e64 v33, v32, v33, s[12:13]
	v_fma_f32 v32, -v34, v32, v31
	v_cmp_lt_f32_e64 s[12:13], 0, v32
	v_cndmask_b32_e64 v32, v33, v34, s[12:13]
	v_mul_f32_e32 v33, 0x37800000, v32
	v_cndmask_b32_e32 v32, v32, v33, vcc
	v_cmp_class_f32_e32 vcc, v31, v44
	v_cndmask_b32_e32 v36, v32, v31, vcc
                                        ; implicit-def: $vgpr34_vgpr35
.LBB57_649:                             ;   in Loop: Header=BB57_401 Depth=1
	s_andn2_saveexec_b64 s[52:53], s[52:53]
	s_cbranch_execz .LBB57_651
; %bb.650:                              ;   in Loop: Header=BB57_401 Depth=1
	v_mul_f32_e32 v30, v34, v35
	v_mul_f32_e32 v31, 0x4f800000, v30
	v_cmp_gt_f32_e32 vcc, s60, v30
	v_cndmask_b32_e32 v30, v30, v31, vcc
	v_sqrt_f32_e32 v31, v30
	v_mul_f32_e64 v32, |v23|, s71
	v_mul_f32_e64 v32, |v22|, v32
	s_or_b64 s[50:51], s[50:51], exec
	v_add_u32_e32 v33, -1, v31
	v_fma_f32 v34, -v33, v31, v30
	v_cmp_ge_f32_e64 s[12:13], 0, v34
	v_add_u32_e32 v34, 1, v31
	v_cndmask_b32_e64 v33, v31, v33, s[12:13]
	v_fma_f32 v31, -v34, v31, v30
	v_cmp_lt_f32_e64 s[12:13], 0, v31
	v_cndmask_b32_e64 v31, v33, v34, s[12:13]
	v_mul_f32_e32 v33, 0x37800000, v31
	v_cndmask_b32_e32 v31, v31, v33, vcc
	v_cmp_class_f32_e32 vcc, v30, v44
	v_cndmask_b32_e32 v30, v31, v30, vcc
	v_div_scale_f32 v31, s[12:13], v30, v30, v32
	v_rcp_f32_e32 v33, v31
	v_fma_f32 v34, -v31, v33, 1.0
	v_fmac_f32_e32 v33, v34, v33
	v_div_scale_f32 v34, vcc, v32, v30, v32
	v_mul_f32_e32 v35, v34, v33
	v_fma_f32 v36, -v31, v35, v34
	v_fmac_f32_e32 v35, v36, v33
	v_fma_f32 v31, -v31, v35, v34
	v_div_fmas_f32 v31, v31, v33, v35
	v_div_fixup_f32 v36, v31, v30, v32
	v_mul_f32_e64 v30, |v22|, s71
.LBB57_651:                             ;   in Loop: Header=BB57_401 Depth=1
	s_or_b64 exec, exec, s[52:53]
	s_andn2_b64 s[12:13], s[46:47], exec
	s_and_b64 s[46:47], s[50:51], exec
	s_or_b64 s[46:47], s[12:13], s[46:47]
.LBB57_652:                             ;   in Loop: Header=BB57_401 Depth=1
	s_or_b64 exec, exec, s[48:49]
	s_and_b64 s[46:47], s[46:47], exec
                                        ; implicit-def: $vgpr32
.LBB57_653:                             ;   in Loop: Header=BB57_401 Depth=1
	s_andn2_saveexec_b64 s[44:45], s[44:45]
	s_cbranch_execz .LBB57_655
; %bb.654:                              ;   in Loop: Header=BB57_401 Depth=1
	v_mul_f32_e64 v30, |v23|, s61
	v_cmp_lt_f32_e64 vcc, |v23|, s60
	v_cndmask_b32_e64 v30, |v23|, v30, vcc
	v_sqrt_f32_e32 v31, v30
	v_add_f32_e32 v32, 1.0, v32
	v_mul_f32_e32 v32, 0.5, v32
	s_or_b64 s[46:47], s[46:47], exec
	v_add_u32_e32 v33, -1, v31
	v_fma_f32 v35, -v33, v31, v30
	v_add_u32_e32 v34, 1, v31
	v_cmp_ge_f32_e64 s[12:13], 0, v35
	v_cndmask_b32_e64 v33, v31, v33, s[12:13]
	v_fma_f32 v31, -v34, v31, v30
	v_cmp_lt_f32_e64 s[12:13], 0, v31
	v_cndmask_b32_e64 v31, v33, v34, s[12:13]
	v_mul_f32_e32 v34, 0x4f800000, v32
	v_cmp_gt_f32_e64 s[12:13], s60, v32
	v_cndmask_b32_e64 v32, v32, v34, s[12:13]
	v_sqrt_f32_e32 v34, v32
	v_mul_f32_e32 v33, 0x37800000, v31
	v_cndmask_b32_e32 v31, v31, v33, vcc
	v_cmp_class_f32_e32 vcc, v30, v44
	v_cndmask_b32_e32 v30, v31, v30, vcc
	v_add_u32_e32 v31, -1, v34
	v_fma_f32 v33, -v31, v34, v32
	v_cmp_ge_f32_e32 vcc, 0, v33
	v_add_u32_e32 v33, 1, v34
	v_cndmask_b32_e32 v31, v34, v31, vcc
	v_fma_f32 v34, -v33, v34, v32
	v_cmp_lt_f32_e32 vcc, 0, v34
	v_cndmask_b32_e32 v31, v31, v33, vcc
	v_mul_f32_e32 v33, 0x37800000, v31
	v_cndmask_b32_e64 v31, v31, v33, s[12:13]
	v_cmp_class_f32_e32 vcc, v32, v44
	v_cndmask_b32_e32 v31, v31, v32, vcc
	v_mul_f32_e32 v36, v30, v31
	v_mov_b32_e32 v30, 1.0
.LBB57_655:                             ;   in Loop: Header=BB57_401 Depth=1
	s_or_b64 exec, exec, s[44:45]
	s_and_b64 s[12:13], s[46:47], exec
.LBB57_656:                             ;   in Loop: Header=BB57_401 Depth=1
	s_or_b64 exec, exec, s[42:43]
	s_and_b64 s[12:13], s[12:13], exec
                                        ; implicit-def: $vgpr32
.LBB57_657:                             ;   in Loop: Header=BB57_401 Depth=1
	s_andn2_saveexec_b64 s[40:41], s[40:41]
; %bb.658:                              ;   in Loop: Header=BB57_401 Depth=1
	v_mov_b32_e32 v33, v30
	v_pk_mul_f32 v[36:37], v[32:33], s[30:31] op_sel_hi:[1,0]
	s_or_b64 s[12:13], s[12:13], exec
	v_mov_b32_e32 v30, v37
                                        ; implicit-def: $vgpr21
; %bb.659:                              ;   in Loop: Header=BB57_401 Depth=1
	s_or_b64 exec, exec, s[40:41]
	s_xor_b64 s[12:13], s[12:13], -1
                                        ; implicit-def: $vgpr31
	s_and_saveexec_b64 s[40:41], s[12:13]
	s_xor_b64 s[12:13], exec, s[40:41]
	s_cbranch_execz .LBB57_661
; %bb.660:                              ;   in Loop: Header=BB57_401 Depth=1
	v_fma_f32 v30, |v21|, -0.5, 0.5
	v_mul_f32_e32 v31, v21, v21
	v_cmp_ge_f32_e64 vcc, |v21|, 0.5
	v_cndmask_b32_e32 v30, v31, v30, vcc
	v_mov_b32_e32 v31, 0x3c5fc5da
	v_fmac_f32_e32 v31, 0x3d1c21a7, v30
	v_fma_f32 v31, v30, v31, v46
	v_fma_f32 v31, v30, v31, v47
	v_sqrt_f32_e32 v32, v30
	v_fma_f32 v31, v30, v31, v48
	v_fma_f32 v31, v30, v31, v49
	v_mul_f32_e32 v30, v30, v31
	v_fmac_f32_e32 v32, v32, v30
	v_add_f32_e32 v31, v32, v32
	v_sub_f32_e32 v31, 0x3fc90fdb, v31
	v_fma_f32 v30, |v21|, v30, |v21|
	v_cmp_lt_f32_e64 vcc, |v21|, 0.5
	v_cndmask_b32_e32 v30, v31, v30, vcc
	v_bfi_b32 v31, s57, v30, v21
                                        ; implicit-def: $vgpr30
                                        ; implicit-def: $vgpr36
.LBB57_661:                             ;   in Loop: Header=BB57_401 Depth=1
	s_andn2_saveexec_b64 s[40:41], s[12:13]
	s_cbranch_execz .LBB57_663
; %bb.662:                              ;   in Loop: Header=BB57_401 Depth=1
	v_max_f32_e32 v21, v30, v30
	v_max_f32_e64 v31, |v36|, |v36|
	v_min_f32_e32 v32, v31, v21
	v_max_f32_e32 v21, v31, v21
	v_frexp_mant_f32_e32 v31, v21
	v_rcp_f32_e32 v31, v31
	v_frexp_exp_i32_f32_e32 v21, v21
	v_frexp_exp_i32_f32_e32 v33, v32
	v_frexp_mant_f32_e32 v32, v32
	v_mul_f32_e32 v31, v32, v31
	v_sub_u32_e32 v21, v33, v21
	v_ldexp_f32 v21, v31, v21
	v_mul_f32_e32 v31, v21, v21
	v_mov_b32_e32 v32, 0xbc7a590c
	v_fmac_f32_e32 v32, 0x3b2d2a58, v31
	v_fma_f32 v32, v31, v32, v50
	v_fma_f32 v32, v31, v32, v51
	;; [unrolled: 1-line block ×6, first 2 shown]
	v_mul_f32_e32 v31, v31, v32
	v_fmac_f32_e32 v21, v21, v31
	v_sub_f32_e32 v31, 0x3fc90fdb, v21
	v_cmp_gt_f32_e64 vcc, v30, |v36|
	v_cndmask_b32_e32 v21, v21, v31, vcc
	v_sub_f32_e32 v31, 0x40490fdb, v21
	v_cmp_gt_f32_e32 vcc, 0, v36
	v_cmp_gt_i32_e64 s[12:13], 0, v36
	v_cndmask_b32_e32 v21, v21, v31, vcc
	v_cndmask_b32_e64 v31, 0, v61, s[12:13]
	v_cmp_eq_f32_e64 s[12:13], 0, v30
	v_cndmask_b32_e64 v21, v21, v31, s[12:13]
	v_cndmask_b32_e32 v31, v62, v63, vcc
	v_cmp_class_f32_e64 s[12:13], v36, s72
	v_cmp_eq_f32_e32 vcc, s58, v30
	s_and_b64 vcc, vcc, s[12:13]
	v_cndmask_b32_e32 v21, v21, v31, vcc
	v_cmp_o_f32_e32 vcc, v36, v30
	v_cndmask_b32_e64 v31, v59, |v21|, vcc
.LBB57_663:                             ;   in Loop: Header=BB57_401 Depth=1
	s_or_b64 exec, exec, s[40:41]
	v_bfi_b32 v22, s57, v31, v22
	v_bfi_b32 v23, s57, v19, v23
.LBB57_664:                             ;   in Loop: Header=BB57_401 Depth=1
	s_or_b64 exec, exec, s[38:39]
.LBB57_665:                             ;   in Loop: Header=BB57_401 Depth=1
	s_or_b64 exec, exec, s[36:37]
                                        ; implicit-def: $vgpr19
                                        ; implicit-def: $vgpr30
                                        ; implicit-def: $vgpr21
.LBB57_666:                             ;   in Loop: Header=BB57_401 Depth=1
	s_andn2_saveexec_b64 s[36:37], s[14:15]
	s_cbranch_execz .LBB57_688
; %bb.667:                              ;   in Loop: Header=BB57_401 Depth=1
	v_cmp_lt_i32_e32 vcc, -1, v23
                                        ; implicit-def: $vgpr31
                                        ; implicit-def: $vgpr32
	s_and_saveexec_b64 s[12:13], vcc
	s_xor_b64 s[38:39], exec, s[12:13]
	s_cbranch_execz .LBB57_677
; %bb.668:                              ;   in Loop: Header=BB57_401 Depth=1
	v_cmp_lt_f32_e64 s[12:13], |v23|, |v22|
	v_cndmask_b32_e64 v33, |v23|, |v22|, s[12:13]
	v_cmp_nlt_f32_e32 vcc, s73, v33
                                        ; implicit-def: $vgpr31
                                        ; implicit-def: $vgpr32
	s_and_saveexec_b64 s[14:15], vcc
	s_xor_b64 s[40:41], exec, s[14:15]
	s_cbranch_execz .LBB57_674
; %bb.669:                              ;   in Loop: Header=BB57_401 Depth=1
	v_cndmask_b32_e64 v34, |v22|, |v23|, s[12:13]
	v_cmp_nlt_f32_e32 vcc, s74, v33
	v_cmp_ngt_f32_e64 s[14:15], s75, v34
	s_and_b64 s[14:15], vcc, s[14:15]
                                        ; implicit-def: $vgpr31
                                        ; implicit-def: $vgpr32
	s_and_saveexec_b64 s[42:43], s[14:15]
	s_xor_b64 s[14:15], exec, s[42:43]
	s_cbranch_execz .LBB57_671
; %bb.670:                              ;   in Loop: Header=BB57_401 Depth=1
	v_mul_f32_e32 v31, v34, v34
	v_fmac_f32_e32 v31, v33, v33
	v_cmp_gt_f32_e32 vcc, s62, v31
	v_cndmask_b32_e32 v32, 1.0, v57, vcc
	v_mul_f32_e32 v31, v31, v32
	v_log_f32_e32 v31, v31
	v_min_f32_e32 v19, v19, v30
	s_waitcnt lgkmcnt(0)
	v_frexp_mant_f32_e32 v30, v21
	v_rcp_f32_e32 v30, v30
	v_mul_f32_e32 v33, 0x3f317217, v31
	v_fma_f32 v34, v31, s63, -v33
	v_fmac_f32_e32 v34, 0x3377d1cf, v31
	v_cndmask_b32_e32 v32, 0, v58, vcc
	v_add_f32_e32 v33, v33, v34
	v_cmp_lt_f32_e64 vcc, |v31|, s58
	v_cndmask_b32_e32 v31, v31, v33, vcc
	v_sub_f32_e32 v31, v31, v32
	v_frexp_exp_i32_f32_e32 v21, v21
	v_frexp_exp_i32_f32_e32 v32, v19
	v_frexp_mant_f32_e32 v19, v19
	v_mul_f32_e32 v19, v19, v30
	v_sub_u32_e32 v21, v32, v21
	v_ldexp_f32 v32, v19, v21
	v_mul_f32_e32 v19, v32, v32
	v_mov_b32_e32 v21, 0xbc7a590c
	v_fmac_f32_e32 v21, 0x3b2d2a58, v19
	v_fma_f32 v21, v19, v21, v50
	v_fma_f32 v21, v19, v21, v51
	;; [unrolled: 1-line block ×6, first 2 shown]
	v_mul_f32_e32 v19, v19, v21
	v_mul_f32_e32 v31, 0.5, v31
	v_fmac_f32_e32 v32, v32, v19
                                        ; implicit-def: $vgpr21
                                        ; implicit-def: $vgpr19
                                        ; implicit-def: $vgpr30
.LBB57_671:                             ;   in Loop: Header=BB57_401 Depth=1
	s_andn2_saveexec_b64 s[14:15], s[14:15]
	s_cbranch_execz .LBB57_673
; %bb.672:                              ;   in Loop: Header=BB57_401 Depth=1
	s_waitcnt lgkmcnt(0)
	v_cvt_f64_f32_e32 v[32:33], v21
	v_frexp_exp_i32_f64_e32 v31, v[32:33]
	v_sub_u32_e32 v32, 0, v31
	v_ldexp_f32 v33, |v23|, v32
	v_ldexp_f32 v32, |v22|, v32
	v_mul_f32_e32 v32, v32, v32
	v_fmac_f32_e32 v32, v33, v33
	v_sqrt_f32_e32 v32, v32
	v_cmp_neq_f32_e32 vcc, s58, v21
	v_min_f32_e32 v19, v19, v30
	v_ldexp_f32 v31, v32, v31
	v_cndmask_b32_e32 v31, v56, v31, vcc
	v_cmp_gt_f32_e32 vcc, s62, v31
	v_cndmask_b32_e32 v32, 1.0, v57, vcc
	v_mul_f32_e32 v31, v31, v32
	v_log_f32_e32 v31, v31
	v_cndmask_b32_e32 v30, 0, v58, vcc
	v_mul_f32_e32 v32, 0x3f317217, v31
	v_fma_f32 v33, v31, s63, -v32
	v_fmac_f32_e32 v33, 0x3377d1cf, v31
	v_add_f32_e32 v32, v32, v33
	v_cmp_lt_f32_e64 vcc, |v31|, s58
	v_cndmask_b32_e32 v31, v31, v32, vcc
	v_sub_f32_e32 v31, v31, v30
	v_frexp_mant_f32_e32 v30, v21
	v_rcp_f32_e32 v30, v30
	v_frexp_exp_i32_f32_e32 v21, v21
	v_frexp_exp_i32_f32_e32 v32, v19
	v_frexp_mant_f32_e32 v19, v19
	v_mul_f32_e32 v19, v19, v30
	v_sub_u32_e32 v21, v32, v21
	v_ldexp_f32 v32, v19, v21
	v_mul_f32_e32 v19, v32, v32
	v_mov_b32_e32 v21, 0xbc7a590c
	v_fmac_f32_e32 v21, 0x3b2d2a58, v19
	v_fma_f32 v21, v19, v21, v50
	v_fma_f32 v21, v19, v21, v51
	;; [unrolled: 1-line block ×6, first 2 shown]
	v_mul_f32_e32 v19, v19, v21
	v_fmac_f32_e32 v32, v32, v19
.LBB57_673:                             ;   in Loop: Header=BB57_401 Depth=1
	s_or_b64 exec, exec, s[14:15]
                                        ; implicit-def: $vgpr19
                                        ; implicit-def: $vgpr30
                                        ; implicit-def: $vgpr21
.LBB57_674:                             ;   in Loop: Header=BB57_401 Depth=1
	s_andn2_saveexec_b64 s[40:41], s[40:41]
	s_cbranch_execz .LBB57_676
; %bb.675:                              ;   in Loop: Header=BB57_401 Depth=1
	v_div_scale_f32 v31, s[14:15], s76, s76, v23
	v_rcp_f32_e32 v32, v31
	v_div_scale_f32 v33, vcc, v23, s76, v23
	v_min_f32_e32 v19, v19, v30
	v_fma_f32 v34, -v31, v32, 1.0
	v_fmac_f32_e32 v32, v34, v32
	v_mul_f32_e32 v34, v33, v32
	v_fma_f32 v35, -v31, v34, v33
	v_fmac_f32_e32 v34, v35, v32
	v_fma_f32 v31, -v31, v34, v33
	v_div_scale_f32 v33, s[14:15], s76, s76, v22
	v_rcp_f32_e32 v35, v33
	v_div_fmas_f32 v31, v31, v32, v34
	v_div_fixup_f32 v31, v31, s76, v23
	s_waitcnt lgkmcnt(0)
	v_frexp_mant_f32_e32 v30, v21
	v_fma_f32 v32, -v33, v35, 1.0
	v_fmac_f32_e32 v35, v32, v35
	v_div_scale_f32 v32, vcc, v22, s76, v22
	v_mul_f32_e32 v34, v32, v35
	v_fma_f32 v36, -v33, v34, v32
	v_fmac_f32_e32 v34, v36, v35
	v_fma_f32 v32, -v33, v34, v32
	v_div_fmas_f32 v32, v32, v35, v34
	v_div_fixup_f32 v34, v32, s76, v22
	v_max_f32_e64 v35, |v31|, |v34|
	v_cvt_f64_f32_e32 v[32:33], v35
	v_frexp_exp_i32_f64_e32 v32, v[32:33]
	v_sub_u32_e32 v33, 0, v32
	v_ldexp_f32 v31, |v31|, v33
	v_ldexp_f32 v33, |v34|, v33
	v_mul_f32_e32 v33, v33, v33
	v_fmac_f32_e32 v33, v31, v31
	v_sqrt_f32_e32 v31, v33
	v_cmp_neq_f32_e32 vcc, s58, v35
	v_rcp_f32_e32 v30, v30
	v_frexp_exp_i32_f32_e32 v21, v21
	v_ldexp_f32 v31, v31, v32
	v_cndmask_b32_e32 v31, v56, v31, vcc
	v_cmp_gt_f32_e32 vcc, s62, v31
	v_cndmask_b32_e32 v32, 1.0, v57, vcc
	v_mul_f32_e32 v31, v31, v32
	v_log_f32_e32 v31, v31
	v_mul_f32_e32 v32, 0x3f317217, v31
	v_fma_f32 v33, v31, s63, -v32
	v_fmac_f32_e32 v33, 0x3377d1cf, v31
	v_add_f32_e32 v32, v32, v33
	v_cmp_lt_f32_e64 s[14:15], |v31|, s58
	v_cndmask_b32_e64 v31, v31, v32, s[14:15]
	v_cndmask_b32_e32 v32, 0, v58, vcc
	v_sub_f32_e32 v31, v31, v32
	v_frexp_exp_i32_f32_e32 v32, v19
	v_frexp_mant_f32_e32 v19, v19
	v_mul_f32_e32 v19, v19, v30
	v_sub_u32_e32 v21, v32, v21
	v_ldexp_f32 v32, v19, v21
	v_mul_f32_e32 v19, v32, v32
	v_mov_b32_e32 v21, 0xbc7a590c
	v_fmac_f32_e32 v21, 0x3b2d2a58, v19
	v_fma_f32 v21, v19, v21, v50
	v_fma_f32 v21, v19, v21, v51
	;; [unrolled: 1-line block ×6, first 2 shown]
	v_mul_f32_e32 v19, v19, v21
	v_add_f32_e32 v31, 1.0, v31
	v_fmac_f32_e32 v32, v32, v19
.LBB57_676:                             ;   in Loop: Header=BB57_401 Depth=1
	s_or_b64 exec, exec, s[40:41]
	v_sub_f32_e32 v19, 0x3fc90fdb, v32
	v_cndmask_b32_e64 v32, v32, v19, s[12:13]
                                        ; implicit-def: $vgpr19
                                        ; implicit-def: $vgpr30
                                        ; implicit-def: $vgpr21
.LBB57_677:                             ;   in Loop: Header=BB57_401 Depth=1
	s_andn2_saveexec_b64 s[38:39], s[38:39]
	s_cbranch_execz .LBB57_687
; %bb.678:                              ;   in Loop: Header=BB57_401 Depth=1
	v_cmp_lt_f32_e64 s[12:13], |v23|, |v22|
	v_cndmask_b32_e64 v33, |v23|, |v22|, s[12:13]
	v_cmp_nlt_f32_e32 vcc, s73, v33
                                        ; implicit-def: $vgpr31
                                        ; implicit-def: $vgpr32
	s_and_saveexec_b64 s[14:15], vcc
	s_xor_b64 s[40:41], exec, s[14:15]
	s_cbranch_execz .LBB57_684
; %bb.679:                              ;   in Loop: Header=BB57_401 Depth=1
	v_cndmask_b32_e64 v34, |v22|, |v23|, s[12:13]
	v_cmp_nlt_f32_e32 vcc, s74, v33
	v_cmp_ngt_f32_e64 s[14:15], s75, v34
	s_and_b64 s[14:15], vcc, s[14:15]
                                        ; implicit-def: $vgpr31
                                        ; implicit-def: $vgpr32
	s_and_saveexec_b64 s[42:43], s[14:15]
	s_xor_b64 s[14:15], exec, s[42:43]
	s_cbranch_execz .LBB57_681
; %bb.680:                              ;   in Loop: Header=BB57_401 Depth=1
	v_mul_f32_e32 v31, v34, v34
	v_fmac_f32_e32 v31, v33, v33
	v_cmp_gt_f32_e32 vcc, s62, v31
	v_cndmask_b32_e32 v32, 1.0, v57, vcc
	v_mul_f32_e32 v31, v31, v32
	v_log_f32_e32 v31, v31
	v_min_f32_e32 v19, v19, v30
	s_waitcnt lgkmcnt(0)
	v_frexp_mant_f32_e32 v30, v21
	v_rcp_f32_e32 v30, v30
	v_mul_f32_e32 v33, 0x3f317217, v31
	v_fma_f32 v34, v31, s63, -v33
	v_fmac_f32_e32 v34, 0x3377d1cf, v31
	v_cndmask_b32_e32 v32, 0, v58, vcc
	v_add_f32_e32 v33, v33, v34
	v_cmp_lt_f32_e64 vcc, |v31|, s58
	v_cndmask_b32_e32 v31, v31, v33, vcc
	v_sub_f32_e32 v31, v31, v32
	v_frexp_exp_i32_f32_e32 v21, v21
	v_frexp_exp_i32_f32_e32 v32, v19
	v_frexp_mant_f32_e32 v19, v19
	v_mul_f32_e32 v19, v19, v30
	v_sub_u32_e32 v21, v32, v21
	v_ldexp_f32 v32, v19, v21
	v_mul_f32_e32 v19, v32, v32
	v_mov_b32_e32 v21, 0xbc7a590c
	v_fmac_f32_e32 v21, 0x3b2d2a58, v19
	v_fma_f32 v21, v19, v21, v50
	v_fma_f32 v21, v19, v21, v51
	;; [unrolled: 1-line block ×6, first 2 shown]
	v_mul_f32_e32 v19, v19, v21
	v_mul_f32_e32 v31, 0.5, v31
	v_fmac_f32_e32 v32, v32, v19
                                        ; implicit-def: $vgpr21
                                        ; implicit-def: $vgpr19
                                        ; implicit-def: $vgpr30
.LBB57_681:                             ;   in Loop: Header=BB57_401 Depth=1
	s_andn2_saveexec_b64 s[14:15], s[14:15]
	s_cbranch_execz .LBB57_683
; %bb.682:                              ;   in Loop: Header=BB57_401 Depth=1
	s_waitcnt lgkmcnt(0)
	v_cvt_f64_f32_e32 v[32:33], v21
	v_frexp_exp_i32_f64_e32 v31, v[32:33]
	v_sub_u32_e32 v32, 0, v31
	v_ldexp_f32 v33, |v23|, v32
	v_ldexp_f32 v32, |v22|, v32
	v_mul_f32_e32 v32, v32, v32
	v_fmac_f32_e32 v32, v33, v33
	v_sqrt_f32_e32 v32, v32
	v_cmp_neq_f32_e32 vcc, s58, v21
	v_min_f32_e32 v19, v19, v30
	v_ldexp_f32 v31, v32, v31
	v_cndmask_b32_e32 v31, v56, v31, vcc
	v_cmp_gt_f32_e32 vcc, s62, v31
	v_cndmask_b32_e32 v32, 1.0, v57, vcc
	v_mul_f32_e32 v31, v31, v32
	v_log_f32_e32 v31, v31
	v_cndmask_b32_e32 v30, 0, v58, vcc
	v_mul_f32_e32 v32, 0x3f317217, v31
	v_fma_f32 v33, v31, s63, -v32
	v_fmac_f32_e32 v33, 0x3377d1cf, v31
	v_add_f32_e32 v32, v32, v33
	v_cmp_lt_f32_e64 vcc, |v31|, s58
	v_cndmask_b32_e32 v31, v31, v32, vcc
	v_sub_f32_e32 v31, v31, v30
	v_frexp_mant_f32_e32 v30, v21
	v_rcp_f32_e32 v30, v30
	v_frexp_exp_i32_f32_e32 v21, v21
	v_frexp_exp_i32_f32_e32 v32, v19
	v_frexp_mant_f32_e32 v19, v19
	v_mul_f32_e32 v19, v19, v30
	v_sub_u32_e32 v21, v32, v21
	v_ldexp_f32 v32, v19, v21
	v_mul_f32_e32 v19, v32, v32
	v_mov_b32_e32 v21, 0xbc7a590c
	v_fmac_f32_e32 v21, 0x3b2d2a58, v19
	v_fma_f32 v21, v19, v21, v50
	v_fma_f32 v21, v19, v21, v51
	;; [unrolled: 1-line block ×6, first 2 shown]
	v_mul_f32_e32 v19, v19, v21
	v_fmac_f32_e32 v32, v32, v19
.LBB57_683:                             ;   in Loop: Header=BB57_401 Depth=1
	s_or_b64 exec, exec, s[14:15]
                                        ; implicit-def: $vgpr19
                                        ; implicit-def: $vgpr30
                                        ; implicit-def: $vgpr21
.LBB57_684:                             ;   in Loop: Header=BB57_401 Depth=1
	s_andn2_saveexec_b64 s[40:41], s[40:41]
	s_cbranch_execz .LBB57_686
; %bb.685:                              ;   in Loop: Header=BB57_401 Depth=1
	v_div_scale_f32 v31, s[14:15], s77, s77, v23
	v_rcp_f32_e32 v32, v31
	v_div_scale_f32 v33, vcc, v23, s77, v23
	v_min_f32_e32 v19, v19, v30
	v_fma_f32 v34, -v31, v32, 1.0
	v_fmac_f32_e32 v32, v34, v32
	v_mul_f32_e32 v34, v33, v32
	v_fma_f32 v35, -v31, v34, v33
	v_fmac_f32_e32 v34, v35, v32
	v_fma_f32 v31, -v31, v34, v33
	v_div_scale_f32 v33, s[14:15], s77, s77, v22
	v_rcp_f32_e32 v35, v33
	v_div_fmas_f32 v31, v31, v32, v34
	v_div_fixup_f32 v31, v31, s77, v23
	s_waitcnt lgkmcnt(0)
	v_frexp_mant_f32_e32 v30, v21
	v_fma_f32 v32, -v33, v35, 1.0
	v_fmac_f32_e32 v35, v32, v35
	v_div_scale_f32 v32, vcc, v22, s77, v22
	v_mul_f32_e32 v34, v32, v35
	v_fma_f32 v36, -v33, v34, v32
	v_fmac_f32_e32 v34, v36, v35
	v_fma_f32 v32, -v33, v34, v32
	v_div_fmas_f32 v32, v32, v35, v34
	v_div_fixup_f32 v34, v32, s77, v22
	v_max_f32_e64 v35, |v31|, |v34|
	v_cvt_f64_f32_e32 v[32:33], v35
	v_frexp_exp_i32_f64_e32 v32, v[32:33]
	v_sub_u32_e32 v33, 0, v32
	v_ldexp_f32 v31, |v31|, v33
	v_ldexp_f32 v33, |v34|, v33
	v_mul_f32_e32 v33, v33, v33
	v_fmac_f32_e32 v33, v31, v31
	v_sqrt_f32_e32 v31, v33
	v_cmp_neq_f32_e32 vcc, s58, v35
	v_rcp_f32_e32 v30, v30
	v_frexp_exp_i32_f32_e32 v21, v21
	v_ldexp_f32 v31, v31, v32
	v_cndmask_b32_e32 v31, v56, v31, vcc
	v_cmp_gt_f32_e32 vcc, s62, v31
	v_cndmask_b32_e32 v32, 1.0, v57, vcc
	v_mul_f32_e32 v31, v31, v32
	v_log_f32_e32 v31, v31
	v_mul_f32_e32 v32, 0x3f317217, v31
	v_fma_f32 v33, v31, s63, -v32
	v_fmac_f32_e32 v33, 0x3377d1cf, v31
	v_add_f32_e32 v32, v32, v33
	v_cmp_lt_f32_e64 s[14:15], |v31|, s58
	v_cndmask_b32_e64 v31, v31, v32, s[14:15]
	v_cndmask_b32_e32 v32, 0, v58, vcc
	v_sub_f32_e32 v31, v31, v32
	v_frexp_exp_i32_f32_e32 v32, v19
	v_frexp_mant_f32_e32 v19, v19
	v_mul_f32_e32 v19, v19, v30
	v_sub_u32_e32 v21, v32, v21
	v_ldexp_f32 v32, v19, v21
	v_mul_f32_e32 v19, v32, v32
	v_mov_b32_e32 v21, 0xbc7a590c
	v_fmac_f32_e32 v21, 0x3b2d2a58, v19
	v_fma_f32 v21, v19, v21, v50
	v_fma_f32 v21, v19, v21, v51
	;; [unrolled: 1-line block ×6, first 2 shown]
	v_mul_f32_e32 v19, v19, v21
	v_add_f32_e32 v31, 1.0, v31
	v_fmac_f32_e32 v32, v32, v19
.LBB57_686:                             ;   in Loop: Header=BB57_401 Depth=1
	s_or_b64 exec, exec, s[40:41]
	v_sub_f32_e32 v19, 0x3fc90fdb, v32
	v_cndmask_b32_e64 v32, v32, v19, s[12:13]
.LBB57_687:                             ;   in Loop: Header=BB57_401 Depth=1
	s_or_b64 exec, exec, s[38:39]
	v_cmp_neq_f32_e32 vcc, 0, v22
	v_cmp_class_f32_e64 s[12:13], v23, s72
	v_cmp_class_f32_e64 s[14:15], v22, s72
	v_cndmask_b32_e32 v19, 0, v32, vcc
	s_and_b64 vcc, s[12:13], s[14:15]
	v_cndmask_b32_e32 v19, v19, v62, vcc
	v_cmp_o_f32_e32 vcc, v22, v23
	v_cndmask_b32_e32 v19, v59, v19, vcc
	s_waitcnt lgkmcnt(0)
	v_add_f32_e32 v21, 0x3f317218, v31
	v_bfi_b32 v22, s57, v19, v22
	v_bfi_b32 v23, s57, v21, v23
.LBB57_688:                             ;   in Loop: Header=BB57_401 Depth=1
	s_or_b64 exec, exec, s[36:37]
.LBB57_689:                             ;   in Loop: Header=BB57_401 Depth=1
	s_andn2_saveexec_b64 s[12:13], s[34:35]
	s_cbranch_execz .LBB57_703
; %bb.690:                              ;   in Loop: Header=BB57_401 Depth=1
	v_cmp_neq_f32_e64 s[14:15], |v23|, s58
                                        ; implicit-def: $vgpr19
	s_and_saveexec_b64 s[34:35], s[14:15]
	s_xor_b64 s[14:15], exec, s[34:35]
	s_cbranch_execz .LBB57_700
; %bb.691:                              ;   in Loop: Header=BB57_401 Depth=1
	v_cmp_neq_f32_e64 s[34:35], |v22|, s58
                                        ; implicit-def: $vgpr19
	s_and_saveexec_b64 s[36:37], s[34:35]
	s_xor_b64 s[34:35], exec, s[36:37]
	s_cbranch_execz .LBB57_697
; %bb.692:                              ;   in Loop: Header=BB57_401 Depth=1
	v_cmp_neq_f32_e32 vcc, 0, v22
	s_and_saveexec_b64 s[36:37], vcc
	s_xor_b64 s[36:37], exec, s[36:37]
; %bb.693:                              ;   in Loop: Header=BB57_401 Depth=1
	v_add_f32_e32 v19, 0, v23
	v_add_f32_e32 v23, v22, v19
; %bb.694:                              ;   in Loop: Header=BB57_401 Depth=1
	s_or_saveexec_b64 s[36:37], s[36:37]
	v_mov_b32_e32 v19, v23
	s_xor_b64 exec, exec, s[36:37]
; %bb.695:                              ;   in Loop: Header=BB57_401 Depth=1
	v_add_f32_e32 v23, v23, v23
	v_mov_b32_e32 v19, v22
; %bb.696:                              ;   in Loop: Header=BB57_401 Depth=1
	s_or_b64 exec, exec, s[36:37]
.LBB57_697:                             ;   in Loop: Header=BB57_401 Depth=1
	s_andn2_saveexec_b64 s[34:35], s[34:35]
; %bb.698:                              ;   in Loop: Header=BB57_401 Depth=1
	v_add_f32_e32 v19, v23, v23
	v_mov_b32_e32 v23, v22
; %bb.699:                              ;   in Loop: Header=BB57_401 Depth=1
	s_or_b64 exec, exec, s[34:35]
.LBB57_700:                             ;   in Loop: Header=BB57_401 Depth=1
	s_andn2_saveexec_b64 s[14:15], s[14:15]
; %bb.701:                              ;   in Loop: Header=BB57_401 Depth=1
	v_add_f32_e32 v19, v22, v22
; %bb.702:                              ;   in Loop: Header=BB57_401 Depth=1
	s_or_b64 exec, exec, s[14:15]
	v_mov_b32_e32 v22, v19
.LBB57_703:                             ;   in Loop: Header=BB57_401 Depth=1
	s_or_b64 exec, exec, s[12:13]
	v_cmp_o_f32_e32 vcc, v29, v29
	v_cmp_o_f32_e64 s[12:13], v28, v28
	s_and_b64 s[12:13], vcc, s[12:13]
	s_and_saveexec_b64 s[14:15], s[12:13]
	s_xor_b64 s[34:35], exec, s[14:15]
	s_cbranch_execnz .LBB57_709
; %bb.704:                              ;   in Loop: Header=BB57_401 Depth=1
	s_andn2_saveexec_b64 s[12:13], s[34:35]
	s_cbranch_execnz .LBB57_792
.LBB57_705:                             ;   in Loop: Header=BB57_401 Depth=1
	s_or_b64 exec, exec, s[12:13]
	s_and_saveexec_b64 s[12:13], s[4:5]
	s_xor_b64 s[4:5], exec, s[12:13]
	s_cbranch_execnz .LBB57_805
.LBB57_706:                             ;   in Loop: Header=BB57_401 Depth=1
	s_or_b64 exec, exec, s[4:5]
	s_and_saveexec_b64 s[4:5], s[6:7]
	s_cbranch_execnz .LBB57_806
.LBB57_707:                             ;   in Loop: Header=BB57_401 Depth=1
	s_or_b64 exec, exec, s[4:5]
	s_and_saveexec_b64 s[4:5], s[8:9]
	s_cbranch_execnz .LBB57_807
.LBB57_708:                             ;   in Loop: Header=BB57_401 Depth=1
	s_or_b64 exec, exec, s[4:5]
	s_and_saveexec_b64 s[4:5], s[10:11]
	s_cbranch_execz .LBB57_400
	s_branch .LBB57_808
.LBB57_709:                             ;   in Loop: Header=BB57_401 Depth=1
	v_max_f32_e64 v30, |v28|, |v28|
	v_max_f32_e64 v19, |v29|, |v29|
	s_waitcnt lgkmcnt(0)
	v_max_f32_e32 v21, v19, v30
	v_cmp_nlt_f32_e32 vcc, s55, v21
	s_and_saveexec_b64 s[12:13], vcc
	s_xor_b64 s[14:15], exec, s[12:13]
	s_cbranch_execz .LBB57_769
; %bb.710:                              ;   in Loop: Header=BB57_401 Depth=1
	v_cmp_neq_f32_e32 vcc, 0, v29
	v_cmp_neq_f32_e64 s[12:13], 0, v28
	s_or_b64 s[12:13], vcc, s[12:13]
	s_and_saveexec_b64 s[36:37], s[12:13]
	s_cbranch_execz .LBB57_768
; %bb.711:                              ;   in Loop: Header=BB57_401 Depth=1
	v_pk_mov_b32 v[30:31], s[22:23], s[22:23] op_sel:[0,1]
	flat_store_dword v[30:31], v43
	s_waitcnt vmcnt(0)
	flat_load_dword v21, v[30:31] glc
	s_waitcnt vmcnt(0)
	v_pk_mov_b32 v[30:31], s[24:25], s[24:25] op_sel:[0,1]
	v_cmp_nlt_f32_e64 s[12:13], |v29|, s56
	v_cmp_nlt_f32_e64 s[38:39], |v28|, s56
	s_or_b64 s[12:13], s[12:13], s[38:39]
	s_waitcnt lgkmcnt(0)
	v_add_f32_e32 v21, 1.0, v21
	flat_store_dword v[30:31], v21
	s_waitcnt vmcnt(0)
	flat_load_dword v21, v[30:31] glc
	s_waitcnt vmcnt(0)
	s_and_saveexec_b64 s[38:39], s[12:13]
	s_cbranch_execz .LBB57_767
; %bb.712:                              ;   in Loop: Header=BB57_401 Depth=1
	v_and_b32_e32 v30, 0x7fffffff, v28
	v_pk_add_f32 v[34:35], v[30:31], s[28:29] op_sel_hi:[0,1]
	s_waitcnt lgkmcnt(0)
	v_max_f32_e64 v21, v19, |v35|
	v_max_f32_e64 v19, v19, |v34|
	v_cvt_f64_f32_e32 v[32:33], v19
	v_frexp_exp_i32_f64_e32 v31, v[32:33]
	v_sub_u32_e32 v32, 0, v31
	v_ldexp_f32 v33, |v29|, v32
	v_ldexp_f32 v32, |v34|, v32
	v_mul_f32_e32 v32, v32, v32
	v_fmac_f32_e32 v32, v33, v33
	v_sqrt_f32_e32 v36, v32
	v_cvt_f64_f32_e32 v[32:33], v21
	v_frexp_exp_i32_f64_e32 v32, v[32:33]
	v_sub_u32_e32 v33, 0, v32
	v_ldexp_f32 v37, |v29|, v33
	v_ldexp_f32 v33, |v35|, v33
	v_mul_f32_e32 v33, v33, v33
	v_fmac_f32_e32 v33, v37, v37
	v_sqrt_f32_e32 v33, v33
	v_ldexp_f32 v36, v36, v31
	v_cmp_neq_f32_e32 vcc, s58, v21
	v_ldexp_f32 v31, v33, v32
	v_cndmask_b32_e32 v31, v56, v31, vcc
	v_cmp_neq_f32_e32 vcc, s58, v19
	v_cndmask_b32_e32 v64, v56, v36, vcc
	v_add_f32_e32 v19, v64, v31
	v_mul_f32_e32 v19, 0.5, v19
	v_cmp_ngt_f32_e32 vcc, 1.0, v19
	v_cndmask_b32_e32 v32, 1.0, v19, vcc
	v_cmp_ngt_f32_e32 vcc, s59, v32
                                        ; implicit-def: $vgpr19
	s_and_saveexec_b64 s[12:13], vcc
	s_xor_b64 s[40:41], exec, s[12:13]
	s_cbranch_execz .LBB57_714
; %bb.713:                              ;   in Loop: Header=BB57_401 Depth=1
	v_fma_f32 v19, v32, v32, -1.0
	v_mul_f32_e32 v21, 0x4f800000, v19
	v_cmp_gt_f32_e32 vcc, s60, v19
	v_cndmask_b32_e32 v19, v19, v21, vcc
	v_sqrt_f32_e32 v21, v19
	v_add_u32_e32 v33, -1, v21
	v_fma_f32 v37, -v33, v21, v19
	v_add_u32_e32 v36, 1, v21
	v_cmp_ge_f32_e64 s[12:13], 0, v37
	v_cndmask_b32_e64 v33, v21, v33, s[12:13]
	v_fma_f32 v21, -v36, v21, v19
	v_cmp_lt_f32_e64 s[12:13], 0, v21
	v_cndmask_b32_e64 v21, v33, v36, s[12:13]
	v_mul_f32_e32 v33, 0x37800000, v21
	v_cndmask_b32_e32 v21, v21, v33, vcc
	v_cmp_class_f32_e32 vcc, v19, v44
	v_cndmask_b32_e32 v19, v21, v19, vcc
	v_add_f32_e32 v19, v32, v19
	v_cmp_gt_f32_e32 vcc, s62, v19
	v_cndmask_b32_e32 v21, 1.0, v57, vcc
	v_mul_f32_e32 v19, v19, v21
	v_log_f32_e32 v19, v19
	v_mul_f32_e32 v21, 0x3f317217, v19
	v_fma_f32 v33, v19, s63, -v21
	v_fmac_f32_e32 v33, 0x3377d1cf, v19
	v_add_f32_e32 v21, v21, v33
	v_cmp_lt_f32_e64 s[12:13], |v19|, s58
	v_cndmask_b32_e64 v19, v19, v21, s[12:13]
	v_cndmask_b32_e32 v21, 0, v58, vcc
	v_sub_f32_e32 v19, v19, v21
.LBB57_714:                             ;   in Loop: Header=BB57_401 Depth=1
	s_or_saveexec_b64 s[40:41], s[40:41]
	v_and_b32_e32 v37, 0x7fffffff, v29
	v_and_b32_e32 v65, 0x7fffffff, v35
	s_xor_b64 exec, exec, s[40:41]
	s_cbranch_execz .LBB57_736
; %bb.715:                              ;   in Loop: Header=BB57_401 Depth=1
	v_cmp_neq_f32_e64 s[12:13], |v28|, 1.0
	v_cmp_nlt_f32_e64 s[42:43], |v29|, s64
	s_or_b64 s[12:13], s[42:43], s[12:13]
                                        ; implicit-def: $vgpr19
	s_and_saveexec_b64 s[42:43], s[12:13]
	s_xor_b64 s[42:43], exec, s[42:43]
	s_cbranch_execz .LBB57_733
; %bb.716:                              ;   in Loop: Header=BB57_401 Depth=1
	v_mul_f32_e32 v19, 0x34000000, v65
	v_cmp_le_f32_e64 s[12:13], v19, |v29|
                                        ; implicit-def: $vgpr19
	s_and_saveexec_b64 s[44:45], s[12:13]
	s_xor_b64 s[44:45], exec, s[44:45]
	s_cbranch_execz .LBB57_726
; %bb.717:                              ;   in Loop: Header=BB57_401 Depth=1
	v_cmp_neq_f32_e32 vcc, 0, v34
	v_mov_b32_e32 v19, v37
	s_and_saveexec_b64 s[12:13], vcc
	s_cbranch_execz .LBB57_719
; %bb.718:                              ;   in Loop: Header=BB57_401 Depth=1
	v_mul_f32_e32 v19, v29, v29
	v_add_f32_e32 v21, v34, v64
	v_div_scale_f32 v33, s[46:47], v21, v21, v19
	v_rcp_f32_e32 v36, v33
	v_fma_f32 v66, -v33, v36, 1.0
	v_fmac_f32_e32 v36, v66, v36
	v_div_scale_f32 v66, vcc, v19, v21, v19
	v_mul_f32_e32 v67, v66, v36
	v_fma_f32 v68, -v33, v67, v66
	v_fmac_f32_e32 v67, v68, v36
	v_fma_f32 v33, -v33, v67, v66
	v_div_fmas_f32 v33, v33, v36, v67
	v_div_fixup_f32 v19, v33, v21, v19
.LBB57_719:                             ;   in Loop: Header=BB57_401 Depth=1
	s_or_b64 exec, exec, s[12:13]
	v_sub_f32_e64 v33, 1.0, |v28|
	v_cmp_ngt_f32_e32 vcc, 0, v33
                                        ; implicit-def: $vgpr21
	s_and_saveexec_b64 s[12:13], vcc
	s_xor_b64 s[12:13], exec, s[12:13]
	s_cbranch_execz .LBB57_723
; %bb.720:                              ;   in Loop: Header=BB57_401 Depth=1
	v_cmp_neq_f32_e32 vcc, 0, v33
	v_mov_b32_e32 v21, v37
	s_and_saveexec_b64 s[46:47], vcc
	s_cbranch_execz .LBB57_722
; %bb.721:                              ;   in Loop: Header=BB57_401 Depth=1
	v_mul_f32_e32 v21, v29, v29
	v_add_f32_e32 v33, v33, v31
	v_div_scale_f32 v36, s[48:49], v33, v33, v21
	v_rcp_f32_e32 v66, v36
	v_fma_f32 v67, -v36, v66, 1.0
	v_fmac_f32_e32 v66, v67, v66
	v_div_scale_f32 v67, vcc, v21, v33, v21
	v_mul_f32_e32 v68, v67, v66
	v_fma_f32 v69, -v36, v68, v67
	v_fmac_f32_e32 v68, v69, v66
	v_fma_f32 v36, -v36, v68, v67
	v_div_fmas_f32 v36, v36, v66, v68
	v_div_fixup_f32 v21, v36, v33, v21
.LBB57_722:                             ;   in Loop: Header=BB57_401 Depth=1
	s_or_b64 exec, exec, s[46:47]
                                        ; implicit-def: $vgpr33
.LBB57_723:                             ;   in Loop: Header=BB57_401 Depth=1
	s_andn2_saveexec_b64 s[12:13], s[12:13]
; %bb.724:                              ;   in Loop: Header=BB57_401 Depth=1
	v_sub_f32_e32 v21, v31, v33
; %bb.725:                              ;   in Loop: Header=BB57_401 Depth=1
	s_or_b64 exec, exec, s[12:13]
	v_mul_f32_e32 v33, 0.5, v19
	v_mul_f32_e32 v19, 0.5, v21
	v_pk_add_f32 v[66:67], v[32:33], v[18:19]
	v_mul_f32_e32 v19, v66, v67
	v_mul_f32_e32 v21, 0x4f800000, v19
	v_cmp_gt_f32_e32 vcc, s60, v19
	v_cndmask_b32_e32 v19, v19, v21, vcc
	v_sqrt_f32_e32 v21, v19
	v_add_u32_e32 v33, -1, v21
	v_fma_f32 v36, -v33, v21, v19
	v_cmp_ge_f32_e64 s[12:13], 0, v36
	v_add_u32_e32 v36, 1, v21
	v_cndmask_b32_e64 v33, v21, v33, s[12:13]
	v_fma_f32 v21, -v36, v21, v19
	v_cmp_lt_f32_e64 s[12:13], 0, v21
	v_cndmask_b32_e64 v21, v33, v36, s[12:13]
	v_mul_f32_e32 v33, 0x37800000, v21
	v_cndmask_b32_e32 v21, v21, v33, vcc
	v_cmp_class_f32_e32 vcc, v19, v44
	v_cndmask_b32_e32 v19, v21, v19, vcc
	v_add_f32_e32 v66, v67, v19
	v_add_f32_e32 v69, 1.0, v66
	v_add_f32_e32 v67, -1.0, v69
	v_mov_b32_e32 v68, v67
	v_pk_add_f32 v[70:71], v[66:67], v[68:69] neg_lo:[0,1] neg_hi:[0,1]
	v_add_f32_e32 v19, 1.0, v71
	v_add_f32_e32 v19, v70, v19
	v_frexp_mant_f32_e32 v21, v69
	v_cvt_f64_f32_e32 v[70:71], v69
	v_frexp_exp_i32_f64_e32 v33, v[70:71]
	v_cmp_gt_f32_e32 vcc, s65, v21
	v_subbrev_co_u32_e32 v33, vcc, 0, v33, vcc
	v_sub_u32_e32 v21, 0, v33
	v_ldexp_f32 v36, v69, v21
	v_ldexp_f32 v19, v19, v21
	v_add_f32_e32 v21, -1.0, v36
	v_add_f32_e32 v68, 1.0, v36
	v_add_f32_e32 v67, 1.0, v21
	v_add_f32_e32 v69, -1.0, v68
	v_sub_f32_e32 v67, v36, v67
	v_sub_f32_e32 v36, v36, v69
	v_add_f32_e32 v67, v19, v67
	v_add_f32_e32 v19, v19, v36
	;; [unrolled: 1-line block ×3, first 2 shown]
	v_rcp_f32_e32 v76, v36
	v_add_f32_e32 v69, v21, v67
	v_sub_f32_e32 v21, v69, v21
	v_sub_f32_e32 v21, v67, v21
	v_mul_f32_e32 v67, v69, v76
	v_sub_f32_e32 v68, v36, v68
	v_mul_f32_e32 v70, v36, v67
	v_sub_f32_e32 v19, v19, v68
	v_fma_f32 v72, v67, v36, -v70
	v_fmac_f32_e32 v72, v67, v19
	v_add_f32_e32 v68, v70, v72
	v_sub_f32_e32 v71, v69, v68
	v_pk_add_f32 v[74:75], v[68:69], v[70:71] neg_lo:[0,1] neg_hi:[0,1]
	v_mov_b32_e32 v73, v68
	v_pk_add_f32 v[68:69], v[74:75], v[72:73] neg_lo:[0,1] neg_hi:[0,1]
	v_add_f32_e32 v21, v21, v69
	v_add_f32_e32 v21, v68, v21
	;; [unrolled: 1-line block ×3, first 2 shown]
	v_mul_f32_e32 v77, v76, v69
	v_mul_f32_e32 v70, v36, v77
	v_fma_f32 v72, v77, v36, -v70
	v_fmac_f32_e32 v72, v77, v19
	v_add_f32_e32 v68, v70, v72
	v_sub_f32_e32 v19, v71, v69
	v_sub_f32_e32 v71, v69, v68
	v_pk_add_f32 v[74:75], v[68:69], v[70:71] neg_lo:[0,1] neg_hi:[0,1]
	v_mov_b32_e32 v73, v68
	v_add_f32_e32 v19, v21, v19
	v_pk_add_f32 v[68:69], v[74:75], v[72:73] neg_lo:[0,1] neg_hi:[0,1]
	v_add_f32_e32 v19, v19, v69
	v_add_f32_e32 v19, v68, v19
	v_add_f32_e32 v36, v67, v77
	v_add_f32_e32 v19, v71, v19
	v_sub_f32_e32 v21, v36, v67
	v_mul_f32_e32 v19, v76, v19
	v_sub_f32_e32 v21, v77, v21
	v_add_f32_e32 v19, v21, v19
	v_add_f32_e32 v67, v36, v19
	v_cvt_f32_i32_e32 v68, v33
	v_mul_f32_e32 v69, v67, v67
	v_mov_b32_e32 v21, 0x3ecc95a3
	v_fmac_f32_e32 v21, 0x3e9b6dac, v69
	v_fma_f32 v21, v69, v21, v45
	v_mul_f32_e32 v69, v67, v69
	v_pk_mul_f32 v[72:73], v[68:69], v[20:21]
	v_fma_f32 v70, v68, s66, -v72
	v_ldexp_f32 v71, v67, 1
	v_fmac_f32_e32 v70, 0xb102e308, v68
	v_sub_f32_e32 v33, v67, v36
	v_pk_add_f32 v[68:69], v[72:73], v[70:71]
	v_sub_f32_e32 v19, v19, v33
	v_sub_f32_e32 v21, v69, v71
	v_ldexp_f32 v19, v19, 1
	v_sub_f32_e32 v21, v73, v21
	v_add_f32_e32 v75, v19, v21
	v_mov_b32_e32 v74, v72
	v_pk_add_f32 v[72:73], v[68:69], v[72:73] neg_lo:[0,1] neg_hi:[0,1]
	v_pk_add_f32 v[76:77], v[68:69], v[74:75]
	v_mov_b32_e32 v73, v77
	v_mov_b32_e32 v71, v68
	v_pk_add_f32 v[78:79], v[70:71], v[72:73] neg_lo:[0,1] neg_hi:[0,1]
	v_pk_add_f32 v[70:71], v[70:71], v[72:73]
	v_mov_b32_e32 v36, v71
	v_pk_add_f32 v[72:73], v[36:37], v[68:69] neg_lo:[0,1] neg_hi:[0,1]
	v_mov_b32_e32 v19, v72
	v_pk_add_f32 v[80:81], v[76:77], v[18:19] neg_lo:[0,1] neg_hi:[0,1]
	v_mov_b32_e32 v70, v77
	v_mov_b32_e32 v76, v69
	;; [unrolled: 1-line block ×4, first 2 shown]
	v_pk_add_f32 v[70:71], v[70:71], v[76:77] neg_lo:[0,1] neg_hi:[0,1]
	v_mov_b32_e32 v72, v75
	v_mov_b32_e32 v73, v68
	v_pk_add_f32 v[68:69], v[72:73], v[70:71] neg_lo:[0,1] neg_hi:[0,1]
	v_mov_b32_e32 v80, v78
	v_pk_add_f32 v[70:71], v[80:81], v[68:69]
	v_mov_b32_e32 v72, v71
	v_pk_add_f32 v[72:73], v[70:71], v[72:73]
	v_pk_add_f32 v[74:75], v[36:37], v[72:73]
	v_mov_b32_e32 v71, v74
	v_pk_add_f32 v[76:77], v[70:71], v[78:79] neg_lo:[0,1] neg_hi:[0,1]
	v_mov_b32_e32 v69, v72
	v_sub_f32_e32 v19, v70, v76
	v_pk_add_f32 v[68:69], v[68:69], v[76:77] neg_lo:[0,1] neg_hi:[0,1]
	v_sub_f32_e32 v19, v78, v19
	v_add_f32_e32 v19, v68, v19
	v_add_f32_e32 v19, v19, v69
	;; [unrolled: 1-line block ×3, first 2 shown]
	v_cmp_eq_f32_e32 vcc, s58, v66
	v_cndmask_b32_e32 v19, v19, v66, vcc
	v_cmp_ngt_f32_e32 vcc, -1.0, v66
	v_cndmask_b32_e32 v19, v59, v19, vcc
	v_cmp_neq_f32_e32 vcc, -1.0, v66
	v_cndmask_b32_e32 v19, v60, v19, vcc
	v_cmp_lt_f32_e64 vcc, |v66|, s67
	v_cndmask_b32_e32 v19, v19, v66, vcc
.LBB57_726:                             ;   in Loop: Header=BB57_401 Depth=1
	s_andn2_saveexec_b64 s[44:45], s[44:45]
	s_cbranch_execz .LBB57_732
; %bb.727:                              ;   in Loop: Header=BB57_401 Depth=1
	v_cmp_nlt_f32_e64 s[12:13], |v28|, 1.0
                                        ; implicit-def: $vgpr19
	s_and_saveexec_b64 s[46:47], s[12:13]
	s_xor_b64 s[46:47], exec, s[46:47]
	s_cbranch_execz .LBB57_729
; %bb.728:                              ;   in Loop: Header=BB57_401 Depth=1
	v_mul_f32_e32 v19, v35, v34
	v_mul_f32_e32 v21, 0x4f800000, v19
	v_cmp_gt_f32_e32 vcc, s60, v19
	v_cndmask_b32_e32 v19, v19, v21, vcc
	v_sqrt_f32_e32 v21, v19
	v_add_u32_e32 v33, -1, v21
	v_fma_f32 v66, -v33, v21, v19
	v_add_u32_e32 v36, 1, v21
	v_cmp_ge_f32_e64 s[12:13], 0, v66
	v_cndmask_b32_e64 v33, v21, v33, s[12:13]
	v_fma_f32 v21, -v36, v21, v19
	v_cmp_lt_f32_e64 s[12:13], 0, v21
	v_cndmask_b32_e64 v21, v33, v36, s[12:13]
	v_mul_f32_e32 v33, 0x37800000, v21
	v_cndmask_b32_e32 v21, v21, v33, vcc
	v_cmp_class_f32_e32 vcc, v19, v44
	v_cndmask_b32_e32 v19, v21, v19, vcc
	v_add_f32_e32 v66, v35, v19
	v_add_f32_e32 v69, 1.0, v66
	v_add_f32_e32 v67, -1.0, v69
	v_mov_b32_e32 v68, v67
	v_pk_add_f32 v[70:71], v[66:67], v[68:69] neg_lo:[0,1] neg_hi:[0,1]
	v_add_f32_e32 v19, 1.0, v71
	v_add_f32_e32 v19, v70, v19
	v_frexp_mant_f32_e32 v21, v69
	v_cvt_f64_f32_e32 v[70:71], v69
	v_frexp_exp_i32_f64_e32 v33, v[70:71]
	v_cmp_gt_f32_e32 vcc, s65, v21
	v_subbrev_co_u32_e32 v33, vcc, 0, v33, vcc
	v_sub_u32_e32 v21, 0, v33
	v_ldexp_f32 v36, v69, v21
	v_ldexp_f32 v19, v19, v21
	v_add_f32_e32 v21, -1.0, v36
	v_add_f32_e32 v68, 1.0, v36
	v_add_f32_e32 v67, 1.0, v21
	v_add_f32_e32 v69, -1.0, v68
	v_sub_f32_e32 v67, v36, v67
	v_sub_f32_e32 v36, v36, v69
	v_add_f32_e32 v67, v19, v67
	v_add_f32_e32 v19, v19, v36
	;; [unrolled: 1-line block ×3, first 2 shown]
	v_rcp_f32_e32 v76, v36
	v_add_f32_e32 v69, v21, v67
	v_sub_f32_e32 v21, v69, v21
	v_sub_f32_e32 v21, v67, v21
	v_mul_f32_e32 v67, v69, v76
	v_sub_f32_e32 v68, v36, v68
	v_mul_f32_e32 v70, v36, v67
	v_sub_f32_e32 v19, v19, v68
	v_fma_f32 v72, v67, v36, -v70
	v_fmac_f32_e32 v72, v67, v19
	v_add_f32_e32 v68, v70, v72
	v_sub_f32_e32 v71, v69, v68
	v_pk_add_f32 v[74:75], v[68:69], v[70:71] neg_lo:[0,1] neg_hi:[0,1]
	v_mov_b32_e32 v73, v68
	v_pk_add_f32 v[68:69], v[74:75], v[72:73] neg_lo:[0,1] neg_hi:[0,1]
	v_add_f32_e32 v21, v21, v69
	v_add_f32_e32 v21, v68, v21
	;; [unrolled: 1-line block ×3, first 2 shown]
	v_mul_f32_e32 v77, v76, v69
	v_mul_f32_e32 v70, v36, v77
	v_fma_f32 v72, v77, v36, -v70
	v_fmac_f32_e32 v72, v77, v19
	v_add_f32_e32 v68, v70, v72
	v_sub_f32_e32 v19, v71, v69
	v_sub_f32_e32 v71, v69, v68
	v_pk_add_f32 v[74:75], v[68:69], v[70:71] neg_lo:[0,1] neg_hi:[0,1]
	v_mov_b32_e32 v73, v68
	v_add_f32_e32 v19, v21, v19
	v_pk_add_f32 v[68:69], v[74:75], v[72:73] neg_lo:[0,1] neg_hi:[0,1]
	v_add_f32_e32 v19, v19, v69
	v_add_f32_e32 v19, v68, v19
	;; [unrolled: 1-line block ×4, first 2 shown]
	v_sub_f32_e32 v21, v36, v67
	v_mul_f32_e32 v19, v76, v19
	v_sub_f32_e32 v21, v77, v21
	v_add_f32_e32 v19, v21, v19
	v_add_f32_e32 v67, v36, v19
	v_cvt_f32_i32_e32 v68, v33
	v_mul_f32_e32 v69, v67, v67
	v_mov_b32_e32 v21, 0x3ecc95a3
	v_fmac_f32_e32 v21, 0x3e9b6dac, v69
	v_fma_f32 v21, v69, v21, v45
	v_mul_f32_e32 v69, v67, v69
	v_pk_mul_f32 v[72:73], v[68:69], v[20:21]
	v_fma_f32 v70, v68, s66, -v72
	v_ldexp_f32 v71, v67, 1
	v_fmac_f32_e32 v70, 0xb102e308, v68
	v_sub_f32_e32 v33, v67, v36
	v_pk_add_f32 v[68:69], v[72:73], v[70:71]
	v_sub_f32_e32 v19, v19, v33
	v_sub_f32_e32 v21, v69, v71
	v_ldexp_f32 v19, v19, 1
	v_sub_f32_e32 v21, v73, v21
	v_add_f32_e32 v75, v19, v21
	v_mov_b32_e32 v74, v72
	v_pk_add_f32 v[72:73], v[68:69], v[72:73] neg_lo:[0,1] neg_hi:[0,1]
	v_pk_add_f32 v[76:77], v[68:69], v[74:75]
	v_mov_b32_e32 v73, v77
	v_mov_b32_e32 v71, v68
	v_pk_add_f32 v[78:79], v[70:71], v[72:73] neg_lo:[0,1] neg_hi:[0,1]
	v_pk_add_f32 v[70:71], v[70:71], v[72:73]
	v_mov_b32_e32 v36, v71
	v_pk_add_f32 v[72:73], v[36:37], v[68:69] neg_lo:[0,1] neg_hi:[0,1]
	v_mov_b32_e32 v19, v72
	v_pk_add_f32 v[80:81], v[76:77], v[18:19] neg_lo:[0,1] neg_hi:[0,1]
	v_mov_b32_e32 v70, v77
	v_mov_b32_e32 v76, v69
	;; [unrolled: 1-line block ×4, first 2 shown]
	v_pk_add_f32 v[70:71], v[70:71], v[76:77] neg_lo:[0,1] neg_hi:[0,1]
	v_mov_b32_e32 v72, v75
	v_mov_b32_e32 v73, v68
	v_pk_add_f32 v[68:69], v[72:73], v[70:71] neg_lo:[0,1] neg_hi:[0,1]
	v_mov_b32_e32 v80, v78
	v_pk_add_f32 v[70:71], v[80:81], v[68:69]
	v_mov_b32_e32 v72, v71
	v_pk_add_f32 v[72:73], v[70:71], v[72:73]
	v_pk_add_f32 v[74:75], v[36:37], v[72:73]
	v_mov_b32_e32 v71, v74
	v_pk_add_f32 v[76:77], v[70:71], v[78:79] neg_lo:[0,1] neg_hi:[0,1]
	v_mov_b32_e32 v69, v72
	v_sub_f32_e32 v19, v70, v76
	v_pk_add_f32 v[68:69], v[68:69], v[76:77] neg_lo:[0,1] neg_hi:[0,1]
	v_sub_f32_e32 v19, v78, v19
	v_add_f32_e32 v19, v68, v19
	v_add_f32_e32 v19, v19, v69
	;; [unrolled: 1-line block ×3, first 2 shown]
	v_cmp_eq_f32_e32 vcc, s58, v66
	v_cndmask_b32_e32 v19, v19, v66, vcc
	v_cmp_ngt_f32_e32 vcc, -1.0, v66
	v_cndmask_b32_e32 v19, v59, v19, vcc
	v_cmp_neq_f32_e32 vcc, -1.0, v66
	v_cndmask_b32_e32 v19, v60, v19, vcc
	v_cmp_lt_f32_e64 vcc, |v66|, s67
	v_cndmask_b32_e32 v19, v19, v66, vcc
.LBB57_729:                             ;   in Loop: Header=BB57_401 Depth=1
	s_andn2_saveexec_b64 s[46:47], s[46:47]
	s_cbranch_execz .LBB57_731
; %bb.730:                              ;   in Loop: Header=BB57_401 Depth=1
	v_sub_f32_e64 v19, 1.0, |v28|
	v_mul_f32_e32 v19, v19, v34
	v_mul_f32_e32 v21, 0x4f800000, v19
	v_cmp_gt_f32_e32 vcc, s60, v19
	v_cndmask_b32_e32 v19, v19, v21, vcc
	v_sqrt_f32_e32 v21, v19
	v_add_u32_e32 v33, -1, v21
	v_fma_f32 v66, -v33, v21, v19
	v_add_u32_e32 v36, 1, v21
	v_cmp_ge_f32_e64 s[12:13], 0, v66
	v_cndmask_b32_e64 v33, v21, v33, s[12:13]
	v_fma_f32 v21, -v36, v21, v19
	v_cmp_lt_f32_e64 s[12:13], 0, v21
	v_cndmask_b32_e64 v21, v33, v36, s[12:13]
	v_mul_f32_e32 v33, 0x37800000, v21
	v_cndmask_b32_e32 v21, v21, v33, vcc
	v_cmp_class_f32_e32 vcc, v19, v44
	v_cndmask_b32_e32 v19, v21, v19, vcc
	v_and_b32_e32 v21, 0x7fffffff, v29
	v_div_scale_f32 v33, s[12:13], v19, v19, v21
	v_rcp_f32_e32 v36, v33
	v_div_scale_f32 v21, vcc, v21, v19, v21
	v_fma_f32 v66, -v33, v36, 1.0
	v_fmac_f32_e32 v36, v66, v36
	v_mul_f32_e32 v66, v21, v36
	v_fma_f32 v67, -v33, v66, v21
	v_fmac_f32_e32 v66, v67, v36
	v_fma_f32 v21, -v33, v66, v21
	v_div_fmas_f32 v21, v21, v36, v66
	v_div_fixup_f32 v19, v21, v19, |v29|
.LBB57_731:                             ;   in Loop: Header=BB57_401 Depth=1
	s_or_b64 exec, exec, s[46:47]
.LBB57_732:                             ;   in Loop: Header=BB57_401 Depth=1
	s_or_b64 exec, exec, s[44:45]
.LBB57_733:                             ;   in Loop: Header=BB57_401 Depth=1
	s_andn2_saveexec_b64 s[42:43], s[42:43]
	s_cbranch_execz .LBB57_735
; %bb.734:                              ;   in Loop: Header=BB57_401 Depth=1
	v_mul_f32_e64 v19, |v29|, s61
	v_cmp_lt_f32_e64 vcc, |v29|, s60
	v_cndmask_b32_e64 v19, |v29|, v19, vcc
	v_sqrt_f32_e32 v21, v19
	v_add_u32_e32 v33, -1, v21
	v_fma_f32 v66, -v33, v21, v19
	v_add_u32_e32 v36, 1, v21
	v_cmp_ge_f32_e64 s[12:13], 0, v66
	v_cndmask_b32_e64 v33, v21, v33, s[12:13]
	v_fma_f32 v21, -v36, v21, v19
	v_cmp_lt_f32_e64 s[12:13], 0, v21
	v_cndmask_b32_e64 v21, v33, v36, s[12:13]
	v_mul_f32_e32 v33, 0x37800000, v21
	v_cndmask_b32_e32 v21, v21, v33, vcc
	v_cmp_class_f32_e32 vcc, v19, v44
	v_cndmask_b32_e32 v19, v21, v19, vcc
.LBB57_735:                             ;   in Loop: Header=BB57_401 Depth=1
	s_or_b64 exec, exec, s[42:43]
.LBB57_736:                             ;   in Loop: Header=BB57_401 Depth=1
	s_or_b64 exec, exec, s[40:41]
	v_cmp_nlt_f32_e64 s[40:41], |v28|, s68
                                        ; implicit-def: $sgpr12_sgpr13
                                        ; implicit-def: $vgpr36
                                        ; implicit-def: $vgpr21
	s_and_saveexec_b64 s[42:43], s[40:41]
	s_xor_b64 s[40:41], exec, s[42:43]
	s_cbranch_execz .LBB57_760
; %bb.737:                              ;   in Loop: Header=BB57_401 Depth=1
	v_div_scale_f32 v21, s[12:13], v32, v32, v30
	v_rcp_f32_e32 v33, v21
	v_div_scale_f32 v36, vcc, v30, v32, v30
	s_mov_b64 s[12:13], 0
	v_fma_f32 v66, -v21, v33, 1.0
	v_fmac_f32_e32 v33, v66, v33
	v_mul_f32_e32 v66, v36, v33
	v_fma_f32 v67, -v21, v66, v36
	v_fmac_f32_e32 v66, v67, v33
	v_fma_f32 v21, -v21, v66, v36
	v_div_fmas_f32 v21, v21, v33, v66
	v_div_fixup_f32 v21, v21, v32, |v28|
	v_cmp_lt_f32_e32 vcc, s69, v21
                                        ; implicit-def: $vgpr36
	s_and_saveexec_b64 s[42:43], vcc
	s_cbranch_execz .LBB57_759
; %bb.738:                              ;   in Loop: Header=BB57_401 Depth=1
	v_cmp_neq_f32_e64 s[12:13], |v28|, 1.0
	v_cmp_nlt_f32_e64 s[44:45], |v29|, s70
	s_or_b64 s[12:13], s[44:45], s[12:13]
                                        ; implicit-def: $sgpr46_sgpr47
                                        ; implicit-def: $vgpr36
	s_and_saveexec_b64 s[44:45], s[12:13]
	s_xor_b64 s[44:45], exec, s[44:45]
	s_cbranch_execz .LBB57_756
; %bb.739:                              ;   in Loop: Header=BB57_401 Depth=1
	v_mul_f32_e32 v33, 0x34000000, v65
	v_cmp_le_f32_e64 s[12:13], v33, |v29|
                                        ; implicit-def: $vgpr36
                                        ; implicit-def: $sgpr46_sgpr47
	s_and_saveexec_b64 s[48:49], s[12:13]
	s_xor_b64 s[48:49], exec, s[48:49]
	s_cbranch_execz .LBB57_749
; %bb.740:                              ;   in Loop: Header=BB57_401 Depth=1
	v_cmp_neq_f32_e32 vcc, 0, v34
	v_mov_b32_e32 v33, v37
	s_and_saveexec_b64 s[12:13], vcc
	s_cbranch_execz .LBB57_742
; %bb.741:                              ;   in Loop: Header=BB57_401 Depth=1
	v_mul_f32_e32 v33, v29, v29
	v_add_f32_e32 v34, v34, v64
	v_div_scale_f32 v36, s[46:47], v34, v34, v33
	v_rcp_f32_e32 v64, v36
	v_fma_f32 v65, -v36, v64, 1.0
	v_fmac_f32_e32 v64, v65, v64
	v_div_scale_f32 v65, vcc, v33, v34, v33
	v_mul_f32_e32 v66, v65, v64
	v_fma_f32 v67, -v36, v66, v65
	v_fmac_f32_e32 v66, v67, v64
	v_fma_f32 v36, -v36, v66, v65
	v_div_fmas_f32 v36, v36, v64, v66
	v_div_fixup_f32 v33, v36, v34, v33
.LBB57_742:                             ;   in Loop: Header=BB57_401 Depth=1
	s_or_b64 exec, exec, s[12:13]
	v_cmp_ngt_f32_e32 vcc, 0, v35
	s_and_saveexec_b64 s[12:13], vcc
	s_xor_b64 s[12:13], exec, s[12:13]
	s_cbranch_execz .LBB57_746
; %bb.743:                              ;   in Loop: Header=BB57_401 Depth=1
	v_cmp_neq_f32_e32 vcc, 0, v35
	s_and_saveexec_b64 s[46:47], vcc
	s_cbranch_execz .LBB57_745
; %bb.744:                              ;   in Loop: Header=BB57_401 Depth=1
	v_mul_f32_e32 v34, v29, v29
	v_add_f32_e32 v31, v35, v31
	v_div_scale_f32 v35, s[50:51], v31, v31, v34
	v_rcp_f32_e32 v36, v35
	v_fma_f32 v37, -v35, v36, 1.0
	v_fmac_f32_e32 v36, v37, v36
	v_div_scale_f32 v37, vcc, v34, v31, v34
	v_mul_f32_e32 v64, v37, v36
	v_fma_f32 v65, -v35, v64, v37
	v_fmac_f32_e32 v64, v65, v36
	v_fma_f32 v35, -v35, v64, v37
	v_div_fmas_f32 v35, v35, v36, v64
	v_div_fixup_f32 v37, v35, v31, v34
.LBB57_745:                             ;   in Loop: Header=BB57_401 Depth=1
	s_or_b64 exec, exec, s[46:47]
                                        ; implicit-def: $vgpr31
                                        ; implicit-def: $vgpr34_vgpr35
.LBB57_746:                             ;   in Loop: Header=BB57_401 Depth=1
	s_andn2_saveexec_b64 s[12:13], s[12:13]
; %bb.747:                              ;   in Loop: Header=BB57_401 Depth=1
	v_sub_f32_e32 v37, v31, v35
; %bb.748:                              ;   in Loop: Header=BB57_401 Depth=1
	s_or_b64 exec, exec, s[12:13]
	v_mul_f32_e32 v31, 0.5, v33
	v_mul_f32_e32 v33, 0.5, v37
	v_pk_add_f32 v[32:33], v[30:31], v[32:33]
	v_mul_f32_e32 v31, v32, v33
	v_mul_f32_e32 v32, 0x4f800000, v31
	v_cmp_gt_f32_e32 vcc, s60, v31
	v_cndmask_b32_e32 v31, v31, v32, vcc
	v_sqrt_f32_e32 v32, v31
	s_mov_b64 s[46:47], -1
	v_add_u32_e32 v33, -1, v32
	v_fma_f32 v34, -v33, v32, v31
	v_cmp_ge_f32_e64 s[12:13], 0, v34
	v_add_u32_e32 v34, 1, v32
	v_cndmask_b32_e64 v33, v32, v33, s[12:13]
	v_fma_f32 v32, -v34, v32, v31
	v_cmp_lt_f32_e64 s[12:13], 0, v32
	v_cndmask_b32_e64 v32, v33, v34, s[12:13]
	v_mul_f32_e32 v33, 0x37800000, v32
	v_cndmask_b32_e32 v32, v32, v33, vcc
	v_cmp_class_f32_e32 vcc, v31, v44
	v_cndmask_b32_e32 v36, v32, v31, vcc
                                        ; implicit-def: $vgpr34_vgpr35
.LBB57_749:                             ;   in Loop: Header=BB57_401 Depth=1
	s_andn2_saveexec_b64 s[48:49], s[48:49]
	s_cbranch_execz .LBB57_755
; %bb.750:                              ;   in Loop: Header=BB57_401 Depth=1
	v_cmp_ngt_f32_e64 s[12:13], |v28|, 1.0
                                        ; implicit-def: $vgpr36
                                        ; implicit-def: $sgpr50_sgpr51
	s_and_saveexec_b64 s[52:53], s[12:13]
	s_xor_b64 s[52:53], exec, s[52:53]
	s_cbranch_execz .LBB57_752
; %bb.751:                              ;   in Loop: Header=BB57_401 Depth=1
	v_sub_f32_e64 v31, 1.0, |v28|
	v_mul_f32_e32 v31, v31, v34
	v_mul_f32_e32 v32, 0x4f800000, v31
	v_cmp_gt_f32_e32 vcc, s60, v31
	v_cndmask_b32_e32 v31, v31, v32, vcc
	v_sqrt_f32_e32 v32, v31
	s_mov_b64 s[50:51], -1
	v_add_u32_e32 v33, -1, v32
	v_fma_f32 v35, -v33, v32, v31
	v_add_u32_e32 v34, 1, v32
	v_cmp_ge_f32_e64 s[12:13], 0, v35
	v_cndmask_b32_e64 v33, v32, v33, s[12:13]
	v_fma_f32 v32, -v34, v32, v31
	v_cmp_lt_f32_e64 s[12:13], 0, v32
	v_cndmask_b32_e64 v32, v33, v34, s[12:13]
	v_mul_f32_e32 v33, 0x37800000, v32
	v_cndmask_b32_e32 v32, v32, v33, vcc
	v_cmp_class_f32_e32 vcc, v31, v44
	v_cndmask_b32_e32 v36, v32, v31, vcc
                                        ; implicit-def: $vgpr34_vgpr35
.LBB57_752:                             ;   in Loop: Header=BB57_401 Depth=1
	s_andn2_saveexec_b64 s[52:53], s[52:53]
	s_cbranch_execz .LBB57_754
; %bb.753:                              ;   in Loop: Header=BB57_401 Depth=1
	v_mul_f32_e32 v30, v34, v35
	v_mul_f32_e32 v31, 0x4f800000, v30
	v_cmp_gt_f32_e32 vcc, s60, v30
	v_cndmask_b32_e32 v30, v30, v31, vcc
	v_sqrt_f32_e32 v31, v30
	v_mul_f32_e64 v32, |v29|, s71
	v_mul_f32_e64 v32, |v28|, v32
	s_or_b64 s[50:51], s[50:51], exec
	v_add_u32_e32 v33, -1, v31
	v_fma_f32 v34, -v33, v31, v30
	v_cmp_ge_f32_e64 s[12:13], 0, v34
	v_add_u32_e32 v34, 1, v31
	v_cndmask_b32_e64 v33, v31, v33, s[12:13]
	v_fma_f32 v31, -v34, v31, v30
	v_cmp_lt_f32_e64 s[12:13], 0, v31
	v_cndmask_b32_e64 v31, v33, v34, s[12:13]
	v_mul_f32_e32 v33, 0x37800000, v31
	v_cndmask_b32_e32 v31, v31, v33, vcc
	v_cmp_class_f32_e32 vcc, v30, v44
	v_cndmask_b32_e32 v30, v31, v30, vcc
	v_div_scale_f32 v31, s[12:13], v30, v30, v32
	v_rcp_f32_e32 v33, v31
	v_fma_f32 v34, -v31, v33, 1.0
	v_fmac_f32_e32 v33, v34, v33
	v_div_scale_f32 v34, vcc, v32, v30, v32
	v_mul_f32_e32 v35, v34, v33
	v_fma_f32 v36, -v31, v35, v34
	v_fmac_f32_e32 v35, v36, v33
	v_fma_f32 v31, -v31, v35, v34
	v_div_fmas_f32 v31, v31, v33, v35
	v_div_fixup_f32 v36, v31, v30, v32
	v_mul_f32_e64 v30, |v28|, s71
.LBB57_754:                             ;   in Loop: Header=BB57_401 Depth=1
	s_or_b64 exec, exec, s[52:53]
	s_andn2_b64 s[12:13], s[46:47], exec
	s_and_b64 s[46:47], s[50:51], exec
	s_or_b64 s[46:47], s[12:13], s[46:47]
.LBB57_755:                             ;   in Loop: Header=BB57_401 Depth=1
	s_or_b64 exec, exec, s[48:49]
	s_and_b64 s[46:47], s[46:47], exec
                                        ; implicit-def: $vgpr32
.LBB57_756:                             ;   in Loop: Header=BB57_401 Depth=1
	s_andn2_saveexec_b64 s[44:45], s[44:45]
	s_cbranch_execz .LBB57_758
; %bb.757:                              ;   in Loop: Header=BB57_401 Depth=1
	v_mul_f32_e64 v30, |v29|, s61
	v_cmp_lt_f32_e64 vcc, |v29|, s60
	v_cndmask_b32_e64 v30, |v29|, v30, vcc
	v_sqrt_f32_e32 v31, v30
	v_add_f32_e32 v32, 1.0, v32
	v_mul_f32_e32 v32, 0.5, v32
	s_or_b64 s[46:47], s[46:47], exec
	v_add_u32_e32 v33, -1, v31
	v_fma_f32 v35, -v33, v31, v30
	v_add_u32_e32 v34, 1, v31
	v_cmp_ge_f32_e64 s[12:13], 0, v35
	v_cndmask_b32_e64 v33, v31, v33, s[12:13]
	v_fma_f32 v31, -v34, v31, v30
	v_cmp_lt_f32_e64 s[12:13], 0, v31
	v_cndmask_b32_e64 v31, v33, v34, s[12:13]
	v_mul_f32_e32 v34, 0x4f800000, v32
	v_cmp_gt_f32_e64 s[12:13], s60, v32
	v_cndmask_b32_e64 v32, v32, v34, s[12:13]
	v_sqrt_f32_e32 v34, v32
	v_mul_f32_e32 v33, 0x37800000, v31
	v_cndmask_b32_e32 v31, v31, v33, vcc
	v_cmp_class_f32_e32 vcc, v30, v44
	v_cndmask_b32_e32 v30, v31, v30, vcc
	v_add_u32_e32 v31, -1, v34
	v_fma_f32 v33, -v31, v34, v32
	v_cmp_ge_f32_e32 vcc, 0, v33
	v_add_u32_e32 v33, 1, v34
	v_cndmask_b32_e32 v31, v34, v31, vcc
	v_fma_f32 v34, -v33, v34, v32
	v_cmp_lt_f32_e32 vcc, 0, v34
	v_cndmask_b32_e32 v31, v31, v33, vcc
	v_mul_f32_e32 v33, 0x37800000, v31
	v_cndmask_b32_e64 v31, v31, v33, s[12:13]
	v_cmp_class_f32_e32 vcc, v32, v44
	v_cndmask_b32_e32 v31, v31, v32, vcc
	v_mul_f32_e32 v36, v30, v31
	v_mov_b32_e32 v30, 1.0
.LBB57_758:                             ;   in Loop: Header=BB57_401 Depth=1
	s_or_b64 exec, exec, s[44:45]
	s_and_b64 s[12:13], s[46:47], exec
.LBB57_759:                             ;   in Loop: Header=BB57_401 Depth=1
	s_or_b64 exec, exec, s[42:43]
	s_and_b64 s[12:13], s[12:13], exec
                                        ; implicit-def: $vgpr32
.LBB57_760:                             ;   in Loop: Header=BB57_401 Depth=1
	s_andn2_saveexec_b64 s[40:41], s[40:41]
; %bb.761:                              ;   in Loop: Header=BB57_401 Depth=1
	v_mov_b32_e32 v33, v30
	v_pk_mul_f32 v[36:37], v[32:33], s[30:31] op_sel_hi:[1,0]
	s_or_b64 s[12:13], s[12:13], exec
	v_mov_b32_e32 v30, v37
                                        ; implicit-def: $vgpr21
; %bb.762:                              ;   in Loop: Header=BB57_401 Depth=1
	s_or_b64 exec, exec, s[40:41]
	s_xor_b64 s[12:13], s[12:13], -1
                                        ; implicit-def: $vgpr31
	s_and_saveexec_b64 s[40:41], s[12:13]
	s_xor_b64 s[12:13], exec, s[40:41]
	s_cbranch_execz .LBB57_764
; %bb.763:                              ;   in Loop: Header=BB57_401 Depth=1
	v_fma_f32 v30, |v21|, -0.5, 0.5
	v_mul_f32_e32 v31, v21, v21
	v_cmp_ge_f32_e64 vcc, |v21|, 0.5
	v_cndmask_b32_e32 v30, v31, v30, vcc
	v_mov_b32_e32 v31, 0x3c5fc5da
	v_fmac_f32_e32 v31, 0x3d1c21a7, v30
	v_fma_f32 v31, v30, v31, v46
	v_fma_f32 v31, v30, v31, v47
	v_sqrt_f32_e32 v32, v30
	v_fma_f32 v31, v30, v31, v48
	v_fma_f32 v31, v30, v31, v49
	v_mul_f32_e32 v30, v30, v31
	v_fmac_f32_e32 v32, v32, v30
	v_add_f32_e32 v31, v32, v32
	v_sub_f32_e32 v31, 0x3fc90fdb, v31
	v_fma_f32 v30, |v21|, v30, |v21|
	v_cmp_lt_f32_e64 vcc, |v21|, 0.5
	v_cndmask_b32_e32 v30, v31, v30, vcc
	v_bfi_b32 v31, s57, v30, v21
                                        ; implicit-def: $vgpr30
                                        ; implicit-def: $vgpr36
.LBB57_764:                             ;   in Loop: Header=BB57_401 Depth=1
	s_andn2_saveexec_b64 s[40:41], s[12:13]
	s_cbranch_execz .LBB57_766
; %bb.765:                              ;   in Loop: Header=BB57_401 Depth=1
	v_max_f32_e32 v21, v30, v30
	v_max_f32_e64 v31, |v36|, |v36|
	v_min_f32_e32 v32, v31, v21
	v_max_f32_e32 v21, v31, v21
	v_frexp_mant_f32_e32 v31, v21
	v_rcp_f32_e32 v31, v31
	v_frexp_exp_i32_f32_e32 v21, v21
	v_frexp_exp_i32_f32_e32 v33, v32
	v_frexp_mant_f32_e32 v32, v32
	v_mul_f32_e32 v31, v32, v31
	v_sub_u32_e32 v21, v33, v21
	v_ldexp_f32 v21, v31, v21
	v_mul_f32_e32 v31, v21, v21
	v_mov_b32_e32 v32, 0xbc7a590c
	v_fmac_f32_e32 v32, 0x3b2d2a58, v31
	v_fma_f32 v32, v31, v32, v50
	v_fma_f32 v32, v31, v32, v51
	;; [unrolled: 1-line block ×6, first 2 shown]
	v_mul_f32_e32 v31, v31, v32
	v_fmac_f32_e32 v21, v21, v31
	v_sub_f32_e32 v31, 0x3fc90fdb, v21
	v_cmp_gt_f32_e64 vcc, v30, |v36|
	v_cndmask_b32_e32 v21, v21, v31, vcc
	v_sub_f32_e32 v31, 0x40490fdb, v21
	v_cmp_gt_f32_e32 vcc, 0, v36
	v_cmp_gt_i32_e64 s[12:13], 0, v36
	v_cndmask_b32_e32 v21, v21, v31, vcc
	v_cndmask_b32_e64 v31, 0, v61, s[12:13]
	v_cmp_eq_f32_e64 s[12:13], 0, v30
	v_cndmask_b32_e64 v21, v21, v31, s[12:13]
	v_cndmask_b32_e32 v31, v62, v63, vcc
	v_cmp_class_f32_e64 s[12:13], v36, s72
	v_cmp_eq_f32_e32 vcc, s58, v30
	s_and_b64 vcc, vcc, s[12:13]
	v_cndmask_b32_e32 v21, v21, v31, vcc
	v_cmp_o_f32_e32 vcc, v36, v30
	v_cndmask_b32_e64 v31, v59, |v21|, vcc
.LBB57_766:                             ;   in Loop: Header=BB57_401 Depth=1
	s_or_b64 exec, exec, s[40:41]
	v_bfi_b32 v28, s57, v31, v28
	v_bfi_b32 v29, s57, v19, v29
.LBB57_767:                             ;   in Loop: Header=BB57_401 Depth=1
	s_or_b64 exec, exec, s[38:39]
.LBB57_768:                             ;   in Loop: Header=BB57_401 Depth=1
	s_or_b64 exec, exec, s[36:37]
                                        ; implicit-def: $vgpr19
                                        ; implicit-def: $vgpr30
                                        ; implicit-def: $vgpr21
.LBB57_769:                             ;   in Loop: Header=BB57_401 Depth=1
	s_andn2_saveexec_b64 s[36:37], s[14:15]
	s_cbranch_execz .LBB57_791
; %bb.770:                              ;   in Loop: Header=BB57_401 Depth=1
	v_cmp_lt_i32_e32 vcc, -1, v29
                                        ; implicit-def: $vgpr31
                                        ; implicit-def: $vgpr32
	s_and_saveexec_b64 s[12:13], vcc
	s_xor_b64 s[38:39], exec, s[12:13]
	s_cbranch_execz .LBB57_780
; %bb.771:                              ;   in Loop: Header=BB57_401 Depth=1
	v_cmp_lt_f32_e64 s[12:13], |v29|, |v28|
	v_cndmask_b32_e64 v33, |v29|, |v28|, s[12:13]
	v_cmp_nlt_f32_e32 vcc, s73, v33
                                        ; implicit-def: $vgpr31
                                        ; implicit-def: $vgpr32
	s_and_saveexec_b64 s[14:15], vcc
	s_xor_b64 s[40:41], exec, s[14:15]
	s_cbranch_execz .LBB57_777
; %bb.772:                              ;   in Loop: Header=BB57_401 Depth=1
	v_cndmask_b32_e64 v34, |v28|, |v29|, s[12:13]
	v_cmp_nlt_f32_e32 vcc, s74, v33
	v_cmp_ngt_f32_e64 s[14:15], s75, v34
	s_and_b64 s[14:15], vcc, s[14:15]
                                        ; implicit-def: $vgpr31
                                        ; implicit-def: $vgpr32
	s_and_saveexec_b64 s[42:43], s[14:15]
	s_xor_b64 s[14:15], exec, s[42:43]
	s_cbranch_execz .LBB57_774
; %bb.773:                              ;   in Loop: Header=BB57_401 Depth=1
	v_mul_f32_e32 v31, v34, v34
	v_fmac_f32_e32 v31, v33, v33
	v_cmp_gt_f32_e32 vcc, s62, v31
	v_cndmask_b32_e32 v32, 1.0, v57, vcc
	v_mul_f32_e32 v31, v31, v32
	v_log_f32_e32 v31, v31
	v_min_f32_e32 v19, v19, v30
	s_waitcnt lgkmcnt(0)
	v_frexp_mant_f32_e32 v30, v21
	v_rcp_f32_e32 v30, v30
	v_mul_f32_e32 v33, 0x3f317217, v31
	v_fma_f32 v34, v31, s63, -v33
	v_fmac_f32_e32 v34, 0x3377d1cf, v31
	v_cndmask_b32_e32 v32, 0, v58, vcc
	v_add_f32_e32 v33, v33, v34
	v_cmp_lt_f32_e64 vcc, |v31|, s58
	v_cndmask_b32_e32 v31, v31, v33, vcc
	v_sub_f32_e32 v31, v31, v32
	v_frexp_exp_i32_f32_e32 v21, v21
	v_frexp_exp_i32_f32_e32 v32, v19
	v_frexp_mant_f32_e32 v19, v19
	v_mul_f32_e32 v19, v19, v30
	v_sub_u32_e32 v21, v32, v21
	v_ldexp_f32 v32, v19, v21
	v_mul_f32_e32 v19, v32, v32
	v_mov_b32_e32 v21, 0xbc7a590c
	v_fmac_f32_e32 v21, 0x3b2d2a58, v19
	v_fma_f32 v21, v19, v21, v50
	v_fma_f32 v21, v19, v21, v51
	;; [unrolled: 1-line block ×6, first 2 shown]
	v_mul_f32_e32 v19, v19, v21
	v_mul_f32_e32 v31, 0.5, v31
	v_fmac_f32_e32 v32, v32, v19
                                        ; implicit-def: $vgpr21
                                        ; implicit-def: $vgpr19
                                        ; implicit-def: $vgpr30
.LBB57_774:                             ;   in Loop: Header=BB57_401 Depth=1
	s_andn2_saveexec_b64 s[14:15], s[14:15]
	s_cbranch_execz .LBB57_776
; %bb.775:                              ;   in Loop: Header=BB57_401 Depth=1
	s_waitcnt lgkmcnt(0)
	v_cvt_f64_f32_e32 v[32:33], v21
	v_frexp_exp_i32_f64_e32 v31, v[32:33]
	v_sub_u32_e32 v32, 0, v31
	v_ldexp_f32 v33, |v29|, v32
	v_ldexp_f32 v32, |v28|, v32
	v_mul_f32_e32 v32, v32, v32
	v_fmac_f32_e32 v32, v33, v33
	v_sqrt_f32_e32 v32, v32
	v_cmp_neq_f32_e32 vcc, s58, v21
	v_min_f32_e32 v19, v19, v30
	v_ldexp_f32 v31, v32, v31
	v_cndmask_b32_e32 v31, v56, v31, vcc
	v_cmp_gt_f32_e32 vcc, s62, v31
	v_cndmask_b32_e32 v32, 1.0, v57, vcc
	v_mul_f32_e32 v31, v31, v32
	v_log_f32_e32 v31, v31
	v_cndmask_b32_e32 v30, 0, v58, vcc
	v_mul_f32_e32 v32, 0x3f317217, v31
	v_fma_f32 v33, v31, s63, -v32
	v_fmac_f32_e32 v33, 0x3377d1cf, v31
	v_add_f32_e32 v32, v32, v33
	v_cmp_lt_f32_e64 vcc, |v31|, s58
	v_cndmask_b32_e32 v31, v31, v32, vcc
	v_sub_f32_e32 v31, v31, v30
	v_frexp_mant_f32_e32 v30, v21
	v_rcp_f32_e32 v30, v30
	v_frexp_exp_i32_f32_e32 v21, v21
	v_frexp_exp_i32_f32_e32 v32, v19
	v_frexp_mant_f32_e32 v19, v19
	v_mul_f32_e32 v19, v19, v30
	v_sub_u32_e32 v21, v32, v21
	v_ldexp_f32 v32, v19, v21
	v_mul_f32_e32 v19, v32, v32
	v_mov_b32_e32 v21, 0xbc7a590c
	v_fmac_f32_e32 v21, 0x3b2d2a58, v19
	v_fma_f32 v21, v19, v21, v50
	v_fma_f32 v21, v19, v21, v51
	v_fma_f32 v21, v19, v21, v52
	v_fma_f32 v21, v19, v21, v53
	v_fma_f32 v21, v19, v21, v54
	v_fma_f32 v21, v19, v21, v55
	v_mul_f32_e32 v19, v19, v21
	v_fmac_f32_e32 v32, v32, v19
.LBB57_776:                             ;   in Loop: Header=BB57_401 Depth=1
	s_or_b64 exec, exec, s[14:15]
                                        ; implicit-def: $vgpr19
                                        ; implicit-def: $vgpr30
                                        ; implicit-def: $vgpr21
.LBB57_777:                             ;   in Loop: Header=BB57_401 Depth=1
	s_andn2_saveexec_b64 s[40:41], s[40:41]
	s_cbranch_execz .LBB57_779
; %bb.778:                              ;   in Loop: Header=BB57_401 Depth=1
	v_div_scale_f32 v31, s[14:15], s76, s76, v29
	v_rcp_f32_e32 v32, v31
	v_div_scale_f32 v33, vcc, v29, s76, v29
	v_min_f32_e32 v19, v19, v30
	v_fma_f32 v34, -v31, v32, 1.0
	v_fmac_f32_e32 v32, v34, v32
	v_mul_f32_e32 v34, v33, v32
	v_fma_f32 v35, -v31, v34, v33
	v_fmac_f32_e32 v34, v35, v32
	v_fma_f32 v31, -v31, v34, v33
	v_div_scale_f32 v33, s[14:15], s76, s76, v28
	v_rcp_f32_e32 v35, v33
	v_div_fmas_f32 v31, v31, v32, v34
	v_div_fixup_f32 v31, v31, s76, v29
	s_waitcnt lgkmcnt(0)
	v_frexp_mant_f32_e32 v30, v21
	v_fma_f32 v32, -v33, v35, 1.0
	v_fmac_f32_e32 v35, v32, v35
	v_div_scale_f32 v32, vcc, v28, s76, v28
	v_mul_f32_e32 v34, v32, v35
	v_fma_f32 v36, -v33, v34, v32
	v_fmac_f32_e32 v34, v36, v35
	v_fma_f32 v32, -v33, v34, v32
	v_div_fmas_f32 v32, v32, v35, v34
	v_div_fixup_f32 v34, v32, s76, v28
	v_max_f32_e64 v35, |v31|, |v34|
	v_cvt_f64_f32_e32 v[32:33], v35
	v_frexp_exp_i32_f64_e32 v32, v[32:33]
	v_sub_u32_e32 v33, 0, v32
	v_ldexp_f32 v31, |v31|, v33
	v_ldexp_f32 v33, |v34|, v33
	v_mul_f32_e32 v33, v33, v33
	v_fmac_f32_e32 v33, v31, v31
	v_sqrt_f32_e32 v31, v33
	v_cmp_neq_f32_e32 vcc, s58, v35
	v_rcp_f32_e32 v30, v30
	v_frexp_exp_i32_f32_e32 v21, v21
	v_ldexp_f32 v31, v31, v32
	v_cndmask_b32_e32 v31, v56, v31, vcc
	v_cmp_gt_f32_e32 vcc, s62, v31
	v_cndmask_b32_e32 v32, 1.0, v57, vcc
	v_mul_f32_e32 v31, v31, v32
	v_log_f32_e32 v31, v31
	v_mul_f32_e32 v32, 0x3f317217, v31
	v_fma_f32 v33, v31, s63, -v32
	v_fmac_f32_e32 v33, 0x3377d1cf, v31
	v_add_f32_e32 v32, v32, v33
	v_cmp_lt_f32_e64 s[14:15], |v31|, s58
	v_cndmask_b32_e64 v31, v31, v32, s[14:15]
	v_cndmask_b32_e32 v32, 0, v58, vcc
	v_sub_f32_e32 v31, v31, v32
	v_frexp_exp_i32_f32_e32 v32, v19
	v_frexp_mant_f32_e32 v19, v19
	v_mul_f32_e32 v19, v19, v30
	v_sub_u32_e32 v21, v32, v21
	v_ldexp_f32 v32, v19, v21
	v_mul_f32_e32 v19, v32, v32
	v_mov_b32_e32 v21, 0xbc7a590c
	v_fmac_f32_e32 v21, 0x3b2d2a58, v19
	v_fma_f32 v21, v19, v21, v50
	v_fma_f32 v21, v19, v21, v51
	;; [unrolled: 1-line block ×6, first 2 shown]
	v_mul_f32_e32 v19, v19, v21
	v_add_f32_e32 v31, 1.0, v31
	v_fmac_f32_e32 v32, v32, v19
.LBB57_779:                             ;   in Loop: Header=BB57_401 Depth=1
	s_or_b64 exec, exec, s[40:41]
	v_sub_f32_e32 v19, 0x3fc90fdb, v32
	v_cndmask_b32_e64 v32, v32, v19, s[12:13]
                                        ; implicit-def: $vgpr19
                                        ; implicit-def: $vgpr30
                                        ; implicit-def: $vgpr21
.LBB57_780:                             ;   in Loop: Header=BB57_401 Depth=1
	s_andn2_saveexec_b64 s[38:39], s[38:39]
	s_cbranch_execz .LBB57_790
; %bb.781:                              ;   in Loop: Header=BB57_401 Depth=1
	v_cmp_lt_f32_e64 s[12:13], |v29|, |v28|
	v_cndmask_b32_e64 v33, |v29|, |v28|, s[12:13]
	v_cmp_nlt_f32_e32 vcc, s73, v33
                                        ; implicit-def: $vgpr31
                                        ; implicit-def: $vgpr32
	s_and_saveexec_b64 s[14:15], vcc
	s_xor_b64 s[40:41], exec, s[14:15]
	s_cbranch_execz .LBB57_787
; %bb.782:                              ;   in Loop: Header=BB57_401 Depth=1
	v_cndmask_b32_e64 v34, |v28|, |v29|, s[12:13]
	v_cmp_nlt_f32_e32 vcc, s74, v33
	v_cmp_ngt_f32_e64 s[14:15], s75, v34
	s_and_b64 s[14:15], vcc, s[14:15]
                                        ; implicit-def: $vgpr31
                                        ; implicit-def: $vgpr32
	s_and_saveexec_b64 s[42:43], s[14:15]
	s_xor_b64 s[14:15], exec, s[42:43]
	s_cbranch_execz .LBB57_784
; %bb.783:                              ;   in Loop: Header=BB57_401 Depth=1
	v_mul_f32_e32 v31, v34, v34
	v_fmac_f32_e32 v31, v33, v33
	v_cmp_gt_f32_e32 vcc, s62, v31
	v_cndmask_b32_e32 v32, 1.0, v57, vcc
	v_mul_f32_e32 v31, v31, v32
	v_log_f32_e32 v31, v31
	v_min_f32_e32 v19, v19, v30
	s_waitcnt lgkmcnt(0)
	v_frexp_mant_f32_e32 v30, v21
	v_rcp_f32_e32 v30, v30
	v_mul_f32_e32 v33, 0x3f317217, v31
	v_fma_f32 v34, v31, s63, -v33
	v_fmac_f32_e32 v34, 0x3377d1cf, v31
	v_cndmask_b32_e32 v32, 0, v58, vcc
	v_add_f32_e32 v33, v33, v34
	v_cmp_lt_f32_e64 vcc, |v31|, s58
	v_cndmask_b32_e32 v31, v31, v33, vcc
	v_sub_f32_e32 v31, v31, v32
	v_frexp_exp_i32_f32_e32 v21, v21
	v_frexp_exp_i32_f32_e32 v32, v19
	v_frexp_mant_f32_e32 v19, v19
	v_mul_f32_e32 v19, v19, v30
	v_sub_u32_e32 v21, v32, v21
	v_ldexp_f32 v32, v19, v21
	v_mul_f32_e32 v19, v32, v32
	v_mov_b32_e32 v21, 0xbc7a590c
	v_fmac_f32_e32 v21, 0x3b2d2a58, v19
	v_fma_f32 v21, v19, v21, v50
	v_fma_f32 v21, v19, v21, v51
	;; [unrolled: 1-line block ×6, first 2 shown]
	v_mul_f32_e32 v19, v19, v21
	v_mul_f32_e32 v31, 0.5, v31
	v_fmac_f32_e32 v32, v32, v19
                                        ; implicit-def: $vgpr21
                                        ; implicit-def: $vgpr19
                                        ; implicit-def: $vgpr30
.LBB57_784:                             ;   in Loop: Header=BB57_401 Depth=1
	s_andn2_saveexec_b64 s[14:15], s[14:15]
	s_cbranch_execz .LBB57_786
; %bb.785:                              ;   in Loop: Header=BB57_401 Depth=1
	s_waitcnt lgkmcnt(0)
	v_cvt_f64_f32_e32 v[32:33], v21
	v_frexp_exp_i32_f64_e32 v31, v[32:33]
	v_sub_u32_e32 v32, 0, v31
	v_ldexp_f32 v33, |v29|, v32
	v_ldexp_f32 v32, |v28|, v32
	v_mul_f32_e32 v32, v32, v32
	v_fmac_f32_e32 v32, v33, v33
	v_sqrt_f32_e32 v32, v32
	v_cmp_neq_f32_e32 vcc, s58, v21
	v_min_f32_e32 v19, v19, v30
	v_ldexp_f32 v31, v32, v31
	v_cndmask_b32_e32 v31, v56, v31, vcc
	v_cmp_gt_f32_e32 vcc, s62, v31
	v_cndmask_b32_e32 v32, 1.0, v57, vcc
	v_mul_f32_e32 v31, v31, v32
	v_log_f32_e32 v31, v31
	v_cndmask_b32_e32 v30, 0, v58, vcc
	v_mul_f32_e32 v32, 0x3f317217, v31
	v_fma_f32 v33, v31, s63, -v32
	v_fmac_f32_e32 v33, 0x3377d1cf, v31
	v_add_f32_e32 v32, v32, v33
	v_cmp_lt_f32_e64 vcc, |v31|, s58
	v_cndmask_b32_e32 v31, v31, v32, vcc
	v_sub_f32_e32 v31, v31, v30
	v_frexp_mant_f32_e32 v30, v21
	v_rcp_f32_e32 v30, v30
	v_frexp_exp_i32_f32_e32 v21, v21
	v_frexp_exp_i32_f32_e32 v32, v19
	v_frexp_mant_f32_e32 v19, v19
	v_mul_f32_e32 v19, v19, v30
	v_sub_u32_e32 v21, v32, v21
	v_ldexp_f32 v32, v19, v21
	v_mul_f32_e32 v19, v32, v32
	v_mov_b32_e32 v21, 0xbc7a590c
	v_fmac_f32_e32 v21, 0x3b2d2a58, v19
	v_fma_f32 v21, v19, v21, v50
	v_fma_f32 v21, v19, v21, v51
	;; [unrolled: 1-line block ×6, first 2 shown]
	v_mul_f32_e32 v19, v19, v21
	v_fmac_f32_e32 v32, v32, v19
.LBB57_786:                             ;   in Loop: Header=BB57_401 Depth=1
	s_or_b64 exec, exec, s[14:15]
                                        ; implicit-def: $vgpr19
                                        ; implicit-def: $vgpr30
                                        ; implicit-def: $vgpr21
.LBB57_787:                             ;   in Loop: Header=BB57_401 Depth=1
	s_andn2_saveexec_b64 s[40:41], s[40:41]
	s_cbranch_execz .LBB57_789
; %bb.788:                              ;   in Loop: Header=BB57_401 Depth=1
	v_div_scale_f32 v31, s[14:15], s77, s77, v29
	v_rcp_f32_e32 v32, v31
	v_div_scale_f32 v33, vcc, v29, s77, v29
	v_min_f32_e32 v19, v19, v30
	v_fma_f32 v34, -v31, v32, 1.0
	v_fmac_f32_e32 v32, v34, v32
	v_mul_f32_e32 v34, v33, v32
	v_fma_f32 v35, -v31, v34, v33
	v_fmac_f32_e32 v34, v35, v32
	v_fma_f32 v31, -v31, v34, v33
	v_div_scale_f32 v33, s[14:15], s77, s77, v28
	v_rcp_f32_e32 v35, v33
	v_div_fmas_f32 v31, v31, v32, v34
	v_div_fixup_f32 v31, v31, s77, v29
	s_waitcnt lgkmcnt(0)
	v_frexp_mant_f32_e32 v30, v21
	v_fma_f32 v32, -v33, v35, 1.0
	v_fmac_f32_e32 v35, v32, v35
	v_div_scale_f32 v32, vcc, v28, s77, v28
	v_mul_f32_e32 v34, v32, v35
	v_fma_f32 v36, -v33, v34, v32
	v_fmac_f32_e32 v34, v36, v35
	v_fma_f32 v32, -v33, v34, v32
	v_div_fmas_f32 v32, v32, v35, v34
	v_div_fixup_f32 v34, v32, s77, v28
	v_max_f32_e64 v35, |v31|, |v34|
	v_cvt_f64_f32_e32 v[32:33], v35
	v_frexp_exp_i32_f64_e32 v32, v[32:33]
	v_sub_u32_e32 v33, 0, v32
	v_ldexp_f32 v31, |v31|, v33
	v_ldexp_f32 v33, |v34|, v33
	v_mul_f32_e32 v33, v33, v33
	v_fmac_f32_e32 v33, v31, v31
	v_sqrt_f32_e32 v31, v33
	v_cmp_neq_f32_e32 vcc, s58, v35
	v_rcp_f32_e32 v30, v30
	v_frexp_exp_i32_f32_e32 v21, v21
	v_ldexp_f32 v31, v31, v32
	v_cndmask_b32_e32 v31, v56, v31, vcc
	v_cmp_gt_f32_e32 vcc, s62, v31
	v_cndmask_b32_e32 v32, 1.0, v57, vcc
	v_mul_f32_e32 v31, v31, v32
	v_log_f32_e32 v31, v31
	v_mul_f32_e32 v32, 0x3f317217, v31
	v_fma_f32 v33, v31, s63, -v32
	v_fmac_f32_e32 v33, 0x3377d1cf, v31
	v_add_f32_e32 v32, v32, v33
	v_cmp_lt_f32_e64 s[14:15], |v31|, s58
	v_cndmask_b32_e64 v31, v31, v32, s[14:15]
	v_cndmask_b32_e32 v32, 0, v58, vcc
	v_sub_f32_e32 v31, v31, v32
	v_frexp_exp_i32_f32_e32 v32, v19
	v_frexp_mant_f32_e32 v19, v19
	v_mul_f32_e32 v19, v19, v30
	v_sub_u32_e32 v21, v32, v21
	v_ldexp_f32 v32, v19, v21
	v_mul_f32_e32 v19, v32, v32
	v_mov_b32_e32 v21, 0xbc7a590c
	v_fmac_f32_e32 v21, 0x3b2d2a58, v19
	v_fma_f32 v21, v19, v21, v50
	v_fma_f32 v21, v19, v21, v51
	;; [unrolled: 1-line block ×6, first 2 shown]
	v_mul_f32_e32 v19, v19, v21
	v_add_f32_e32 v31, 1.0, v31
	v_fmac_f32_e32 v32, v32, v19
.LBB57_789:                             ;   in Loop: Header=BB57_401 Depth=1
	s_or_b64 exec, exec, s[40:41]
	v_sub_f32_e32 v19, 0x3fc90fdb, v32
	v_cndmask_b32_e64 v32, v32, v19, s[12:13]
.LBB57_790:                             ;   in Loop: Header=BB57_401 Depth=1
	s_or_b64 exec, exec, s[38:39]
	v_cmp_neq_f32_e32 vcc, 0, v28
	v_cmp_class_f32_e64 s[12:13], v29, s72
	v_cmp_class_f32_e64 s[14:15], v28, s72
	v_cndmask_b32_e32 v19, 0, v32, vcc
	s_and_b64 vcc, s[12:13], s[14:15]
	v_cndmask_b32_e32 v19, v19, v62, vcc
	v_cmp_o_f32_e32 vcc, v28, v29
	v_cndmask_b32_e32 v19, v59, v19, vcc
	s_waitcnt lgkmcnt(0)
	v_add_f32_e32 v21, 0x3f317218, v31
	v_bfi_b32 v28, s57, v19, v28
	v_bfi_b32 v29, s57, v21, v29
.LBB57_791:                             ;   in Loop: Header=BB57_401 Depth=1
	s_or_b64 exec, exec, s[36:37]
	s_andn2_saveexec_b64 s[12:13], s[34:35]
	s_cbranch_execz .LBB57_705
.LBB57_792:                             ;   in Loop: Header=BB57_401 Depth=1
	v_cmp_neq_f32_e64 s[14:15], |v29|, s58
                                        ; implicit-def: $vgpr19
	s_and_saveexec_b64 s[34:35], s[14:15]
	s_xor_b64 s[14:15], exec, s[34:35]
	s_cbranch_execz .LBB57_802
; %bb.793:                              ;   in Loop: Header=BB57_401 Depth=1
	v_cmp_neq_f32_e64 s[34:35], |v28|, s58
                                        ; implicit-def: $vgpr19
	s_and_saveexec_b64 s[36:37], s[34:35]
	s_xor_b64 s[34:35], exec, s[36:37]
	s_cbranch_execz .LBB57_799
; %bb.794:                              ;   in Loop: Header=BB57_401 Depth=1
	v_cmp_neq_f32_e32 vcc, 0, v28
	s_and_saveexec_b64 s[36:37], vcc
	s_xor_b64 s[36:37], exec, s[36:37]
; %bb.795:                              ;   in Loop: Header=BB57_401 Depth=1
	v_add_f32_e32 v19, 0, v29
	v_add_f32_e32 v29, v28, v19
; %bb.796:                              ;   in Loop: Header=BB57_401 Depth=1
	s_or_saveexec_b64 s[36:37], s[36:37]
	v_mov_b32_e32 v19, v29
	s_xor_b64 exec, exec, s[36:37]
; %bb.797:                              ;   in Loop: Header=BB57_401 Depth=1
	v_add_f32_e32 v29, v29, v29
	v_mov_b32_e32 v19, v28
; %bb.798:                              ;   in Loop: Header=BB57_401 Depth=1
	s_or_b64 exec, exec, s[36:37]
.LBB57_799:                             ;   in Loop: Header=BB57_401 Depth=1
	s_andn2_saveexec_b64 s[34:35], s[34:35]
; %bb.800:                              ;   in Loop: Header=BB57_401 Depth=1
	v_add_f32_e32 v19, v29, v29
	v_mov_b32_e32 v29, v28
; %bb.801:                              ;   in Loop: Header=BB57_401 Depth=1
	s_or_b64 exec, exec, s[34:35]
.LBB57_802:                             ;   in Loop: Header=BB57_401 Depth=1
	s_andn2_saveexec_b64 s[14:15], s[14:15]
; %bb.803:                              ;   in Loop: Header=BB57_401 Depth=1
	v_add_f32_e32 v19, v28, v28
; %bb.804:                              ;   in Loop: Header=BB57_401 Depth=1
	s_or_b64 exec, exec, s[14:15]
	v_mov_b32_e32 v28, v19
	s_or_b64 exec, exec, s[12:13]
	s_and_saveexec_b64 s[12:13], s[4:5]
	s_xor_b64 s[4:5], exec, s[12:13]
	s_cbranch_execz .LBB57_706
.LBB57_805:                             ;   in Loop: Header=BB57_401 Depth=1
	v_mov_b32_e32 v19, s17
	v_add_co_u32_e32 v30, vcc, s16, v4
	v_addc_co_u32_e32 v31, vcc, v3, v19, vcc
	global_store_dwordx2 v[30:31], v[24:25], off
	s_or_b64 exec, exec, s[4:5]
	s_and_saveexec_b64 s[4:5], s[6:7]
	s_cbranch_execz .LBB57_707
.LBB57_806:                             ;   in Loop: Header=BB57_401 Depth=1
	v_mov_b32_e32 v19, s17
	v_add_co_u32_e32 v24, vcc, s16, v16
	v_addc_co_u32_e32 v25, vcc, v15, v19, vcc
	global_store_dwordx2 v[24:25], v[26:27], off
	s_or_b64 exec, exec, s[4:5]
	s_and_saveexec_b64 s[4:5], s[8:9]
	s_cbranch_execz .LBB57_708
.LBB57_807:                             ;   in Loop: Header=BB57_401 Depth=1
	v_mov_b32_e32 v19, s17
	v_add_co_u32_e32 v24, vcc, s16, v12
	v_addc_co_u32_e32 v25, vcc, v11, v19, vcc
	global_store_dwordx2 v[24:25], v[22:23], off
	s_or_b64 exec, exec, s[4:5]
	s_and_saveexec_b64 s[4:5], s[10:11]
	s_cbranch_execz .LBB57_400
.LBB57_808:                             ;   in Loop: Header=BB57_401 Depth=1
	v_mov_b32_e32 v19, s17
	v_add_co_u32_e32 v22, vcc, s16, v8
	v_addc_co_u32_e32 v23, vcc, v7, v19, vcc
	global_store_dwordx2 v[22:23], v[28:29], off
	s_branch .LBB57_400
.LBB57_809:
	s_endpgm
	.section	.rodata,"a",@progbits
	.p2align	6, 0x0
	.amdhsa_kernel _ZN2at6native12_GLOBAL__N_125multi_tensor_apply_kernelINS1_18TensorListMetadataILi2EEENS1_14UnaryOpFunctorIN3c107complexIfEELi2ELi1ELi1EEEJNS0_4AsinIS8_EEEEEvT_T0_DpT1_
		.amdhsa_group_segment_fixed_size 0
		.amdhsa_private_segment_fixed_size 12
		.amdhsa_kernarg_size 3408
		.amdhsa_user_sgpr_count 8
		.amdhsa_user_sgpr_private_segment_buffer 1
		.amdhsa_user_sgpr_dispatch_ptr 0
		.amdhsa_user_sgpr_queue_ptr 0
		.amdhsa_user_sgpr_kernarg_segment_ptr 1
		.amdhsa_user_sgpr_dispatch_id 0
		.amdhsa_user_sgpr_flat_scratch_init 1
		.amdhsa_user_sgpr_kernarg_preload_length 0
		.amdhsa_user_sgpr_kernarg_preload_offset 0
		.amdhsa_user_sgpr_private_segment_size 0
		.amdhsa_uses_dynamic_stack 0
		.amdhsa_system_sgpr_private_segment_wavefront_offset 1
		.amdhsa_system_sgpr_workgroup_id_x 1
		.amdhsa_system_sgpr_workgroup_id_y 0
		.amdhsa_system_sgpr_workgroup_id_z 0
		.amdhsa_system_sgpr_workgroup_info 0
		.amdhsa_system_vgpr_workitem_id 0
		.amdhsa_next_free_vgpr 82
		.amdhsa_next_free_sgpr 80
		.amdhsa_accum_offset 84
		.amdhsa_reserve_vcc 1
		.amdhsa_reserve_flat_scratch 1
		.amdhsa_float_round_mode_32 0
		.amdhsa_float_round_mode_16_64 0
		.amdhsa_float_denorm_mode_32 3
		.amdhsa_float_denorm_mode_16_64 3
		.amdhsa_dx10_clamp 1
		.amdhsa_ieee_mode 1
		.amdhsa_fp16_overflow 0
		.amdhsa_tg_split 0
		.amdhsa_exception_fp_ieee_invalid_op 0
		.amdhsa_exception_fp_denorm_src 0
		.amdhsa_exception_fp_ieee_div_zero 0
		.amdhsa_exception_fp_ieee_overflow 0
		.amdhsa_exception_fp_ieee_underflow 0
		.amdhsa_exception_fp_ieee_inexact 0
		.amdhsa_exception_int_div_zero 0
	.end_amdhsa_kernel
	.section	.text._ZN2at6native12_GLOBAL__N_125multi_tensor_apply_kernelINS1_18TensorListMetadataILi2EEENS1_14UnaryOpFunctorIN3c107complexIfEELi2ELi1ELi1EEEJNS0_4AsinIS8_EEEEEvT_T0_DpT1_,"axG",@progbits,_ZN2at6native12_GLOBAL__N_125multi_tensor_apply_kernelINS1_18TensorListMetadataILi2EEENS1_14UnaryOpFunctorIN3c107complexIfEELi2ELi1ELi1EEEJNS0_4AsinIS8_EEEEEvT_T0_DpT1_,comdat
.Lfunc_end57:
	.size	_ZN2at6native12_GLOBAL__N_125multi_tensor_apply_kernelINS1_18TensorListMetadataILi2EEENS1_14UnaryOpFunctorIN3c107complexIfEELi2ELi1ELi1EEEJNS0_4AsinIS8_EEEEEvT_T0_DpT1_, .Lfunc_end57-_ZN2at6native12_GLOBAL__N_125multi_tensor_apply_kernelINS1_18TensorListMetadataILi2EEENS1_14UnaryOpFunctorIN3c107complexIfEELi2ELi1ELi1EEEJNS0_4AsinIS8_EEEEEvT_T0_DpT1_
                                        ; -- End function
	.section	.AMDGPU.csdata,"",@progbits
; Kernel info:
; codeLenInByte = 52712
; NumSgprs: 86
; NumVgprs: 82
; NumAgprs: 0
; TotalNumVgprs: 82
; ScratchSize: 12
; MemoryBound: 1
; FloatMode: 240
; IeeeMode: 1
; LDSByteSize: 0 bytes/workgroup (compile time only)
; SGPRBlocks: 10
; VGPRBlocks: 10
; NumSGPRsForWavesPerEU: 86
; NumVGPRsForWavesPerEU: 82
; AccumOffset: 84
; Occupancy: 5
; WaveLimiterHint : 0
; COMPUTE_PGM_RSRC2:SCRATCH_EN: 1
; COMPUTE_PGM_RSRC2:USER_SGPR: 8
; COMPUTE_PGM_RSRC2:TRAP_HANDLER: 0
; COMPUTE_PGM_RSRC2:TGID_X_EN: 1
; COMPUTE_PGM_RSRC2:TGID_Y_EN: 0
; COMPUTE_PGM_RSRC2:TGID_Z_EN: 0
; COMPUTE_PGM_RSRC2:TIDIG_COMP_CNT: 0
; COMPUTE_PGM_RSRC3_GFX90A:ACCUM_OFFSET: 20
; COMPUTE_PGM_RSRC3_GFX90A:TG_SPLIT: 0
	.section	.text._ZN2at6native12_GLOBAL__N_125multi_tensor_apply_kernelINS1_18TensorListMetadataILi2EEENS1_14UnaryOpFunctorIN3c104HalfELi2ELi1ELi1EEEJNS0_4AsinIfEEEEEvT_T0_DpT1_,"axG",@progbits,_ZN2at6native12_GLOBAL__N_125multi_tensor_apply_kernelINS1_18TensorListMetadataILi2EEENS1_14UnaryOpFunctorIN3c104HalfELi2ELi1ELi1EEEJNS0_4AsinIfEEEEEvT_T0_DpT1_,comdat
	.globl	_ZN2at6native12_GLOBAL__N_125multi_tensor_apply_kernelINS1_18TensorListMetadataILi2EEENS1_14UnaryOpFunctorIN3c104HalfELi2ELi1ELi1EEEJNS0_4AsinIfEEEEEvT_T0_DpT1_ ; -- Begin function _ZN2at6native12_GLOBAL__N_125multi_tensor_apply_kernelINS1_18TensorListMetadataILi2EEENS1_14UnaryOpFunctorIN3c104HalfELi2ELi1ELi1EEEJNS0_4AsinIfEEEEEvT_T0_DpT1_
	.p2align	8
	.type	_ZN2at6native12_GLOBAL__N_125multi_tensor_apply_kernelINS1_18TensorListMetadataILi2EEENS1_14UnaryOpFunctorIN3c104HalfELi2ELi1ELi1EEEJNS0_4AsinIfEEEEEvT_T0_DpT1_,@function
_ZN2at6native12_GLOBAL__N_125multi_tensor_apply_kernelINS1_18TensorListMetadataILi2EEENS1_14UnaryOpFunctorIN3c104HalfELi2ELi1ELi1EEEJNS0_4AsinIfEEEEEvT_T0_DpT1_: ; @_ZN2at6native12_GLOBAL__N_125multi_tensor_apply_kernelINS1_18TensorListMetadataILi2EEENS1_14UnaryOpFunctorIN3c104HalfELi2ELi1ELi1EEEJNS0_4AsinIfEEEEEvT_T0_DpT1_
; %bb.0:
	v_mov_b32_e32 v1, s6
	global_load_ubyte v1, v1, s[4:5] offset:1536
	s_add_u32 s0, s4, s6
	s_mul_hi_u32 s2, s6, 3
	s_mul_i32 s6, s6, 3
	s_addc_u32 s7, s5, 0
	s_add_u32 s6, s0, s6
	s_addc_u32 s7, s7, s2
	s_mov_b32 s1, 0
	s_mov_b32 s3, s1
	s_waitcnt vmcnt(0)
	v_readfirstlane_b32 s0, v1
	s_lshl_b32 s0, s0, 3
	s_load_dword s10, s[6:7], 0x740
	s_load_dwordx2 s[16:17], s[4:5], s0 offset:0x0
	s_load_dwordx2 s[12:13], s[4:5], s0 offset:0x400
	;; [unrolled: 1-line block ×3, first 2 shown]
	s_mov_b32 s7, s1
	s_waitcnt lgkmcnt(0)
	s_ashr_i32 s11, s10, 31
	s_and_b32 s0, s16, 7
	s_and_b32 s6, s12, 3
	;; [unrolled: 1-line block ×3, first 2 shown]
	s_or_b64 s[6:7], s[0:1], s[6:7]
	s_lshl_b64 s[8:9], s[10:11], 17
	s_or_b64 s[2:3], s[2:3], s[6:7]
	s_lshl_b64 s[6:7], s[10:11], 16
	s_sub_u32 s10, s12, s6
	s_subb_u32 s11, s13, s7
	s_cmp_eq_u64 s[2:3], 0
	s_mov_b64 s[2:3], -1
	s_cbranch_scc0 .LBB58_5
; %bb.1:
	v_mov_b32_e32 v3, 0
	v_lshlrev_b32_e32 v2, 2, v0
	v_cmp_gt_i64_e32 vcc, s[10:11], v[2:3]
	s_and_saveexec_b64 s[12:13], vcc
	s_cbranch_execz .LBB58_4
; %bb.2:
	s_load_dword s0, s[4:5], 0xc5c
	v_lshlrev_b32_e32 v1, 3, v0
	v_mov_b32_e32 v2, s9
	v_add_co_u32_e32 v4, vcc, s8, v1
	s_waitcnt lgkmcnt(0)
	s_and_b32 s0, s0, 0xffff
	v_addc_co_u32_e32 v1, vcc, 0, v2, vcc
	s_lshl_b32 s21, s0, 3
	v_add_lshl_u32 v2, v0, s0, 2
	s_lshl_b32 s23, s0, 2
	s_mov_b32 s0, 0x3c5fc5da
	s_mov_b64 s[18:19], 0
	v_mov_b32_e32 v5, s17
	v_mov_b32_e32 v8, s15
	s_mov_b32 s20, 0x3d1c21a7
	v_pk_mov_b32 v[6:7], s[0:1], s[0:1] op_sel:[0,1]
	s_mov_b32 s22, 0x3d034c3c
	s_mov_b32 s24, 0x3d3641b1
	;; [unrolled: 1-line block ×4, first 2 shown]
	s_movk_i32 s25, 0x7fff
	s_mov_b64 s[30:31], 0xffff
	v_mov_b32_e32 v9, s1
	v_mov_b32_e32 v10, s1
.LBB58_3:                               ; =>This Inner Loop Header: Depth=1
	v_add_co_u32_e32 v12, vcc, s16, v4
	v_addc_co_u32_e32 v13, vcc, v5, v1, vcc
	global_load_dwordx2 v[12:13], v[12:13], off
	v_add_co_u32_e32 v14, vcc, s14, v4
	v_addc_co_u32_e32 v15, vcc, v8, v1, vcc
	v_add_co_u32_e64 v4, s[2:3], s21, v4
	v_cmp_le_i64_e32 vcc, s[10:11], v[2:3]
	v_cmp_lt_u64_e64 s[0:1], s[30:31], v[2:3]
	v_addc_co_u32_e64 v1, s[2:3], v1, v9, s[2:3]
	v_add_co_u32_e64 v2, s[2:3], s23, v2
	s_or_b64 s[0:1], vcc, s[0:1]
	v_addc_co_u32_e64 v3, s[2:3], v3, v10, s[2:3]
	s_and_b64 s[0:1], exec, s[0:1]
	s_or_b64 s[18:19], s[0:1], s[18:19]
	s_waitcnt vmcnt(0)
	v_lshrrev_b32_e32 v11, 16, v12
	v_lshrrev_b32_e32 v36, 16, v13
	v_cvt_f32_f16_e32 v16, v12
	v_cvt_f32_f16_e32 v18, v13
	;; [unrolled: 1-line block ×4, first 2 shown]
	v_and_b32_e32 v22, 0x7fffffff, v16
	v_and_b32_e32 v20, 0x7fffffff, v18
	v_and_b32_e32 v21, 0x7fffffff, v19
	v_and_b32_e32 v23, 0x7fffffff, v17
	v_pk_mul_f32 v[24:25], v[16:17], v[16:17]
	v_pk_mul_f32 v[26:27], v[18:19], v[18:19]
	v_pk_fma_f32 v[28:29], -0.5, v[22:23], 0.5 op_sel_hi:[0,1,0]
	v_pk_fma_f32 v[30:31], -0.5, v[20:21], 0.5 op_sel_hi:[0,1,0]
	v_cmp_ge_f32_e64 vcc, |v16|, 0.5
	v_cmp_ge_f32_e64 s[0:1], |v17|, 0.5
	v_cmp_ge_f32_e64 s[2:3], |v18|, 0.5
	;; [unrolled: 1-line block ×3, first 2 shown]
	v_cndmask_b32_e64 v27, v27, v31, s[6:7]
	v_cndmask_b32_e64 v26, v26, v30, s[2:3]
	;; [unrolled: 1-line block ×3, first 2 shown]
	v_cndmask_b32_e32 v24, v24, v28, vcc
	v_pk_fma_f32 v[32:33], v[24:25], s[20:21], v[6:7] op_sel_hi:[1,0,0]
	v_pk_fma_f32 v[34:35], v[26:27], s[20:21], v[6:7] op_sel_hi:[1,0,0]
	;; [unrolled: 1-line block ×4, first 2 shown]
	v_sqrt_f32_e32 v28, v24
	v_sqrt_f32_e32 v29, v25
	;; [unrolled: 1-line block ×4, first 2 shown]
	v_pk_fma_f32 v[32:33], v[24:25], v[32:33], s[24:25] op_sel_hi:[1,1,0]
	v_pk_fma_f32 v[34:35], v[26:27], v[34:35], s[24:25] op_sel_hi:[1,1,0]
	;; [unrolled: 1-line block ×6, first 2 shown]
	v_pk_mul_f32 v[26:27], v[26:27], v[34:35]
	v_pk_mul_f32 v[24:25], v[24:25], v[32:33]
	v_pk_fma_f32 v[28:29], v[28:29], v[24:25], v[28:29]
	v_pk_fma_f32 v[30:31], v[30:31], v[26:27], v[30:31]
	;; [unrolled: 1-line block ×4, first 2 shown]
	v_pk_add_f32 v[24:25], v[30:31], v[30:31]
	v_pk_add_f32 v[26:27], v[28:29], v[28:29]
	v_sub_f32_e32 v26, 0x3fc90fdb, v26
	v_sub_f32_e32 v27, 0x3fc90fdb, v27
	;; [unrolled: 1-line block ×4, first 2 shown]
	v_cmp_lt_f32_e64 vcc, |v16|, 0.5
	v_cmp_lt_f32_e64 s[0:1], |v17|, 0.5
	v_cmp_lt_f32_e64 s[2:3], |v18|, 0.5
	;; [unrolled: 1-line block ×3, first 2 shown]
	v_cndmask_b32_e64 v16, v25, v21, s[6:7]
	v_cndmask_b32_e64 v17, v24, v20, s[2:3]
	;; [unrolled: 1-line block ×3, first 2 shown]
	v_cndmask_b32_e32 v19, v26, v22, vcc
	v_cvt_f16_f32_e32 v16, v16
	v_cvt_f16_f32_e32 v17, v17
	;; [unrolled: 1-line block ×4, first 2 shown]
	v_bfi_b32 v16, s25, v16, v36
	v_bfi_b32 v13, s25, v17, v13
	;; [unrolled: 1-line block ×4, first 2 shown]
	v_pack_b32_f16 v13, v13, v16
	v_pack_b32_f16 v12, v12, v11
	global_store_dwordx2 v[14:15], v[12:13], off
	s_andn2_b64 exec, exec, s[18:19]
	s_cbranch_execnz .LBB58_3
.LBB58_4:
	s_or_b64 exec, exec, s[12:13]
	s_mov_b64 s[2:3], 0
.LBB58_5:
	s_andn2_b64 vcc, exec, s[2:3]
	s_cbranch_vccnz .LBB58_25
; %bb.6:
	v_cmp_lt_i64_e64 s[0:1], s[10:11], 1
	s_and_b64 vcc, exec, s[0:1]
	s_cbranch_vccnz .LBB58_25
; %bb.7:
	s_load_dword s0, s[4:5], 0xc5c
	v_mov_b32_e32 v2, 0x10000
	v_mov_b32_e32 v3, 0
	v_cmp_lt_u64_e32 vcc, s[10:11], v[2:3]
	v_lshlrev_b32_e32 v10, 1, v0
	s_waitcnt lgkmcnt(0)
	s_and_b32 s2, s0, 0xffff
	s_and_b64 s[0:1], vcc, exec
	v_mov_b32_e32 v13, s17
	v_add_co_u32_e32 v2, vcc, s16, v10
	v_addc_co_u32_e32 v1, vcc, 0, v13, vcc
	v_mov_b32_e32 v11, 0
	v_mov_b32_e32 v15, s15
	v_add_co_u32_e32 v4, vcc, s14, v10
	v_addc_co_u32_e32 v3, vcc, 0, v15, vcc
	v_mad_u64_u32 v[8:9], s[0:1], s2, 6, v[10:11]
	v_add_co_u32_e32 v6, vcc, s16, v8
	v_addc_co_u32_e32 v5, vcc, v13, v9, vcc
	v_add_co_u32_e32 v8, vcc, s14, v8
	s_mul_i32 s4, s2, 3
	v_addc_co_u32_e32 v7, vcc, v15, v9, vcc
	s_cselect_b32 s13, s11, 0
	s_cselect_b32 s12, s10, 0x10000
	s_lshl_b32 s19, s2, 2
	v_add_co_u32_e32 v17, vcc, s4, v0
	v_addc_co_u32_e64 v18, s[0:1], 0, 0, vcc
	v_add_co_u32_e32 v11, vcc, s19, v10
	v_addc_co_u32_e64 v14, s[0:1], 0, 0, vcc
	v_add_co_u32_e32 v10, vcc, s16, v11
	v_addc_co_u32_e32 v9, vcc, v13, v14, vcc
	v_add_co_u32_e32 v12, vcc, s14, v11
	s_lshl_b32 s3, s2, 1
	v_addc_co_u32_e32 v11, vcc, v15, v14, vcc
	v_add_co_u32_e32 v19, vcc, s3, v0
	v_addc_co_u32_e64 v20, s[0:1], 0, 0, vcc
	v_add_co_u32_e32 v21, vcc, s2, v0
	v_lshlrev_b32_e32 v16, 1, v21
	v_addc_co_u32_e64 v22, s[0:1], 0, 0, vcc
	v_add_co_u32_e32 v14, vcc, s16, v16
	v_addc_co_u32_e32 v13, vcc, 0, v13, vcc
	v_add_co_u32_e32 v16, vcc, s14, v16
	s_mov_b32 s18, 0
	s_lshl_b32 s20, s2, 3
	v_addc_co_u32_e32 v15, vcc, 0, v15, vcc
	s_mov_b64 s[14:15], 0
	s_mov_b32 s21, -0.5
	v_mov_b32_e32 v23, 0x3d034c3c
	v_mov_b32_e32 v24, 0x3d3641b1
	;; [unrolled: 1-line block ×4, first 2 shown]
	s_movk_i32 s22, 0x7fff
	v_mov_b32_e32 v27, 0.5
	s_branch .LBB58_9
.LBB58_8:                               ;   in Loop: Header=BB58_9 Depth=1
	s_or_b64 exec, exec, s[0:1]
	s_add_u32 s14, s14, s19
	s_addc_u32 s15, s15, 0
	s_waitcnt vmcnt(0)
	v_pk_mov_b32 v[28:29], s[10:11], s[10:11] op_sel:[0,1]
	v_cmp_ge_i64_e32 vcc, s[14:15], v[28:29]
	v_mov_b32_e32 v28, 0xffff
	v_mov_b32_e32 v29, 0
	v_cmp_gt_u64_e64 s[0:1], s[14:15], v[28:29]
	s_or_b64 s[0:1], vcc, s[0:1]
	v_mov_b32_e32 v28, s18
	v_add_co_u32_e32 v2, vcc, s20, v2
	v_addc_co_u32_e32 v1, vcc, v1, v28, vcc
	v_add_co_u32_e32 v4, vcc, s20, v4
	v_addc_co_u32_e32 v3, vcc, v3, v28, vcc
	;; [unrolled: 2-line block ×8, first 2 shown]
	s_and_b64 vcc, exec, s[0:1]
	s_cbranch_vccnz .LBB58_25
.LBB58_9:                               ; =>This Inner Loop Header: Depth=1
	v_mov_b32_e32 v29, s15
	v_add_co_u32_e32 v28, vcc, s14, v0
	v_addc_co_u32_e32 v29, vcc, 0, v29, vcc
	v_cmp_gt_u64_e64 s[4:5], s[12:13], v[28:29]
	v_mov_b32_e32 v31, 0
	s_and_saveexec_b64 s[0:1], s[4:5]
	s_cbranch_execz .LBB58_11
; %bb.10:                               ;   in Loop: Header=BB58_9 Depth=1
	v_mov_b32_e32 v29, s9
	v_add_co_u32_e32 v28, vcc, s8, v2
	v_addc_co_u32_e32 v29, vcc, v1, v29, vcc
	global_load_ushort v31, v[28:29], off
.LBB58_11:                              ;   in Loop: Header=BB58_9 Depth=1
	s_or_b64 exec, exec, s[0:1]
	v_mov_b32_e32 v29, s15
	v_add_co_u32_e32 v28, vcc, s14, v21
	v_addc_co_u32_e32 v29, vcc, v22, v29, vcc
	v_cmp_gt_u64_e64 s[2:3], s[12:13], v[28:29]
	v_mov_b32_e32 v30, 0
	s_and_saveexec_b64 s[0:1], s[2:3]
	s_cbranch_execz .LBB58_13
; %bb.12:                               ;   in Loop: Header=BB58_9 Depth=1
	v_mov_b32_e32 v29, s9
	v_add_co_u32_e32 v28, vcc, s8, v14
	v_addc_co_u32_e32 v29, vcc, v13, v29, vcc
	global_load_ushort v30, v[28:29], off
.LBB58_13:                              ;   in Loop: Header=BB58_9 Depth=1
	s_or_b64 exec, exec, s[0:1]
	v_mov_b32_e32 v29, s15
	v_add_co_u32_e32 v28, vcc, s14, v19
	v_addc_co_u32_e32 v29, vcc, v20, v29, vcc
	v_cmp_gt_u64_e64 s[0:1], s[12:13], v[28:29]
	v_mov_b32_e32 v28, 0
	v_mov_b32_e32 v29, 0
	s_and_saveexec_b64 s[6:7], s[0:1]
	s_cbranch_execz .LBB58_15
; %bb.14:                               ;   in Loop: Header=BB58_9 Depth=1
	v_mov_b32_e32 v29, s9
	v_add_co_u32_e32 v32, vcc, s8, v10
	v_addc_co_u32_e32 v33, vcc, v9, v29, vcc
	global_load_ushort v29, v[32:33], off
.LBB58_15:                              ;   in Loop: Header=BB58_9 Depth=1
	s_or_b64 exec, exec, s[6:7]
	v_mov_b32_e32 v33, s15
	v_add_co_u32_e32 v32, vcc, s14, v17
	v_addc_co_u32_e32 v33, vcc, v18, v33, vcc
	v_cmp_gt_u64_e32 vcc, s[12:13], v[32:33]
	s_and_saveexec_b64 s[16:17], vcc
	s_cbranch_execnz .LBB58_20
; %bb.16:                               ;   in Loop: Header=BB58_9 Depth=1
	s_or_b64 exec, exec, s[16:17]
	s_and_saveexec_b64 s[6:7], s[4:5]
	s_cbranch_execnz .LBB58_21
.LBB58_17:                              ;   in Loop: Header=BB58_9 Depth=1
	s_or_b64 exec, exec, s[6:7]
	s_and_saveexec_b64 s[4:5], s[2:3]
	s_cbranch_execnz .LBB58_22
.LBB58_18:                              ;   in Loop: Header=BB58_9 Depth=1
	s_or_b64 exec, exec, s[4:5]
	s_and_saveexec_b64 s[2:3], s[0:1]
	s_cbranch_execnz .LBB58_23
.LBB58_19:                              ;   in Loop: Header=BB58_9 Depth=1
	s_or_b64 exec, exec, s[2:3]
	s_and_saveexec_b64 s[0:1], vcc
	s_cbranch_execz .LBB58_8
	s_branch .LBB58_24
.LBB58_20:                              ;   in Loop: Header=BB58_9 Depth=1
	v_mov_b32_e32 v28, s9
	v_add_co_u32_e64 v32, s[6:7], s8, v6
	v_addc_co_u32_e64 v33, s[6:7], v5, v28, s[6:7]
	global_load_ushort v28, v[32:33], off
	s_or_b64 exec, exec, s[16:17]
	s_and_saveexec_b64 s[6:7], s[4:5]
	s_cbranch_execz .LBB58_17
.LBB58_21:                              ;   in Loop: Header=BB58_9 Depth=1
	s_waitcnt vmcnt(0)
	v_cvt_f32_f16_e32 v32, v31
	v_fma_mix_f32 v33, |v31|, s21, v27 op_sel_hi:[1,0,0]
	v_mov_b32_e32 v34, 0x3c5fc5da
	v_mul_f32_e32 v35, v32, v32
	v_cmp_ge_f32_e64 s[4:5], |v32|, 0.5
	v_cndmask_b32_e64 v33, v35, v33, s[4:5]
	v_fmac_f32_e32 v34, 0x3d1c21a7, v33
	v_fma_f32 v34, v33, v34, v23
	v_fma_f32 v34, v33, v34, v24
	v_sqrt_f32_e32 v35, v33
	v_fma_f32 v34, v33, v34, v25
	v_fma_f32 v34, v33, v34, v26
	v_mul_f32_e32 v33, v33, v34
	v_fmac_f32_e32 v35, v35, v33
	v_fma_mix_f32 v34, |v31|, v33, |v31| op_sel_hi:[1,0,1]
	v_add_f32_e32 v33, v35, v35
	v_sub_f32_e32 v33, 0x3fc90fdb, v33
	v_cmp_lt_f32_e64 s[4:5], |v32|, 0.5
	v_cndmask_b32_e64 v32, v33, v34, s[4:5]
	v_cvt_f16_f32_e32 v32, v32
	v_mov_b32_e32 v33, s9
	v_bfi_b32 v31, s22, v32, v31
	v_add_co_u32_e64 v32, s[4:5], s8, v4
	v_addc_co_u32_e64 v33, s[4:5], v3, v33, s[4:5]
	global_store_short v[32:33], v31, off
	s_or_b64 exec, exec, s[6:7]
	s_and_saveexec_b64 s[4:5], s[2:3]
	s_cbranch_execz .LBB58_18
.LBB58_22:                              ;   in Loop: Header=BB58_9 Depth=1
	s_waitcnt vmcnt(0)
	v_cvt_f32_f16_e32 v31, v30
	v_fma_mix_f32 v32, |v30|, s21, v27 op_sel_hi:[1,0,0]
	v_mov_b32_e32 v33, 0x3c5fc5da
	v_mul_f32_e32 v34, v31, v31
	v_cmp_ge_f32_e64 s[2:3], |v31|, 0.5
	v_cndmask_b32_e64 v32, v34, v32, s[2:3]
	v_fmac_f32_e32 v33, 0x3d1c21a7, v32
	v_fma_f32 v33, v32, v33, v23
	v_fma_f32 v33, v32, v33, v24
	v_sqrt_f32_e32 v34, v32
	v_fma_f32 v33, v32, v33, v25
	v_fma_f32 v33, v32, v33, v26
	v_mul_f32_e32 v32, v32, v33
	v_fmac_f32_e32 v34, v34, v32
	v_add_f32_e32 v33, v34, v34
	v_sub_f32_e32 v33, 0x3fc90fdb, v33
	v_fma_mix_f32 v32, |v30|, v32, |v30| op_sel_hi:[1,0,1]
	v_cmp_lt_f32_e64 s[2:3], |v31|, 0.5
	v_cndmask_b32_e64 v31, v33, v32, s[2:3]
	v_cvt_f16_f32_e32 v31, v31
	v_bfi_b32 v32, s22, v31, v30
	v_mov_b32_e32 v31, s9
	v_add_co_u32_e64 v30, s[2:3], s8, v16
	v_addc_co_u32_e64 v31, s[2:3], v15, v31, s[2:3]
	global_store_short v[30:31], v32, off
	s_or_b64 exec, exec, s[4:5]
	s_and_saveexec_b64 s[2:3], s[0:1]
	s_cbranch_execz .LBB58_19
.LBB58_23:                              ;   in Loop: Header=BB58_9 Depth=1
	s_waitcnt vmcnt(0)
	v_cvt_f32_f16_e32 v30, v29
	v_fma_mix_f32 v31, |v29|, s21, v27 op_sel_hi:[1,0,0]
	v_mov_b32_e32 v32, 0x3c5fc5da
	v_mul_f32_e32 v33, v30, v30
	v_cmp_ge_f32_e64 s[0:1], |v30|, 0.5
	v_cndmask_b32_e64 v31, v33, v31, s[0:1]
	v_fmac_f32_e32 v32, 0x3d1c21a7, v31
	v_fma_f32 v32, v31, v32, v23
	v_fma_f32 v32, v31, v32, v24
	v_sqrt_f32_e32 v33, v31
	v_fma_f32 v32, v31, v32, v25
	v_fma_f32 v32, v31, v32, v26
	v_mul_f32_e32 v31, v31, v32
	v_fmac_f32_e32 v33, v33, v31
	v_add_f32_e32 v32, v33, v33
	v_sub_f32_e32 v32, 0x3fc90fdb, v32
	v_fma_mix_f32 v31, |v29|, v31, |v29| op_sel_hi:[1,0,1]
	v_cmp_lt_f32_e64 s[0:1], |v30|, 0.5
	v_cndmask_b32_e64 v30, v32, v31, s[0:1]
	v_cvt_f16_f32_e32 v30, v30
	v_mov_b32_e32 v31, s9
	v_bfi_b32 v29, s22, v30, v29
	v_add_co_u32_e64 v30, s[0:1], s8, v12
	v_addc_co_u32_e64 v31, s[0:1], v11, v31, s[0:1]
	global_store_short v[30:31], v29, off
	s_or_b64 exec, exec, s[2:3]
	s_and_saveexec_b64 s[0:1], vcc
	s_cbranch_execz .LBB58_8
.LBB58_24:                              ;   in Loop: Header=BB58_9 Depth=1
	s_waitcnt vmcnt(0)
	v_cvt_f32_f16_e32 v29, v28
	v_fma_mix_f32 v30, |v28|, s21, v27 op_sel_hi:[1,0,0]
	v_mov_b32_e32 v31, 0x3c5fc5da
	v_mul_f32_e32 v32, v29, v29
	v_cmp_ge_f32_e64 vcc, |v29|, 0.5
	v_cndmask_b32_e32 v30, v32, v30, vcc
	v_fmac_f32_e32 v31, 0x3d1c21a7, v30
	v_fma_f32 v31, v30, v31, v23
	v_fma_f32 v31, v30, v31, v24
	v_sqrt_f32_e32 v32, v30
	v_fma_f32 v31, v30, v31, v25
	v_fma_f32 v31, v30, v31, v26
	v_mul_f32_e32 v30, v30, v31
	v_fmac_f32_e32 v32, v32, v30
	v_add_f32_e32 v31, v32, v32
	v_sub_f32_e32 v31, 0x3fc90fdb, v31
	v_fma_mix_f32 v30, |v28|, v30, |v28| op_sel_hi:[1,0,1]
	v_cmp_lt_f32_e64 vcc, |v29|, 0.5
	v_cndmask_b32_e32 v29, v31, v30, vcc
	v_cvt_f16_f32_e32 v29, v29
	v_bfi_b32 v30, s22, v29, v28
	v_mov_b32_e32 v29, s9
	v_add_co_u32_e32 v28, vcc, s8, v8
	v_addc_co_u32_e32 v29, vcc, v7, v29, vcc
	global_store_short v[28:29], v30, off
	s_branch .LBB58_8
.LBB58_25:
	s_endpgm
	.section	.rodata,"a",@progbits
	.p2align	6, 0x0
	.amdhsa_kernel _ZN2at6native12_GLOBAL__N_125multi_tensor_apply_kernelINS1_18TensorListMetadataILi2EEENS1_14UnaryOpFunctorIN3c104HalfELi2ELi1ELi1EEEJNS0_4AsinIfEEEEEvT_T0_DpT1_
		.amdhsa_group_segment_fixed_size 0
		.amdhsa_private_segment_fixed_size 0
		.amdhsa_kernarg_size 3408
		.amdhsa_user_sgpr_count 6
		.amdhsa_user_sgpr_private_segment_buffer 1
		.amdhsa_user_sgpr_dispatch_ptr 0
		.amdhsa_user_sgpr_queue_ptr 0
		.amdhsa_user_sgpr_kernarg_segment_ptr 1
		.amdhsa_user_sgpr_dispatch_id 0
		.amdhsa_user_sgpr_flat_scratch_init 0
		.amdhsa_user_sgpr_kernarg_preload_length 0
		.amdhsa_user_sgpr_kernarg_preload_offset 0
		.amdhsa_user_sgpr_private_segment_size 0
		.amdhsa_uses_dynamic_stack 0
		.amdhsa_system_sgpr_private_segment_wavefront_offset 0
		.amdhsa_system_sgpr_workgroup_id_x 1
		.amdhsa_system_sgpr_workgroup_id_y 0
		.amdhsa_system_sgpr_workgroup_id_z 0
		.amdhsa_system_sgpr_workgroup_info 0
		.amdhsa_system_vgpr_workitem_id 0
		.amdhsa_next_free_vgpr 37
		.amdhsa_next_free_sgpr 32
		.amdhsa_accum_offset 40
		.amdhsa_reserve_vcc 1
		.amdhsa_reserve_flat_scratch 0
		.amdhsa_float_round_mode_32 0
		.amdhsa_float_round_mode_16_64 0
		.amdhsa_float_denorm_mode_32 3
		.amdhsa_float_denorm_mode_16_64 3
		.amdhsa_dx10_clamp 1
		.amdhsa_ieee_mode 1
		.amdhsa_fp16_overflow 0
		.amdhsa_tg_split 0
		.amdhsa_exception_fp_ieee_invalid_op 0
		.amdhsa_exception_fp_denorm_src 0
		.amdhsa_exception_fp_ieee_div_zero 0
		.amdhsa_exception_fp_ieee_overflow 0
		.amdhsa_exception_fp_ieee_underflow 0
		.amdhsa_exception_fp_ieee_inexact 0
		.amdhsa_exception_int_div_zero 0
	.end_amdhsa_kernel
	.section	.text._ZN2at6native12_GLOBAL__N_125multi_tensor_apply_kernelINS1_18TensorListMetadataILi2EEENS1_14UnaryOpFunctorIN3c104HalfELi2ELi1ELi1EEEJNS0_4AsinIfEEEEEvT_T0_DpT1_,"axG",@progbits,_ZN2at6native12_GLOBAL__N_125multi_tensor_apply_kernelINS1_18TensorListMetadataILi2EEENS1_14UnaryOpFunctorIN3c104HalfELi2ELi1ELi1EEEJNS0_4AsinIfEEEEEvT_T0_DpT1_,comdat
.Lfunc_end58:
	.size	_ZN2at6native12_GLOBAL__N_125multi_tensor_apply_kernelINS1_18TensorListMetadataILi2EEENS1_14UnaryOpFunctorIN3c104HalfELi2ELi1ELi1EEEJNS0_4AsinIfEEEEEvT_T0_DpT1_, .Lfunc_end58-_ZN2at6native12_GLOBAL__N_125multi_tensor_apply_kernelINS1_18TensorListMetadataILi2EEENS1_14UnaryOpFunctorIN3c104HalfELi2ELi1ELi1EEEJNS0_4AsinIfEEEEEvT_T0_DpT1_
                                        ; -- End function
	.section	.AMDGPU.csdata,"",@progbits
; Kernel info:
; codeLenInByte = 2300
; NumSgprs: 36
; NumVgprs: 37
; NumAgprs: 0
; TotalNumVgprs: 37
; ScratchSize: 0
; MemoryBound: 0
; FloatMode: 240
; IeeeMode: 1
; LDSByteSize: 0 bytes/workgroup (compile time only)
; SGPRBlocks: 4
; VGPRBlocks: 4
; NumSGPRsForWavesPerEU: 36
; NumVGPRsForWavesPerEU: 37
; AccumOffset: 40
; Occupancy: 8
; WaveLimiterHint : 0
; COMPUTE_PGM_RSRC2:SCRATCH_EN: 0
; COMPUTE_PGM_RSRC2:USER_SGPR: 6
; COMPUTE_PGM_RSRC2:TRAP_HANDLER: 0
; COMPUTE_PGM_RSRC2:TGID_X_EN: 1
; COMPUTE_PGM_RSRC2:TGID_Y_EN: 0
; COMPUTE_PGM_RSRC2:TGID_Z_EN: 0
; COMPUTE_PGM_RSRC2:TIDIG_COMP_CNT: 0
; COMPUTE_PGM_RSRC3_GFX90A:ACCUM_OFFSET: 9
; COMPUTE_PGM_RSRC3_GFX90A:TG_SPLIT: 0
	.section	.text._ZN2at6native12_GLOBAL__N_125multi_tensor_apply_kernelINS1_18TensorListMetadataILi2EEENS1_14UnaryOpFunctorIN3c108BFloat16ELi2ELi1ELi1EEEJNS0_4AsinIfEEEEEvT_T0_DpT1_,"axG",@progbits,_ZN2at6native12_GLOBAL__N_125multi_tensor_apply_kernelINS1_18TensorListMetadataILi2EEENS1_14UnaryOpFunctorIN3c108BFloat16ELi2ELi1ELi1EEEJNS0_4AsinIfEEEEEvT_T0_DpT1_,comdat
	.globl	_ZN2at6native12_GLOBAL__N_125multi_tensor_apply_kernelINS1_18TensorListMetadataILi2EEENS1_14UnaryOpFunctorIN3c108BFloat16ELi2ELi1ELi1EEEJNS0_4AsinIfEEEEEvT_T0_DpT1_ ; -- Begin function _ZN2at6native12_GLOBAL__N_125multi_tensor_apply_kernelINS1_18TensorListMetadataILi2EEENS1_14UnaryOpFunctorIN3c108BFloat16ELi2ELi1ELi1EEEJNS0_4AsinIfEEEEEvT_T0_DpT1_
	.p2align	8
	.type	_ZN2at6native12_GLOBAL__N_125multi_tensor_apply_kernelINS1_18TensorListMetadataILi2EEENS1_14UnaryOpFunctorIN3c108BFloat16ELi2ELi1ELi1EEEJNS0_4AsinIfEEEEEvT_T0_DpT1_,@function
_ZN2at6native12_GLOBAL__N_125multi_tensor_apply_kernelINS1_18TensorListMetadataILi2EEENS1_14UnaryOpFunctorIN3c108BFloat16ELi2ELi1ELi1EEEJNS0_4AsinIfEEEEEvT_T0_DpT1_: ; @_ZN2at6native12_GLOBAL__N_125multi_tensor_apply_kernelINS1_18TensorListMetadataILi2EEENS1_14UnaryOpFunctorIN3c108BFloat16ELi2ELi1ELi1EEEJNS0_4AsinIfEEEEEvT_T0_DpT1_
; %bb.0:
	v_mov_b32_e32 v1, s6
	global_load_ubyte v1, v1, s[4:5] offset:1536
	s_add_u32 s0, s4, s6
	s_mul_hi_u32 s2, s6, 3
	s_mul_i32 s6, s6, 3
	s_addc_u32 s7, s5, 0
	s_add_u32 s8, s0, s6
	s_addc_u32 s9, s7, s2
	s_mov_b32 s1, 0
	s_mov_b32 s17, s1
	;; [unrolled: 1-line block ×3, first 2 shown]
	s_waitcnt vmcnt(0)
	v_readfirstlane_b32 s0, v1
	s_lshl_b32 s0, s0, 3
	s_load_dword s10, s[8:9], 0x740
	s_load_dwordx2 s[14:15], s[4:5], s0 offset:0x0
	s_load_dwordx2 s[12:13], s[4:5], s0 offset:0x400
	;; [unrolled: 1-line block ×3, first 2 shown]
	s_waitcnt lgkmcnt(0)
	s_ashr_i32 s11, s10, 31
	s_and_b32 s0, s14, 7
	s_and_b32 s16, s12, 3
	;; [unrolled: 1-line block ×3, first 2 shown]
	s_or_b64 s[16:17], s[0:1], s[16:17]
	s_lshl_b64 s[8:9], s[10:11], 17
	s_or_b64 s[2:3], s[2:3], s[16:17]
	s_lshl_b64 s[10:11], s[10:11], 16
	s_sub_u32 s10, s12, s10
	s_subb_u32 s11, s13, s11
	s_cmp_eq_u64 s[2:3], 0
	s_mov_b64 s[2:3], -1
	s_cbranch_scc0 .LBB59_5
; %bb.1:
	v_mov_b32_e32 v3, 0
	v_lshlrev_b32_e32 v2, 2, v0
	v_cmp_gt_i64_e32 vcc, s[10:11], v[2:3]
	s_and_saveexec_b64 s[12:13], vcc
	s_cbranch_execz .LBB59_4
; %bb.2:
	s_load_dword s0, s[4:5], 0xc5c
	v_lshlrev_b32_e32 v1, 3, v0
	v_mov_b32_e32 v2, s9
	v_add_co_u32_e32 v4, vcc, s8, v1
	s_waitcnt lgkmcnt(0)
	s_and_b32 s0, s0, 0xffff
	v_addc_co_u32_e32 v1, vcc, 0, v2, vcc
	s_lshl_b32 s19, s0, 3
	v_add_lshl_u32 v2, v0, s0, 2
	s_lshl_b32 s21, s0, 2
	s_mov_b32 s0, 0x3c5fc5da
	s_mov_b64 s[16:17], 0
	v_mov_b32_e32 v5, s15
	v_mov_b32_e32 v8, s7
	s_brev_b32 s23, -2
	s_mov_b32 s18, 0x3d1c21a7
	v_pk_mov_b32 v[6:7], s[0:1], s[0:1] op_sel:[0,1]
	s_mov_b32 s20, 0x3d034c3c
	s_mov_b32 s22, 0x3d3641b1
	s_mov_b32 s24, 0x3d999bc8
	s_mov_b32 s26, 0x3e2aaaac
	s_movk_i32 s25, 0x7fff
	v_mov_b32_e32 v9, 0x7fc0
	v_mov_b32_e32 v10, 0x7fc00000
	s_mov_b64 s[28:29], 0xffff
	v_mov_b32_e32 v11, s1
	v_mov_b32_e32 v12, s1
.LBB59_3:                               ; =>This Inner Loop Header: Depth=1
	v_add_co_u32_e32 v14, vcc, s14, v4
	v_addc_co_u32_e32 v15, vcc, v5, v1, vcc
	global_load_dwordx2 v[14:15], v[14:15], off
	v_add_co_u32_e32 v16, vcc, s6, v4
	v_addc_co_u32_e32 v17, vcc, v8, v1, vcc
	v_cmp_le_i64_e32 vcc, s[10:11], v[2:3]
	v_cmp_lt_u64_e64 s[0:1], s[28:29], v[2:3]
	v_add_co_u32_e64 v4, s[2:3], s19, v4
	v_addc_co_u32_e64 v1, s[2:3], v1, v11, s[2:3]
	s_or_b64 s[0:1], vcc, s[0:1]
	v_add_co_u32_e64 v2, s[2:3], s21, v2
	s_and_b64 s[0:1], exec, s[0:1]
	v_addc_co_u32_e64 v3, s[2:3], v3, v12, s[2:3]
	s_or_b64 s[16:17], s[0:1], s[16:17]
	s_waitcnt vmcnt(0)
	v_alignbit_b32 v13, v15, v14, 16
	v_lshlrev_b32_e32 v18, 16, v14
	v_and_b32_e32 v19, 0xffff0000, v14
	v_and_b32_e32 v15, 0xffff0000, v15
	;; [unrolled: 1-line block ×6, first 2 shown]
	v_pk_mul_f32 v[24:25], v[18:19], v[18:19]
	v_and_b32_e32 v20, 0x7fffffff, v14
	v_pk_fma_f32 v[26:27], -0.5, v[22:23], 0.5 op_sel_hi:[0,1,0]
	v_cmp_ge_f32_e64 vcc, |v18|, 0.5
	v_cmp_ge_f32_e64 s[0:1], |v19|, 0.5
	v_pk_mul_f32 v[28:29], v[14:15], v[14:15]
	v_pk_fma_f32 v[30:31], -0.5, v[20:21], 0.5 op_sel_hi:[0,1,0]
	v_cmp_ge_f32_e64 s[2:3], |v15|, 0.5
	v_cndmask_b32_e64 v25, v25, v27, s[0:1]
	v_cndmask_b32_e32 v24, v24, v26, vcc
	v_cmp_ge_f32_e64 vcc, |v14|, 0.5
	v_cndmask_b32_e32 v26, v28, v30, vcc
	v_cndmask_b32_e64 v27, v29, v31, s[2:3]
	v_pk_fma_f32 v[30:31], v[24:25], s[18:19], v[6:7] op_sel_hi:[1,0,0]
	v_pk_fma_f32 v[34:35], v[26:27], s[18:19], v[6:7] op_sel_hi:[1,0,0]
	;; [unrolled: 1-line block ×3, first 2 shown]
	v_sqrt_f32_e32 v28, v24
	v_sqrt_f32_e32 v29, v25
	v_pk_fma_f32 v[34:35], v[26:27], v[34:35], s[20:21] op_sel_hi:[1,1,0]
	v_pk_fma_f32 v[30:31], v[24:25], v[30:31], s[22:23] op_sel_hi:[1,1,0]
	v_sqrt_f32_e32 v32, v26
	v_sqrt_f32_e32 v33, v27
	v_pk_fma_f32 v[34:35], v[26:27], v[34:35], s[22:23] op_sel_hi:[1,1,0]
	v_pk_fma_f32 v[30:31], v[24:25], v[30:31], s[24:25] op_sel_hi:[1,1,0]
	v_pk_fma_f32 v[34:35], v[26:27], v[34:35], s[24:25] op_sel_hi:[1,1,0]
	v_pk_fma_f32 v[30:31], v[24:25], v[30:31], s[26:27] op_sel_hi:[1,1,0]
	v_pk_fma_f32 v[34:35], v[26:27], v[34:35], s[26:27] op_sel_hi:[1,1,0]
	v_pk_mul_f32 v[24:25], v[24:25], v[30:31]
	v_pk_mul_f32 v[26:27], v[26:27], v[34:35]
	v_pk_fma_f32 v[28:29], v[28:29], v[24:25], v[28:29]
	v_pk_fma_f32 v[22:23], v[22:23], v[24:25], v[22:23]
	;; [unrolled: 1-line block ×3, first 2 shown]
	v_pk_add_f32 v[28:29], v[28:29], v[28:29]
	v_pk_fma_f32 v[20:21], v[20:21], v[26:27], v[20:21]
	v_pk_add_f32 v[24:25], v[24:25], v[24:25]
	v_sub_f32_e32 v13, 0x3fc90fdb, v29
	v_sub_f32_e32 v26, 0x3fc90fdb, v28
	v_cmp_lt_f32_e64 vcc, |v19|, 0.5
	v_cmp_lt_f32_e64 s[0:1], |v18|, 0.5
	v_sub_f32_e32 v25, 0x3fc90fdb, v25
	v_sub_f32_e32 v24, 0x3fc90fdb, v24
	v_cmp_lt_f32_e64 s[2:3], |v15|, 0.5
	v_cndmask_b32_e64 v22, v26, v22, s[0:1]
	v_cndmask_b32_e32 v13, v13, v23, vcc
	v_cmp_lt_f32_e64 vcc, |v14|, 0.5
	v_cndmask_b32_e32 v20, v24, v20, vcc
	v_cndmask_b32_e64 v21, v25, v21, s[2:3]
	v_bfi_b32 v13, s23, v13, v19
	v_bfi_b32 v18, s23, v22, v18
	;; [unrolled: 1-line block ×4, first 2 shown]
	v_bfe_u32 v19, v18, 16, 1
	v_bfe_u32 v20, v13, 16, 1
	v_add3_u32 v19, v18, v19, s25
	v_add3_u32 v20, v13, v20, s25
	v_bfe_u32 v21, v14, 16, 1
	v_bfe_u32 v22, v15, 16, 1
	v_lshrrev_b32_e32 v19, 16, v19
	v_and_b32_e32 v20, 0xffff0000, v20
	v_add3_u32 v22, v15, v22, s25
	v_add3_u32 v21, v14, v21, s25
	v_cmp_o_f32_e32 vcc, v13, v13
	v_cmp_o_f32_e64 s[0:1], v18, v18
	v_lshrrev_b32_e32 v13, 16, v21
	v_and_b32_e32 v18, 0xffff0000, v22
	v_cndmask_b32_e64 v19, v9, v19, s[0:1]
	v_cmp_o_f32_e64 s[0:1], v15, v15
	v_cndmask_b32_e32 v15, v10, v20, vcc
	v_cmp_o_f32_e32 vcc, v14, v14
	v_cndmask_b32_e32 v13, v9, v13, vcc
	v_cndmask_b32_e64 v18, v10, v18, s[0:1]
	v_or3_b32 v14, v19, 0, v15
	v_or3_b32 v15, 0, v13, v18
	global_store_dwordx2 v[16:17], v[14:15], off
	s_andn2_b64 exec, exec, s[16:17]
	s_cbranch_execnz .LBB59_3
.LBB59_4:
	s_or_b64 exec, exec, s[12:13]
	s_mov_b64 s[2:3], 0
.LBB59_5:
	s_andn2_b64 vcc, exec, s[2:3]
	s_cbranch_vccnz .LBB59_25
; %bb.6:
	v_cmp_lt_i64_e64 s[0:1], s[10:11], 1
	s_and_b64 vcc, exec, s[0:1]
	s_cbranch_vccnz .LBB59_25
; %bb.7:
	s_load_dword s0, s[4:5], 0xc5c
	v_mov_b32_e32 v2, 0x10000
	v_mov_b32_e32 v3, 0
	v_cmp_lt_u64_e32 vcc, s[10:11], v[2:3]
	v_lshlrev_b32_e32 v10, 1, v0
	s_waitcnt lgkmcnt(0)
	s_and_b32 s2, s0, 0xffff
	s_and_b64 s[0:1], vcc, exec
	v_mov_b32_e32 v13, s15
	v_add_co_u32_e32 v2, vcc, s14, v10
	v_addc_co_u32_e32 v1, vcc, 0, v13, vcc
	v_mov_b32_e32 v11, 0
	v_mov_b32_e32 v15, s7
	v_add_co_u32_e32 v4, vcc, s6, v10
	v_addc_co_u32_e32 v3, vcc, 0, v15, vcc
	v_mad_u64_u32 v[8:9], s[0:1], s2, 6, v[10:11]
	v_add_co_u32_e32 v6, vcc, s14, v8
	v_addc_co_u32_e32 v5, vcc, v13, v9, vcc
	v_add_co_u32_e32 v8, vcc, s6, v8
	s_mul_i32 s4, s2, 3
	v_addc_co_u32_e32 v7, vcc, v15, v9, vcc
	s_cselect_b32 s13, s11, 0
	s_cselect_b32 s12, s10, 0x10000
	s_lshl_b32 s19, s2, 2
	v_add_co_u32_e32 v17, vcc, s4, v0
	v_addc_co_u32_e64 v18, s[0:1], 0, 0, vcc
	v_add_co_u32_e32 v11, vcc, s19, v10
	v_addc_co_u32_e64 v14, s[0:1], 0, 0, vcc
	v_add_co_u32_e32 v10, vcc, s14, v11
	v_addc_co_u32_e32 v9, vcc, v13, v14, vcc
	v_add_co_u32_e32 v12, vcc, s6, v11
	s_lshl_b32 s3, s2, 1
	v_addc_co_u32_e32 v11, vcc, v15, v14, vcc
	v_add_co_u32_e32 v19, vcc, s3, v0
	v_addc_co_u32_e64 v20, s[0:1], 0, 0, vcc
	v_add_co_u32_e32 v21, vcc, s2, v0
	v_lshlrev_b32_e32 v16, 1, v21
	v_addc_co_u32_e64 v22, s[0:1], 0, 0, vcc
	v_add_co_u32_e32 v14, vcc, s14, v16
	v_addc_co_u32_e32 v13, vcc, 0, v13, vcc
	v_add_co_u32_e32 v16, vcc, s6, v16
	s_mov_b32 s18, 0
	s_lshl_b32 s20, s2, 3
	v_addc_co_u32_e32 v15, vcc, 0, v15, vcc
	s_mov_b64 s[14:15], 0
	v_mov_b32_e32 v23, 0x3d034c3c
	v_mov_b32_e32 v24, 0x3d3641b1
	;; [unrolled: 1-line block ×4, first 2 shown]
	s_brev_b32 s21, -2
	s_movk_i32 s22, 0x7fff
	v_mov_b32_e32 v27, 0x7fc0
	s_branch .LBB59_9
.LBB59_8:                               ;   in Loop: Header=BB59_9 Depth=1
	s_or_b64 exec, exec, s[0:1]
	s_add_u32 s14, s14, s19
	s_addc_u32 s15, s15, 0
	s_waitcnt vmcnt(0)
	v_pk_mov_b32 v[28:29], s[10:11], s[10:11] op_sel:[0,1]
	v_cmp_ge_i64_e32 vcc, s[14:15], v[28:29]
	v_mov_b32_e32 v28, 0xffff
	v_mov_b32_e32 v29, 0
	v_cmp_gt_u64_e64 s[0:1], s[14:15], v[28:29]
	s_or_b64 s[0:1], vcc, s[0:1]
	v_mov_b32_e32 v28, s18
	v_add_co_u32_e32 v2, vcc, s20, v2
	v_addc_co_u32_e32 v1, vcc, v1, v28, vcc
	v_add_co_u32_e32 v4, vcc, s20, v4
	v_addc_co_u32_e32 v3, vcc, v3, v28, vcc
	;; [unrolled: 2-line block ×8, first 2 shown]
	s_and_b64 vcc, exec, s[0:1]
	s_cbranch_vccnz .LBB59_25
.LBB59_9:                               ; =>This Inner Loop Header: Depth=1
	v_mov_b32_e32 v29, s15
	v_add_co_u32_e32 v28, vcc, s14, v0
	v_addc_co_u32_e32 v29, vcc, 0, v29, vcc
	v_cmp_gt_u64_e64 s[4:5], s[12:13], v[28:29]
	v_mov_b32_e32 v31, 0
	s_and_saveexec_b64 s[0:1], s[4:5]
	s_cbranch_execz .LBB59_11
; %bb.10:                               ;   in Loop: Header=BB59_9 Depth=1
	v_mov_b32_e32 v29, s9
	v_add_co_u32_e32 v28, vcc, s8, v2
	v_addc_co_u32_e32 v29, vcc, v1, v29, vcc
	global_load_ushort v31, v[28:29], off
.LBB59_11:                              ;   in Loop: Header=BB59_9 Depth=1
	s_or_b64 exec, exec, s[0:1]
	v_mov_b32_e32 v29, s15
	v_add_co_u32_e32 v28, vcc, s14, v21
	v_addc_co_u32_e32 v29, vcc, v22, v29, vcc
	v_cmp_gt_u64_e64 s[2:3], s[12:13], v[28:29]
	v_mov_b32_e32 v30, 0
	s_and_saveexec_b64 s[0:1], s[2:3]
	s_cbranch_execz .LBB59_13
; %bb.12:                               ;   in Loop: Header=BB59_9 Depth=1
	v_mov_b32_e32 v29, s9
	v_add_co_u32_e32 v28, vcc, s8, v14
	v_addc_co_u32_e32 v29, vcc, v13, v29, vcc
	global_load_ushort v30, v[28:29], off
.LBB59_13:                              ;   in Loop: Header=BB59_9 Depth=1
	s_or_b64 exec, exec, s[0:1]
	v_mov_b32_e32 v29, s15
	v_add_co_u32_e32 v28, vcc, s14, v19
	v_addc_co_u32_e32 v29, vcc, v20, v29, vcc
	v_cmp_gt_u64_e64 s[0:1], s[12:13], v[28:29]
	v_mov_b32_e32 v28, 0
	v_mov_b32_e32 v29, 0
	s_and_saveexec_b64 s[6:7], s[0:1]
	s_cbranch_execz .LBB59_15
; %bb.14:                               ;   in Loop: Header=BB59_9 Depth=1
	v_mov_b32_e32 v29, s9
	v_add_co_u32_e32 v32, vcc, s8, v10
	v_addc_co_u32_e32 v33, vcc, v9, v29, vcc
	global_load_ushort v29, v[32:33], off
.LBB59_15:                              ;   in Loop: Header=BB59_9 Depth=1
	s_or_b64 exec, exec, s[6:7]
	v_mov_b32_e32 v33, s15
	v_add_co_u32_e32 v32, vcc, s14, v17
	v_addc_co_u32_e32 v33, vcc, v18, v33, vcc
	v_cmp_gt_u64_e32 vcc, s[12:13], v[32:33]
	s_and_saveexec_b64 s[16:17], vcc
	s_cbranch_execnz .LBB59_20
; %bb.16:                               ;   in Loop: Header=BB59_9 Depth=1
	s_or_b64 exec, exec, s[16:17]
	s_and_saveexec_b64 s[6:7], s[4:5]
	s_cbranch_execnz .LBB59_21
.LBB59_17:                              ;   in Loop: Header=BB59_9 Depth=1
	s_or_b64 exec, exec, s[6:7]
	s_and_saveexec_b64 s[4:5], s[2:3]
	s_cbranch_execnz .LBB59_22
.LBB59_18:                              ;   in Loop: Header=BB59_9 Depth=1
	s_or_b64 exec, exec, s[4:5]
	s_and_saveexec_b64 s[2:3], s[0:1]
	s_cbranch_execnz .LBB59_23
.LBB59_19:                              ;   in Loop: Header=BB59_9 Depth=1
	s_or_b64 exec, exec, s[2:3]
	s_and_saveexec_b64 s[0:1], vcc
	s_cbranch_execz .LBB59_8
	s_branch .LBB59_24
.LBB59_20:                              ;   in Loop: Header=BB59_9 Depth=1
	v_mov_b32_e32 v28, s9
	v_add_co_u32_e64 v32, s[6:7], s8, v6
	v_addc_co_u32_e64 v33, s[6:7], v5, v28, s[6:7]
	global_load_ushort v28, v[32:33], off
	s_or_b64 exec, exec, s[16:17]
	s_and_saveexec_b64 s[6:7], s[4:5]
	s_cbranch_execz .LBB59_17
.LBB59_21:                              ;   in Loop: Header=BB59_9 Depth=1
	s_waitcnt vmcnt(0)
	v_lshlrev_b32_e32 v31, 16, v31
	v_fma_f32 v32, |v31|, -0.5, 0.5
	v_mul_f32_e32 v33, v31, v31
	v_cmp_ge_f32_e64 s[4:5], |v31|, 0.5
	v_cndmask_b32_e64 v32, v33, v32, s[4:5]
	v_mov_b32_e32 v33, 0x3c5fc5da
	v_fmac_f32_e32 v33, 0x3d1c21a7, v32
	v_fma_f32 v33, v32, v33, v23
	v_fma_f32 v33, v32, v33, v24
	v_sqrt_f32_e32 v34, v32
	v_fma_f32 v33, v32, v33, v25
	v_fma_f32 v33, v32, v33, v26
	v_mul_f32_e32 v32, v32, v33
	v_fmac_f32_e32 v34, v34, v32
	v_fma_f32 v33, |v31|, v32, |v31|
	v_add_f32_e32 v32, v34, v34
	v_sub_f32_e32 v32, 0x3fc90fdb, v32
	v_cmp_lt_f32_e64 s[4:5], |v31|, 0.5
	v_cndmask_b32_e64 v32, v32, v33, s[4:5]
	v_bfi_b32 v31, s21, v32, v31
	v_bfe_u32 v32, v31, 16, 1
	v_add3_u32 v32, v31, v32, s22
	v_lshrrev_b32_e32 v32, 16, v32
	v_cmp_o_f32_e64 s[4:5], v31, v31
	v_cndmask_b32_e64 v31, v27, v32, s[4:5]
	v_mov_b32_e32 v33, s9
	v_add_co_u32_e64 v32, s[4:5], s8, v4
	v_addc_co_u32_e64 v33, s[4:5], v3, v33, s[4:5]
	global_store_short v[32:33], v31, off
	s_or_b64 exec, exec, s[6:7]
	s_and_saveexec_b64 s[4:5], s[2:3]
	s_cbranch_execz .LBB59_18
.LBB59_22:                              ;   in Loop: Header=BB59_9 Depth=1
	s_waitcnt vmcnt(0)
	v_lshlrev_b32_e32 v30, 16, v30
	v_fma_f32 v31, |v30|, -0.5, 0.5
	v_mul_f32_e32 v32, v30, v30
	v_cmp_ge_f32_e64 s[2:3], |v30|, 0.5
	v_cndmask_b32_e64 v31, v32, v31, s[2:3]
	v_mov_b32_e32 v32, 0x3c5fc5da
	v_fmac_f32_e32 v32, 0x3d1c21a7, v31
	v_fma_f32 v32, v31, v32, v23
	v_fma_f32 v32, v31, v32, v24
	v_sqrt_f32_e32 v33, v31
	v_fma_f32 v32, v31, v32, v25
	v_fma_f32 v32, v31, v32, v26
	v_mul_f32_e32 v31, v31, v32
	v_fmac_f32_e32 v33, v33, v31
	v_add_f32_e32 v32, v33, v33
	v_sub_f32_e32 v32, 0x3fc90fdb, v32
	v_fma_f32 v31, |v30|, v31, |v30|
	v_cmp_lt_f32_e64 s[2:3], |v30|, 0.5
	v_cndmask_b32_e64 v31, v32, v31, s[2:3]
	v_bfi_b32 v30, s21, v31, v30
	v_bfe_u32 v31, v30, 16, 1
	v_add3_u32 v31, v30, v31, s22
	v_lshrrev_b32_e32 v31, 16, v31
	v_cmp_o_f32_e64 s[2:3], v30, v30
	v_cndmask_b32_e64 v32, v27, v31, s[2:3]
	v_mov_b32_e32 v31, s9
	v_add_co_u32_e64 v30, s[2:3], s8, v16
	v_addc_co_u32_e64 v31, s[2:3], v15, v31, s[2:3]
	global_store_short v[30:31], v32, off
	s_or_b64 exec, exec, s[4:5]
	s_and_saveexec_b64 s[2:3], s[0:1]
	s_cbranch_execz .LBB59_19
.LBB59_23:                              ;   in Loop: Header=BB59_9 Depth=1
	s_waitcnt vmcnt(0)
	v_lshlrev_b32_e32 v29, 16, v29
	v_fma_f32 v30, |v29|, -0.5, 0.5
	v_mul_f32_e32 v31, v29, v29
	v_cmp_ge_f32_e64 s[0:1], |v29|, 0.5
	v_cndmask_b32_e64 v30, v31, v30, s[0:1]
	v_mov_b32_e32 v31, 0x3c5fc5da
	v_fmac_f32_e32 v31, 0x3d1c21a7, v30
	v_fma_f32 v31, v30, v31, v23
	v_fma_f32 v31, v30, v31, v24
	v_sqrt_f32_e32 v32, v30
	v_fma_f32 v31, v30, v31, v25
	v_fma_f32 v31, v30, v31, v26
	v_mul_f32_e32 v30, v30, v31
	v_fmac_f32_e32 v32, v32, v30
	v_add_f32_e32 v31, v32, v32
	v_sub_f32_e32 v31, 0x3fc90fdb, v31
	v_fma_f32 v30, |v29|, v30, |v29|
	v_cmp_lt_f32_e64 s[0:1], |v29|, 0.5
	v_cndmask_b32_e64 v30, v31, v30, s[0:1]
	v_bfi_b32 v29, s21, v30, v29
	v_bfe_u32 v30, v29, 16, 1
	v_add3_u32 v30, v29, v30, s22
	v_lshrrev_b32_e32 v30, 16, v30
	v_cmp_o_f32_e64 s[0:1], v29, v29
	v_cndmask_b32_e64 v29, v27, v30, s[0:1]
	v_mov_b32_e32 v31, s9
	v_add_co_u32_e64 v30, s[0:1], s8, v12
	v_addc_co_u32_e64 v31, s[0:1], v11, v31, s[0:1]
	global_store_short v[30:31], v29, off
	s_or_b64 exec, exec, s[2:3]
	s_and_saveexec_b64 s[0:1], vcc
	s_cbranch_execz .LBB59_8
.LBB59_24:                              ;   in Loop: Header=BB59_9 Depth=1
	s_waitcnt vmcnt(0)
	v_lshlrev_b32_e32 v28, 16, v28
	v_fma_f32 v29, |v28|, -0.5, 0.5
	v_mul_f32_e32 v30, v28, v28
	v_cmp_ge_f32_e64 vcc, |v28|, 0.5
	v_cndmask_b32_e32 v29, v30, v29, vcc
	v_mov_b32_e32 v30, 0x3c5fc5da
	v_fmac_f32_e32 v30, 0x3d1c21a7, v29
	v_fma_f32 v30, v29, v30, v23
	v_fma_f32 v30, v29, v30, v24
	v_sqrt_f32_e32 v31, v29
	v_fma_f32 v30, v29, v30, v25
	v_fma_f32 v30, v29, v30, v26
	v_mul_f32_e32 v29, v29, v30
	v_fmac_f32_e32 v31, v31, v29
	v_add_f32_e32 v30, v31, v31
	v_sub_f32_e32 v30, 0x3fc90fdb, v30
	v_fma_f32 v29, |v28|, v29, |v28|
	v_cmp_lt_f32_e64 vcc, |v28|, 0.5
	v_cndmask_b32_e32 v29, v30, v29, vcc
	v_bfi_b32 v28, s21, v29, v28
	v_bfe_u32 v29, v28, 16, 1
	v_add3_u32 v29, v28, v29, s22
	v_lshrrev_b32_e32 v29, 16, v29
	v_cmp_o_f32_e32 vcc, v28, v28
	v_cndmask_b32_e32 v30, v27, v29, vcc
	v_mov_b32_e32 v29, s9
	v_add_co_u32_e32 v28, vcc, s8, v8
	v_addc_co_u32_e32 v29, vcc, v7, v29, vcc
	global_store_short v[28:29], v30, off
	s_branch .LBB59_8
.LBB59_25:
	s_endpgm
	.section	.rodata,"a",@progbits
	.p2align	6, 0x0
	.amdhsa_kernel _ZN2at6native12_GLOBAL__N_125multi_tensor_apply_kernelINS1_18TensorListMetadataILi2EEENS1_14UnaryOpFunctorIN3c108BFloat16ELi2ELi1ELi1EEEJNS0_4AsinIfEEEEEvT_T0_DpT1_
		.amdhsa_group_segment_fixed_size 0
		.amdhsa_private_segment_fixed_size 0
		.amdhsa_kernarg_size 3408
		.amdhsa_user_sgpr_count 6
		.amdhsa_user_sgpr_private_segment_buffer 1
		.amdhsa_user_sgpr_dispatch_ptr 0
		.amdhsa_user_sgpr_queue_ptr 0
		.amdhsa_user_sgpr_kernarg_segment_ptr 1
		.amdhsa_user_sgpr_dispatch_id 0
		.amdhsa_user_sgpr_flat_scratch_init 0
		.amdhsa_user_sgpr_kernarg_preload_length 0
		.amdhsa_user_sgpr_kernarg_preload_offset 0
		.amdhsa_user_sgpr_private_segment_size 0
		.amdhsa_uses_dynamic_stack 0
		.amdhsa_system_sgpr_private_segment_wavefront_offset 0
		.amdhsa_system_sgpr_workgroup_id_x 1
		.amdhsa_system_sgpr_workgroup_id_y 0
		.amdhsa_system_sgpr_workgroup_id_z 0
		.amdhsa_system_sgpr_workgroup_info 0
		.amdhsa_system_vgpr_workitem_id 0
		.amdhsa_next_free_vgpr 36
		.amdhsa_next_free_sgpr 30
		.amdhsa_accum_offset 36
		.amdhsa_reserve_vcc 1
		.amdhsa_reserve_flat_scratch 0
		.amdhsa_float_round_mode_32 0
		.amdhsa_float_round_mode_16_64 0
		.amdhsa_float_denorm_mode_32 3
		.amdhsa_float_denorm_mode_16_64 3
		.amdhsa_dx10_clamp 1
		.amdhsa_ieee_mode 1
		.amdhsa_fp16_overflow 0
		.amdhsa_tg_split 0
		.amdhsa_exception_fp_ieee_invalid_op 0
		.amdhsa_exception_fp_denorm_src 0
		.amdhsa_exception_fp_ieee_div_zero 0
		.amdhsa_exception_fp_ieee_overflow 0
		.amdhsa_exception_fp_ieee_underflow 0
		.amdhsa_exception_fp_ieee_inexact 0
		.amdhsa_exception_int_div_zero 0
	.end_amdhsa_kernel
	.section	.text._ZN2at6native12_GLOBAL__N_125multi_tensor_apply_kernelINS1_18TensorListMetadataILi2EEENS1_14UnaryOpFunctorIN3c108BFloat16ELi2ELi1ELi1EEEJNS0_4AsinIfEEEEEvT_T0_DpT1_,"axG",@progbits,_ZN2at6native12_GLOBAL__N_125multi_tensor_apply_kernelINS1_18TensorListMetadataILi2EEENS1_14UnaryOpFunctorIN3c108BFloat16ELi2ELi1ELi1EEEJNS0_4AsinIfEEEEEvT_T0_DpT1_,comdat
.Lfunc_end59:
	.size	_ZN2at6native12_GLOBAL__N_125multi_tensor_apply_kernelINS1_18TensorListMetadataILi2EEENS1_14UnaryOpFunctorIN3c108BFloat16ELi2ELi1ELi1EEEJNS0_4AsinIfEEEEEvT_T0_DpT1_, .Lfunc_end59-_ZN2at6native12_GLOBAL__N_125multi_tensor_apply_kernelINS1_18TensorListMetadataILi2EEENS1_14UnaryOpFunctorIN3c108BFloat16ELi2ELi1ELi1EEEJNS0_4AsinIfEEEEEvT_T0_DpT1_
                                        ; -- End function
	.section	.AMDGPU.csdata,"",@progbits
; Kernel info:
; codeLenInByte = 2568
; NumSgprs: 34
; NumVgprs: 36
; NumAgprs: 0
; TotalNumVgprs: 36
; ScratchSize: 0
; MemoryBound: 0
; FloatMode: 240
; IeeeMode: 1
; LDSByteSize: 0 bytes/workgroup (compile time only)
; SGPRBlocks: 4
; VGPRBlocks: 4
; NumSGPRsForWavesPerEU: 34
; NumVGPRsForWavesPerEU: 36
; AccumOffset: 36
; Occupancy: 8
; WaveLimiterHint : 0
; COMPUTE_PGM_RSRC2:SCRATCH_EN: 0
; COMPUTE_PGM_RSRC2:USER_SGPR: 6
; COMPUTE_PGM_RSRC2:TRAP_HANDLER: 0
; COMPUTE_PGM_RSRC2:TGID_X_EN: 1
; COMPUTE_PGM_RSRC2:TGID_Y_EN: 0
; COMPUTE_PGM_RSRC2:TGID_Z_EN: 0
; COMPUTE_PGM_RSRC2:TIDIG_COMP_CNT: 0
; COMPUTE_PGM_RSRC3_GFX90A:ACCUM_OFFSET: 8
; COMPUTE_PGM_RSRC3_GFX90A:TG_SPLIT: 0
	.section	.text._ZN2at6native12_GLOBAL__N_125multi_tensor_apply_kernelINS1_18TensorListMetadataILi1EEENS1_14UnaryOpFunctorIdLi1ELi1ELi0EEEJNS0_4AsinIdEEEEEvT_T0_DpT1_,"axG",@progbits,_ZN2at6native12_GLOBAL__N_125multi_tensor_apply_kernelINS1_18TensorListMetadataILi1EEENS1_14UnaryOpFunctorIdLi1ELi1ELi0EEEJNS0_4AsinIdEEEEEvT_T0_DpT1_,comdat
	.globl	_ZN2at6native12_GLOBAL__N_125multi_tensor_apply_kernelINS1_18TensorListMetadataILi1EEENS1_14UnaryOpFunctorIdLi1ELi1ELi0EEEJNS0_4AsinIdEEEEEvT_T0_DpT1_ ; -- Begin function _ZN2at6native12_GLOBAL__N_125multi_tensor_apply_kernelINS1_18TensorListMetadataILi1EEENS1_14UnaryOpFunctorIdLi1ELi1ELi0EEEJNS0_4AsinIdEEEEEvT_T0_DpT1_
	.p2align	8
	.type	_ZN2at6native12_GLOBAL__N_125multi_tensor_apply_kernelINS1_18TensorListMetadataILi1EEENS1_14UnaryOpFunctorIdLi1ELi1ELi0EEEJNS0_4AsinIdEEEEEvT_T0_DpT1_,@function
_ZN2at6native12_GLOBAL__N_125multi_tensor_apply_kernelINS1_18TensorListMetadataILi1EEENS1_14UnaryOpFunctorIdLi1ELi1ELi0EEEJNS0_4AsinIdEEEEEvT_T0_DpT1_: ; @_ZN2at6native12_GLOBAL__N_125multi_tensor_apply_kernelINS1_18TensorListMetadataILi1EEENS1_14UnaryOpFunctorIdLi1ELi1ELi0EEEJNS0_4AsinIdEEEEEvT_T0_DpT1_
; %bb.0:
	v_mov_b32_e32 v1, s6
	global_load_ubyte v1, v1, s[4:5] offset:1760
	s_add_u32 s0, s4, s6
	s_mul_hi_u32 s1, s6, 3
	s_mul_i32 s6, s6, 3
	s_addc_u32 s2, s5, 0
	s_add_u32 s0, s0, s6
	s_addc_u32 s1, s2, s1
	s_load_dword s0, s[0:1], 0x820
	s_mov_b32 s7, 0
	s_waitcnt vmcnt(0)
	v_readfirstlane_b32 s2, v1
	s_lshl_b32 s1, s2, 3
	s_load_dwordx2 s[2:3], s[4:5], s1 offset:0x370
	s_load_dwordx2 s[12:13], s[4:5], s1 offset:0x0
	s_waitcnt lgkmcnt(0)
	s_ashr_i32 s1, s0, 31
	s_lshl_b64 s[14:15], s[0:1], 19
	s_lshl_b64 s[0:1], s[0:1], 16
	s_and_b32 s6, s12, 31
	s_sub_u32 s10, s2, s0
	s_subb_u32 s11, s3, s1
	s_and_b32 s0, s2, 3
	s_mov_b32 s1, s7
	s_or_b64 s[0:1], s[6:7], s[0:1]
	s_cmp_eq_u64 s[0:1], 0
	s_cbranch_scc1 .LBB60_29
; %bb.1:
	v_cmp_lt_i64_e64 s[0:1], s[10:11], 1
	s_and_b64 vcc, exec, s[0:1]
	s_cbranch_vccnz .LBB60_28
; %bb.2:
	s_load_dword s0, s[4:5], 0xd3c
	v_mov_b32_e32 v2, 0x10000
	v_mov_b32_e32 v3, 0
	v_cmp_lt_u64_e32 vcc, s[10:11], v[2:3]
	v_lshlrev_b32_e32 v1, 3, v0
	s_waitcnt lgkmcnt(0)
	s_and_b32 s2, s0, 0xffff
	s_and_b64 s[0:1], vcc, exec
	s_cselect_b32 s17, s11, 0
	s_cselect_b32 s16, s10, 0x10000
	s_lshl_b32 s3, s2, 1
	s_lshl_b32 s29, s2, 2
	s_add_u32 s6, s12, s14
	s_addc_u32 s7, s13, s15
	v_mov_b32_e32 v3, s7
	v_add_co_u32_e32 v2, vcc, s6, v1
	s_mul_i32 s0, s2, 3
	v_addc_co_u32_e32 v3, vcc, 0, v3, vcc
	v_add_co_u32_e32 v1, vcc, s0, v0
	v_addc_co_u32_e64 v48, s[0:1], 0, 0, vcc
	v_add_co_u32_e32 v49, vcc, s3, v0
	v_addc_co_u32_e64 v50, s[0:1], 0, 0, vcc
	v_add_co_u32_e32 v51, vcc, s2, v0
	v_lshlrev_b32_e32 v4, 3, v51
	s_mov_b32 s28, 0
	v_addc_co_u32_e64 v52, s[0:1], 0, 0, vcc
	v_mov_b32_e32 v5, s7
	v_add_co_u32_e32 v4, vcc, s6, v4
	s_mov_b32 s20, 0x9fea6a70
	s_mov_b32 s22, 0x54442d18
	;; [unrolled: 1-line block ×3, first 2 shown]
	s_lshl_b32 s30, s2, 5
	s_mul_i32 s31, s2, 24
	s_mov_b32 s33, s28
	s_lshl_b32 s34, s2, 4
	s_mov_b32 s35, s28
	v_addc_co_u32_e32 v5, vcc, 0, v5, vcc
	s_mov_b64 s[18:19], 0
	v_mov_b32_e32 v6, 0x78a05eaf
	v_mov_b32_e32 v7, 0xbf90a5a3
	s_mov_b32 s21, 0x3fa05985
	s_mov_b32 s23, 0x3fe921fb
	;; [unrolled: 1-line block ×3, first 2 shown]
	s_brev_b32 s36, -2
	v_mov_b32_e32 v8, 0x37024d6a
	v_mov_b32_e32 v9, 0x3f940521
	;; [unrolled: 1-line block ×22, first 2 shown]
	s_branch .LBB60_4
.LBB60_3:                               ;   in Loop: Header=BB60_4 Depth=1
	s_or_b64 exec, exec, s[0:1]
	s_add_u32 s18, s18, s29
	s_addc_u32 s19, s19, 0
	v_pk_mov_b32 v[28:29], s[10:11], s[10:11] op_sel:[0,1]
	v_cmp_ge_i64_e32 vcc, s[18:19], v[28:29]
	v_mov_b32_e32 v28, 0xffff
	v_mov_b32_e32 v29, 0
	v_cmp_gt_u64_e64 s[0:1], s[18:19], v[28:29]
	s_or_b64 s[0:1], vcc, s[0:1]
	v_mov_b32_e32 v28, s28
	v_add_co_u32_e32 v2, vcc, s30, v2
	v_addc_co_u32_e32 v3, vcc, v3, v28, vcc
	v_add_co_u32_e32 v4, vcc, s30, v4
	v_addc_co_u32_e32 v5, vcc, v5, v28, vcc
	s_and_b64 vcc, exec, s[0:1]
	s_cbranch_vccnz .LBB60_28
.LBB60_4:                               ; =>This Inner Loop Header: Depth=1
	v_mov_b32_e32 v29, s19
	v_add_co_u32_e32 v28, vcc, s18, v0
	v_addc_co_u32_e32 v29, vcc, 0, v29, vcc
	v_cmp_gt_u64_e32 vcc, s[16:17], v[28:29]
	v_pk_mov_b32 v[28:29], 0, 0
	v_pk_mov_b32 v[30:31], v[28:29], v[28:29] op_sel:[0,1]
	s_and_saveexec_b64 s[0:1], vcc
	s_cbranch_execz .LBB60_6
; %bb.5:                                ;   in Loop: Header=BB60_4 Depth=1
	global_load_dwordx2 v[30:31], v[2:3], off
.LBB60_6:                               ;   in Loop: Header=BB60_4 Depth=1
	s_or_b64 exec, exec, s[0:1]
	v_mov_b32_e32 v33, s19
	v_add_co_u32_e64 v32, s[0:1], s18, v51
	v_addc_co_u32_e64 v33, s[0:1], v52, v33, s[0:1]
	v_cmp_gt_u64_e64 s[0:1], s[16:17], v[32:33]
	s_and_saveexec_b64 s[2:3], s[0:1]
	s_cbranch_execz .LBB60_8
; %bb.7:                                ;   in Loop: Header=BB60_4 Depth=1
	global_load_dwordx2 v[28:29], v[4:5], off
.LBB60_8:                               ;   in Loop: Header=BB60_4 Depth=1
	s_or_b64 exec, exec, s[2:3]
	v_mov_b32_e32 v33, s19
	v_add_co_u32_e64 v32, s[2:3], s18, v49
	v_addc_co_u32_e64 v33, s[2:3], v50, v33, s[2:3]
	v_cmp_gt_u64_e64 s[2:3], s[16:17], v[32:33]
	v_pk_mov_b32 v[32:33], 0, 0
	v_pk_mov_b32 v[34:35], v[32:33], v[32:33] op_sel:[0,1]
	s_and_saveexec_b64 s[8:9], s[2:3]
	s_cbranch_execz .LBB60_10
; %bb.9:                                ;   in Loop: Header=BB60_4 Depth=1
	v_mov_b32_e32 v35, s35
	v_add_co_u32_e64 v34, s[6:7], s34, v2
	v_addc_co_u32_e64 v35, s[6:7], v3, v35, s[6:7]
	global_load_dwordx2 v[34:35], v[34:35], off
.LBB60_10:                              ;   in Loop: Header=BB60_4 Depth=1
	s_or_b64 exec, exec, s[8:9]
	v_mov_b32_e32 v37, s19
	v_add_co_u32_e64 v36, s[6:7], s18, v1
	v_addc_co_u32_e64 v37, s[6:7], v48, v37, s[6:7]
	v_cmp_gt_u64_e64 s[6:7], s[16:17], v[36:37]
	s_and_saveexec_b64 s[26:27], s[6:7]
	s_cbranch_execz .LBB60_12
; %bb.11:                               ;   in Loop: Header=BB60_4 Depth=1
	v_mov_b32_e32 v33, s33
	v_add_co_u32_e64 v32, s[8:9], s31, v2
	v_addc_co_u32_e64 v33, s[8:9], v3, v33, s[8:9]
	global_load_dwordx2 v[32:33], v[32:33], off
.LBB60_12:                              ;   in Loop: Header=BB60_4 Depth=1
	s_or_b64 exec, exec, s[26:27]
	s_waitcnt vmcnt(0)
	v_fma_f64 v[40:41], |v[30:31]|, -0.5, 0.5
	v_mul_f64 v[36:37], v[30:31], v[30:31]
	v_cmp_ge_f64_e64 s[8:9], |v[30:31]|, 0.5
	v_cndmask_b32_e64 v37, v37, v41, s[8:9]
	v_cndmask_b32_e64 v36, v36, v40, s[8:9]
	v_fma_f64 v[38:39], s[20:21], v[36:37], v[6:7]
	v_fma_f64 v[38:39], v[36:37], v[38:39], v[8:9]
	;; [unrolled: 1-line block ×11, first 2 shown]
	v_mul_f64 v[38:39], v[36:37], v[38:39]
	v_fma_f64 v[36:37], |v[30:31]|, v[38:39], |v[30:31]|
	s_and_saveexec_b64 s[26:27], s[8:9]
	s_cbranch_execz .LBB60_14
; %bb.13:                               ;   in Loop: Header=BB60_4 Depth=1
	v_rsq_f64_e32 v[36:37], v[40:41]
	v_cmp_eq_f64_e64 s[8:9], 0, v[40:41]
	v_mul_f64 v[42:43], v[40:41], v[36:37]
	v_mul_f64 v[36:37], v[36:37], 0.5
	v_fma_f64 v[44:45], -v[36:37], v[42:43], 0.5
	v_fmac_f64_e32 v[42:43], v[42:43], v[44:45]
	v_fmac_f64_e32 v[36:37], v[36:37], v[44:45]
	v_fma_f64 v[44:45], -v[42:43], v[42:43], v[40:41]
	v_fmac_f64_e32 v[42:43], v[44:45], v[36:37]
	v_cndmask_b32_e64 v37, v43, v41, s[8:9]
	v_cndmask_b32_e64 v36, v42, v40, s[8:9]
	v_add_f64 v[56:57], v[36:37], v[36:37]
	v_rcp_f64_e32 v[58:59], v[56:57]
	v_mul_f64 v[42:43], v[36:37], v[36:37]
	v_add_f64 v[46:47], v[40:41], -v[42:43]
	v_add_f64 v[40:41], v[40:41], -v[46:47]
	v_fma_f64 v[44:45], v[36:37], v[36:37], -v[42:43]
	v_add_f64 v[40:41], v[40:41], -v[42:43]
	v_fma_f64 v[42:43], -v[56:57], v[58:59], 1.0
	v_fmac_f64_e32 v[58:59], v[42:43], v[58:59]
	v_add_f64 v[40:41], v[40:41], -v[44:45]
	v_fma_f64 v[42:43], -v[56:57], v[58:59], 1.0
	v_add_f64 v[40:41], v[46:47], v[40:41]
	v_fmac_f64_e32 v[58:59], v[42:43], v[58:59]
	v_mul_f64 v[42:43], v[40:41], v[58:59]
	v_fma_f64 v[40:41], -v[56:57], v[42:43], v[40:41]
	v_fmac_f64_e32 v[42:43], v[40:41], v[58:59]
	v_cndmask_b32_e64 v41, v43, 0, s[8:9]
	v_cndmask_b32_e64 v40, v42, 0, s[8:9]
	v_add_f64 v[42:43], v[36:37], v[40:41]
	v_add_f64 v[36:37], v[42:43], -v[36:37]
	v_add_f64 v[36:37], v[40:41], -v[36:37]
	v_mul_f64 v[40:41], v[38:39], v[42:43]
	v_fma_f64 v[44:45], v[42:43], v[38:39], -v[40:41]
	v_fmac_f64_e32 v[44:45], v[36:37], v[38:39]
	v_add_f64 v[38:39], v[40:41], v[44:45]
	v_add_f64 v[40:41], v[38:39], -v[40:41]
	v_add_f64 v[40:41], v[44:45], -v[40:41]
	v_add_f64 v[44:45], v[42:43], v[38:39]
	v_add_f64 v[42:43], v[44:45], -v[42:43]
	v_add_f64 v[38:39], v[38:39], -v[42:43]
	v_add_f64 v[36:37], v[36:37], v[40:41]
	v_add_f64 v[36:37], v[36:37], v[38:39]
	;; [unrolled: 1-line block ×3, first 2 shown]
	v_add_f64 v[42:43], -v[38:39], s[22:23]
	v_add_f64 v[40:41], v[38:39], -v[44:45]
	v_add_f64 v[44:45], -v[42:43], s[22:23]
	v_add_f64 v[38:39], v[44:45], -v[38:39]
	v_add_f64 v[38:39], v[38:39], s[24:25]
	v_add_f64 v[36:37], v[40:41], -v[36:37]
	v_add_f64 v[36:37], v[36:37], v[38:39]
	v_add_f64 v[36:37], v[42:43], v[36:37]
	;; [unrolled: 1-line block ×3, first 2 shown]
	v_cmp_neq_f64_e64 s[8:9], |v[30:31]|, 1.0
	v_cndmask_b32_e64 v37, v53, v37, s[8:9]
	v_cndmask_b32_e64 v36, v54, v36, s[8:9]
.LBB60_14:                              ;   in Loop: Header=BB60_4 Depth=1
	s_or_b64 exec, exec, s[26:27]
	v_fma_f64 v[40:41], |v[28:29]|, -0.5, 0.5
	v_mul_f64 v[38:39], v[28:29], v[28:29]
	v_cmp_ge_f64_e64 s[8:9], |v[28:29]|, 0.5
	v_cndmask_b32_e64 v39, v39, v41, s[8:9]
	v_cndmask_b32_e64 v38, v38, v40, s[8:9]
	v_fma_f64 v[42:43], s[20:21], v[38:39], v[6:7]
	v_fma_f64 v[42:43], v[38:39], v[42:43], v[8:9]
	;; [unrolled: 1-line block ×8, first 2 shown]
	v_pk_mov_b32 v[44:45], v[22:23], v[22:23] op_sel:[0,1]
	v_fmac_f64_e32 v[44:45], v[38:39], v[42:43]
	v_pk_mov_b32 v[42:43], v[24:25], v[24:25] op_sel:[0,1]
	v_fmac_f64_e32 v[42:43], v[38:39], v[44:45]
	;; [unrolled: 2-line block ×3, first 2 shown]
	v_mul_f64 v[42:43], v[38:39], v[44:45]
	v_fma_f64 v[38:39], |v[28:29]|, v[42:43], |v[28:29]|
	s_and_saveexec_b64 s[26:27], s[8:9]
	s_cbranch_execz .LBB60_16
; %bb.15:                               ;   in Loop: Header=BB60_4 Depth=1
	v_rsq_f64_e32 v[38:39], v[40:41]
	v_cmp_eq_f64_e64 s[8:9], 0, v[40:41]
	v_mul_f64 v[44:45], v[40:41], v[38:39]
	v_mul_f64 v[38:39], v[38:39], 0.5
	v_fma_f64 v[46:47], -v[38:39], v[44:45], 0.5
	v_fmac_f64_e32 v[44:45], v[44:45], v[46:47]
	v_fmac_f64_e32 v[38:39], v[38:39], v[46:47]
	v_fma_f64 v[46:47], -v[44:45], v[44:45], v[40:41]
	v_fmac_f64_e32 v[44:45], v[46:47], v[38:39]
	v_cndmask_b32_e64 v39, v45, v41, s[8:9]
	v_cndmask_b32_e64 v38, v44, v40, s[8:9]
	v_add_f64 v[58:59], v[38:39], v[38:39]
	v_rcp_f64_e32 v[60:61], v[58:59]
	v_mul_f64 v[44:45], v[38:39], v[38:39]
	v_add_f64 v[56:57], v[40:41], -v[44:45]
	v_add_f64 v[40:41], v[40:41], -v[56:57]
	v_fma_f64 v[46:47], v[38:39], v[38:39], -v[44:45]
	v_add_f64 v[40:41], v[40:41], -v[44:45]
	v_fma_f64 v[44:45], -v[58:59], v[60:61], 1.0
	v_fmac_f64_e32 v[60:61], v[44:45], v[60:61]
	v_add_f64 v[40:41], v[40:41], -v[46:47]
	v_fma_f64 v[44:45], -v[58:59], v[60:61], 1.0
	v_add_f64 v[40:41], v[56:57], v[40:41]
	v_fmac_f64_e32 v[60:61], v[44:45], v[60:61]
	v_mul_f64 v[44:45], v[40:41], v[60:61]
	v_fma_f64 v[40:41], -v[58:59], v[44:45], v[40:41]
	v_fmac_f64_e32 v[44:45], v[40:41], v[60:61]
	v_cndmask_b32_e64 v41, v45, 0, s[8:9]
	v_cndmask_b32_e64 v40, v44, 0, s[8:9]
	v_add_f64 v[44:45], v[38:39], v[40:41]
	v_add_f64 v[38:39], v[44:45], -v[38:39]
	v_add_f64 v[38:39], v[40:41], -v[38:39]
	v_mul_f64 v[40:41], v[42:43], v[44:45]
	v_fma_f64 v[46:47], v[44:45], v[42:43], -v[40:41]
	v_fmac_f64_e32 v[46:47], v[38:39], v[42:43]
	v_add_f64 v[42:43], v[40:41], v[46:47]
	v_add_f64 v[40:41], v[42:43], -v[40:41]
	v_add_f64 v[40:41], v[46:47], -v[40:41]
	v_add_f64 v[46:47], v[44:45], v[42:43]
	v_add_f64 v[44:45], v[46:47], -v[44:45]
	v_add_f64 v[42:43], v[42:43], -v[44:45]
	v_add_f64 v[38:39], v[38:39], v[40:41]
	v_add_f64 v[38:39], v[38:39], v[42:43]
	;; [unrolled: 1-line block ×3, first 2 shown]
	v_add_f64 v[44:45], -v[40:41], s[22:23]
	v_add_f64 v[42:43], v[40:41], -v[46:47]
	v_add_f64 v[46:47], -v[44:45], s[22:23]
	v_add_f64 v[40:41], v[46:47], -v[40:41]
	v_add_f64 v[40:41], v[40:41], s[24:25]
	v_add_f64 v[38:39], v[42:43], -v[38:39]
	v_add_f64 v[38:39], v[38:39], v[40:41]
	v_add_f64 v[38:39], v[44:45], v[38:39]
	;; [unrolled: 1-line block ×3, first 2 shown]
	v_cmp_neq_f64_e64 s[8:9], |v[28:29]|, 1.0
	v_cndmask_b32_e64 v39, v53, v39, s[8:9]
	v_cndmask_b32_e64 v38, v54, v38, s[8:9]
.LBB60_16:                              ;   in Loop: Header=BB60_4 Depth=1
	s_or_b64 exec, exec, s[26:27]
	v_fma_f64 v[42:43], |v[34:35]|, -0.5, 0.5
	v_mul_f64 v[40:41], v[34:35], v[34:35]
	v_cmp_ge_f64_e64 s[8:9], |v[34:35]|, 0.5
	v_cndmask_b32_e64 v41, v41, v43, s[8:9]
	v_cndmask_b32_e64 v40, v40, v42, s[8:9]
	v_pk_mov_b32 v[44:45], v[6:7], v[6:7] op_sel:[0,1]
	v_fmac_f64_e32 v[44:45], s[20:21], v[40:41]
	v_pk_mov_b32 v[46:47], v[8:9], v[8:9] op_sel:[0,1]
	v_fmac_f64_e32 v[46:47], v[40:41], v[44:45]
	v_pk_mov_b32 v[44:45], v[10:11], v[10:11] op_sel:[0,1]
	v_fmac_f64_e32 v[44:45], v[40:41], v[46:47]
	v_pk_mov_b32 v[46:47], v[12:13], v[12:13] op_sel:[0,1]
	v_fmac_f64_e32 v[46:47], v[40:41], v[44:45]
	v_pk_mov_b32 v[44:45], v[14:15], v[14:15] op_sel:[0,1]
	v_fmac_f64_e32 v[44:45], v[40:41], v[46:47]
	v_pk_mov_b32 v[46:47], v[16:17], v[16:17] op_sel:[0,1]
	v_fmac_f64_e32 v[46:47], v[40:41], v[44:45]
	v_pk_mov_b32 v[44:45], v[18:19], v[18:19] op_sel:[0,1]
	v_fmac_f64_e32 v[44:45], v[40:41], v[46:47]
	v_pk_mov_b32 v[46:47], v[20:21], v[20:21] op_sel:[0,1]
	v_fmac_f64_e32 v[46:47], v[40:41], v[44:45]
	v_fma_f64 v[44:45], v[40:41], v[46:47], v[22:23]
	v_fma_f64 v[44:45], v[40:41], v[44:45], v[24:25]
	;; [unrolled: 1-line block ×3, first 2 shown]
	v_mul_f64 v[44:45], v[40:41], v[44:45]
	v_fma_f64 v[40:41], |v[34:35]|, v[44:45], |v[34:35]|
	s_and_saveexec_b64 s[26:27], s[8:9]
	s_cbranch_execz .LBB60_18
; %bb.17:                               ;   in Loop: Header=BB60_4 Depth=1
	v_rsq_f64_e32 v[40:41], v[42:43]
	v_cmp_eq_f64_e64 s[8:9], 0, v[42:43]
	v_mul_f64 v[46:47], v[42:43], v[40:41]
	v_mul_f64 v[40:41], v[40:41], 0.5
	v_fma_f64 v[56:57], -v[40:41], v[46:47], 0.5
	v_fmac_f64_e32 v[46:47], v[46:47], v[56:57]
	v_fmac_f64_e32 v[40:41], v[40:41], v[56:57]
	v_fma_f64 v[56:57], -v[46:47], v[46:47], v[42:43]
	v_fmac_f64_e32 v[46:47], v[56:57], v[40:41]
	v_cndmask_b32_e64 v41, v47, v43, s[8:9]
	v_cndmask_b32_e64 v40, v46, v42, s[8:9]
	v_add_f64 v[60:61], v[40:41], v[40:41]
	v_rcp_f64_e32 v[62:63], v[60:61]
	v_mul_f64 v[46:47], v[40:41], v[40:41]
	v_add_f64 v[58:59], v[42:43], -v[46:47]
	v_add_f64 v[42:43], v[42:43], -v[58:59]
	v_fma_f64 v[56:57], v[40:41], v[40:41], -v[46:47]
	v_add_f64 v[42:43], v[42:43], -v[46:47]
	v_fma_f64 v[46:47], -v[60:61], v[62:63], 1.0
	v_fmac_f64_e32 v[62:63], v[46:47], v[62:63]
	v_add_f64 v[42:43], v[42:43], -v[56:57]
	v_fma_f64 v[46:47], -v[60:61], v[62:63], 1.0
	v_add_f64 v[42:43], v[58:59], v[42:43]
	v_fmac_f64_e32 v[62:63], v[46:47], v[62:63]
	v_mul_f64 v[46:47], v[42:43], v[62:63]
	v_fma_f64 v[42:43], -v[60:61], v[46:47], v[42:43]
	v_fmac_f64_e32 v[46:47], v[42:43], v[62:63]
	v_cndmask_b32_e64 v43, v47, 0, s[8:9]
	v_cndmask_b32_e64 v42, v46, 0, s[8:9]
	v_add_f64 v[46:47], v[40:41], v[42:43]
	v_add_f64 v[40:41], v[46:47], -v[40:41]
	v_add_f64 v[40:41], v[42:43], -v[40:41]
	v_mul_f64 v[42:43], v[44:45], v[46:47]
	v_fma_f64 v[56:57], v[46:47], v[44:45], -v[42:43]
	v_fmac_f64_e32 v[56:57], v[40:41], v[44:45]
	v_add_f64 v[44:45], v[42:43], v[56:57]
	v_add_f64 v[42:43], v[44:45], -v[42:43]
	v_add_f64 v[42:43], v[56:57], -v[42:43]
	v_add_f64 v[56:57], v[46:47], v[44:45]
	v_add_f64 v[46:47], v[56:57], -v[46:47]
	v_add_f64 v[44:45], v[44:45], -v[46:47]
	v_add_f64 v[40:41], v[40:41], v[42:43]
	v_add_f64 v[40:41], v[40:41], v[44:45]
	;; [unrolled: 1-line block ×3, first 2 shown]
	v_add_f64 v[46:47], -v[42:43], s[22:23]
	v_add_f64 v[44:45], v[42:43], -v[56:57]
	v_add_f64 v[56:57], -v[46:47], s[22:23]
	v_add_f64 v[42:43], v[56:57], -v[42:43]
	v_add_f64 v[42:43], v[42:43], s[24:25]
	v_add_f64 v[40:41], v[44:45], -v[40:41]
	v_add_f64 v[40:41], v[40:41], v[42:43]
	v_add_f64 v[40:41], v[46:47], v[40:41]
	;; [unrolled: 1-line block ×3, first 2 shown]
	v_cmp_neq_f64_e64 s[8:9], |v[34:35]|, 1.0
	v_cndmask_b32_e64 v41, v53, v41, s[8:9]
	v_cndmask_b32_e64 v40, v54, v40, s[8:9]
.LBB60_18:                              ;   in Loop: Header=BB60_4 Depth=1
	s_or_b64 exec, exec, s[26:27]
	v_fma_f64 v[44:45], |v[32:33]|, -0.5, 0.5
	v_mul_f64 v[42:43], v[32:33], v[32:33]
	v_cmp_ge_f64_e64 s[8:9], |v[32:33]|, 0.5
	v_cndmask_b32_e64 v43, v43, v45, s[8:9]
	v_cndmask_b32_e64 v42, v42, v44, s[8:9]
	v_pk_mov_b32 v[46:47], v[6:7], v[6:7] op_sel:[0,1]
	v_fmac_f64_e32 v[46:47], s[20:21], v[42:43]
	v_pk_mov_b32 v[56:57], v[8:9], v[8:9] op_sel:[0,1]
	v_fmac_f64_e32 v[56:57], v[42:43], v[46:47]
	v_pk_mov_b32 v[46:47], v[10:11], v[10:11] op_sel:[0,1]
	v_fmac_f64_e32 v[46:47], v[42:43], v[56:57]
	v_pk_mov_b32 v[56:57], v[12:13], v[12:13] op_sel:[0,1]
	v_fmac_f64_e32 v[56:57], v[42:43], v[46:47]
	v_pk_mov_b32 v[46:47], v[14:15], v[14:15] op_sel:[0,1]
	v_fmac_f64_e32 v[46:47], v[42:43], v[56:57]
	v_pk_mov_b32 v[56:57], v[16:17], v[16:17] op_sel:[0,1]
	v_fmac_f64_e32 v[56:57], v[42:43], v[46:47]
	v_pk_mov_b32 v[46:47], v[18:19], v[18:19] op_sel:[0,1]
	v_fmac_f64_e32 v[46:47], v[42:43], v[56:57]
	v_pk_mov_b32 v[56:57], v[20:21], v[20:21] op_sel:[0,1]
	v_fmac_f64_e32 v[56:57], v[42:43], v[46:47]
	v_pk_mov_b32 v[46:47], v[22:23], v[22:23] op_sel:[0,1]
	v_fmac_f64_e32 v[46:47], v[42:43], v[56:57]
	v_pk_mov_b32 v[56:57], v[24:25], v[24:25] op_sel:[0,1]
	v_fmac_f64_e32 v[56:57], v[42:43], v[46:47]
	v_pk_mov_b32 v[46:47], v[26:27], v[26:27] op_sel:[0,1]
	v_fmac_f64_e32 v[46:47], v[42:43], v[56:57]
	v_mul_f64 v[46:47], v[42:43], v[46:47]
	v_fma_f64 v[42:43], |v[32:33]|, v[46:47], |v[32:33]|
	s_and_saveexec_b64 s[26:27], s[8:9]
	s_cbranch_execnz .LBB60_23
; %bb.19:                               ;   in Loop: Header=BB60_4 Depth=1
	s_or_b64 exec, exec, s[26:27]
	s_and_saveexec_b64 s[8:9], vcc
	s_xor_b64 s[8:9], exec, s[8:9]
	s_cbranch_execnz .LBB60_24
.LBB60_20:                              ;   in Loop: Header=BB60_4 Depth=1
	s_or_b64 exec, exec, s[8:9]
	s_and_saveexec_b64 s[8:9], s[0:1]
	s_cbranch_execnz .LBB60_25
.LBB60_21:                              ;   in Loop: Header=BB60_4 Depth=1
	s_or_b64 exec, exec, s[8:9]
	s_and_saveexec_b64 s[0:1], s[2:3]
	s_cbranch_execnz .LBB60_26
.LBB60_22:                              ;   in Loop: Header=BB60_4 Depth=1
	s_or_b64 exec, exec, s[0:1]
	s_and_saveexec_b64 s[0:1], s[6:7]
	s_cbranch_execz .LBB60_3
	s_branch .LBB60_27
.LBB60_23:                              ;   in Loop: Header=BB60_4 Depth=1
	v_rsq_f64_e32 v[42:43], v[44:45]
	v_cmp_eq_f64_e64 s[8:9], 0, v[44:45]
	v_mul_f64 v[56:57], v[44:45], v[42:43]
	v_mul_f64 v[42:43], v[42:43], 0.5
	v_fma_f64 v[58:59], -v[42:43], v[56:57], 0.5
	v_fmac_f64_e32 v[56:57], v[56:57], v[58:59]
	v_fmac_f64_e32 v[42:43], v[42:43], v[58:59]
	v_fma_f64 v[58:59], -v[56:57], v[56:57], v[44:45]
	v_fmac_f64_e32 v[56:57], v[58:59], v[42:43]
	v_cndmask_b32_e64 v43, v57, v45, s[8:9]
	v_cndmask_b32_e64 v42, v56, v44, s[8:9]
	v_add_f64 v[62:63], v[42:43], v[42:43]
	v_rcp_f64_e32 v[64:65], v[62:63]
	v_mul_f64 v[56:57], v[42:43], v[42:43]
	v_add_f64 v[60:61], v[44:45], -v[56:57]
	v_add_f64 v[44:45], v[44:45], -v[60:61]
	v_fma_f64 v[58:59], v[42:43], v[42:43], -v[56:57]
	v_add_f64 v[44:45], v[44:45], -v[56:57]
	v_fma_f64 v[56:57], -v[62:63], v[64:65], 1.0
	v_fmac_f64_e32 v[64:65], v[56:57], v[64:65]
	v_add_f64 v[44:45], v[44:45], -v[58:59]
	v_fma_f64 v[56:57], -v[62:63], v[64:65], 1.0
	v_add_f64 v[44:45], v[60:61], v[44:45]
	v_fmac_f64_e32 v[64:65], v[56:57], v[64:65]
	v_mul_f64 v[56:57], v[44:45], v[64:65]
	v_fma_f64 v[44:45], -v[62:63], v[56:57], v[44:45]
	v_fmac_f64_e32 v[56:57], v[44:45], v[64:65]
	v_cndmask_b32_e64 v45, v57, 0, s[8:9]
	v_cndmask_b32_e64 v44, v56, 0, s[8:9]
	v_add_f64 v[56:57], v[42:43], v[44:45]
	v_add_f64 v[42:43], v[56:57], -v[42:43]
	v_add_f64 v[42:43], v[44:45], -v[42:43]
	v_mul_f64 v[44:45], v[46:47], v[56:57]
	v_fma_f64 v[58:59], v[56:57], v[46:47], -v[44:45]
	v_fmac_f64_e32 v[58:59], v[42:43], v[46:47]
	v_add_f64 v[46:47], v[44:45], v[58:59]
	v_add_f64 v[44:45], v[46:47], -v[44:45]
	v_add_f64 v[44:45], v[58:59], -v[44:45]
	v_add_f64 v[58:59], v[56:57], v[46:47]
	v_add_f64 v[56:57], v[58:59], -v[56:57]
	v_add_f64 v[46:47], v[46:47], -v[56:57]
	v_add_f64 v[42:43], v[42:43], v[44:45]
	v_add_f64 v[42:43], v[42:43], v[46:47]
	;; [unrolled: 1-line block ×3, first 2 shown]
	v_add_f64 v[56:57], -v[44:45], s[22:23]
	v_add_f64 v[46:47], v[44:45], -v[58:59]
	v_add_f64 v[58:59], -v[56:57], s[22:23]
	v_add_f64 v[44:45], v[58:59], -v[44:45]
	v_add_f64 v[44:45], v[44:45], s[24:25]
	v_add_f64 v[42:43], v[46:47], -v[42:43]
	v_add_f64 v[42:43], v[42:43], v[44:45]
	v_add_f64 v[42:43], v[56:57], v[42:43]
	;; [unrolled: 1-line block ×3, first 2 shown]
	v_cmp_neq_f64_e64 s[8:9], |v[32:33]|, 1.0
	v_cndmask_b32_e64 v43, v53, v43, s[8:9]
	v_cndmask_b32_e64 v42, v54, v42, s[8:9]
	s_or_b64 exec, exec, s[26:27]
	s_and_saveexec_b64 s[8:9], vcc
	s_xor_b64 s[8:9], exec, s[8:9]
	s_cbranch_execz .LBB60_20
.LBB60_24:                              ;   in Loop: Header=BB60_4 Depth=1
	v_bfi_b32 v37, s36, v37, v31
	global_store_dwordx2 v[2:3], v[36:37], off
	s_or_b64 exec, exec, s[8:9]
	s_and_saveexec_b64 s[8:9], s[0:1]
	s_cbranch_execz .LBB60_21
.LBB60_25:                              ;   in Loop: Header=BB60_4 Depth=1
	v_bfi_b32 v39, s36, v39, v29
	global_store_dwordx2 v[4:5], v[38:39], off
	s_or_b64 exec, exec, s[8:9]
	s_and_saveexec_b64 s[0:1], s[2:3]
	s_cbranch_execz .LBB60_22
.LBB60_26:                              ;   in Loop: Header=BB60_4 Depth=1
	v_mov_b32_e32 v29, s35
	v_add_co_u32_e32 v28, vcc, s34, v2
	v_bfi_b32 v41, s36, v41, v35
	v_addc_co_u32_e32 v29, vcc, v3, v29, vcc
	global_store_dwordx2 v[28:29], v[40:41], off
	s_or_b64 exec, exec, s[0:1]
	s_and_saveexec_b64 s[0:1], s[6:7]
	s_cbranch_execz .LBB60_3
.LBB60_27:                              ;   in Loop: Header=BB60_4 Depth=1
	v_mov_b32_e32 v29, s33
	v_add_co_u32_e32 v28, vcc, s31, v2
	v_bfi_b32 v43, s36, v43, v33
	v_addc_co_u32_e32 v29, vcc, v3, v29, vcc
	global_store_dwordx2 v[28:29], v[42:43], off
	s_branch .LBB60_3
.LBB60_28:
	s_cbranch_execz .LBB60_30
	s_branch .LBB60_41
.LBB60_29:
.LBB60_30:
	v_mov_b32_e32 v17, 0
	v_lshlrev_b32_e32 v16, 2, v0
	s_mov_b32 s16, 0
	v_cmp_gt_i64_e32 vcc, s[10:11], v[16:17]
	s_and_saveexec_b64 s[0:1], vcc
	s_cbranch_execz .LBB60_41
; %bb.31:
	s_load_dword s0, s[4:5], 0xd3c
	v_lshlrev_b32_e32 v1, 5, v0
	s_mov_b32 s4, 0x9fea6a70
	s_mov_b32 s6, 0x54442d18
	s_mov_b32 s8, 0x33145c07
	s_waitcnt lgkmcnt(0)
	s_and_b32 s0, s0, 0xffff
	s_lshl_b32 s17, s0, 2
	s_add_u32 s1, s12, s14
	s_addc_u32 s2, s13, s15
	v_add_lshl_u32 v16, v0, s0, 2
	v_mov_b32_e32 v0, s2
	v_add_co_u32_e32 v1, vcc, s1, v1
	v_addc_co_u32_e32 v0, vcc, 0, v0, vcc
	v_add_co_u32_e32 v18, vcc, 16, v1
	v_addc_co_u32_e32 v19, vcc, 0, v0, vcc
	s_lshl_b32 s14, s0, 5
	s_mov_b32 s15, s16
	s_mov_b64 s[2:3], 0
	v_mov_b32_e32 v20, 0x78a05eaf
	v_mov_b32_e32 v21, 0xbf90a5a3
	s_mov_b32 s5, 0x3fa05985
	v_mov_b32_e32 v22, 0x37024d6a
	v_mov_b32_e32 v23, 0x3f940521
	;; [unrolled: 1-line block ×20, first 2 shown]
	s_mov_b32 s7, 0x3fe921fb
	s_mov_b32 s9, 0x3c81a626
	s_brev_b32 s18, -2
	s_mov_b64 s[12:13], 0xffff
	v_mov_b32_e32 v46, 0x3ff921fb
	v_mov_b32_e32 v47, 0x54442d18
	s_branch .LBB60_33
.LBB60_32:                              ;   in Loop: Header=BB60_33 Depth=1
	s_or_b64 exec, exec, s[0:1]
	v_cmp_le_i64_e32 vcc, s[10:11], v[16:17]
	v_cmp_lt_u64_e64 s[0:1], s[12:13], v[16:17]
	s_or_b64 s[0:1], vcc, s[0:1]
	v_mov_b32_e32 v0, s16
	v_add_co_u32_e32 v16, vcc, s17, v16
	v_bfi_b32 v11, s18, v11, v7
	v_bfi_b32 v9, s18, v9, v5
	v_addc_co_u32_e32 v17, vcc, v17, v0, vcc
	v_bfi_b32 v13, s18, v13, v1
	v_bfi_b32 v15, s18, v15, v3
	global_store_dwordx4 v[18:19], v[8:11], off offset:-16
	global_store_dwordx4 v[18:19], v[12:15], off
	v_mov_b32_e32 v0, s15
	s_and_b64 s[0:1], exec, s[0:1]
	v_add_co_u32_e32 v18, vcc, s14, v18
	s_or_b64 s[2:3], s[0:1], s[2:3]
	v_addc_co_u32_e32 v19, vcc, v19, v0, vcc
	s_andn2_b64 exec, exec, s[2:3]
	s_cbranch_execz .LBB60_41
.LBB60_33:                              ; =>This Inner Loop Header: Depth=1
	global_load_dwordx4 v[4:7], v[18:19], off offset:-16
	global_load_dwordx4 v[0:3], v[18:19], off
	s_waitcnt vmcnt(1)
	v_fma_f64 v[12:13], |v[4:5]|, -0.5, 0.5
	v_mul_f64 v[8:9], v[4:5], v[4:5]
	v_cmp_ge_f64_e64 vcc, |v[4:5]|, 0.5
	v_cndmask_b32_e32 v9, v9, v13, vcc
	v_cndmask_b32_e32 v8, v8, v12, vcc
	v_fma_f64 v[10:11], s[4:5], v[8:9], v[20:21]
	v_fma_f64 v[10:11], v[8:9], v[10:11], v[22:23]
	;; [unrolled: 1-line block ×11, first 2 shown]
	v_mul_f64 v[10:11], v[8:9], v[10:11]
	v_fma_f64 v[8:9], |v[4:5]|, v[10:11], |v[4:5]|
	s_and_saveexec_b64 s[0:1], vcc
	s_cbranch_execz .LBB60_35
; %bb.34:                               ;   in Loop: Header=BB60_33 Depth=1
	v_rsq_f64_e32 v[8:9], v[12:13]
	v_cmp_eq_f64_e32 vcc, 0, v[12:13]
	v_mul_f64 v[14:15], v[12:13], v[8:9]
	v_mul_f64 v[8:9], v[8:9], 0.5
	v_fma_f64 v[42:43], -v[8:9], v[14:15], 0.5
	v_fmac_f64_e32 v[14:15], v[14:15], v[42:43]
	v_fmac_f64_e32 v[8:9], v[8:9], v[42:43]
	v_fma_f64 v[42:43], -v[14:15], v[14:15], v[12:13]
	v_fmac_f64_e32 v[14:15], v[42:43], v[8:9]
	v_cndmask_b32_e32 v9, v15, v13, vcc
	v_cndmask_b32_e32 v8, v14, v12, vcc
	v_add_f64 v[48:49], v[8:9], v[8:9]
	v_rcp_f64_e32 v[50:51], v[48:49]
	v_mul_f64 v[14:15], v[8:9], v[8:9]
	v_add_f64 v[44:45], v[12:13], -v[14:15]
	v_add_f64 v[12:13], v[12:13], -v[44:45]
	v_fma_f64 v[42:43], v[8:9], v[8:9], -v[14:15]
	v_add_f64 v[12:13], v[12:13], -v[14:15]
	v_fma_f64 v[14:15], -v[48:49], v[50:51], 1.0
	v_fmac_f64_e32 v[50:51], v[14:15], v[50:51]
	v_add_f64 v[12:13], v[12:13], -v[42:43]
	v_fma_f64 v[14:15], -v[48:49], v[50:51], 1.0
	v_add_f64 v[12:13], v[44:45], v[12:13]
	v_fmac_f64_e32 v[50:51], v[14:15], v[50:51]
	v_mul_f64 v[14:15], v[12:13], v[50:51]
	v_fma_f64 v[12:13], -v[48:49], v[14:15], v[12:13]
	v_fmac_f64_e32 v[14:15], v[12:13], v[50:51]
	v_cndmask_b32_e64 v13, v15, 0, vcc
	v_cndmask_b32_e64 v12, v14, 0, vcc
	v_add_f64 v[14:15], v[8:9], v[12:13]
	v_add_f64 v[8:9], v[14:15], -v[8:9]
	v_add_f64 v[8:9], v[12:13], -v[8:9]
	v_mul_f64 v[12:13], v[10:11], v[14:15]
	v_fma_f64 v[42:43], v[14:15], v[10:11], -v[12:13]
	v_fmac_f64_e32 v[42:43], v[8:9], v[10:11]
	v_add_f64 v[10:11], v[12:13], v[42:43]
	v_add_f64 v[12:13], v[10:11], -v[12:13]
	v_add_f64 v[12:13], v[42:43], -v[12:13]
	v_add_f64 v[42:43], v[14:15], v[10:11]
	v_add_f64 v[14:15], v[42:43], -v[14:15]
	v_add_f64 v[10:11], v[10:11], -v[14:15]
	v_add_f64 v[8:9], v[8:9], v[12:13]
	v_add_f64 v[8:9], v[8:9], v[10:11]
	;; [unrolled: 1-line block ×3, first 2 shown]
	v_add_f64 v[14:15], -v[10:11], s[6:7]
	v_add_f64 v[12:13], v[10:11], -v[42:43]
	v_add_f64 v[42:43], -v[14:15], s[6:7]
	v_add_f64 v[10:11], v[42:43], -v[10:11]
	v_add_f64 v[10:11], v[10:11], s[8:9]
	v_add_f64 v[8:9], v[12:13], -v[8:9]
	v_add_f64 v[8:9], v[8:9], v[10:11]
	v_add_f64 v[8:9], v[14:15], v[8:9]
	;; [unrolled: 1-line block ×3, first 2 shown]
	v_cmp_neq_f64_e64 vcc, |v[4:5]|, 1.0
	v_cndmask_b32_e32 v9, v46, v9, vcc
	v_cndmask_b32_e32 v8, v47, v8, vcc
.LBB60_35:                              ;   in Loop: Header=BB60_33 Depth=1
	s_or_b64 exec, exec, s[0:1]
	v_fma_f64 v[12:13], |v[6:7]|, -0.5, 0.5
	v_mul_f64 v[10:11], v[6:7], v[6:7]
	v_cmp_ge_f64_e64 vcc, |v[6:7]|, 0.5
	v_cndmask_b32_e32 v11, v11, v13, vcc
	v_cndmask_b32_e32 v10, v10, v12, vcc
	v_fma_f64 v[14:15], s[4:5], v[10:11], v[20:21]
	v_fma_f64 v[14:15], v[10:11], v[14:15], v[22:23]
	;; [unrolled: 1-line block ×11, first 2 shown]
	v_mul_f64 v[14:15], v[10:11], v[14:15]
	v_fma_f64 v[10:11], |v[6:7]|, v[14:15], |v[6:7]|
	s_and_saveexec_b64 s[0:1], vcc
	s_cbranch_execz .LBB60_37
; %bb.36:                               ;   in Loop: Header=BB60_33 Depth=1
	v_rsq_f64_e32 v[10:11], v[12:13]
	v_cmp_eq_f64_e32 vcc, 0, v[12:13]
	v_mul_f64 v[42:43], v[12:13], v[10:11]
	v_mul_f64 v[10:11], v[10:11], 0.5
	v_fma_f64 v[44:45], -v[10:11], v[42:43], 0.5
	v_fmac_f64_e32 v[42:43], v[42:43], v[44:45]
	v_fmac_f64_e32 v[10:11], v[10:11], v[44:45]
	v_fma_f64 v[44:45], -v[42:43], v[42:43], v[12:13]
	v_fmac_f64_e32 v[42:43], v[44:45], v[10:11]
	v_cndmask_b32_e32 v11, v43, v13, vcc
	v_cndmask_b32_e32 v10, v42, v12, vcc
	v_add_f64 v[50:51], v[10:11], v[10:11]
	v_rcp_f64_e32 v[52:53], v[50:51]
	v_mul_f64 v[42:43], v[10:11], v[10:11]
	v_add_f64 v[48:49], v[12:13], -v[42:43]
	v_add_f64 v[12:13], v[12:13], -v[48:49]
	v_fma_f64 v[44:45], v[10:11], v[10:11], -v[42:43]
	v_add_f64 v[12:13], v[12:13], -v[42:43]
	v_fma_f64 v[42:43], -v[50:51], v[52:53], 1.0
	v_fmac_f64_e32 v[52:53], v[42:43], v[52:53]
	v_add_f64 v[12:13], v[12:13], -v[44:45]
	v_fma_f64 v[42:43], -v[50:51], v[52:53], 1.0
	v_add_f64 v[12:13], v[48:49], v[12:13]
	v_fmac_f64_e32 v[52:53], v[42:43], v[52:53]
	v_mul_f64 v[42:43], v[12:13], v[52:53]
	v_fma_f64 v[12:13], -v[50:51], v[42:43], v[12:13]
	v_fmac_f64_e32 v[42:43], v[12:13], v[52:53]
	v_cndmask_b32_e64 v13, v43, 0, vcc
	v_cndmask_b32_e64 v12, v42, 0, vcc
	v_add_f64 v[42:43], v[10:11], v[12:13]
	v_add_f64 v[10:11], v[42:43], -v[10:11]
	v_add_f64 v[10:11], v[12:13], -v[10:11]
	v_mul_f64 v[12:13], v[14:15], v[42:43]
	v_fma_f64 v[44:45], v[42:43], v[14:15], -v[12:13]
	v_fmac_f64_e32 v[44:45], v[10:11], v[14:15]
	v_add_f64 v[14:15], v[12:13], v[44:45]
	v_add_f64 v[12:13], v[14:15], -v[12:13]
	v_add_f64 v[12:13], v[44:45], -v[12:13]
	v_add_f64 v[44:45], v[42:43], v[14:15]
	v_add_f64 v[42:43], v[44:45], -v[42:43]
	v_add_f64 v[14:15], v[14:15], -v[42:43]
	v_add_f64 v[10:11], v[10:11], v[12:13]
	v_add_f64 v[10:11], v[10:11], v[14:15]
	;; [unrolled: 1-line block ×3, first 2 shown]
	v_add_f64 v[42:43], -v[12:13], s[6:7]
	v_add_f64 v[14:15], v[12:13], -v[44:45]
	v_add_f64 v[44:45], -v[42:43], s[6:7]
	v_add_f64 v[12:13], v[44:45], -v[12:13]
	v_add_f64 v[12:13], v[12:13], s[8:9]
	v_add_f64 v[10:11], v[14:15], -v[10:11]
	v_add_f64 v[10:11], v[10:11], v[12:13]
	v_add_f64 v[10:11], v[42:43], v[10:11]
	;; [unrolled: 1-line block ×3, first 2 shown]
	v_cmp_neq_f64_e64 vcc, |v[6:7]|, 1.0
	v_cndmask_b32_e32 v11, v46, v11, vcc
	v_cndmask_b32_e32 v10, v47, v10, vcc
.LBB60_37:                              ;   in Loop: Header=BB60_33 Depth=1
	s_or_b64 exec, exec, s[0:1]
	s_waitcnt vmcnt(0)
	v_fma_f64 v[14:15], |v[0:1]|, -0.5, 0.5
	v_mul_f64 v[12:13], v[0:1], v[0:1]
	v_cmp_ge_f64_e64 vcc, |v[0:1]|, 0.5
	v_cndmask_b32_e32 v13, v13, v15, vcc
	v_cndmask_b32_e32 v12, v12, v14, vcc
	v_pk_mov_b32 v[42:43], v[20:21], v[20:21] op_sel:[0,1]
	v_fmac_f64_e32 v[42:43], s[4:5], v[12:13]
	v_pk_mov_b32 v[44:45], v[22:23], v[22:23] op_sel:[0,1]
	v_fmac_f64_e32 v[44:45], v[12:13], v[42:43]
	;; [unrolled: 2-line block ×11, first 2 shown]
	v_mul_f64 v[42:43], v[12:13], v[42:43]
	v_fma_f64 v[12:13], |v[0:1]|, v[42:43], |v[0:1]|
	s_and_saveexec_b64 s[0:1], vcc
	s_cbranch_execz .LBB60_39
; %bb.38:                               ;   in Loop: Header=BB60_33 Depth=1
	v_rsq_f64_e32 v[12:13], v[14:15]
	v_cmp_eq_f64_e32 vcc, 0, v[14:15]
	v_mul_f64 v[44:45], v[14:15], v[12:13]
	v_mul_f64 v[12:13], v[12:13], 0.5
	v_fma_f64 v[48:49], -v[12:13], v[44:45], 0.5
	v_fmac_f64_e32 v[44:45], v[44:45], v[48:49]
	v_fmac_f64_e32 v[12:13], v[12:13], v[48:49]
	v_fma_f64 v[48:49], -v[44:45], v[44:45], v[14:15]
	v_fmac_f64_e32 v[44:45], v[48:49], v[12:13]
	v_cndmask_b32_e32 v13, v45, v15, vcc
	v_cndmask_b32_e32 v12, v44, v14, vcc
	v_add_f64 v[52:53], v[12:13], v[12:13]
	v_rcp_f64_e32 v[54:55], v[52:53]
	v_mul_f64 v[44:45], v[12:13], v[12:13]
	v_add_f64 v[50:51], v[14:15], -v[44:45]
	v_add_f64 v[14:15], v[14:15], -v[50:51]
	v_fma_f64 v[48:49], v[12:13], v[12:13], -v[44:45]
	v_add_f64 v[14:15], v[14:15], -v[44:45]
	v_fma_f64 v[44:45], -v[52:53], v[54:55], 1.0
	v_fmac_f64_e32 v[54:55], v[44:45], v[54:55]
	v_add_f64 v[14:15], v[14:15], -v[48:49]
	v_fma_f64 v[44:45], -v[52:53], v[54:55], 1.0
	v_add_f64 v[14:15], v[50:51], v[14:15]
	v_fmac_f64_e32 v[54:55], v[44:45], v[54:55]
	v_mul_f64 v[44:45], v[14:15], v[54:55]
	v_fma_f64 v[14:15], -v[52:53], v[44:45], v[14:15]
	v_fmac_f64_e32 v[44:45], v[14:15], v[54:55]
	v_cndmask_b32_e64 v15, v45, 0, vcc
	v_cndmask_b32_e64 v14, v44, 0, vcc
	v_add_f64 v[44:45], v[12:13], v[14:15]
	v_add_f64 v[12:13], v[44:45], -v[12:13]
	v_add_f64 v[12:13], v[14:15], -v[12:13]
	v_mul_f64 v[14:15], v[42:43], v[44:45]
	v_fma_f64 v[48:49], v[44:45], v[42:43], -v[14:15]
	v_fmac_f64_e32 v[48:49], v[12:13], v[42:43]
	v_add_f64 v[42:43], v[14:15], v[48:49]
	v_add_f64 v[14:15], v[42:43], -v[14:15]
	v_add_f64 v[14:15], v[48:49], -v[14:15]
	v_add_f64 v[48:49], v[44:45], v[42:43]
	v_add_f64 v[44:45], v[48:49], -v[44:45]
	v_add_f64 v[42:43], v[42:43], -v[44:45]
	v_add_f64 v[12:13], v[12:13], v[14:15]
	v_add_f64 v[12:13], v[12:13], v[42:43]
	;; [unrolled: 1-line block ×3, first 2 shown]
	v_add_f64 v[44:45], -v[14:15], s[6:7]
	v_add_f64 v[42:43], v[14:15], -v[48:49]
	v_add_f64 v[48:49], -v[44:45], s[6:7]
	v_add_f64 v[14:15], v[48:49], -v[14:15]
	v_add_f64 v[14:15], v[14:15], s[8:9]
	v_add_f64 v[12:13], v[42:43], -v[12:13]
	v_add_f64 v[12:13], v[12:13], v[14:15]
	v_add_f64 v[12:13], v[44:45], v[12:13]
	;; [unrolled: 1-line block ×3, first 2 shown]
	v_cmp_neq_f64_e64 vcc, |v[0:1]|, 1.0
	v_cndmask_b32_e32 v13, v46, v13, vcc
	v_cndmask_b32_e32 v12, v47, v12, vcc
.LBB60_39:                              ;   in Loop: Header=BB60_33 Depth=1
	s_or_b64 exec, exec, s[0:1]
	v_fma_f64 v[42:43], |v[2:3]|, -0.5, 0.5
	v_mul_f64 v[14:15], v[2:3], v[2:3]
	v_cmp_ge_f64_e64 vcc, |v[2:3]|, 0.5
	v_cndmask_b32_e32 v15, v15, v43, vcc
	v_cndmask_b32_e32 v14, v14, v42, vcc
	v_pk_mov_b32 v[44:45], v[20:21], v[20:21] op_sel:[0,1]
	v_fmac_f64_e32 v[44:45], s[4:5], v[14:15]
	v_pk_mov_b32 v[48:49], v[22:23], v[22:23] op_sel:[0,1]
	v_fmac_f64_e32 v[48:49], v[14:15], v[44:45]
	;; [unrolled: 2-line block ×11, first 2 shown]
	v_mul_f64 v[44:45], v[14:15], v[44:45]
	v_fma_f64 v[14:15], |v[2:3]|, v[44:45], |v[2:3]|
	s_and_saveexec_b64 s[0:1], vcc
	s_cbranch_execz .LBB60_32
; %bb.40:                               ;   in Loop: Header=BB60_33 Depth=1
	v_rsq_f64_e32 v[14:15], v[42:43]
	v_cmp_eq_f64_e32 vcc, 0, v[42:43]
	v_mul_f64 v[48:49], v[42:43], v[14:15]
	v_mul_f64 v[14:15], v[14:15], 0.5
	v_fma_f64 v[50:51], -v[14:15], v[48:49], 0.5
	v_fmac_f64_e32 v[48:49], v[48:49], v[50:51]
	v_fmac_f64_e32 v[14:15], v[14:15], v[50:51]
	v_fma_f64 v[50:51], -v[48:49], v[48:49], v[42:43]
	v_fmac_f64_e32 v[48:49], v[50:51], v[14:15]
	v_cndmask_b32_e32 v15, v49, v43, vcc
	v_cndmask_b32_e32 v14, v48, v42, vcc
	v_add_f64 v[54:55], v[14:15], v[14:15]
	v_rcp_f64_e32 v[56:57], v[54:55]
	v_mul_f64 v[48:49], v[14:15], v[14:15]
	v_add_f64 v[52:53], v[42:43], -v[48:49]
	v_add_f64 v[42:43], v[42:43], -v[52:53]
	v_fma_f64 v[50:51], v[14:15], v[14:15], -v[48:49]
	v_add_f64 v[42:43], v[42:43], -v[48:49]
	v_fma_f64 v[48:49], -v[54:55], v[56:57], 1.0
	v_fmac_f64_e32 v[56:57], v[48:49], v[56:57]
	v_add_f64 v[42:43], v[42:43], -v[50:51]
	v_fma_f64 v[48:49], -v[54:55], v[56:57], 1.0
	v_add_f64 v[42:43], v[52:53], v[42:43]
	v_fmac_f64_e32 v[56:57], v[48:49], v[56:57]
	v_mul_f64 v[48:49], v[42:43], v[56:57]
	v_fma_f64 v[42:43], -v[54:55], v[48:49], v[42:43]
	v_fmac_f64_e32 v[48:49], v[42:43], v[56:57]
	v_cndmask_b32_e64 v43, v49, 0, vcc
	v_cndmask_b32_e64 v42, v48, 0, vcc
	v_add_f64 v[48:49], v[14:15], v[42:43]
	v_add_f64 v[14:15], v[48:49], -v[14:15]
	v_add_f64 v[14:15], v[42:43], -v[14:15]
	v_mul_f64 v[42:43], v[44:45], v[48:49]
	v_fma_f64 v[50:51], v[48:49], v[44:45], -v[42:43]
	v_fmac_f64_e32 v[50:51], v[14:15], v[44:45]
	v_add_f64 v[44:45], v[42:43], v[50:51]
	v_add_f64 v[42:43], v[44:45], -v[42:43]
	v_add_f64 v[42:43], v[50:51], -v[42:43]
	v_add_f64 v[50:51], v[48:49], v[44:45]
	v_add_f64 v[48:49], v[50:51], -v[48:49]
	v_add_f64 v[44:45], v[44:45], -v[48:49]
	v_add_f64 v[14:15], v[14:15], v[42:43]
	v_add_f64 v[14:15], v[14:15], v[44:45]
	;; [unrolled: 1-line block ×3, first 2 shown]
	v_add_f64 v[48:49], -v[42:43], s[6:7]
	v_add_f64 v[44:45], v[42:43], -v[50:51]
	v_add_f64 v[50:51], -v[48:49], s[6:7]
	v_add_f64 v[42:43], v[50:51], -v[42:43]
	v_add_f64 v[42:43], v[42:43], s[8:9]
	v_add_f64 v[14:15], v[44:45], -v[14:15]
	v_add_f64 v[14:15], v[14:15], v[42:43]
	v_add_f64 v[14:15], v[48:49], v[14:15]
	;; [unrolled: 1-line block ×3, first 2 shown]
	v_cmp_neq_f64_e64 vcc, |v[2:3]|, 1.0
	v_cndmask_b32_e32 v15, v46, v15, vcc
	v_cndmask_b32_e32 v14, v47, v14, vcc
	s_branch .LBB60_32
.LBB60_41:
	s_endpgm
	.section	.rodata,"a",@progbits
	.p2align	6, 0x0
	.amdhsa_kernel _ZN2at6native12_GLOBAL__N_125multi_tensor_apply_kernelINS1_18TensorListMetadataILi1EEENS1_14UnaryOpFunctorIdLi1ELi1ELi0EEEJNS0_4AsinIdEEEEEvT_T0_DpT1_
		.amdhsa_group_segment_fixed_size 0
		.amdhsa_private_segment_fixed_size 0
		.amdhsa_kernarg_size 3632
		.amdhsa_user_sgpr_count 6
		.amdhsa_user_sgpr_private_segment_buffer 1
		.amdhsa_user_sgpr_dispatch_ptr 0
		.amdhsa_user_sgpr_queue_ptr 0
		.amdhsa_user_sgpr_kernarg_segment_ptr 1
		.amdhsa_user_sgpr_dispatch_id 0
		.amdhsa_user_sgpr_flat_scratch_init 0
		.amdhsa_user_sgpr_kernarg_preload_length 0
		.amdhsa_user_sgpr_kernarg_preload_offset 0
		.amdhsa_user_sgpr_private_segment_size 0
		.amdhsa_uses_dynamic_stack 0
		.amdhsa_system_sgpr_private_segment_wavefront_offset 0
		.amdhsa_system_sgpr_workgroup_id_x 1
		.amdhsa_system_sgpr_workgroup_id_y 0
		.amdhsa_system_sgpr_workgroup_id_z 0
		.amdhsa_system_sgpr_workgroup_info 0
		.amdhsa_system_vgpr_workitem_id 0
		.amdhsa_next_free_vgpr 66
		.amdhsa_next_free_sgpr 37
		.amdhsa_accum_offset 68
		.amdhsa_reserve_vcc 1
		.amdhsa_reserve_flat_scratch 0
		.amdhsa_float_round_mode_32 0
		.amdhsa_float_round_mode_16_64 0
		.amdhsa_float_denorm_mode_32 3
		.amdhsa_float_denorm_mode_16_64 3
		.amdhsa_dx10_clamp 1
		.amdhsa_ieee_mode 1
		.amdhsa_fp16_overflow 0
		.amdhsa_tg_split 0
		.amdhsa_exception_fp_ieee_invalid_op 0
		.amdhsa_exception_fp_denorm_src 0
		.amdhsa_exception_fp_ieee_div_zero 0
		.amdhsa_exception_fp_ieee_overflow 0
		.amdhsa_exception_fp_ieee_underflow 0
		.amdhsa_exception_fp_ieee_inexact 0
		.amdhsa_exception_int_div_zero 0
	.end_amdhsa_kernel
	.section	.text._ZN2at6native12_GLOBAL__N_125multi_tensor_apply_kernelINS1_18TensorListMetadataILi1EEENS1_14UnaryOpFunctorIdLi1ELi1ELi0EEEJNS0_4AsinIdEEEEEvT_T0_DpT1_,"axG",@progbits,_ZN2at6native12_GLOBAL__N_125multi_tensor_apply_kernelINS1_18TensorListMetadataILi1EEENS1_14UnaryOpFunctorIdLi1ELi1ELi0EEEJNS0_4AsinIdEEEEEvT_T0_DpT1_,comdat
.Lfunc_end60:
	.size	_ZN2at6native12_GLOBAL__N_125multi_tensor_apply_kernelINS1_18TensorListMetadataILi1EEENS1_14UnaryOpFunctorIdLi1ELi1ELi0EEEJNS0_4AsinIdEEEEEvT_T0_DpT1_, .Lfunc_end60-_ZN2at6native12_GLOBAL__N_125multi_tensor_apply_kernelINS1_18TensorListMetadataILi1EEENS1_14UnaryOpFunctorIdLi1ELi1ELi0EEEJNS0_4AsinIdEEEEEvT_T0_DpT1_
                                        ; -- End function
	.section	.AMDGPU.csdata,"",@progbits
; Kernel info:
; codeLenInByte = 6192
; NumSgprs: 41
; NumVgprs: 66
; NumAgprs: 0
; TotalNumVgprs: 66
; ScratchSize: 0
; MemoryBound: 0
; FloatMode: 240
; IeeeMode: 1
; LDSByteSize: 0 bytes/workgroup (compile time only)
; SGPRBlocks: 5
; VGPRBlocks: 8
; NumSGPRsForWavesPerEU: 41
; NumVGPRsForWavesPerEU: 66
; AccumOffset: 68
; Occupancy: 7
; WaveLimiterHint : 0
; COMPUTE_PGM_RSRC2:SCRATCH_EN: 0
; COMPUTE_PGM_RSRC2:USER_SGPR: 6
; COMPUTE_PGM_RSRC2:TRAP_HANDLER: 0
; COMPUTE_PGM_RSRC2:TGID_X_EN: 1
; COMPUTE_PGM_RSRC2:TGID_Y_EN: 0
; COMPUTE_PGM_RSRC2:TGID_Z_EN: 0
; COMPUTE_PGM_RSRC2:TIDIG_COMP_CNT: 0
; COMPUTE_PGM_RSRC3_GFX90A:ACCUM_OFFSET: 16
; COMPUTE_PGM_RSRC3_GFX90A:TG_SPLIT: 0
	.section	.text._ZN2at6native12_GLOBAL__N_125multi_tensor_apply_kernelINS1_18TensorListMetadataILi1EEENS1_14UnaryOpFunctorIfLi1ELi1ELi0EEEJNS0_4AsinIfEEEEEvT_T0_DpT1_,"axG",@progbits,_ZN2at6native12_GLOBAL__N_125multi_tensor_apply_kernelINS1_18TensorListMetadataILi1EEENS1_14UnaryOpFunctorIfLi1ELi1ELi0EEEJNS0_4AsinIfEEEEEvT_T0_DpT1_,comdat
	.globl	_ZN2at6native12_GLOBAL__N_125multi_tensor_apply_kernelINS1_18TensorListMetadataILi1EEENS1_14UnaryOpFunctorIfLi1ELi1ELi0EEEJNS0_4AsinIfEEEEEvT_T0_DpT1_ ; -- Begin function _ZN2at6native12_GLOBAL__N_125multi_tensor_apply_kernelINS1_18TensorListMetadataILi1EEENS1_14UnaryOpFunctorIfLi1ELi1ELi0EEEJNS0_4AsinIfEEEEEvT_T0_DpT1_
	.p2align	8
	.type	_ZN2at6native12_GLOBAL__N_125multi_tensor_apply_kernelINS1_18TensorListMetadataILi1EEENS1_14UnaryOpFunctorIfLi1ELi1ELi0EEEJNS0_4AsinIfEEEEEvT_T0_DpT1_,@function
_ZN2at6native12_GLOBAL__N_125multi_tensor_apply_kernelINS1_18TensorListMetadataILi1EEENS1_14UnaryOpFunctorIfLi1ELi1ELi0EEEJNS0_4AsinIfEEEEEvT_T0_DpT1_: ; @_ZN2at6native12_GLOBAL__N_125multi_tensor_apply_kernelINS1_18TensorListMetadataILi1EEENS1_14UnaryOpFunctorIfLi1ELi1ELi0EEEJNS0_4AsinIfEEEEEvT_T0_DpT1_
; %bb.0:
	v_mov_b32_e32 v1, s6
	global_load_ubyte v1, v1, s[4:5] offset:1760
	s_add_u32 s0, s4, s6
	s_mul_hi_u32 s1, s6, 3
	s_mul_i32 s6, s6, 3
	s_addc_u32 s2, s5, 0
	s_add_u32 s0, s0, s6
	s_addc_u32 s1, s2, s1
	s_load_dword s0, s[0:1], 0x820
	s_mov_b32 s7, 0
	s_waitcnt vmcnt(0)
	v_readfirstlane_b32 s2, v1
	s_lshl_b32 s1, s2, 3
	s_load_dwordx2 s[2:3], s[4:5], s1 offset:0x370
	s_load_dwordx2 s[12:13], s[4:5], s1 offset:0x0
	s_waitcnt lgkmcnt(0)
	s_ashr_i32 s1, s0, 31
	s_lshl_b64 s[14:15], s[0:1], 18
	s_lshl_b64 s[0:1], s[0:1], 16
	s_and_b32 s6, s12, 15
	s_sub_u32 s10, s2, s0
	s_subb_u32 s11, s3, s1
	s_and_b32 s0, s2, 3
	s_mov_b32 s1, s7
	s_or_b64 s[0:1], s[6:7], s[0:1]
	s_cmp_eq_u64 s[0:1], 0
	s_cbranch_scc1 .LBB61_21
; %bb.1:
	v_cmp_lt_i64_e64 s[0:1], s[10:11], 1
	s_and_b64 vcc, exec, s[0:1]
	s_cbranch_vccnz .LBB61_20
; %bb.2:
	s_load_dword s0, s[4:5], 0xd3c
	v_mov_b32_e32 v2, 0x10000
	v_mov_b32_e32 v3, 0
	v_cmp_lt_u64_e32 vcc, s[10:11], v[2:3]
	v_lshlrev_b32_e32 v1, 2, v0
	s_waitcnt lgkmcnt(0)
	s_and_b32 s3, s0, 0xffff
	s_and_b64 s[0:1], vcc, exec
	s_cselect_b32 s17, s11, 0
	s_cselect_b32 s16, s10, 0x10000
	s_lshl_b32 s6, s3, 1
	s_lshl_b32 s22, s3, 2
	s_add_u32 s7, s12, s14
	s_addc_u32 s8, s13, s15
	v_mov_b32_e32 v3, s8
	v_add_co_u32_e32 v2, vcc, s7, v1
	s_mul_i32 s0, s3, 3
	v_addc_co_u32_e32 v3, vcc, 0, v3, vcc
	v_add_co_u32_e32 v1, vcc, s0, v0
	v_addc_co_u32_e64 v8, s[0:1], 0, 0, vcc
	v_add_co_u32_e32 v9, vcc, s6, v0
	v_addc_co_u32_e64 v10, s[0:1], 0, 0, vcc
	v_add_co_u32_e32 v11, vcc, s3, v0
	v_lshlrev_b32_e32 v4, 2, v11
	s_mov_b32 s2, 0
	v_addc_co_u32_e64 v12, s[0:1], 0, 0, vcc
	v_mov_b32_e32 v5, s8
	v_add_co_u32_e32 v4, vcc, s7, v4
	s_lshl_b32 s23, s3, 4
	s_mul_i32 s24, s3, 12
	s_mov_b32 s25, s2
	s_lshl_b32 s26, s3, 3
	s_mov_b32 s27, s2
	v_addc_co_u32_e32 v5, vcc, 0, v5, vcc
	s_mov_b64 s[18:19], 0
	v_mov_b32_e32 v13, 0x3d034c3c
	v_mov_b32_e32 v14, 0x3d3641b1
	;; [unrolled: 1-line block ×4, first 2 shown]
	s_brev_b32 s28, -2
	v_pk_mov_b32 v[6:7], s[10:11], s[10:11] op_sel:[0,1]
	v_mov_b32_e32 v17, s2
	s_branch .LBB61_4
.LBB61_3:                               ;   in Loop: Header=BB61_4 Depth=1
	s_or_b64 exec, exec, s[0:1]
	s_add_u32 s18, s18, s22
	s_waitcnt vmcnt(0)
	v_mov_b32_e32 v18, 0x10000
	s_addc_u32 s19, s19, 0
	v_mov_b32_e32 v19, 0
	v_cmp_lt_i64_e32 vcc, s[18:19], v[6:7]
	v_cmp_lt_u64_e64 s[0:1], s[18:19], v[18:19]
	s_and_b64 s[0:1], vcc, s[0:1]
	v_add_co_u32_e32 v2, vcc, s23, v2
	v_addc_co_u32_e32 v3, vcc, v3, v17, vcc
	v_add_co_u32_e32 v4, vcc, s23, v4
	v_addc_co_u32_e32 v5, vcc, v5, v17, vcc
	s_and_b64 vcc, exec, s[0:1]
	s_cbranch_vccz .LBB61_20
.LBB61_4:                               ; =>This Inner Loop Header: Depth=1
	v_mov_b32_e32 v19, s19
	v_add_co_u32_e32 v18, vcc, s18, v0
	v_addc_co_u32_e32 v19, vcc, 0, v19, vcc
	v_cmp_gt_u64_e64 s[6:7], s[16:17], v[18:19]
	v_mov_b32_e32 v21, 0
	s_and_saveexec_b64 s[0:1], s[6:7]
	s_cbranch_execz .LBB61_6
; %bb.5:                                ;   in Loop: Header=BB61_4 Depth=1
	global_load_dword v21, v[2:3], off
.LBB61_6:                               ;   in Loop: Header=BB61_4 Depth=1
	s_or_b64 exec, exec, s[0:1]
	v_mov_b32_e32 v19, s19
	v_add_co_u32_e32 v18, vcc, s18, v11
	v_addc_co_u32_e32 v19, vcc, v12, v19, vcc
	v_cmp_gt_u64_e64 s[2:3], s[16:17], v[18:19]
	v_mov_b32_e32 v20, 0
	s_and_saveexec_b64 s[0:1], s[2:3]
	s_cbranch_execz .LBB61_8
; %bb.7:                                ;   in Loop: Header=BB61_4 Depth=1
	global_load_dword v20, v[4:5], off
.LBB61_8:                               ;   in Loop: Header=BB61_4 Depth=1
	s_or_b64 exec, exec, s[0:1]
	v_mov_b32_e32 v19, s19
	v_add_co_u32_e32 v18, vcc, s18, v9
	v_addc_co_u32_e32 v19, vcc, v10, v19, vcc
	v_cmp_gt_u64_e64 s[0:1], s[16:17], v[18:19]
	v_mov_b32_e32 v18, 0
	v_mov_b32_e32 v19, 0
	s_and_saveexec_b64 s[8:9], s[0:1]
	s_cbranch_execz .LBB61_10
; %bb.9:                                ;   in Loop: Header=BB61_4 Depth=1
	v_mov_b32_e32 v19, s27
	v_add_co_u32_e32 v22, vcc, s26, v2
	v_addc_co_u32_e32 v23, vcc, v3, v19, vcc
	global_load_dword v19, v[22:23], off
.LBB61_10:                              ;   in Loop: Header=BB61_4 Depth=1
	s_or_b64 exec, exec, s[8:9]
	v_mov_b32_e32 v23, s19
	v_add_co_u32_e32 v22, vcc, s18, v1
	v_addc_co_u32_e32 v23, vcc, v8, v23, vcc
	v_cmp_gt_u64_e32 vcc, s[16:17], v[22:23]
	s_and_saveexec_b64 s[20:21], vcc
	s_cbranch_execnz .LBB61_15
; %bb.11:                               ;   in Loop: Header=BB61_4 Depth=1
	s_or_b64 exec, exec, s[20:21]
	s_and_saveexec_b64 s[8:9], s[6:7]
	s_cbranch_execnz .LBB61_16
.LBB61_12:                              ;   in Loop: Header=BB61_4 Depth=1
	s_or_b64 exec, exec, s[8:9]
	s_and_saveexec_b64 s[6:7], s[2:3]
	s_cbranch_execnz .LBB61_17
.LBB61_13:                              ;   in Loop: Header=BB61_4 Depth=1
	s_or_b64 exec, exec, s[6:7]
	s_and_saveexec_b64 s[2:3], s[0:1]
	s_cbranch_execnz .LBB61_18
.LBB61_14:                              ;   in Loop: Header=BB61_4 Depth=1
	s_or_b64 exec, exec, s[2:3]
	s_and_saveexec_b64 s[0:1], vcc
	s_cbranch_execz .LBB61_3
	s_branch .LBB61_19
.LBB61_15:                              ;   in Loop: Header=BB61_4 Depth=1
	v_mov_b32_e32 v18, s25
	v_add_co_u32_e64 v22, s[8:9], s24, v2
	v_addc_co_u32_e64 v23, s[8:9], v3, v18, s[8:9]
	global_load_dword v18, v[22:23], off
	s_or_b64 exec, exec, s[20:21]
	s_and_saveexec_b64 s[8:9], s[6:7]
	s_cbranch_execz .LBB61_12
.LBB61_16:                              ;   in Loop: Header=BB61_4 Depth=1
	s_waitcnt vmcnt(0)
	v_fma_f32 v22, |v21|, -0.5, 0.5
	v_mul_f32_e32 v23, v21, v21
	v_cmp_ge_f32_e64 s[6:7], |v21|, 0.5
	v_cndmask_b32_e64 v22, v23, v22, s[6:7]
	v_mov_b32_e32 v23, 0x3c5fc5da
	v_fmac_f32_e32 v23, 0x3d1c21a7, v22
	v_fma_f32 v23, v22, v23, v13
	v_fma_f32 v23, v22, v23, v14
	v_sqrt_f32_e32 v24, v22
	v_fma_f32 v23, v22, v23, v15
	v_fma_f32 v23, v22, v23, v16
	v_mul_f32_e32 v22, v22, v23
	v_fmac_f32_e32 v24, v24, v22
	v_fma_f32 v23, |v21|, v22, |v21|
	v_add_f32_e32 v22, v24, v24
	v_sub_f32_e32 v22, 0x3fc90fdb, v22
	v_cmp_lt_f32_e64 s[6:7], |v21|, 0.5
	v_cndmask_b32_e64 v22, v22, v23, s[6:7]
	v_bfi_b32 v21, s28, v22, v21
	global_store_dword v[2:3], v21, off
	s_or_b64 exec, exec, s[8:9]
	s_and_saveexec_b64 s[6:7], s[2:3]
	s_cbranch_execz .LBB61_13
.LBB61_17:                              ;   in Loop: Header=BB61_4 Depth=1
	s_waitcnt vmcnt(0)
	v_fma_f32 v21, |v20|, -0.5, 0.5
	v_mul_f32_e32 v22, v20, v20
	v_cmp_ge_f32_e64 s[2:3], |v20|, 0.5
	v_cndmask_b32_e64 v21, v22, v21, s[2:3]
	v_mov_b32_e32 v22, 0x3c5fc5da
	v_fmac_f32_e32 v22, 0x3d1c21a7, v21
	v_fma_f32 v22, v21, v22, v13
	v_fma_f32 v22, v21, v22, v14
	v_sqrt_f32_e32 v23, v21
	v_fma_f32 v22, v21, v22, v15
	v_fma_f32 v22, v21, v22, v16
	v_mul_f32_e32 v21, v21, v22
	v_fmac_f32_e32 v23, v23, v21
	v_add_f32_e32 v22, v23, v23
	v_sub_f32_e32 v22, 0x3fc90fdb, v22
	v_fma_f32 v21, |v20|, v21, |v20|
	v_cmp_lt_f32_e64 s[2:3], |v20|, 0.5
	v_cndmask_b32_e64 v21, v22, v21, s[2:3]
	v_bfi_b32 v20, s28, v21, v20
	global_store_dword v[4:5], v20, off
	s_or_b64 exec, exec, s[6:7]
	s_and_saveexec_b64 s[2:3], s[0:1]
	s_cbranch_execz .LBB61_14
.LBB61_18:                              ;   in Loop: Header=BB61_4 Depth=1
	s_waitcnt vmcnt(0)
	v_fma_f32 v20, |v19|, -0.5, 0.5
	v_mul_f32_e32 v21, v19, v19
	v_cmp_ge_f32_e64 s[0:1], |v19|, 0.5
	v_cndmask_b32_e64 v20, v21, v20, s[0:1]
	v_mov_b32_e32 v21, 0x3c5fc5da
	v_fmac_f32_e32 v21, 0x3d1c21a7, v20
	v_fma_f32 v21, v20, v21, v13
	v_fma_f32 v21, v20, v21, v14
	v_sqrt_f32_e32 v22, v20
	v_fma_f32 v21, v20, v21, v15
	v_fma_f32 v21, v20, v21, v16
	v_mul_f32_e32 v20, v20, v21
	v_fmac_f32_e32 v22, v22, v20
	v_add_f32_e32 v21, v22, v22
	v_sub_f32_e32 v21, 0x3fc90fdb, v21
	v_fma_f32 v20, |v19|, v20, |v19|
	v_cmp_lt_f32_e64 s[0:1], |v19|, 0.5
	v_cndmask_b32_e64 v20, v21, v20, s[0:1]
	v_bfi_b32 v19, s28, v20, v19
	v_mov_b32_e32 v21, s27
	v_add_co_u32_e64 v20, s[0:1], s26, v2
	v_addc_co_u32_e64 v21, s[0:1], v3, v21, s[0:1]
	global_store_dword v[20:21], v19, off
	s_or_b64 exec, exec, s[2:3]
	s_and_saveexec_b64 s[0:1], vcc
	s_cbranch_execz .LBB61_3
.LBB61_19:                              ;   in Loop: Header=BB61_4 Depth=1
	s_waitcnt vmcnt(0)
	v_fma_f32 v19, |v18|, -0.5, 0.5
	v_mul_f32_e32 v20, v18, v18
	v_cmp_ge_f32_e64 vcc, |v18|, 0.5
	v_cndmask_b32_e32 v19, v20, v19, vcc
	v_mov_b32_e32 v20, 0x3c5fc5da
	v_fmac_f32_e32 v20, 0x3d1c21a7, v19
	v_fma_f32 v20, v19, v20, v13
	v_fma_f32 v20, v19, v20, v14
	v_sqrt_f32_e32 v21, v19
	v_fma_f32 v20, v19, v20, v15
	v_fma_f32 v20, v19, v20, v16
	v_mul_f32_e32 v19, v19, v20
	v_fmac_f32_e32 v21, v21, v19
	v_add_f32_e32 v20, v21, v21
	v_sub_f32_e32 v20, 0x3fc90fdb, v20
	v_fma_f32 v19, |v18|, v19, |v18|
	v_cmp_lt_f32_e64 vcc, |v18|, 0.5
	v_cndmask_b32_e32 v19, v20, v19, vcc
	v_bfi_b32 v20, s28, v19, v18
	v_mov_b32_e32 v19, s25
	v_add_co_u32_e32 v18, vcc, s24, v2
	v_addc_co_u32_e32 v19, vcc, v3, v19, vcc
	global_store_dword v[18:19], v20, off
	s_branch .LBB61_3
.LBB61_20:
	s_cbranch_execz .LBB61_22
	s_branch .LBB61_25
.LBB61_21:
.LBB61_22:
	v_mov_b32_e32 v3, 0
	v_lshlrev_b32_e32 v2, 2, v0
	s_mov_b32 s0, 0
	v_cmp_gt_i64_e32 vcc, s[10:11], v[2:3]
	s_and_saveexec_b64 s[2:3], vcc
	s_cbranch_execz .LBB61_25
; %bb.23:
	s_load_dword s1, s[4:5], 0xd3c
	v_lshlrev_b32_e32 v1, 4, v0
	s_mov_b32 s6, 0x3c5fc5da
	s_brev_b32 s9, -2
	s_mov_b32 s4, 0x3d1c21a7
	s_waitcnt lgkmcnt(0)
	s_and_b32 s1, s1, 0xffff
	s_add_u32 s2, s12, s14
	s_addc_u32 s3, s13, s15
	v_mov_b32_e32 v2, s3
	v_add_co_u32_e32 v1, vcc, s2, v1
	v_addc_co_u32_e32 v2, vcc, 0, v2, vcc
	v_add_co_u32_e32 v4, vcc, 8, v1
	s_lshl_b32 s7, s1, 2
	v_addc_co_u32_e32 v5, vcc, 0, v2, vcc
	s_lshl_b32 s5, s1, 4
	v_add_lshl_u32 v2, v0, s1, 2
	s_mov_b64 s[2:3], 0
	v_pk_mov_b32 v[0:1], s[6:7], s[6:7] op_sel:[0,1]
	s_mov_b32 s6, 0x3d034c3c
	s_mov_b32 s8, 0x3d3641b1
	;; [unrolled: 1-line block ×5, first 2 shown]
	s_mov_b64 s[18:19], 0xffff
	v_mov_b32_e32 v6, s0
	v_mov_b32_e32 v7, s0
.LBB61_24:                              ; =>This Inner Loop Header: Depth=1
	global_load_dwordx4 v[8:11], v[4:5], off offset:-8
	v_cmp_le_i64_e32 vcc, s[10:11], v[2:3]
	v_cmp_lt_u64_e64 s[0:1], s[18:19], v[2:3]
	s_or_b64 s[0:1], vcc, s[0:1]
	s_and_b64 s[0:1], exec, s[0:1]
	s_or_b64 s[2:3], s[0:1], s[2:3]
	s_waitcnt vmcnt(0)
	v_and_b32_e32 v13, 0x7fffffff, v9
	v_and_b32_e32 v12, 0x7fffffff, v8
	v_pk_mul_f32 v[14:15], v[8:9], v[8:9]
	v_pk_fma_f32 v[20:21], -0.5, v[12:13], 0.5 op_sel_hi:[0,1,0]
	v_cmp_ge_f32_e64 vcc, |v9|, 0.5
	v_and_b32_e32 v17, 0x7fffffff, v11
	v_and_b32_e32 v16, 0x7fffffff, v10
	v_cndmask_b32_e32 v15, v15, v21, vcc
	v_cmp_ge_f32_e64 vcc, |v8|, 0.5
	v_pk_mul_f32 v[18:19], v[10:11], v[10:11]
	v_pk_fma_f32 v[22:23], -0.5, v[16:17], 0.5 op_sel_hi:[0,1,0]
	v_cndmask_b32_e32 v14, v14, v20, vcc
	v_cmp_ge_f32_e64 vcc, |v11|, 0.5
	v_cndmask_b32_e32 v19, v19, v23, vcc
	v_cmp_ge_f32_e64 vcc, |v10|, 0.5
	v_cndmask_b32_e32 v18, v18, v22, vcc
	v_pk_fma_f32 v[22:23], v[14:15], s[4:5], v[0:1] op_sel_hi:[1,0,0]
	v_pk_fma_f32 v[26:27], v[18:19], s[4:5], v[0:1] op_sel_hi:[1,0,0]
	;; [unrolled: 1-line block ×3, first 2 shown]
	v_sqrt_f32_e32 v20, v14
	v_sqrt_f32_e32 v21, v15
	v_pk_fma_f32 v[26:27], v[18:19], v[26:27], s[6:7] op_sel_hi:[1,1,0]
	v_pk_fma_f32 v[22:23], v[14:15], v[22:23], s[8:9] op_sel_hi:[1,1,0]
	v_sqrt_f32_e32 v24, v18
	v_sqrt_f32_e32 v25, v19
	v_pk_fma_f32 v[26:27], v[18:19], v[26:27], s[8:9] op_sel_hi:[1,1,0]
	v_pk_fma_f32 v[22:23], v[14:15], v[22:23], s[12:13] op_sel_hi:[1,1,0]
	;; [unrolled: 1-line block ×5, first 2 shown]
	v_pk_mul_f32 v[14:15], v[14:15], v[22:23]
	v_pk_mul_f32 v[18:19], v[18:19], v[26:27]
	v_pk_fma_f32 v[20:21], v[20:21], v[14:15], v[20:21]
	v_pk_fma_f32 v[12:13], v[12:13], v[14:15], v[12:13]
	;; [unrolled: 1-line block ×4, first 2 shown]
	v_pk_add_f32 v[18:19], v[20:21], v[20:21]
	v_pk_add_f32 v[18:19], v[18:19], s[16:17] op_sel_hi:[1,0] neg_lo:[1,0] neg_hi:[1,0]
	v_cmp_lt_f32_e64 vcc, |v8|, 0.5
	v_pk_add_f32 v[14:15], v[14:15], v[14:15]
	v_cndmask_b32_e32 v12, v18, v12, vcc
	v_cmp_lt_f32_e64 vcc, |v9|, 0.5
	v_pk_add_f32 v[14:15], v[14:15], s[16:17] op_sel_hi:[1,0] neg_lo:[1,0] neg_hi:[1,0]
	v_cndmask_b32_e32 v13, v19, v13, vcc
	v_cmp_lt_f32_e64 vcc, |v10|, 0.5
	v_cndmask_b32_e32 v14, v14, v16, vcc
	v_cmp_lt_f32_e64 vcc, |v11|, 0.5
	v_cndmask_b32_e32 v15, v15, v17, vcc
	v_bfi_b32 v9, s9, v13, v9
	v_bfi_b32 v8, s9, v12, v8
	;; [unrolled: 1-line block ×4, first 2 shown]
	global_store_dwordx4 v[4:5], v[8:11], off offset:-8
	v_add_co_u32_e32 v4, vcc, s5, v4
	v_addc_co_u32_e32 v5, vcc, v5, v6, vcc
	v_add_co_u32_e32 v2, vcc, s7, v2
	v_addc_co_u32_e32 v3, vcc, v3, v7, vcc
	s_andn2_b64 exec, exec, s[2:3]
	s_cbranch_execnz .LBB61_24
.LBB61_25:
	s_endpgm
	.section	.rodata,"a",@progbits
	.p2align	6, 0x0
	.amdhsa_kernel _ZN2at6native12_GLOBAL__N_125multi_tensor_apply_kernelINS1_18TensorListMetadataILi1EEENS1_14UnaryOpFunctorIfLi1ELi1ELi0EEEJNS0_4AsinIfEEEEEvT_T0_DpT1_
		.amdhsa_group_segment_fixed_size 0
		.amdhsa_private_segment_fixed_size 0
		.amdhsa_kernarg_size 3632
		.amdhsa_user_sgpr_count 6
		.amdhsa_user_sgpr_private_segment_buffer 1
		.amdhsa_user_sgpr_dispatch_ptr 0
		.amdhsa_user_sgpr_queue_ptr 0
		.amdhsa_user_sgpr_kernarg_segment_ptr 1
		.amdhsa_user_sgpr_dispatch_id 0
		.amdhsa_user_sgpr_flat_scratch_init 0
		.amdhsa_user_sgpr_kernarg_preload_length 0
		.amdhsa_user_sgpr_kernarg_preload_offset 0
		.amdhsa_user_sgpr_private_segment_size 0
		.amdhsa_uses_dynamic_stack 0
		.amdhsa_system_sgpr_private_segment_wavefront_offset 0
		.amdhsa_system_sgpr_workgroup_id_x 1
		.amdhsa_system_sgpr_workgroup_id_y 0
		.amdhsa_system_sgpr_workgroup_id_z 0
		.amdhsa_system_sgpr_workgroup_info 0
		.amdhsa_system_vgpr_workitem_id 0
		.amdhsa_next_free_vgpr 28
		.amdhsa_next_free_sgpr 29
		.amdhsa_accum_offset 28
		.amdhsa_reserve_vcc 1
		.amdhsa_reserve_flat_scratch 0
		.amdhsa_float_round_mode_32 0
		.amdhsa_float_round_mode_16_64 0
		.amdhsa_float_denorm_mode_32 3
		.amdhsa_float_denorm_mode_16_64 3
		.amdhsa_dx10_clamp 1
		.amdhsa_ieee_mode 1
		.amdhsa_fp16_overflow 0
		.amdhsa_tg_split 0
		.amdhsa_exception_fp_ieee_invalid_op 0
		.amdhsa_exception_fp_denorm_src 0
		.amdhsa_exception_fp_ieee_div_zero 0
		.amdhsa_exception_fp_ieee_overflow 0
		.amdhsa_exception_fp_ieee_underflow 0
		.amdhsa_exception_fp_ieee_inexact 0
		.amdhsa_exception_int_div_zero 0
	.end_amdhsa_kernel
	.section	.text._ZN2at6native12_GLOBAL__N_125multi_tensor_apply_kernelINS1_18TensorListMetadataILi1EEENS1_14UnaryOpFunctorIfLi1ELi1ELi0EEEJNS0_4AsinIfEEEEEvT_T0_DpT1_,"axG",@progbits,_ZN2at6native12_GLOBAL__N_125multi_tensor_apply_kernelINS1_18TensorListMetadataILi1EEENS1_14UnaryOpFunctorIfLi1ELi1ELi0EEEJNS0_4AsinIfEEEEEvT_T0_DpT1_,comdat
.Lfunc_end61:
	.size	_ZN2at6native12_GLOBAL__N_125multi_tensor_apply_kernelINS1_18TensorListMetadataILi1EEENS1_14UnaryOpFunctorIfLi1ELi1ELi0EEEJNS0_4AsinIfEEEEEvT_T0_DpT1_, .Lfunc_end61-_ZN2at6native12_GLOBAL__N_125multi_tensor_apply_kernelINS1_18TensorListMetadataILi1EEENS1_14UnaryOpFunctorIfLi1ELi1ELi0EEEJNS0_4AsinIfEEEEEvT_T0_DpT1_
                                        ; -- End function
	.section	.AMDGPU.csdata,"",@progbits
; Kernel info:
; codeLenInByte = 1960
; NumSgprs: 33
; NumVgprs: 28
; NumAgprs: 0
; TotalNumVgprs: 28
; ScratchSize: 0
; MemoryBound: 0
; FloatMode: 240
; IeeeMode: 1
; LDSByteSize: 0 bytes/workgroup (compile time only)
; SGPRBlocks: 4
; VGPRBlocks: 3
; NumSGPRsForWavesPerEU: 33
; NumVGPRsForWavesPerEU: 28
; AccumOffset: 28
; Occupancy: 8
; WaveLimiterHint : 0
; COMPUTE_PGM_RSRC2:SCRATCH_EN: 0
; COMPUTE_PGM_RSRC2:USER_SGPR: 6
; COMPUTE_PGM_RSRC2:TRAP_HANDLER: 0
; COMPUTE_PGM_RSRC2:TGID_X_EN: 1
; COMPUTE_PGM_RSRC2:TGID_Y_EN: 0
; COMPUTE_PGM_RSRC2:TGID_Z_EN: 0
; COMPUTE_PGM_RSRC2:TIDIG_COMP_CNT: 0
; COMPUTE_PGM_RSRC3_GFX90A:ACCUM_OFFSET: 6
; COMPUTE_PGM_RSRC3_GFX90A:TG_SPLIT: 0
	.section	.text._ZN2at6native12_GLOBAL__N_125multi_tensor_apply_kernelINS1_18TensorListMetadataILi1EEENS1_14UnaryOpFunctorIN3c107complexIdEELi1ELi1ELi0EEEJNS0_4AsinIS8_EEEEEvT_T0_DpT1_,"axG",@progbits,_ZN2at6native12_GLOBAL__N_125multi_tensor_apply_kernelINS1_18TensorListMetadataILi1EEENS1_14UnaryOpFunctorIN3c107complexIdEELi1ELi1ELi0EEEJNS0_4AsinIS8_EEEEEvT_T0_DpT1_,comdat
	.globl	_ZN2at6native12_GLOBAL__N_125multi_tensor_apply_kernelINS1_18TensorListMetadataILi1EEENS1_14UnaryOpFunctorIN3c107complexIdEELi1ELi1ELi0EEEJNS0_4AsinIS8_EEEEEvT_T0_DpT1_ ; -- Begin function _ZN2at6native12_GLOBAL__N_125multi_tensor_apply_kernelINS1_18TensorListMetadataILi1EEENS1_14UnaryOpFunctorIN3c107complexIdEELi1ELi1ELi0EEEJNS0_4AsinIS8_EEEEEvT_T0_DpT1_
	.p2align	8
	.type	_ZN2at6native12_GLOBAL__N_125multi_tensor_apply_kernelINS1_18TensorListMetadataILi1EEENS1_14UnaryOpFunctorIN3c107complexIdEELi1ELi1ELi0EEEJNS0_4AsinIS8_EEEEEvT_T0_DpT1_,@function
_ZN2at6native12_GLOBAL__N_125multi_tensor_apply_kernelINS1_18TensorListMetadataILi1EEENS1_14UnaryOpFunctorIN3c107complexIdEELi1ELi1ELi0EEEJNS0_4AsinIS8_EEEEEvT_T0_DpT1_: ; @_ZN2at6native12_GLOBAL__N_125multi_tensor_apply_kernelINS1_18TensorListMetadataILi1EEENS1_14UnaryOpFunctorIN3c107complexIdEELi1ELi1ELi0EEEJNS0_4AsinIS8_EEEEEvT_T0_DpT1_
; %bb.0:
	v_mov_b32_e32 v60, v0
	v_mov_b32_e32 v0, s8
	global_load_ubyte v0, v0, s[4:5] offset:1760
	s_add_u32 flat_scratch_lo, s6, s9
	s_addc_u32 flat_scratch_hi, s7, 0
	s_add_u32 s0, s0, s9
	s_addc_u32 s1, s1, 0
	s_mov_b64 s[34:35], s[4:5]
	s_add_u32 s4, s34, s8
	s_mul_hi_u32 s5, s8, 3
	s_mul_i32 s8, s8, 3
	s_addc_u32 s6, s35, 0
	s_add_u32 s4, s4, s8
	s_addc_u32 s5, s6, s5
	s_load_dword s4, s[4:5], 0x820
	s_mov_b32 s11, 0
	s_mov_b32 s32, 0
	s_waitcnt vmcnt(0)
	v_readfirstlane_b32 s5, v0
	s_lshl_b32 s5, s5, 3
	s_load_dwordx2 s[6:7], s[34:35], s5 offset:0x0
	s_load_dwordx2 s[8:9], s[34:35], s5 offset:0x370
	s_waitcnt lgkmcnt(0)
	s_ashr_i32 s5, s4, 31
	s_lshl_b64 s[12:13], s[4:5], 20
	s_add_u32 s44, s6, s12
	s_addc_u32 s45, s7, s13
	s_lshl_b64 s[4:5], s[4:5], 16
	s_and_b32 s10, s44, 63
	s_sub_u32 s46, s8, s4
	s_subb_u32 s47, s9, s5
	s_and_b32 s4, s8, 3
	s_mov_b32 s5, s11
	s_or_b64 s[4:5], s[10:11], s[4:5]
	s_cmp_eq_u64 s[4:5], 0
	s_cbranch_scc1 .LBB62_21
; %bb.1:
	v_cmp_lt_i64_e64 s[4:5], s[46:47], 1
	s_and_b64 vcc, exec, s[4:5]
	s_cbranch_vccnz .LBB62_20
; %bb.2:
	s_load_dword s4, s[34:35], 0xd3c
	v_mov_b32_e32 v0, 0x10000
	v_mov_b32_e32 v1, 0
	v_cmp_lt_u64_e32 vcc, s[46:47], v[0:1]
	v_mov_b32_e32 v63, 0
	s_waitcnt lgkmcnt(0)
	s_and_b32 s6, s4, 0xffff
	s_and_b64 s[4:5], vcc, exec
	s_mul_i32 s8, s6, 3
	v_lshlrev_b32_e32 v62, 4, v60
	v_add_co_u32_e32 v39, vcc, s6, v60
	v_addc_co_u32_e64 v67, s[4:5], 0, 0, vcc
	v_mad_u64_u32 v[64:65], s[4:5], s6, 48, v[62:63]
	v_add_co_u32_e32 v63, vcc, s8, v60
	v_addc_co_u32_e64 v69, s[4:5], 0, 0, vcc
	s_cselect_b32 s49, s47, 0
	s_cselect_b32 s48, s46, 0x10000
	s_lshl_b32 s4, s6, 5
	s_lshl_b32 s7, s6, 1
	v_add_co_u32_e32 v0, vcc, s4, v62
	v_addc_co_u32_e64 v61, s[4:5], 0, 0, vcc
	v_add_co_u32_e32 v70, vcc, s7, v60
	s_lshl_b32 s29, s6, 2
	s_lshl_b32 s33, s6, 6
	v_or_b32_e32 v64, 8, v64
	v_lshlrev_b32_e32 v66, 4, v39
	v_or_b32_e32 v68, 8, v0
	v_addc_co_u32_e64 v71, s[4:5], 0, 0, vcc
	s_mov_b64 s[50:51], 0
	s_mov_b64 s[52:53], s[44:45]
	s_branch .LBB62_4
.LBB62_3:                               ;   in Loop: Header=BB62_4 Depth=1
	s_or_b64 exec, exec, s[4:5]
	s_add_u32 s50, s50, s29
	s_addc_u32 s51, s51, 0
	v_pk_mov_b32 v[0:1], s[46:47], s[46:47] op_sel:[0,1]
	v_cmp_lt_i64_e32 vcc, s[50:51], v[0:1]
	v_mov_b32_e32 v0, 0x10000
	v_mov_b32_e32 v1, 0
	v_cmp_lt_u64_e64 s[4:5], s[50:51], v[0:1]
	s_and_b64 s[4:5], vcc, s[4:5]
	s_add_u32 s52, s52, s33
	s_addc_u32 s53, s53, 0
	s_and_b64 vcc, exec, s[4:5]
	s_cbranch_vccz .LBB62_20
.LBB62_4:                               ; =>This Inner Loop Header: Depth=1
	v_mov_b32_e32 v1, s51
	v_add_co_u32_e32 v0, vcc, s50, v60
	v_addc_co_u32_e32 v1, vcc, 0, v1, vcc
	v_pk_mov_b32 v[42:43], 0, 0
	v_cmp_gt_u64_e64 s[36:37], s[48:49], v[0:1]
	v_pk_mov_b32 v[2:3], v[42:43], v[42:43] op_sel:[0,1]
	v_pk_mov_b32 v[0:1], v[42:43], v[42:43] op_sel:[0,1]
	s_and_saveexec_b64 s[4:5], s[36:37]
	s_cbranch_execz .LBB62_6
; %bb.5:                                ;   in Loop: Header=BB62_4 Depth=1
	v_mov_b32_e32 v1, s53
	v_add_co_u32_e32 v0, vcc, s52, v62
	v_addc_co_u32_e32 v1, vcc, 0, v1, vcc
	global_load_dwordx4 v[0:3], v[0:1], off
.LBB62_6:                               ;   in Loop: Header=BB62_4 Depth=1
	s_or_b64 exec, exec, s[4:5]
	v_mov_b32_e32 v5, s51
	v_add_co_u32_e32 v4, vcc, s50, v39
	v_addc_co_u32_e32 v5, vcc, v67, v5, vcc
	v_cmp_gt_u64_e64 s[38:39], s[48:49], v[4:5]
	v_pk_mov_b32 v[40:41], v[42:43], v[42:43] op_sel:[0,1]
	s_and_saveexec_b64 s[4:5], s[38:39]
	s_cbranch_execz .LBB62_8
; %bb.7:                                ;   in Loop: Header=BB62_4 Depth=1
	v_mov_b32_e32 v5, s53
	v_add_co_u32_e32 v4, vcc, s52, v66
	v_addc_co_u32_e32 v5, vcc, 0, v5, vcc
	global_load_dwordx4 v[40:43], v[4:5], off
.LBB62_8:                               ;   in Loop: Header=BB62_4 Depth=1
	s_or_b64 exec, exec, s[4:5]
	v_mov_b32_e32 v5, s51
	v_add_co_u32_e32 v4, vcc, s50, v70
	v_addc_co_u32_e32 v5, vcc, v71, v5, vcc
	v_pk_mov_b32 v[46:47], 0, 0
	v_cmp_gt_u64_e64 s[40:41], s[48:49], v[4:5]
	v_pk_mov_b32 v[50:51], v[46:47], v[46:47] op_sel:[0,1]
	v_pk_mov_b32 v[48:49], v[46:47], v[46:47] op_sel:[0,1]
	s_and_saveexec_b64 s[4:5], s[40:41]
	s_cbranch_execz .LBB62_10
; %bb.9:                                ;   in Loop: Header=BB62_4 Depth=1
	v_mov_b32_e32 v5, s53
	v_add_co_u32_e32 v4, vcc, s52, v68
	v_addc_co_u32_e32 v5, vcc, v5, v61, vcc
	global_load_dwordx4 v[48:51], v[4:5], off offset:-8
.LBB62_10:                              ;   in Loop: Header=BB62_4 Depth=1
	s_or_b64 exec, exec, s[4:5]
	v_mov_b32_e32 v5, s51
	v_add_co_u32_e32 v4, vcc, s50, v63
	v_addc_co_u32_e32 v5, vcc, v69, v5, vcc
	v_cmp_gt_u64_e64 s[42:43], s[48:49], v[4:5]
	v_pk_mov_b32 v[44:45], v[46:47], v[46:47] op_sel:[0,1]
	s_and_saveexec_b64 s[4:5], s[42:43]
	s_cbranch_execz .LBB62_12
; %bb.11:                               ;   in Loop: Header=BB62_4 Depth=1
	v_mov_b32_e32 v5, s53
	v_add_co_u32_e32 v4, vcc, s52, v64
	v_addc_co_u32_e32 v5, vcc, v5, v65, vcc
	global_load_dwordx4 v[44:47], v[4:5], off offset:-8
.LBB62_12:                              ;   in Loop: Header=BB62_4 Depth=1
	s_or_b64 exec, exec, s[4:5]
	s_getpc_b64 s[54:55]
	s_add_u32 s54, s54, _ZNK2at6native4AsinIN3c107complexIdEEEclES4_@rel32@lo+4
	s_addc_u32 s55, s55, _ZNK2at6native4AsinIN3c107complexIdEEEclES4_@rel32@hi+12
	s_swappc_b64 s[30:31], s[54:55]
	v_mov_b32_e32 v56, v0
	v_mov_b32_e32 v57, v1
	v_mov_b32_e32 v58, v2
	v_mov_b32_e32 v59, v3
	v_mov_b32_e32 v0, v40
	v_mov_b32_e32 v1, v41
	v_mov_b32_e32 v2, v42
	v_mov_b32_e32 v3, v43
	s_swappc_b64 s[30:31], s[54:55]
	v_mov_b32_e32 v52, v0
	v_mov_b32_e32 v53, v1
	v_mov_b32_e32 v54, v2
	v_mov_b32_e32 v55, v3
	v_mov_b32_e32 v0, v48
	v_mov_b32_e32 v1, v49
	v_mov_b32_e32 v2, v50
	v_mov_b32_e32 v3, v51
	s_swappc_b64 s[30:31], s[54:55]
	v_mov_b32_e32 v40, v0
	v_mov_b32_e32 v41, v1
	v_mov_b32_e32 v42, v2
	v_mov_b32_e32 v43, v3
	v_mov_b32_e32 v0, v44
	v_mov_b32_e32 v1, v45
	v_mov_b32_e32 v2, v46
	v_mov_b32_e32 v3, v47
	s_swappc_b64 s[30:31], s[54:55]
	s_and_saveexec_b64 s[4:5], s[36:37]
	s_cbranch_execnz .LBB62_16
; %bb.13:                               ;   in Loop: Header=BB62_4 Depth=1
	s_or_b64 exec, exec, s[4:5]
	s_and_saveexec_b64 s[4:5], s[38:39]
	s_cbranch_execnz .LBB62_17
.LBB62_14:                              ;   in Loop: Header=BB62_4 Depth=1
	s_or_b64 exec, exec, s[4:5]
	s_and_saveexec_b64 s[4:5], s[40:41]
	s_cbranch_execnz .LBB62_18
.LBB62_15:                              ;   in Loop: Header=BB62_4 Depth=1
	s_or_b64 exec, exec, s[4:5]
	s_and_saveexec_b64 s[4:5], s[42:43]
	s_cbranch_execz .LBB62_3
	s_branch .LBB62_19
.LBB62_16:                              ;   in Loop: Header=BB62_4 Depth=1
	v_mov_b32_e32 v5, s53
	v_add_co_u32_e32 v4, vcc, s52, v62
	v_addc_co_u32_e32 v5, vcc, 0, v5, vcc
	global_store_dwordx4 v[4:5], v[56:59], off
	s_or_b64 exec, exec, s[4:5]
	s_and_saveexec_b64 s[4:5], s[38:39]
	s_cbranch_execz .LBB62_14
.LBB62_17:                              ;   in Loop: Header=BB62_4 Depth=1
	v_mov_b32_e32 v5, s53
	v_add_co_u32_e32 v4, vcc, s52, v66
	v_addc_co_u32_e32 v5, vcc, 0, v5, vcc
	global_store_dwordx4 v[4:5], v[52:55], off
	s_or_b64 exec, exec, s[4:5]
	s_and_saveexec_b64 s[4:5], s[40:41]
	s_cbranch_execz .LBB62_15
.LBB62_18:                              ;   in Loop: Header=BB62_4 Depth=1
	v_mov_b32_e32 v5, s53
	v_add_co_u32_e32 v4, vcc, s52, v68
	v_addc_co_u32_e32 v5, vcc, v5, v61, vcc
	global_store_dwordx4 v[4:5], v[40:43], off offset:-8
	s_or_b64 exec, exec, s[4:5]
	s_and_saveexec_b64 s[4:5], s[42:43]
	s_cbranch_execz .LBB62_3
.LBB62_19:                              ;   in Loop: Header=BB62_4 Depth=1
	v_mov_b32_e32 v5, s53
	v_add_co_u32_e32 v4, vcc, s52, v64
	v_addc_co_u32_e32 v5, vcc, v5, v65, vcc
	global_store_dwordx4 v[4:5], v[0:3], off offset:-8
	s_branch .LBB62_3
.LBB62_20:
	s_cbranch_execz .LBB62_22
	s_branch .LBB62_25
.LBB62_21:
.LBB62_22:
	v_mov_b32_e32 v1, 0
	v_lshlrev_b32_e32 v0, 2, v60
	v_cmp_gt_i64_e32 vcc, s[46:47], v[0:1]
	s_and_saveexec_b64 s[4:5], vcc
	s_cbranch_execz .LBB62_25
; %bb.23:
	s_add_u32 s34, s34, 0xd30
	v_mov_b32_e32 v61, v1
	s_addc_u32 s35, s35, 0
	s_mov_b64 s[36:37], 0
	v_mov_b32_e32 v39, s45
	s_mov_b64 s[38:39], 0xffff
.LBB62_24:                              ; =>This Inner Loop Header: Depth=1
	v_lshlrev_b64 v[0:1], 6, v[60:61]
	v_add_co_u32_e32 v56, vcc, s44, v0
	v_addc_co_u32_e32 v57, vcc, v39, v1, vcc
	global_load_dwordx4 v[0:3], v[56:57], off
	global_load_dwordx4 v[40:43], v[56:57], off offset:16
	global_load_dwordx4 v[44:47], v[56:57], off offset:48
	global_load_dwordx4 v[48:51], v[56:57], off offset:32
	s_getpc_b64 s[40:41]
	s_add_u32 s40, s40, _ZNK2at6native4AsinIN3c107complexIdEEEclES4_@rel32@lo+4
	s_addc_u32 s41, s41, _ZNK2at6native4AsinIN3c107complexIdEEEclES4_@rel32@hi+12
	s_swappc_b64 s[30:31], s[40:41]
	v_mov_b32_e32 v52, v0
	v_mov_b32_e32 v53, v1
	v_mov_b32_e32 v54, v2
	v_mov_b32_e32 v55, v3
	v_mov_b32_e32 v0, v40
	v_mov_b32_e32 v1, v41
	v_mov_b32_e32 v2, v42
	v_mov_b32_e32 v3, v43
	s_swappc_b64 s[30:31], s[40:41]
	v_mov_b32_e32 v40, v0
	v_mov_b32_e32 v41, v1
	v_mov_b32_e32 v42, v2
	v_mov_b32_e32 v43, v3
	v_mov_b32_e32 v0, v48
	v_mov_b32_e32 v1, v49
	v_mov_b32_e32 v2, v50
	v_mov_b32_e32 v3, v51
	;; [unrolled: 9-line block ×3, first 2 shown]
	s_swappc_b64 s[30:31], s[40:41]
	global_store_dwordx4 v[56:57], v[52:55], off
	global_store_dwordx4 v[56:57], v[40:43], off offset:16
	global_store_dwordx4 v[56:57], v[48:51], off offset:32
	global_store_dwordx4 v[56:57], v[0:3], off offset:48
	s_load_dword s4, s[34:35], 0xc
	s_waitcnt lgkmcnt(0)
	s_and_b32 s4, s4, 0xffff
	v_add_co_u32_e32 v60, vcc, s4, v60
	v_addc_co_u32_e32 v61, vcc, 0, v61, vcc
	v_lshlrev_b64 v[0:1], 2, v[60:61]
	v_cmp_le_i64_e32 vcc, s[46:47], v[0:1]
	v_cmp_lt_u64_e64 s[4:5], s[38:39], v[0:1]
	s_or_b64 s[4:5], vcc, s[4:5]
	s_and_b64 s[4:5], exec, s[4:5]
	s_or_b64 s[36:37], s[4:5], s[36:37]
	s_andn2_b64 exec, exec, s[36:37]
	s_cbranch_execnz .LBB62_24
.LBB62_25:
	s_endpgm
	.section	.rodata,"a",@progbits
	.p2align	6, 0x0
	.amdhsa_kernel _ZN2at6native12_GLOBAL__N_125multi_tensor_apply_kernelINS1_18TensorListMetadataILi1EEENS1_14UnaryOpFunctorIN3c107complexIdEELi1ELi1ELi0EEEJNS0_4AsinIS8_EEEEEvT_T0_DpT1_
		.amdhsa_group_segment_fixed_size 0
		.amdhsa_private_segment_fixed_size 12
		.amdhsa_kernarg_size 3632
		.amdhsa_user_sgpr_count 8
		.amdhsa_user_sgpr_private_segment_buffer 1
		.amdhsa_user_sgpr_dispatch_ptr 0
		.amdhsa_user_sgpr_queue_ptr 0
		.amdhsa_user_sgpr_kernarg_segment_ptr 1
		.amdhsa_user_sgpr_dispatch_id 0
		.amdhsa_user_sgpr_flat_scratch_init 1
		.amdhsa_user_sgpr_kernarg_preload_length 0
		.amdhsa_user_sgpr_kernarg_preload_offset 0
		.amdhsa_user_sgpr_private_segment_size 0
		.amdhsa_uses_dynamic_stack 0
		.amdhsa_system_sgpr_private_segment_wavefront_offset 1
		.amdhsa_system_sgpr_workgroup_id_x 1
		.amdhsa_system_sgpr_workgroup_id_y 0
		.amdhsa_system_sgpr_workgroup_id_z 0
		.amdhsa_system_sgpr_workgroup_info 0
		.amdhsa_system_vgpr_workitem_id 0
		.amdhsa_next_free_vgpr 72
		.amdhsa_next_free_sgpr 56
		.amdhsa_accum_offset 72
		.amdhsa_reserve_vcc 1
		.amdhsa_reserve_flat_scratch 1
		.amdhsa_float_round_mode_32 0
		.amdhsa_float_round_mode_16_64 0
		.amdhsa_float_denorm_mode_32 3
		.amdhsa_float_denorm_mode_16_64 3
		.amdhsa_dx10_clamp 1
		.amdhsa_ieee_mode 1
		.amdhsa_fp16_overflow 0
		.amdhsa_tg_split 0
		.amdhsa_exception_fp_ieee_invalid_op 0
		.amdhsa_exception_fp_denorm_src 0
		.amdhsa_exception_fp_ieee_div_zero 0
		.amdhsa_exception_fp_ieee_overflow 0
		.amdhsa_exception_fp_ieee_underflow 0
		.amdhsa_exception_fp_ieee_inexact 0
		.amdhsa_exception_int_div_zero 0
	.end_amdhsa_kernel
	.section	.text._ZN2at6native12_GLOBAL__N_125multi_tensor_apply_kernelINS1_18TensorListMetadataILi1EEENS1_14UnaryOpFunctorIN3c107complexIdEELi1ELi1ELi0EEEJNS0_4AsinIS8_EEEEEvT_T0_DpT1_,"axG",@progbits,_ZN2at6native12_GLOBAL__N_125multi_tensor_apply_kernelINS1_18TensorListMetadataILi1EEENS1_14UnaryOpFunctorIN3c107complexIdEELi1ELi1ELi0EEEJNS0_4AsinIS8_EEEEEvT_T0_DpT1_,comdat
.Lfunc_end62:
	.size	_ZN2at6native12_GLOBAL__N_125multi_tensor_apply_kernelINS1_18TensorListMetadataILi1EEENS1_14UnaryOpFunctorIN3c107complexIdEELi1ELi1ELi0EEEJNS0_4AsinIS8_EEEEEvT_T0_DpT1_, .Lfunc_end62-_ZN2at6native12_GLOBAL__N_125multi_tensor_apply_kernelINS1_18TensorListMetadataILi1EEENS1_14UnaryOpFunctorIN3c107complexIdEELi1ELi1ELi0EEEJNS0_4AsinIS8_EEEEEvT_T0_DpT1_
                                        ; -- End function
	.section	.AMDGPU.csdata,"",@progbits
; Kernel info:
; codeLenInByte = 1316
; NumSgprs: 62
; NumVgprs: 72
; NumAgprs: 0
; TotalNumVgprs: 72
; ScratchSize: 12
; MemoryBound: 1
; FloatMode: 240
; IeeeMode: 1
; LDSByteSize: 0 bytes/workgroup (compile time only)
; SGPRBlocks: 7
; VGPRBlocks: 8
; NumSGPRsForWavesPerEU: 62
; NumVGPRsForWavesPerEU: 72
; AccumOffset: 72
; Occupancy: 7
; WaveLimiterHint : 0
; COMPUTE_PGM_RSRC2:SCRATCH_EN: 1
; COMPUTE_PGM_RSRC2:USER_SGPR: 8
; COMPUTE_PGM_RSRC2:TRAP_HANDLER: 0
; COMPUTE_PGM_RSRC2:TGID_X_EN: 1
; COMPUTE_PGM_RSRC2:TGID_Y_EN: 0
; COMPUTE_PGM_RSRC2:TGID_Z_EN: 0
; COMPUTE_PGM_RSRC2:TIDIG_COMP_CNT: 0
; COMPUTE_PGM_RSRC3_GFX90A:ACCUM_OFFSET: 17
; COMPUTE_PGM_RSRC3_GFX90A:TG_SPLIT: 0
	.section	.text._ZN2at6native12_GLOBAL__N_125multi_tensor_apply_kernelINS1_18TensorListMetadataILi1EEENS1_14UnaryOpFunctorIN3c107complexIfEELi1ELi1ELi0EEEJNS0_4AsinIS8_EEEEEvT_T0_DpT1_,"axG",@progbits,_ZN2at6native12_GLOBAL__N_125multi_tensor_apply_kernelINS1_18TensorListMetadataILi1EEENS1_14UnaryOpFunctorIN3c107complexIfEELi1ELi1ELi0EEEJNS0_4AsinIS8_EEEEEvT_T0_DpT1_,comdat
	.globl	_ZN2at6native12_GLOBAL__N_125multi_tensor_apply_kernelINS1_18TensorListMetadataILi1EEENS1_14UnaryOpFunctorIN3c107complexIfEELi1ELi1ELi0EEEJNS0_4AsinIS8_EEEEEvT_T0_DpT1_ ; -- Begin function _ZN2at6native12_GLOBAL__N_125multi_tensor_apply_kernelINS1_18TensorListMetadataILi1EEENS1_14UnaryOpFunctorIN3c107complexIfEELi1ELi1ELi0EEEJNS0_4AsinIS8_EEEEEvT_T0_DpT1_
	.p2align	8
	.type	_ZN2at6native12_GLOBAL__N_125multi_tensor_apply_kernelINS1_18TensorListMetadataILi1EEENS1_14UnaryOpFunctorIN3c107complexIfEELi1ELi1ELi0EEEJNS0_4AsinIS8_EEEEEvT_T0_DpT1_,@function
_ZN2at6native12_GLOBAL__N_125multi_tensor_apply_kernelINS1_18TensorListMetadataILi1EEENS1_14UnaryOpFunctorIN3c107complexIfEELi1ELi1ELi0EEEJNS0_4AsinIS8_EEEEEvT_T0_DpT1_: ; @_ZN2at6native12_GLOBAL__N_125multi_tensor_apply_kernelINS1_18TensorListMetadataILi1EEENS1_14UnaryOpFunctorIN3c107complexIfEELi1ELi1ELi0EEEJNS0_4AsinIS8_EEEEEvT_T0_DpT1_
; %bb.0:
	v_mov_b32_e32 v1, s8
	global_load_ubyte v1, v1, s[4:5] offset:1760
	s_add_u32 flat_scratch_lo, s6, s9
	s_addc_u32 flat_scratch_hi, s7, 0
	s_add_u32 s0, s0, s9
	s_addc_u32 s1, s1, 0
	s_add_u32 s6, s4, s8
	s_mul_hi_u32 s7, s8, 3
	s_mul_i32 s8, s8, 3
	s_addc_u32 s9, s5, 0
	s_add_u32 s6, s6, s8
	s_addc_u32 s7, s9, s7
	s_load_dword s10, s[6:7], 0x820
	s_mov_b32 s15, 0
	s_waitcnt lgkmcnt(0)
	s_ashr_i32 s11, s10, 31
	s_waitcnt vmcnt(0)
	v_readfirstlane_b32 s6, v1
	s_lshl_b32 s8, s6, 3
	s_load_dwordx2 s[6:7], s[4:5], s8 offset:0x0
	s_load_dwordx2 s[12:13], s[4:5], s8 offset:0x370
	s_lshl_b64 s[8:9], s[10:11], 19
	s_waitcnt lgkmcnt(0)
	s_add_u32 s33, s6, s8
	s_addc_u32 s31, s7, s9
	s_lshl_b64 s[10:11], s[10:11], 16
	s_and_b32 s14, s33, 31
	s_sub_u32 s18, s12, s10
	s_subb_u32 s19, s13, s11
	s_and_b32 s10, s12, 3
	s_mov_b32 s11, s15
	s_or_b64 s[10:11], s[14:15], s[10:11]
	s_cmp_eq_u64 s[10:11], 0
	s_cbranch_scc1 .LBB63_413
; %bb.1:
	v_cmp_lt_i64_e64 s[10:11], s[18:19], 1
	s_and_b64 vcc, exec, s[10:11]
	s_cbranch_vccnz .LBB63_412
; %bb.2:
	s_load_dword s10, s[4:5], 0xd3c
	v_mov_b32_e32 v2, 0x10000
	v_mov_b32_e32 v3, 0
	v_cmp_lt_u64_e32 vcc, s[18:19], v[2:3]
	v_lshlrev_b32_e32 v1, 3, v0
	s_waitcnt lgkmcnt(0)
	s_and_b32 s12, s10, 0xffff
	s_and_b64 s[10:11], vcc, exec
	s_cselect_b32 s21, s19, 0
	s_cselect_b32 s20, s18, 0x10000
	s_lshl_b32 s10, s12, 1
	s_lshl_b32 s55, s12, 2
	s_add_u32 s8, s6, s8
	s_addc_u32 s9, s7, s9
	v_mov_b32_e32 v3, s9
	v_add_co_u32_e32 v2, vcc, s8, v1
	s_mul_i32 s11, s12, 3
	v_addc_co_u32_e32 v3, vcc, 0, v3, vcc
	v_add_co_u32_e32 v1, vcc, s11, v0
	v_addc_co_u32_e64 v26, s[6:7], 0, 0, vcc
	v_add_co_u32_e32 v27, vcc, s10, v0
	v_addc_co_u32_e64 v28, s[6:7], 0, 0, vcc
	v_add_co_u32_e32 v29, vcc, s12, v0
	v_lshlrev_b32_e32 v4, 3, v29
	s_mov_b32 s54, 0
	s_mov_b64 s[22:23], src_private_base
	v_addc_co_u32_e64 v30, s[6:7], 0, 0, vcc
	v_mov_b32_e32 v5, s9
	v_add_co_u32_e32 v4, vcc, s8, v4
	s_mov_b32 s28, 1.0
	s_mov_b32 s22, 0
	s_mov_b32 s24, 4
	;; [unrolled: 1-line block ×3, first 2 shown]
	s_lshl_b32 s56, s12, 5
	s_mul_i32 s57, s12, 24
	s_mov_b32 s58, s54
	s_lshl_b32 s59, s12, 4
	s_mov_b32 s60, s54
	v_addc_co_u32_e32 v5, vcc, 0, v5, vcc
	s_mov_b64 s[26:27], 0
	s_mov_b32 s61, 0x4b000000
	v_mov_b32_e32 v31, 0xd800000
	s_mov_b32 s29, -1.0
	s_mov_b32 s62, 0x395db3d7
	s_brev_b32 s63, -2
	s_mov_b32 s64, 0x7f800000
	s_mov_b32 s65, 0x41200000
	;; [unrolled: 1-line block ×4, first 2 shown]
	v_mov_b32_e32 v32, 0x260
	s_mov_b32 s68, 0x800000
	s_mov_b32 s69, 0x3f317217
	;; [unrolled: 1-line block ×4, first 2 shown]
	v_mov_b32_e32 v33, 0x3f2aaada
	s_mov_b32 s72, 0x3f317218
	s_mov_b32 s73, 0x33800000
	;; [unrolled: 1-line block ×7, first 2 shown]
	v_mov_b32_e32 v34, 0x3d034c3c
	v_mov_b32_e32 v35, 0x3d3641b1
	;; [unrolled: 1-line block ×10, first 2 shown]
	s_movk_i32 s78, 0x204
	s_mov_b32 s79, 0x7effffff
	s_mov_b32 s80, 0x5e000000
	s_brev_b32 s81, 4
	s_mov_b32 s82, 0x402df854
	s_mov_b32 s83, 0xc02df854
	v_mov_b32_e32 v44, 0x7f800000
	v_mov_b32_e32 v45, 0x4f800000
	;; [unrolled: 1-line block ×3, first 2 shown]
	v_mov_b32_e32 v6, 1.0
	v_mov_b32_e32 v8, 0x3f317218
	v_mov_b32_e32 v47, 0x7fc00000
	;; [unrolled: 1-line block ×6, first 2 shown]
	s_branch .LBB63_4
.LBB63_3:                               ;   in Loop: Header=BB63_4 Depth=1
	s_or_b64 exec, exec, s[6:7]
	s_add_u32 s26, s26, s55
	s_addc_u32 s27, s27, 0
	v_pk_mov_b32 v[10:11], s[18:19], s[18:19] op_sel:[0,1]
	v_cmp_ge_i64_e32 vcc, s[26:27], v[10:11]
	v_mov_b32_e32 v10, 0xffff
	v_mov_b32_e32 v11, 0
	v_cmp_gt_u64_e64 s[6:7], s[26:27], v[10:11]
	s_or_b64 s[6:7], vcc, s[6:7]
	v_mov_b32_e32 v7, s54
	v_add_co_u32_e32 v2, vcc, s56, v2
	v_addc_co_u32_e32 v3, vcc, v3, v7, vcc
	v_add_co_u32_e32 v4, vcc, s56, v4
	v_addc_co_u32_e32 v5, vcc, v5, v7, vcc
	s_and_b64 vcc, exec, s[6:7]
	s_cbranch_vccnz .LBB63_412
.LBB63_4:                               ; =>This Inner Loop Header: Depth=1
	v_mov_b32_e32 v7, s27
	v_add_co_u32_e32 v10, vcc, s26, v0
	v_addc_co_u32_e32 v11, vcc, 0, v7, vcc
	v_cmp_gt_u64_e64 s[6:7], s[20:21], v[10:11]
	v_mov_b32_e32 v10, 0
	v_mov_b32_e32 v11, 0
	s_and_saveexec_b64 s[8:9], s[6:7]
	s_cbranch_execz .LBB63_6
; %bb.5:                                ;   in Loop: Header=BB63_4 Depth=1
	global_load_dwordx2 v[10:11], v[2:3], off
.LBB63_6:                               ;   in Loop: Header=BB63_4 Depth=1
	s_or_b64 exec, exec, s[8:9]
	v_mov_b32_e32 v7, s27
	v_add_co_u32_e32 v12, vcc, s26, v29
	v_addc_co_u32_e32 v13, vcc, v30, v7, vcc
	v_cmp_gt_u64_e64 s[8:9], s[20:21], v[12:13]
	v_mov_b32_e32 v12, 0
	v_mov_b32_e32 v14, 0
	;; [unrolled: 1-line block ×3, first 2 shown]
	s_and_saveexec_b64 s[10:11], s[8:9]
	s_cbranch_execz .LBB63_8
; %bb.7:                                ;   in Loop: Header=BB63_4 Depth=1
	global_load_dwordx2 v[14:15], v[4:5], off
.LBB63_8:                               ;   in Loop: Header=BB63_4 Depth=1
	s_or_b64 exec, exec, s[10:11]
	v_mov_b32_e32 v7, s27
	v_add_co_u32_e32 v16, vcc, s26, v27
	v_addc_co_u32_e32 v17, vcc, v28, v7, vcc
	v_cmp_gt_u64_e64 s[10:11], s[20:21], v[16:17]
	v_mov_b32_e32 v13, 0
	s_and_saveexec_b64 s[12:13], s[10:11]
	s_cbranch_execz .LBB63_10
; %bb.9:                                ;   in Loop: Header=BB63_4 Depth=1
	v_mov_b32_e32 v7, s60
	v_add_co_u32_e32 v12, vcc, s59, v2
	v_addc_co_u32_e32 v13, vcc, v3, v7, vcc
	global_load_dwordx2 v[12:13], v[12:13], off
.LBB63_10:                              ;   in Loop: Header=BB63_4 Depth=1
	s_or_b64 exec, exec, s[12:13]
	v_mov_b32_e32 v7, s27
	v_add_co_u32_e32 v16, vcc, s26, v1
	v_addc_co_u32_e32 v17, vcc, v26, v7, vcc
	v_cmp_gt_u64_e64 s[12:13], s[20:21], v[16:17]
	v_mov_b32_e32 v16, 0
	v_mov_b32_e32 v17, 0
	s_and_saveexec_b64 s[14:15], s[12:13]
	s_cbranch_execz .LBB63_12
; %bb.11:                               ;   in Loop: Header=BB63_4 Depth=1
	v_mov_b32_e32 v7, s58
	v_add_co_u32_e32 v16, vcc, s57, v2
	v_addc_co_u32_e32 v17, vcc, v3, v7, vcc
	global_load_dwordx2 v[16:17], v[16:17], off
.LBB63_12:                              ;   in Loop: Header=BB63_4 Depth=1
	s_or_b64 exec, exec, s[14:15]
	s_waitcnt vmcnt(0)
	v_cmp_o_f32_e32 vcc, v11, v11
	v_cmp_o_f32_e64 s[14:15], v10, v10
	s_and_b64 s[14:15], vcc, s[14:15]
	s_and_saveexec_b64 s[16:17], s[14:15]
	s_xor_b64 s[34:35], exec, s[16:17]
	s_cbranch_execz .LBB63_96
; %bb.13:                               ;   in Loop: Header=BB63_4 Depth=1
	v_max_f32_e64 v18, |v10|, |v10|
	v_max_f32_e64 v7, |v11|, |v11|
	s_waitcnt lgkmcnt(0)
	v_max_f32_e32 v9, v7, v18
	v_cmp_nlt_f32_e32 vcc, s61, v9
	s_and_saveexec_b64 s[14:15], vcc
	s_xor_b64 s[16:17], exec, s[14:15]
	s_cbranch_execz .LBB63_73
; %bb.14:                               ;   in Loop: Header=BB63_4 Depth=1
	v_cmp_neq_f32_e32 vcc, 0, v11
	v_cmp_neq_f32_e64 s[14:15], 0, v10
	s_or_b64 s[14:15], vcc, s[14:15]
	s_and_saveexec_b64 s[36:37], s[14:15]
	s_cbranch_execz .LBB63_72
; %bb.15:                               ;   in Loop: Header=BB63_4 Depth=1
	v_pk_mov_b32 v[18:19], s[22:23], s[22:23] op_sel:[0,1]
	flat_store_dword v[18:19], v31
	s_waitcnt vmcnt(0)
	flat_load_dword v9, v[18:19] glc
	s_waitcnt vmcnt(0)
	v_pk_mov_b32 v[18:19], s[24:25], s[24:25] op_sel:[0,1]
	v_cmp_nlt_f32_e64 s[14:15], |v11|, s62
	v_cmp_nlt_f32_e64 s[38:39], |v10|, s62
	s_or_b64 s[14:15], s[14:15], s[38:39]
	s_waitcnt lgkmcnt(0)
	v_add_f32_e32 v9, 1.0, v9
	flat_store_dword v[18:19], v9
	s_waitcnt vmcnt(0)
	flat_load_dword v9, v[18:19] glc
	s_waitcnt vmcnt(0)
	s_and_saveexec_b64 s[38:39], s[14:15]
	s_cbranch_execz .LBB63_71
; %bb.16:                               ;   in Loop: Header=BB63_4 Depth=1
	v_and_b32_e32 v18, 0x7fffffff, v10
	v_pk_add_f32 v[22:23], v[18:19], s[28:29] op_sel_hi:[0,1]
	s_waitcnt lgkmcnt(0)
	v_max_f32_e64 v9, v7, |v23|
	v_max_f32_e64 v7, v7, |v22|
	v_cvt_f64_f32_e32 v[20:21], v7
	v_frexp_exp_i32_f64_e32 v19, v[20:21]
	v_sub_u32_e32 v20, 0, v19
	v_ldexp_f32 v21, |v11|, v20
	v_ldexp_f32 v20, |v22|, v20
	v_mul_f32_e32 v20, v20, v20
	v_fmac_f32_e32 v20, v21, v21
	v_sqrt_f32_e32 v24, v20
	v_cvt_f64_f32_e32 v[20:21], v9
	v_frexp_exp_i32_f64_e32 v20, v[20:21]
	v_sub_u32_e32 v21, 0, v20
	v_ldexp_f32 v25, |v11|, v21
	v_ldexp_f32 v21, |v23|, v21
	v_mul_f32_e32 v21, v21, v21
	v_fmac_f32_e32 v21, v25, v25
	v_sqrt_f32_e32 v21, v21
	v_ldexp_f32 v24, v24, v19
	v_cmp_neq_f32_e32 vcc, s64, v9
	v_ldexp_f32 v19, v21, v20
	v_cndmask_b32_e32 v19, v44, v19, vcc
	v_cmp_neq_f32_e32 vcc, s64, v7
	v_cndmask_b32_e32 v52, v44, v24, vcc
	v_add_f32_e32 v7, v52, v19
	v_mul_f32_e32 v7, 0.5, v7
	v_cmp_ngt_f32_e32 vcc, 1.0, v7
	v_cndmask_b32_e32 v20, 1.0, v7, vcc
	v_cmp_ngt_f32_e32 vcc, s65, v20
                                        ; implicit-def: $vgpr7
	s_and_saveexec_b64 s[14:15], vcc
	s_xor_b64 s[40:41], exec, s[14:15]
	s_cbranch_execz .LBB63_18
; %bb.17:                               ;   in Loop: Header=BB63_4 Depth=1
	v_fma_f32 v7, v20, v20, -1.0
	v_mul_f32_e32 v9, 0x4f800000, v7
	v_cmp_gt_f32_e32 vcc, s66, v7
	v_cndmask_b32_e32 v7, v7, v9, vcc
	v_sqrt_f32_e32 v9, v7
	v_add_u32_e32 v21, -1, v9
	v_fma_f32 v25, -v21, v9, v7
	v_add_u32_e32 v24, 1, v9
	v_cmp_ge_f32_e64 s[14:15], 0, v25
	v_cndmask_b32_e64 v21, v9, v21, s[14:15]
	v_fma_f32 v9, -v24, v9, v7
	v_cmp_lt_f32_e64 s[14:15], 0, v9
	v_cndmask_b32_e64 v9, v21, v24, s[14:15]
	v_mul_f32_e32 v21, 0x37800000, v9
	v_cndmask_b32_e32 v9, v9, v21, vcc
	v_cmp_class_f32_e32 vcc, v7, v32
	v_cndmask_b32_e32 v7, v9, v7, vcc
	v_add_f32_e32 v7, v20, v7
	v_cmp_gt_f32_e32 vcc, s68, v7
	v_cndmask_b32_e32 v9, 1.0, v45, vcc
	v_mul_f32_e32 v7, v7, v9
	v_log_f32_e32 v7, v7
	v_mul_f32_e32 v9, 0x3f317217, v7
	v_fma_f32 v21, v7, s69, -v9
	v_fmac_f32_e32 v21, 0x3377d1cf, v7
	v_add_f32_e32 v9, v9, v21
	v_cmp_lt_f32_e64 s[14:15], |v7|, s64
	v_cndmask_b32_e64 v7, v7, v9, s[14:15]
	v_cndmask_b32_e32 v9, 0, v46, vcc
	v_sub_f32_e32 v7, v7, v9
.LBB63_18:                              ;   in Loop: Header=BB63_4 Depth=1
	s_or_saveexec_b64 s[40:41], s[40:41]
	v_and_b32_e32 v25, 0x7fffffff, v11
	v_and_b32_e32 v53, 0x7fffffff, v23
	s_xor_b64 exec, exec, s[40:41]
	s_cbranch_execz .LBB63_40
; %bb.19:                               ;   in Loop: Header=BB63_4 Depth=1
	v_cmp_neq_f32_e64 s[14:15], |v10|, 1.0
	v_cmp_nlt_f32_e64 s[42:43], |v11|, s70
	s_or_b64 s[14:15], s[42:43], s[14:15]
                                        ; implicit-def: $vgpr7
	s_and_saveexec_b64 s[42:43], s[14:15]
	s_xor_b64 s[42:43], exec, s[42:43]
	s_cbranch_execz .LBB63_37
; %bb.20:                               ;   in Loop: Header=BB63_4 Depth=1
	v_mul_f32_e32 v7, 0x34000000, v53
	v_cmp_le_f32_e64 s[14:15], v7, |v11|
                                        ; implicit-def: $vgpr7
	s_and_saveexec_b64 s[44:45], s[14:15]
	s_xor_b64 s[44:45], exec, s[44:45]
	s_cbranch_execz .LBB63_30
; %bb.21:                               ;   in Loop: Header=BB63_4 Depth=1
	v_cmp_neq_f32_e32 vcc, 0, v22
	v_mov_b32_e32 v7, v25
	s_and_saveexec_b64 s[14:15], vcc
	s_cbranch_execz .LBB63_23
; %bb.22:                               ;   in Loop: Header=BB63_4 Depth=1
	v_mul_f32_e32 v7, v11, v11
	v_add_f32_e32 v9, v22, v52
	v_div_scale_f32 v21, s[46:47], v9, v9, v7
	v_rcp_f32_e32 v24, v21
	v_fma_f32 v54, -v21, v24, 1.0
	v_fmac_f32_e32 v24, v54, v24
	v_div_scale_f32 v54, vcc, v7, v9, v7
	v_mul_f32_e32 v55, v54, v24
	v_fma_f32 v56, -v21, v55, v54
	v_fmac_f32_e32 v55, v56, v24
	v_fma_f32 v21, -v21, v55, v54
	v_div_fmas_f32 v21, v21, v24, v55
	v_div_fixup_f32 v7, v21, v9, v7
.LBB63_23:                              ;   in Loop: Header=BB63_4 Depth=1
	s_or_b64 exec, exec, s[14:15]
	v_sub_f32_e64 v21, 1.0, |v10|
	v_cmp_ngt_f32_e32 vcc, 0, v21
                                        ; implicit-def: $vgpr9
	s_and_saveexec_b64 s[14:15], vcc
	s_xor_b64 s[14:15], exec, s[14:15]
	s_cbranch_execz .LBB63_27
; %bb.24:                               ;   in Loop: Header=BB63_4 Depth=1
	v_cmp_neq_f32_e32 vcc, 0, v21
	v_mov_b32_e32 v9, v25
	s_and_saveexec_b64 s[46:47], vcc
	s_cbranch_execz .LBB63_26
; %bb.25:                               ;   in Loop: Header=BB63_4 Depth=1
	v_mul_f32_e32 v9, v11, v11
	v_add_f32_e32 v21, v21, v19
	v_div_scale_f32 v24, s[48:49], v21, v21, v9
	v_rcp_f32_e32 v54, v24
	v_fma_f32 v55, -v24, v54, 1.0
	v_fmac_f32_e32 v54, v55, v54
	v_div_scale_f32 v55, vcc, v9, v21, v9
	v_mul_f32_e32 v56, v55, v54
	v_fma_f32 v57, -v24, v56, v55
	v_fmac_f32_e32 v56, v57, v54
	v_fma_f32 v24, -v24, v56, v55
	v_div_fmas_f32 v24, v24, v54, v56
	v_div_fixup_f32 v9, v24, v21, v9
.LBB63_26:                              ;   in Loop: Header=BB63_4 Depth=1
	s_or_b64 exec, exec, s[46:47]
                                        ; implicit-def: $vgpr21
.LBB63_27:                              ;   in Loop: Header=BB63_4 Depth=1
	s_andn2_saveexec_b64 s[14:15], s[14:15]
; %bb.28:                               ;   in Loop: Header=BB63_4 Depth=1
	v_sub_f32_e32 v9, v19, v21
; %bb.29:                               ;   in Loop: Header=BB63_4 Depth=1
	s_or_b64 exec, exec, s[14:15]
	v_mul_f32_e32 v21, 0.5, v7
	v_mul_f32_e32 v7, 0.5, v9
	v_pk_add_f32 v[54:55], v[20:21], v[6:7]
	v_mul_f32_e32 v7, v54, v55
	v_mul_f32_e32 v9, 0x4f800000, v7
	v_cmp_gt_f32_e32 vcc, s66, v7
	v_cndmask_b32_e32 v7, v7, v9, vcc
	v_sqrt_f32_e32 v9, v7
	v_add_u32_e32 v21, -1, v9
	v_fma_f32 v24, -v21, v9, v7
	v_cmp_ge_f32_e64 s[14:15], 0, v24
	v_add_u32_e32 v24, 1, v9
	v_cndmask_b32_e64 v21, v9, v21, s[14:15]
	v_fma_f32 v9, -v24, v9, v7
	v_cmp_lt_f32_e64 s[14:15], 0, v9
	v_cndmask_b32_e64 v9, v21, v24, s[14:15]
	v_mul_f32_e32 v21, 0x37800000, v9
	v_cndmask_b32_e32 v9, v9, v21, vcc
	v_cmp_class_f32_e32 vcc, v7, v32
	v_cndmask_b32_e32 v7, v9, v7, vcc
	v_add_f32_e32 v54, v55, v7
	v_add_f32_e32 v57, 1.0, v54
	v_add_f32_e32 v55, -1.0, v57
	v_mov_b32_e32 v56, v55
	v_pk_add_f32 v[58:59], v[54:55], v[56:57] neg_lo:[0,1] neg_hi:[0,1]
	v_add_f32_e32 v7, 1.0, v59
	v_add_f32_e32 v7, v58, v7
	v_frexp_mant_f32_e32 v9, v57
	v_cvt_f64_f32_e32 v[58:59], v57
	v_frexp_exp_i32_f64_e32 v21, v[58:59]
	v_cmp_gt_f32_e32 vcc, s71, v9
	v_subbrev_co_u32_e32 v21, vcc, 0, v21, vcc
	v_sub_u32_e32 v9, 0, v21
	v_ldexp_f32 v24, v57, v9
	v_ldexp_f32 v7, v7, v9
	v_add_f32_e32 v9, -1.0, v24
	v_add_f32_e32 v56, 1.0, v24
	v_add_f32_e32 v55, 1.0, v9
	v_add_f32_e32 v57, -1.0, v56
	v_sub_f32_e32 v55, v24, v55
	v_sub_f32_e32 v24, v24, v57
	v_add_f32_e32 v55, v7, v55
	v_add_f32_e32 v7, v7, v24
	;; [unrolled: 1-line block ×3, first 2 shown]
	v_rcp_f32_e32 v64, v24
	v_add_f32_e32 v57, v9, v55
	v_sub_f32_e32 v9, v57, v9
	v_sub_f32_e32 v9, v55, v9
	v_mul_f32_e32 v55, v57, v64
	v_sub_f32_e32 v56, v24, v56
	v_mul_f32_e32 v58, v24, v55
	v_sub_f32_e32 v7, v7, v56
	v_fma_f32 v60, v55, v24, -v58
	v_fmac_f32_e32 v60, v55, v7
	v_add_f32_e32 v56, v58, v60
	v_sub_f32_e32 v59, v57, v56
	v_pk_add_f32 v[62:63], v[56:57], v[58:59] neg_lo:[0,1] neg_hi:[0,1]
	v_mov_b32_e32 v61, v56
	v_pk_add_f32 v[56:57], v[62:63], v[60:61] neg_lo:[0,1] neg_hi:[0,1]
	v_add_f32_e32 v9, v9, v57
	v_add_f32_e32 v9, v56, v9
	;; [unrolled: 1-line block ×3, first 2 shown]
	v_mul_f32_e32 v65, v64, v57
	v_mul_f32_e32 v58, v24, v65
	v_fma_f32 v60, v65, v24, -v58
	v_fmac_f32_e32 v60, v65, v7
	v_add_f32_e32 v56, v58, v60
	v_sub_f32_e32 v7, v59, v57
	v_sub_f32_e32 v59, v57, v56
	v_pk_add_f32 v[62:63], v[56:57], v[58:59] neg_lo:[0,1] neg_hi:[0,1]
	v_mov_b32_e32 v61, v56
	v_add_f32_e32 v7, v9, v7
	v_pk_add_f32 v[56:57], v[62:63], v[60:61] neg_lo:[0,1] neg_hi:[0,1]
	v_add_f32_e32 v7, v7, v57
	v_add_f32_e32 v7, v56, v7
	;; [unrolled: 1-line block ×4, first 2 shown]
	v_sub_f32_e32 v9, v24, v55
	v_mul_f32_e32 v7, v64, v7
	v_sub_f32_e32 v9, v65, v9
	v_add_f32_e32 v7, v9, v7
	v_add_f32_e32 v55, v24, v7
	v_cvt_f32_i32_e32 v56, v21
	v_mul_f32_e32 v57, v55, v55
	v_mov_b32_e32 v9, 0x3ecc95a3
	v_fmac_f32_e32 v9, 0x3e9b6dac, v57
	v_fma_f32 v9, v57, v9, v33
	v_mul_f32_e32 v57, v55, v57
	v_pk_mul_f32 v[60:61], v[56:57], v[8:9]
	v_fma_f32 v58, v56, s72, -v60
	v_ldexp_f32 v59, v55, 1
	v_fmac_f32_e32 v58, 0xb102e308, v56
	v_sub_f32_e32 v21, v55, v24
	v_pk_add_f32 v[56:57], v[60:61], v[58:59]
	v_sub_f32_e32 v7, v7, v21
	v_sub_f32_e32 v9, v57, v59
	v_ldexp_f32 v7, v7, 1
	v_sub_f32_e32 v9, v61, v9
	v_add_f32_e32 v63, v7, v9
	v_mov_b32_e32 v62, v60
	v_pk_add_f32 v[60:61], v[56:57], v[60:61] neg_lo:[0,1] neg_hi:[0,1]
	v_pk_add_f32 v[64:65], v[56:57], v[62:63]
	v_mov_b32_e32 v61, v65
	v_mov_b32_e32 v59, v56
	v_pk_add_f32 v[66:67], v[58:59], v[60:61] neg_lo:[0,1] neg_hi:[0,1]
	v_pk_add_f32 v[58:59], v[58:59], v[60:61]
	v_mov_b32_e32 v24, v59
	v_pk_add_f32 v[60:61], v[24:25], v[56:57] neg_lo:[0,1] neg_hi:[0,1]
	v_mov_b32_e32 v7, v60
	v_pk_add_f32 v[68:69], v[64:65], v[6:7] neg_lo:[0,1] neg_hi:[0,1]
	v_mov_b32_e32 v58, v65
	v_mov_b32_e32 v64, v57
	;; [unrolled: 1-line block ×4, first 2 shown]
	v_pk_add_f32 v[58:59], v[58:59], v[64:65] neg_lo:[0,1] neg_hi:[0,1]
	v_mov_b32_e32 v60, v63
	v_mov_b32_e32 v61, v56
	v_pk_add_f32 v[56:57], v[60:61], v[58:59] neg_lo:[0,1] neg_hi:[0,1]
	v_mov_b32_e32 v68, v66
	v_pk_add_f32 v[58:59], v[68:69], v[56:57]
	v_mov_b32_e32 v60, v59
	v_pk_add_f32 v[60:61], v[58:59], v[60:61]
	v_pk_add_f32 v[62:63], v[24:25], v[60:61]
	v_mov_b32_e32 v59, v62
	v_pk_add_f32 v[64:65], v[58:59], v[66:67] neg_lo:[0,1] neg_hi:[0,1]
	v_mov_b32_e32 v57, v60
	v_sub_f32_e32 v7, v58, v64
	v_pk_add_f32 v[56:57], v[56:57], v[64:65] neg_lo:[0,1] neg_hi:[0,1]
	v_sub_f32_e32 v7, v66, v7
	v_add_f32_e32 v7, v56, v7
	v_add_f32_e32 v7, v7, v57
	;; [unrolled: 1-line block ×3, first 2 shown]
	v_cmp_eq_f32_e32 vcc, s64, v54
	v_cndmask_b32_e32 v7, v7, v54, vcc
	v_cmp_ngt_f32_e32 vcc, -1.0, v54
	v_cndmask_b32_e32 v7, v47, v7, vcc
	v_cmp_neq_f32_e32 vcc, -1.0, v54
	v_cndmask_b32_e32 v7, v48, v7, vcc
	v_cmp_lt_f32_e64 vcc, |v54|, s73
	v_cndmask_b32_e32 v7, v7, v54, vcc
.LBB63_30:                              ;   in Loop: Header=BB63_4 Depth=1
	s_andn2_saveexec_b64 s[44:45], s[44:45]
	s_cbranch_execz .LBB63_36
; %bb.31:                               ;   in Loop: Header=BB63_4 Depth=1
	v_cmp_nlt_f32_e64 s[14:15], |v10|, 1.0
                                        ; implicit-def: $vgpr7
	s_and_saveexec_b64 s[46:47], s[14:15]
	s_xor_b64 s[46:47], exec, s[46:47]
	s_cbranch_execz .LBB63_33
; %bb.32:                               ;   in Loop: Header=BB63_4 Depth=1
	v_mul_f32_e32 v7, v23, v22
	v_mul_f32_e32 v9, 0x4f800000, v7
	v_cmp_gt_f32_e32 vcc, s66, v7
	v_cndmask_b32_e32 v7, v7, v9, vcc
	v_sqrt_f32_e32 v9, v7
	v_add_u32_e32 v21, -1, v9
	v_fma_f32 v54, -v21, v9, v7
	v_add_u32_e32 v24, 1, v9
	v_cmp_ge_f32_e64 s[14:15], 0, v54
	v_cndmask_b32_e64 v21, v9, v21, s[14:15]
	v_fma_f32 v9, -v24, v9, v7
	v_cmp_lt_f32_e64 s[14:15], 0, v9
	v_cndmask_b32_e64 v9, v21, v24, s[14:15]
	v_mul_f32_e32 v21, 0x37800000, v9
	v_cndmask_b32_e32 v9, v9, v21, vcc
	v_cmp_class_f32_e32 vcc, v7, v32
	v_cndmask_b32_e32 v7, v9, v7, vcc
	v_add_f32_e32 v54, v23, v7
	v_add_f32_e32 v57, 1.0, v54
	v_add_f32_e32 v55, -1.0, v57
	v_mov_b32_e32 v56, v55
	v_pk_add_f32 v[58:59], v[54:55], v[56:57] neg_lo:[0,1] neg_hi:[0,1]
	v_add_f32_e32 v7, 1.0, v59
	v_add_f32_e32 v7, v58, v7
	v_frexp_mant_f32_e32 v9, v57
	v_cvt_f64_f32_e32 v[58:59], v57
	v_frexp_exp_i32_f64_e32 v21, v[58:59]
	v_cmp_gt_f32_e32 vcc, s71, v9
	v_subbrev_co_u32_e32 v21, vcc, 0, v21, vcc
	v_sub_u32_e32 v9, 0, v21
	v_ldexp_f32 v24, v57, v9
	v_ldexp_f32 v7, v7, v9
	v_add_f32_e32 v9, -1.0, v24
	v_add_f32_e32 v56, 1.0, v24
	v_add_f32_e32 v55, 1.0, v9
	v_add_f32_e32 v57, -1.0, v56
	v_sub_f32_e32 v55, v24, v55
	v_sub_f32_e32 v24, v24, v57
	v_add_f32_e32 v55, v7, v55
	v_add_f32_e32 v7, v7, v24
	;; [unrolled: 1-line block ×3, first 2 shown]
	v_rcp_f32_e32 v64, v24
	v_add_f32_e32 v57, v9, v55
	v_sub_f32_e32 v9, v57, v9
	v_sub_f32_e32 v9, v55, v9
	v_mul_f32_e32 v55, v57, v64
	v_sub_f32_e32 v56, v24, v56
	v_mul_f32_e32 v58, v24, v55
	v_sub_f32_e32 v7, v7, v56
	v_fma_f32 v60, v55, v24, -v58
	v_fmac_f32_e32 v60, v55, v7
	v_add_f32_e32 v56, v58, v60
	v_sub_f32_e32 v59, v57, v56
	v_pk_add_f32 v[62:63], v[56:57], v[58:59] neg_lo:[0,1] neg_hi:[0,1]
	v_mov_b32_e32 v61, v56
	v_pk_add_f32 v[56:57], v[62:63], v[60:61] neg_lo:[0,1] neg_hi:[0,1]
	v_add_f32_e32 v9, v9, v57
	v_add_f32_e32 v9, v56, v9
	v_add_f32_e32 v57, v59, v9
	v_mul_f32_e32 v65, v64, v57
	v_mul_f32_e32 v58, v24, v65
	v_fma_f32 v60, v65, v24, -v58
	v_fmac_f32_e32 v60, v65, v7
	v_add_f32_e32 v56, v58, v60
	v_sub_f32_e32 v7, v59, v57
	v_sub_f32_e32 v59, v57, v56
	v_pk_add_f32 v[62:63], v[56:57], v[58:59] neg_lo:[0,1] neg_hi:[0,1]
	v_mov_b32_e32 v61, v56
	v_add_f32_e32 v7, v9, v7
	v_pk_add_f32 v[56:57], v[62:63], v[60:61] neg_lo:[0,1] neg_hi:[0,1]
	v_add_f32_e32 v7, v7, v57
	v_add_f32_e32 v7, v56, v7
	;; [unrolled: 1-line block ×4, first 2 shown]
	v_sub_f32_e32 v9, v24, v55
	v_mul_f32_e32 v7, v64, v7
	v_sub_f32_e32 v9, v65, v9
	v_add_f32_e32 v7, v9, v7
	v_add_f32_e32 v55, v24, v7
	v_cvt_f32_i32_e32 v56, v21
	v_mul_f32_e32 v57, v55, v55
	v_mov_b32_e32 v9, 0x3ecc95a3
	v_fmac_f32_e32 v9, 0x3e9b6dac, v57
	v_fma_f32 v9, v57, v9, v33
	v_mul_f32_e32 v57, v55, v57
	v_pk_mul_f32 v[60:61], v[56:57], v[8:9]
	v_fma_f32 v58, v56, s72, -v60
	v_ldexp_f32 v59, v55, 1
	v_fmac_f32_e32 v58, 0xb102e308, v56
	v_sub_f32_e32 v21, v55, v24
	v_pk_add_f32 v[56:57], v[60:61], v[58:59]
	v_sub_f32_e32 v7, v7, v21
	v_sub_f32_e32 v9, v57, v59
	v_ldexp_f32 v7, v7, 1
	v_sub_f32_e32 v9, v61, v9
	v_add_f32_e32 v63, v7, v9
	v_mov_b32_e32 v62, v60
	v_pk_add_f32 v[60:61], v[56:57], v[60:61] neg_lo:[0,1] neg_hi:[0,1]
	v_pk_add_f32 v[64:65], v[56:57], v[62:63]
	v_mov_b32_e32 v61, v65
	v_mov_b32_e32 v59, v56
	v_pk_add_f32 v[66:67], v[58:59], v[60:61] neg_lo:[0,1] neg_hi:[0,1]
	v_pk_add_f32 v[58:59], v[58:59], v[60:61]
	v_mov_b32_e32 v24, v59
	v_pk_add_f32 v[60:61], v[24:25], v[56:57] neg_lo:[0,1] neg_hi:[0,1]
	v_mov_b32_e32 v7, v60
	v_pk_add_f32 v[68:69], v[64:65], v[6:7] neg_lo:[0,1] neg_hi:[0,1]
	v_mov_b32_e32 v58, v65
	v_mov_b32_e32 v64, v57
	;; [unrolled: 1-line block ×4, first 2 shown]
	v_pk_add_f32 v[58:59], v[58:59], v[64:65] neg_lo:[0,1] neg_hi:[0,1]
	v_mov_b32_e32 v60, v63
	v_mov_b32_e32 v61, v56
	v_pk_add_f32 v[56:57], v[60:61], v[58:59] neg_lo:[0,1] neg_hi:[0,1]
	v_mov_b32_e32 v68, v66
	v_pk_add_f32 v[58:59], v[68:69], v[56:57]
	v_mov_b32_e32 v60, v59
	v_pk_add_f32 v[60:61], v[58:59], v[60:61]
	v_pk_add_f32 v[62:63], v[24:25], v[60:61]
	v_mov_b32_e32 v59, v62
	v_pk_add_f32 v[64:65], v[58:59], v[66:67] neg_lo:[0,1] neg_hi:[0,1]
	v_mov_b32_e32 v57, v60
	v_sub_f32_e32 v7, v58, v64
	v_pk_add_f32 v[56:57], v[56:57], v[64:65] neg_lo:[0,1] neg_hi:[0,1]
	v_sub_f32_e32 v7, v66, v7
	v_add_f32_e32 v7, v56, v7
	v_add_f32_e32 v7, v7, v57
	;; [unrolled: 1-line block ×3, first 2 shown]
	v_cmp_eq_f32_e32 vcc, s64, v54
	v_cndmask_b32_e32 v7, v7, v54, vcc
	v_cmp_ngt_f32_e32 vcc, -1.0, v54
	v_cndmask_b32_e32 v7, v47, v7, vcc
	v_cmp_neq_f32_e32 vcc, -1.0, v54
	v_cndmask_b32_e32 v7, v48, v7, vcc
	v_cmp_lt_f32_e64 vcc, |v54|, s73
	v_cndmask_b32_e32 v7, v7, v54, vcc
.LBB63_33:                              ;   in Loop: Header=BB63_4 Depth=1
	s_andn2_saveexec_b64 s[46:47], s[46:47]
	s_cbranch_execz .LBB63_35
; %bb.34:                               ;   in Loop: Header=BB63_4 Depth=1
	v_sub_f32_e64 v7, 1.0, |v10|
	v_mul_f32_e32 v7, v7, v22
	v_mul_f32_e32 v9, 0x4f800000, v7
	v_cmp_gt_f32_e32 vcc, s66, v7
	v_cndmask_b32_e32 v7, v7, v9, vcc
	v_sqrt_f32_e32 v9, v7
	v_add_u32_e32 v21, -1, v9
	v_fma_f32 v54, -v21, v9, v7
	v_add_u32_e32 v24, 1, v9
	v_cmp_ge_f32_e64 s[14:15], 0, v54
	v_cndmask_b32_e64 v21, v9, v21, s[14:15]
	v_fma_f32 v9, -v24, v9, v7
	v_cmp_lt_f32_e64 s[14:15], 0, v9
	v_cndmask_b32_e64 v9, v21, v24, s[14:15]
	v_mul_f32_e32 v21, 0x37800000, v9
	v_cndmask_b32_e32 v9, v9, v21, vcc
	v_cmp_class_f32_e32 vcc, v7, v32
	v_cndmask_b32_e32 v7, v9, v7, vcc
	v_and_b32_e32 v9, 0x7fffffff, v11
	v_div_scale_f32 v21, s[14:15], v7, v7, v9
	v_rcp_f32_e32 v24, v21
	v_div_scale_f32 v9, vcc, v9, v7, v9
	v_fma_f32 v54, -v21, v24, 1.0
	v_fmac_f32_e32 v24, v54, v24
	v_mul_f32_e32 v54, v9, v24
	v_fma_f32 v55, -v21, v54, v9
	v_fmac_f32_e32 v54, v55, v24
	v_fma_f32 v9, -v21, v54, v9
	v_div_fmas_f32 v9, v9, v24, v54
	v_div_fixup_f32 v7, v9, v7, |v11|
.LBB63_35:                              ;   in Loop: Header=BB63_4 Depth=1
	s_or_b64 exec, exec, s[46:47]
.LBB63_36:                              ;   in Loop: Header=BB63_4 Depth=1
	s_or_b64 exec, exec, s[44:45]
.LBB63_37:                              ;   in Loop: Header=BB63_4 Depth=1
	s_andn2_saveexec_b64 s[42:43], s[42:43]
	s_cbranch_execz .LBB63_39
; %bb.38:                               ;   in Loop: Header=BB63_4 Depth=1
	v_mul_f32_e64 v7, |v11|, s67
	v_cmp_lt_f32_e64 vcc, |v11|, s66
	v_cndmask_b32_e64 v7, |v11|, v7, vcc
	v_sqrt_f32_e32 v9, v7
	v_add_u32_e32 v21, -1, v9
	v_fma_f32 v54, -v21, v9, v7
	v_add_u32_e32 v24, 1, v9
	v_cmp_ge_f32_e64 s[14:15], 0, v54
	v_cndmask_b32_e64 v21, v9, v21, s[14:15]
	v_fma_f32 v9, -v24, v9, v7
	v_cmp_lt_f32_e64 s[14:15], 0, v9
	v_cndmask_b32_e64 v9, v21, v24, s[14:15]
	v_mul_f32_e32 v21, 0x37800000, v9
	v_cndmask_b32_e32 v9, v9, v21, vcc
	v_cmp_class_f32_e32 vcc, v7, v32
	v_cndmask_b32_e32 v7, v9, v7, vcc
.LBB63_39:                              ;   in Loop: Header=BB63_4 Depth=1
	s_or_b64 exec, exec, s[42:43]
.LBB63_40:                              ;   in Loop: Header=BB63_4 Depth=1
	s_or_b64 exec, exec, s[40:41]
	v_cmp_nlt_f32_e64 s[40:41], |v10|, s74
                                        ; implicit-def: $sgpr14_sgpr15
                                        ; implicit-def: $vgpr24
                                        ; implicit-def: $vgpr9
	s_and_saveexec_b64 s[42:43], s[40:41]
	s_xor_b64 s[40:41], exec, s[42:43]
	s_cbranch_execz .LBB63_64
; %bb.41:                               ;   in Loop: Header=BB63_4 Depth=1
	v_div_scale_f32 v9, s[14:15], v20, v20, v18
	v_rcp_f32_e32 v21, v9
	v_div_scale_f32 v24, vcc, v18, v20, v18
	s_mov_b64 s[14:15], 0
	v_fma_f32 v54, -v9, v21, 1.0
	v_fmac_f32_e32 v21, v54, v21
	v_mul_f32_e32 v54, v24, v21
	v_fma_f32 v55, -v9, v54, v24
	v_fmac_f32_e32 v54, v55, v21
	v_fma_f32 v9, -v9, v54, v24
	v_div_fmas_f32 v9, v9, v21, v54
	v_div_fixup_f32 v9, v9, v20, |v10|
	v_cmp_lt_f32_e32 vcc, s75, v9
                                        ; implicit-def: $vgpr24
	s_and_saveexec_b64 s[42:43], vcc
	s_cbranch_execz .LBB63_63
; %bb.42:                               ;   in Loop: Header=BB63_4 Depth=1
	v_cmp_neq_f32_e64 s[14:15], |v10|, 1.0
	v_cmp_nlt_f32_e64 s[44:45], |v11|, s76
	s_or_b64 s[14:15], s[44:45], s[14:15]
                                        ; implicit-def: $sgpr46_sgpr47
                                        ; implicit-def: $vgpr24
	s_and_saveexec_b64 s[44:45], s[14:15]
	s_xor_b64 s[44:45], exec, s[44:45]
	s_cbranch_execz .LBB63_60
; %bb.43:                               ;   in Loop: Header=BB63_4 Depth=1
	v_mul_f32_e32 v21, 0x34000000, v53
	v_cmp_le_f32_e64 s[14:15], v21, |v11|
                                        ; implicit-def: $vgpr24
                                        ; implicit-def: $sgpr46_sgpr47
	s_and_saveexec_b64 s[48:49], s[14:15]
	s_xor_b64 s[48:49], exec, s[48:49]
	s_cbranch_execz .LBB63_53
; %bb.44:                               ;   in Loop: Header=BB63_4 Depth=1
	v_cmp_neq_f32_e32 vcc, 0, v22
	v_mov_b32_e32 v21, v25
	s_and_saveexec_b64 s[14:15], vcc
	s_cbranch_execz .LBB63_46
; %bb.45:                               ;   in Loop: Header=BB63_4 Depth=1
	v_mul_f32_e32 v21, v11, v11
	v_add_f32_e32 v22, v22, v52
	v_div_scale_f32 v24, s[46:47], v22, v22, v21
	v_rcp_f32_e32 v52, v24
	v_fma_f32 v53, -v24, v52, 1.0
	v_fmac_f32_e32 v52, v53, v52
	v_div_scale_f32 v53, vcc, v21, v22, v21
	v_mul_f32_e32 v54, v53, v52
	v_fma_f32 v55, -v24, v54, v53
	v_fmac_f32_e32 v54, v55, v52
	v_fma_f32 v24, -v24, v54, v53
	v_div_fmas_f32 v24, v24, v52, v54
	v_div_fixup_f32 v21, v24, v22, v21
.LBB63_46:                              ;   in Loop: Header=BB63_4 Depth=1
	s_or_b64 exec, exec, s[14:15]
	v_cmp_ngt_f32_e32 vcc, 0, v23
	s_and_saveexec_b64 s[14:15], vcc
	s_xor_b64 s[14:15], exec, s[14:15]
	s_cbranch_execz .LBB63_50
; %bb.47:                               ;   in Loop: Header=BB63_4 Depth=1
	v_cmp_neq_f32_e32 vcc, 0, v23
	s_and_saveexec_b64 s[46:47], vcc
	s_cbranch_execz .LBB63_49
; %bb.48:                               ;   in Loop: Header=BB63_4 Depth=1
	v_mul_f32_e32 v22, v11, v11
	v_add_f32_e32 v19, v23, v19
	v_div_scale_f32 v23, s[50:51], v19, v19, v22
	v_rcp_f32_e32 v24, v23
	v_fma_f32 v25, -v23, v24, 1.0
	v_fmac_f32_e32 v24, v25, v24
	v_div_scale_f32 v25, vcc, v22, v19, v22
	v_mul_f32_e32 v52, v25, v24
	v_fma_f32 v53, -v23, v52, v25
	v_fmac_f32_e32 v52, v53, v24
	v_fma_f32 v23, -v23, v52, v25
	v_div_fmas_f32 v23, v23, v24, v52
	v_div_fixup_f32 v25, v23, v19, v22
.LBB63_49:                              ;   in Loop: Header=BB63_4 Depth=1
	s_or_b64 exec, exec, s[46:47]
                                        ; implicit-def: $vgpr19
                                        ; implicit-def: $vgpr22_vgpr23
.LBB63_50:                              ;   in Loop: Header=BB63_4 Depth=1
	s_andn2_saveexec_b64 s[14:15], s[14:15]
; %bb.51:                               ;   in Loop: Header=BB63_4 Depth=1
	v_sub_f32_e32 v25, v19, v23
; %bb.52:                               ;   in Loop: Header=BB63_4 Depth=1
	s_or_b64 exec, exec, s[14:15]
	v_mul_f32_e32 v19, 0.5, v21
	v_mul_f32_e32 v21, 0.5, v25
	v_pk_add_f32 v[20:21], v[18:19], v[20:21]
	v_mul_f32_e32 v19, v20, v21
	v_mul_f32_e32 v20, 0x4f800000, v19
	v_cmp_gt_f32_e32 vcc, s66, v19
	v_cndmask_b32_e32 v19, v19, v20, vcc
	v_sqrt_f32_e32 v20, v19
	s_mov_b64 s[46:47], -1
	v_add_u32_e32 v21, -1, v20
	v_fma_f32 v22, -v21, v20, v19
	v_cmp_ge_f32_e64 s[14:15], 0, v22
	v_add_u32_e32 v22, 1, v20
	v_cndmask_b32_e64 v21, v20, v21, s[14:15]
	v_fma_f32 v20, -v22, v20, v19
	v_cmp_lt_f32_e64 s[14:15], 0, v20
	v_cndmask_b32_e64 v20, v21, v22, s[14:15]
	v_mul_f32_e32 v21, 0x37800000, v20
	v_cndmask_b32_e32 v20, v20, v21, vcc
	v_cmp_class_f32_e32 vcc, v19, v32
	v_cndmask_b32_e32 v24, v20, v19, vcc
                                        ; implicit-def: $vgpr22_vgpr23
.LBB63_53:                              ;   in Loop: Header=BB63_4 Depth=1
	s_andn2_saveexec_b64 s[48:49], s[48:49]
	s_cbranch_execz .LBB63_59
; %bb.54:                               ;   in Loop: Header=BB63_4 Depth=1
	v_cmp_ngt_f32_e64 s[14:15], |v10|, 1.0
                                        ; implicit-def: $vgpr24
                                        ; implicit-def: $sgpr50_sgpr51
	s_and_saveexec_b64 s[52:53], s[14:15]
	s_xor_b64 s[52:53], exec, s[52:53]
	s_cbranch_execz .LBB63_56
; %bb.55:                               ;   in Loop: Header=BB63_4 Depth=1
	v_sub_f32_e64 v19, 1.0, |v10|
	v_mul_f32_e32 v19, v19, v22
	v_mul_f32_e32 v20, 0x4f800000, v19
	v_cmp_gt_f32_e32 vcc, s66, v19
	v_cndmask_b32_e32 v19, v19, v20, vcc
	v_sqrt_f32_e32 v20, v19
	s_mov_b64 s[50:51], -1
	v_add_u32_e32 v21, -1, v20
	v_fma_f32 v23, -v21, v20, v19
	v_add_u32_e32 v22, 1, v20
	v_cmp_ge_f32_e64 s[14:15], 0, v23
	v_cndmask_b32_e64 v21, v20, v21, s[14:15]
	v_fma_f32 v20, -v22, v20, v19
	v_cmp_lt_f32_e64 s[14:15], 0, v20
	v_cndmask_b32_e64 v20, v21, v22, s[14:15]
	v_mul_f32_e32 v21, 0x37800000, v20
	v_cndmask_b32_e32 v20, v20, v21, vcc
	v_cmp_class_f32_e32 vcc, v19, v32
	v_cndmask_b32_e32 v24, v20, v19, vcc
                                        ; implicit-def: $vgpr22_vgpr23
.LBB63_56:                              ;   in Loop: Header=BB63_4 Depth=1
	s_andn2_saveexec_b64 s[52:53], s[52:53]
	s_cbranch_execz .LBB63_58
; %bb.57:                               ;   in Loop: Header=BB63_4 Depth=1
	v_mul_f32_e32 v18, v22, v23
	v_mul_f32_e32 v19, 0x4f800000, v18
	v_cmp_gt_f32_e32 vcc, s66, v18
	v_cndmask_b32_e32 v18, v18, v19, vcc
	v_sqrt_f32_e32 v19, v18
	v_mul_f32_e64 v20, |v11|, s77
	v_mul_f32_e64 v20, |v10|, v20
	s_or_b64 s[50:51], s[50:51], exec
	v_add_u32_e32 v21, -1, v19
	v_fma_f32 v22, -v21, v19, v18
	v_cmp_ge_f32_e64 s[14:15], 0, v22
	v_add_u32_e32 v22, 1, v19
	v_cndmask_b32_e64 v21, v19, v21, s[14:15]
	v_fma_f32 v19, -v22, v19, v18
	v_cmp_lt_f32_e64 s[14:15], 0, v19
	v_cndmask_b32_e64 v19, v21, v22, s[14:15]
	v_mul_f32_e32 v21, 0x37800000, v19
	v_cndmask_b32_e32 v19, v19, v21, vcc
	v_cmp_class_f32_e32 vcc, v18, v32
	v_cndmask_b32_e32 v18, v19, v18, vcc
	v_div_scale_f32 v19, s[14:15], v18, v18, v20
	v_rcp_f32_e32 v21, v19
	v_fma_f32 v22, -v19, v21, 1.0
	v_fmac_f32_e32 v21, v22, v21
	v_div_scale_f32 v22, vcc, v20, v18, v20
	v_mul_f32_e32 v23, v22, v21
	v_fma_f32 v24, -v19, v23, v22
	v_fmac_f32_e32 v23, v24, v21
	v_fma_f32 v19, -v19, v23, v22
	v_div_fmas_f32 v19, v19, v21, v23
	v_div_fixup_f32 v24, v19, v18, v20
	v_mul_f32_e64 v18, |v10|, s77
.LBB63_58:                              ;   in Loop: Header=BB63_4 Depth=1
	s_or_b64 exec, exec, s[52:53]
	s_andn2_b64 s[14:15], s[46:47], exec
	s_and_b64 s[46:47], s[50:51], exec
	s_or_b64 s[46:47], s[14:15], s[46:47]
.LBB63_59:                              ;   in Loop: Header=BB63_4 Depth=1
	s_or_b64 exec, exec, s[48:49]
	s_and_b64 s[46:47], s[46:47], exec
                                        ; implicit-def: $vgpr20
.LBB63_60:                              ;   in Loop: Header=BB63_4 Depth=1
	s_andn2_saveexec_b64 s[44:45], s[44:45]
	s_cbranch_execz .LBB63_62
; %bb.61:                               ;   in Loop: Header=BB63_4 Depth=1
	v_mul_f32_e64 v18, |v11|, s67
	v_cmp_lt_f32_e64 vcc, |v11|, s66
	v_cndmask_b32_e64 v18, |v11|, v18, vcc
	v_sqrt_f32_e32 v19, v18
	v_add_f32_e32 v20, 1.0, v20
	v_mul_f32_e32 v20, 0.5, v20
	s_or_b64 s[46:47], s[46:47], exec
	v_add_u32_e32 v21, -1, v19
	v_fma_f32 v23, -v21, v19, v18
	v_add_u32_e32 v22, 1, v19
	v_cmp_ge_f32_e64 s[14:15], 0, v23
	v_cndmask_b32_e64 v21, v19, v21, s[14:15]
	v_fma_f32 v19, -v22, v19, v18
	v_cmp_lt_f32_e64 s[14:15], 0, v19
	v_cndmask_b32_e64 v19, v21, v22, s[14:15]
	v_mul_f32_e32 v22, 0x4f800000, v20
	v_cmp_gt_f32_e64 s[14:15], s66, v20
	v_cndmask_b32_e64 v20, v20, v22, s[14:15]
	v_sqrt_f32_e32 v22, v20
	v_mul_f32_e32 v21, 0x37800000, v19
	v_cndmask_b32_e32 v19, v19, v21, vcc
	v_cmp_class_f32_e32 vcc, v18, v32
	v_cndmask_b32_e32 v18, v19, v18, vcc
	v_add_u32_e32 v19, -1, v22
	v_fma_f32 v21, -v19, v22, v20
	v_cmp_ge_f32_e32 vcc, 0, v21
	v_add_u32_e32 v21, 1, v22
	v_cndmask_b32_e32 v19, v22, v19, vcc
	v_fma_f32 v22, -v21, v22, v20
	v_cmp_lt_f32_e32 vcc, 0, v22
	v_cndmask_b32_e32 v19, v19, v21, vcc
	v_mul_f32_e32 v21, 0x37800000, v19
	v_cndmask_b32_e64 v19, v19, v21, s[14:15]
	v_cmp_class_f32_e32 vcc, v20, v32
	v_cndmask_b32_e32 v19, v19, v20, vcc
	v_mul_f32_e32 v24, v18, v19
	v_mov_b32_e32 v18, 1.0
.LBB63_62:                              ;   in Loop: Header=BB63_4 Depth=1
	s_or_b64 exec, exec, s[44:45]
	s_and_b64 s[14:15], s[46:47], exec
.LBB63_63:                              ;   in Loop: Header=BB63_4 Depth=1
	s_or_b64 exec, exec, s[42:43]
	s_and_b64 s[14:15], s[14:15], exec
                                        ; implicit-def: $vgpr20
.LBB63_64:                              ;   in Loop: Header=BB63_4 Depth=1
	s_andn2_saveexec_b64 s[40:41], s[40:41]
; %bb.65:                               ;   in Loop: Header=BB63_4 Depth=1
	v_mov_b32_e32 v21, v18
	v_pk_mul_f32 v[24:25], v[20:21], s[30:31] op_sel_hi:[1,0]
	s_or_b64 s[14:15], s[14:15], exec
	v_mov_b32_e32 v18, v25
                                        ; implicit-def: $vgpr9
; %bb.66:                               ;   in Loop: Header=BB63_4 Depth=1
	s_or_b64 exec, exec, s[40:41]
	s_xor_b64 s[14:15], s[14:15], -1
                                        ; implicit-def: $vgpr19
	s_and_saveexec_b64 s[40:41], s[14:15]
	s_xor_b64 s[14:15], exec, s[40:41]
	s_cbranch_execz .LBB63_68
; %bb.67:                               ;   in Loop: Header=BB63_4 Depth=1
	v_fma_f32 v18, |v9|, -0.5, 0.5
	v_mul_f32_e32 v19, v9, v9
	v_cmp_ge_f32_e64 vcc, |v9|, 0.5
	v_cndmask_b32_e32 v18, v19, v18, vcc
	v_mov_b32_e32 v19, 0x3c5fc5da
	v_fmac_f32_e32 v19, 0x3d1c21a7, v18
	v_fma_f32 v19, v18, v19, v34
	v_fma_f32 v19, v18, v19, v35
	v_sqrt_f32_e32 v20, v18
	v_fma_f32 v19, v18, v19, v36
	v_fma_f32 v19, v18, v19, v37
	v_mul_f32_e32 v18, v18, v19
	v_fmac_f32_e32 v20, v20, v18
	v_add_f32_e32 v19, v20, v20
	v_sub_f32_e32 v19, 0x3fc90fdb, v19
	v_fma_f32 v18, |v9|, v18, |v9|
	v_cmp_lt_f32_e64 vcc, |v9|, 0.5
	v_cndmask_b32_e32 v18, v19, v18, vcc
	v_bfi_b32 v19, s63, v18, v9
                                        ; implicit-def: $vgpr18
                                        ; implicit-def: $vgpr24
.LBB63_68:                              ;   in Loop: Header=BB63_4 Depth=1
	s_andn2_saveexec_b64 s[40:41], s[14:15]
	s_cbranch_execz .LBB63_70
; %bb.69:                               ;   in Loop: Header=BB63_4 Depth=1
	v_max_f32_e32 v9, v18, v18
	v_max_f32_e64 v19, |v24|, |v24|
	v_min_f32_e32 v20, v19, v9
	v_max_f32_e32 v9, v19, v9
	v_frexp_mant_f32_e32 v19, v9
	v_rcp_f32_e32 v19, v19
	v_frexp_exp_i32_f32_e32 v9, v9
	v_frexp_exp_i32_f32_e32 v21, v20
	v_frexp_mant_f32_e32 v20, v20
	v_mul_f32_e32 v19, v20, v19
	v_sub_u32_e32 v9, v21, v9
	v_ldexp_f32 v9, v19, v9
	v_mul_f32_e32 v19, v9, v9
	v_mov_b32_e32 v20, 0xbc7a590c
	v_fmac_f32_e32 v20, 0x3b2d2a58, v19
	v_fma_f32 v20, v19, v20, v38
	v_fma_f32 v20, v19, v20, v39
	;; [unrolled: 1-line block ×6, first 2 shown]
	v_mul_f32_e32 v19, v19, v20
	v_fmac_f32_e32 v9, v9, v19
	v_sub_f32_e32 v19, 0x3fc90fdb, v9
	v_cmp_gt_f32_e64 vcc, v18, |v24|
	v_cndmask_b32_e32 v9, v9, v19, vcc
	v_sub_f32_e32 v19, 0x40490fdb, v9
	v_cmp_gt_f32_e32 vcc, 0, v24
	v_cmp_gt_i32_e64 s[14:15], 0, v24
	v_cndmask_b32_e32 v9, v9, v19, vcc
	v_cndmask_b32_e64 v19, 0, v49, s[14:15]
	v_cmp_eq_f32_e64 s[14:15], 0, v18
	v_cndmask_b32_e64 v9, v9, v19, s[14:15]
	v_cndmask_b32_e32 v19, v50, v51, vcc
	v_cmp_class_f32_e64 s[14:15], v24, s78
	v_cmp_eq_f32_e32 vcc, s64, v18
	s_and_b64 vcc, vcc, s[14:15]
	v_cndmask_b32_e32 v9, v9, v19, vcc
	v_cmp_o_f32_e32 vcc, v24, v18
	v_cndmask_b32_e64 v19, v47, |v9|, vcc
.LBB63_70:                              ;   in Loop: Header=BB63_4 Depth=1
	s_or_b64 exec, exec, s[40:41]
	v_bfi_b32 v10, s63, v19, v10
	v_bfi_b32 v11, s63, v7, v11
.LBB63_71:                              ;   in Loop: Header=BB63_4 Depth=1
	s_or_b64 exec, exec, s[38:39]
.LBB63_72:                              ;   in Loop: Header=BB63_4 Depth=1
	s_or_b64 exec, exec, s[36:37]
                                        ; implicit-def: $vgpr7
                                        ; implicit-def: $vgpr18
                                        ; implicit-def: $vgpr9
.LBB63_73:                              ;   in Loop: Header=BB63_4 Depth=1
	s_andn2_saveexec_b64 s[36:37], s[16:17]
	s_cbranch_execz .LBB63_95
; %bb.74:                               ;   in Loop: Header=BB63_4 Depth=1
	v_cmp_lt_i32_e32 vcc, -1, v11
                                        ; implicit-def: $vgpr19
                                        ; implicit-def: $vgpr20
	s_and_saveexec_b64 s[14:15], vcc
	s_xor_b64 s[38:39], exec, s[14:15]
	s_cbranch_execz .LBB63_84
; %bb.75:                               ;   in Loop: Header=BB63_4 Depth=1
	v_cmp_lt_f32_e64 s[14:15], |v11|, |v10|
	v_cndmask_b32_e64 v21, |v11|, |v10|, s[14:15]
	v_cmp_nlt_f32_e32 vcc, s79, v21
                                        ; implicit-def: $vgpr19
                                        ; implicit-def: $vgpr20
	s_and_saveexec_b64 s[16:17], vcc
	s_xor_b64 s[40:41], exec, s[16:17]
	s_cbranch_execz .LBB63_81
; %bb.76:                               ;   in Loop: Header=BB63_4 Depth=1
	v_cndmask_b32_e64 v22, |v10|, |v11|, s[14:15]
	v_cmp_nlt_f32_e32 vcc, s80, v21
	v_cmp_ngt_f32_e64 s[16:17], s81, v22
	s_and_b64 s[16:17], vcc, s[16:17]
                                        ; implicit-def: $vgpr19
                                        ; implicit-def: $vgpr20
	s_and_saveexec_b64 s[42:43], s[16:17]
	s_xor_b64 s[16:17], exec, s[42:43]
	s_cbranch_execz .LBB63_78
; %bb.77:                               ;   in Loop: Header=BB63_4 Depth=1
	v_mul_f32_e32 v19, v22, v22
	v_fmac_f32_e32 v19, v21, v21
	v_cmp_gt_f32_e32 vcc, s68, v19
	v_cndmask_b32_e32 v20, 1.0, v45, vcc
	v_mul_f32_e32 v19, v19, v20
	v_log_f32_e32 v19, v19
	v_min_f32_e32 v7, v7, v18
	s_waitcnt lgkmcnt(0)
	v_frexp_mant_f32_e32 v18, v9
	v_rcp_f32_e32 v18, v18
	v_mul_f32_e32 v21, 0x3f317217, v19
	v_fma_f32 v22, v19, s69, -v21
	v_fmac_f32_e32 v22, 0x3377d1cf, v19
	v_cndmask_b32_e32 v20, 0, v46, vcc
	v_add_f32_e32 v21, v21, v22
	v_cmp_lt_f32_e64 vcc, |v19|, s64
	v_cndmask_b32_e32 v19, v19, v21, vcc
	v_sub_f32_e32 v19, v19, v20
	v_frexp_exp_i32_f32_e32 v9, v9
	v_frexp_exp_i32_f32_e32 v20, v7
	v_frexp_mant_f32_e32 v7, v7
	v_mul_f32_e32 v7, v7, v18
	v_sub_u32_e32 v9, v20, v9
	v_ldexp_f32 v20, v7, v9
	v_mul_f32_e32 v7, v20, v20
	v_mov_b32_e32 v9, 0xbc7a590c
	v_fmac_f32_e32 v9, 0x3b2d2a58, v7
	v_fma_f32 v9, v7, v9, v38
	v_fma_f32 v9, v7, v9, v39
	;; [unrolled: 1-line block ×6, first 2 shown]
	v_mul_f32_e32 v7, v7, v9
	v_mul_f32_e32 v19, 0.5, v19
	v_fmac_f32_e32 v20, v20, v7
                                        ; implicit-def: $vgpr9
                                        ; implicit-def: $vgpr7
                                        ; implicit-def: $vgpr18
.LBB63_78:                              ;   in Loop: Header=BB63_4 Depth=1
	s_andn2_saveexec_b64 s[16:17], s[16:17]
	s_cbranch_execz .LBB63_80
; %bb.79:                               ;   in Loop: Header=BB63_4 Depth=1
	s_waitcnt lgkmcnt(0)
	v_cvt_f64_f32_e32 v[20:21], v9
	v_frexp_exp_i32_f64_e32 v19, v[20:21]
	v_sub_u32_e32 v20, 0, v19
	v_ldexp_f32 v21, |v11|, v20
	v_ldexp_f32 v20, |v10|, v20
	v_mul_f32_e32 v20, v20, v20
	v_fmac_f32_e32 v20, v21, v21
	v_sqrt_f32_e32 v20, v20
	v_cmp_neq_f32_e32 vcc, s64, v9
	v_min_f32_e32 v7, v7, v18
	v_ldexp_f32 v19, v20, v19
	v_cndmask_b32_e32 v19, v44, v19, vcc
	v_cmp_gt_f32_e32 vcc, s68, v19
	v_cndmask_b32_e32 v20, 1.0, v45, vcc
	v_mul_f32_e32 v19, v19, v20
	v_log_f32_e32 v19, v19
	v_cndmask_b32_e32 v18, 0, v46, vcc
	v_mul_f32_e32 v20, 0x3f317217, v19
	v_fma_f32 v21, v19, s69, -v20
	v_fmac_f32_e32 v21, 0x3377d1cf, v19
	v_add_f32_e32 v20, v20, v21
	v_cmp_lt_f32_e64 vcc, |v19|, s64
	v_cndmask_b32_e32 v19, v19, v20, vcc
	v_sub_f32_e32 v19, v19, v18
	v_frexp_mant_f32_e32 v18, v9
	v_rcp_f32_e32 v18, v18
	v_frexp_exp_i32_f32_e32 v9, v9
	v_frexp_exp_i32_f32_e32 v20, v7
	v_frexp_mant_f32_e32 v7, v7
	v_mul_f32_e32 v7, v7, v18
	v_sub_u32_e32 v9, v20, v9
	v_ldexp_f32 v20, v7, v9
	v_mul_f32_e32 v7, v20, v20
	v_mov_b32_e32 v9, 0xbc7a590c
	v_fmac_f32_e32 v9, 0x3b2d2a58, v7
	v_fma_f32 v9, v7, v9, v38
	v_fma_f32 v9, v7, v9, v39
	;; [unrolled: 1-line block ×6, first 2 shown]
	v_mul_f32_e32 v7, v7, v9
	v_fmac_f32_e32 v20, v20, v7
.LBB63_80:                              ;   in Loop: Header=BB63_4 Depth=1
	s_or_b64 exec, exec, s[16:17]
                                        ; implicit-def: $vgpr7
                                        ; implicit-def: $vgpr18
                                        ; implicit-def: $vgpr9
.LBB63_81:                              ;   in Loop: Header=BB63_4 Depth=1
	s_andn2_saveexec_b64 s[40:41], s[40:41]
	s_cbranch_execz .LBB63_83
; %bb.82:                               ;   in Loop: Header=BB63_4 Depth=1
	v_div_scale_f32 v19, s[16:17], s82, s82, v11
	v_rcp_f32_e32 v20, v19
	v_div_scale_f32 v21, vcc, v11, s82, v11
	v_min_f32_e32 v7, v7, v18
	v_fma_f32 v22, -v19, v20, 1.0
	v_fmac_f32_e32 v20, v22, v20
	v_mul_f32_e32 v22, v21, v20
	v_fma_f32 v23, -v19, v22, v21
	v_fmac_f32_e32 v22, v23, v20
	v_fma_f32 v19, -v19, v22, v21
	v_div_scale_f32 v21, s[16:17], s82, s82, v10
	v_rcp_f32_e32 v23, v21
	v_div_fmas_f32 v19, v19, v20, v22
	v_div_fixup_f32 v19, v19, s82, v11
	s_waitcnt lgkmcnt(0)
	v_frexp_mant_f32_e32 v18, v9
	v_fma_f32 v20, -v21, v23, 1.0
	v_fmac_f32_e32 v23, v20, v23
	v_div_scale_f32 v20, vcc, v10, s82, v10
	v_mul_f32_e32 v22, v20, v23
	v_fma_f32 v24, -v21, v22, v20
	v_fmac_f32_e32 v22, v24, v23
	v_fma_f32 v20, -v21, v22, v20
	v_div_fmas_f32 v20, v20, v23, v22
	v_div_fixup_f32 v22, v20, s82, v10
	v_max_f32_e64 v23, |v19|, |v22|
	v_cvt_f64_f32_e32 v[20:21], v23
	v_frexp_exp_i32_f64_e32 v20, v[20:21]
	v_sub_u32_e32 v21, 0, v20
	v_ldexp_f32 v19, |v19|, v21
	v_ldexp_f32 v21, |v22|, v21
	v_mul_f32_e32 v21, v21, v21
	v_fmac_f32_e32 v21, v19, v19
	v_sqrt_f32_e32 v19, v21
	v_cmp_neq_f32_e32 vcc, s64, v23
	v_rcp_f32_e32 v18, v18
	v_frexp_exp_i32_f32_e32 v9, v9
	v_ldexp_f32 v19, v19, v20
	v_cndmask_b32_e32 v19, v44, v19, vcc
	v_cmp_gt_f32_e32 vcc, s68, v19
	v_cndmask_b32_e32 v20, 1.0, v45, vcc
	v_mul_f32_e32 v19, v19, v20
	v_log_f32_e32 v19, v19
	v_mul_f32_e32 v20, 0x3f317217, v19
	v_fma_f32 v21, v19, s69, -v20
	v_fmac_f32_e32 v21, 0x3377d1cf, v19
	v_add_f32_e32 v20, v20, v21
	v_cmp_lt_f32_e64 s[16:17], |v19|, s64
	v_cndmask_b32_e64 v19, v19, v20, s[16:17]
	v_cndmask_b32_e32 v20, 0, v46, vcc
	v_sub_f32_e32 v19, v19, v20
	v_frexp_exp_i32_f32_e32 v20, v7
	v_frexp_mant_f32_e32 v7, v7
	v_mul_f32_e32 v7, v7, v18
	v_sub_u32_e32 v9, v20, v9
	v_ldexp_f32 v20, v7, v9
	v_mul_f32_e32 v7, v20, v20
	v_mov_b32_e32 v9, 0xbc7a590c
	v_fmac_f32_e32 v9, 0x3b2d2a58, v7
	v_fma_f32 v9, v7, v9, v38
	v_fma_f32 v9, v7, v9, v39
	;; [unrolled: 1-line block ×6, first 2 shown]
	v_mul_f32_e32 v7, v7, v9
	v_add_f32_e32 v19, 1.0, v19
	v_fmac_f32_e32 v20, v20, v7
.LBB63_83:                              ;   in Loop: Header=BB63_4 Depth=1
	s_or_b64 exec, exec, s[40:41]
	v_sub_f32_e32 v7, 0x3fc90fdb, v20
	v_cndmask_b32_e64 v20, v20, v7, s[14:15]
                                        ; implicit-def: $vgpr7
                                        ; implicit-def: $vgpr18
                                        ; implicit-def: $vgpr9
.LBB63_84:                              ;   in Loop: Header=BB63_4 Depth=1
	s_andn2_saveexec_b64 s[38:39], s[38:39]
	s_cbranch_execz .LBB63_94
; %bb.85:                               ;   in Loop: Header=BB63_4 Depth=1
	v_cmp_lt_f32_e64 s[14:15], |v11|, |v10|
	v_cndmask_b32_e64 v21, |v11|, |v10|, s[14:15]
	v_cmp_nlt_f32_e32 vcc, s79, v21
                                        ; implicit-def: $vgpr19
                                        ; implicit-def: $vgpr20
	s_and_saveexec_b64 s[16:17], vcc
	s_xor_b64 s[40:41], exec, s[16:17]
	s_cbranch_execz .LBB63_91
; %bb.86:                               ;   in Loop: Header=BB63_4 Depth=1
	v_cndmask_b32_e64 v22, |v10|, |v11|, s[14:15]
	v_cmp_nlt_f32_e32 vcc, s80, v21
	v_cmp_ngt_f32_e64 s[16:17], s81, v22
	s_and_b64 s[16:17], vcc, s[16:17]
                                        ; implicit-def: $vgpr19
                                        ; implicit-def: $vgpr20
	s_and_saveexec_b64 s[42:43], s[16:17]
	s_xor_b64 s[16:17], exec, s[42:43]
	s_cbranch_execz .LBB63_88
; %bb.87:                               ;   in Loop: Header=BB63_4 Depth=1
	v_mul_f32_e32 v19, v22, v22
	v_fmac_f32_e32 v19, v21, v21
	v_cmp_gt_f32_e32 vcc, s68, v19
	v_cndmask_b32_e32 v20, 1.0, v45, vcc
	v_mul_f32_e32 v19, v19, v20
	v_log_f32_e32 v19, v19
	v_min_f32_e32 v7, v7, v18
	s_waitcnt lgkmcnt(0)
	v_frexp_mant_f32_e32 v18, v9
	v_rcp_f32_e32 v18, v18
	v_mul_f32_e32 v21, 0x3f317217, v19
	v_fma_f32 v22, v19, s69, -v21
	v_fmac_f32_e32 v22, 0x3377d1cf, v19
	v_cndmask_b32_e32 v20, 0, v46, vcc
	v_add_f32_e32 v21, v21, v22
	v_cmp_lt_f32_e64 vcc, |v19|, s64
	v_cndmask_b32_e32 v19, v19, v21, vcc
	v_sub_f32_e32 v19, v19, v20
	v_frexp_exp_i32_f32_e32 v9, v9
	v_frexp_exp_i32_f32_e32 v20, v7
	v_frexp_mant_f32_e32 v7, v7
	v_mul_f32_e32 v7, v7, v18
	v_sub_u32_e32 v9, v20, v9
	v_ldexp_f32 v20, v7, v9
	v_mul_f32_e32 v7, v20, v20
	v_mov_b32_e32 v9, 0xbc7a590c
	v_fmac_f32_e32 v9, 0x3b2d2a58, v7
	v_fma_f32 v9, v7, v9, v38
	v_fma_f32 v9, v7, v9, v39
	;; [unrolled: 1-line block ×6, first 2 shown]
	v_mul_f32_e32 v7, v7, v9
	v_mul_f32_e32 v19, 0.5, v19
	v_fmac_f32_e32 v20, v20, v7
                                        ; implicit-def: $vgpr9
                                        ; implicit-def: $vgpr7
                                        ; implicit-def: $vgpr18
.LBB63_88:                              ;   in Loop: Header=BB63_4 Depth=1
	s_andn2_saveexec_b64 s[16:17], s[16:17]
	s_cbranch_execz .LBB63_90
; %bb.89:                               ;   in Loop: Header=BB63_4 Depth=1
	s_waitcnt lgkmcnt(0)
	v_cvt_f64_f32_e32 v[20:21], v9
	v_frexp_exp_i32_f64_e32 v19, v[20:21]
	v_sub_u32_e32 v20, 0, v19
	v_ldexp_f32 v21, |v11|, v20
	v_ldexp_f32 v20, |v10|, v20
	v_mul_f32_e32 v20, v20, v20
	v_fmac_f32_e32 v20, v21, v21
	v_sqrt_f32_e32 v20, v20
	v_cmp_neq_f32_e32 vcc, s64, v9
	v_min_f32_e32 v7, v7, v18
	v_ldexp_f32 v19, v20, v19
	v_cndmask_b32_e32 v19, v44, v19, vcc
	v_cmp_gt_f32_e32 vcc, s68, v19
	v_cndmask_b32_e32 v20, 1.0, v45, vcc
	v_mul_f32_e32 v19, v19, v20
	v_log_f32_e32 v19, v19
	v_cndmask_b32_e32 v18, 0, v46, vcc
	v_mul_f32_e32 v20, 0x3f317217, v19
	v_fma_f32 v21, v19, s69, -v20
	v_fmac_f32_e32 v21, 0x3377d1cf, v19
	v_add_f32_e32 v20, v20, v21
	v_cmp_lt_f32_e64 vcc, |v19|, s64
	v_cndmask_b32_e32 v19, v19, v20, vcc
	v_sub_f32_e32 v19, v19, v18
	v_frexp_mant_f32_e32 v18, v9
	v_rcp_f32_e32 v18, v18
	v_frexp_exp_i32_f32_e32 v9, v9
	v_frexp_exp_i32_f32_e32 v20, v7
	v_frexp_mant_f32_e32 v7, v7
	v_mul_f32_e32 v7, v7, v18
	v_sub_u32_e32 v9, v20, v9
	v_ldexp_f32 v20, v7, v9
	v_mul_f32_e32 v7, v20, v20
	v_mov_b32_e32 v9, 0xbc7a590c
	v_fmac_f32_e32 v9, 0x3b2d2a58, v7
	v_fma_f32 v9, v7, v9, v38
	v_fma_f32 v9, v7, v9, v39
	;; [unrolled: 1-line block ×6, first 2 shown]
	v_mul_f32_e32 v7, v7, v9
	v_fmac_f32_e32 v20, v20, v7
.LBB63_90:                              ;   in Loop: Header=BB63_4 Depth=1
	s_or_b64 exec, exec, s[16:17]
                                        ; implicit-def: $vgpr7
                                        ; implicit-def: $vgpr18
                                        ; implicit-def: $vgpr9
.LBB63_91:                              ;   in Loop: Header=BB63_4 Depth=1
	s_andn2_saveexec_b64 s[40:41], s[40:41]
	s_cbranch_execz .LBB63_93
; %bb.92:                               ;   in Loop: Header=BB63_4 Depth=1
	v_div_scale_f32 v19, s[16:17], s83, s83, v11
	v_rcp_f32_e32 v20, v19
	v_div_scale_f32 v21, vcc, v11, s83, v11
	v_min_f32_e32 v7, v7, v18
	v_fma_f32 v22, -v19, v20, 1.0
	v_fmac_f32_e32 v20, v22, v20
	v_mul_f32_e32 v22, v21, v20
	v_fma_f32 v23, -v19, v22, v21
	v_fmac_f32_e32 v22, v23, v20
	v_fma_f32 v19, -v19, v22, v21
	v_div_scale_f32 v21, s[16:17], s83, s83, v10
	v_rcp_f32_e32 v23, v21
	v_div_fmas_f32 v19, v19, v20, v22
	v_div_fixup_f32 v19, v19, s83, v11
	s_waitcnt lgkmcnt(0)
	v_frexp_mant_f32_e32 v18, v9
	v_fma_f32 v20, -v21, v23, 1.0
	v_fmac_f32_e32 v23, v20, v23
	v_div_scale_f32 v20, vcc, v10, s83, v10
	v_mul_f32_e32 v22, v20, v23
	v_fma_f32 v24, -v21, v22, v20
	v_fmac_f32_e32 v22, v24, v23
	v_fma_f32 v20, -v21, v22, v20
	v_div_fmas_f32 v20, v20, v23, v22
	v_div_fixup_f32 v22, v20, s83, v10
	v_max_f32_e64 v23, |v19|, |v22|
	v_cvt_f64_f32_e32 v[20:21], v23
	v_frexp_exp_i32_f64_e32 v20, v[20:21]
	v_sub_u32_e32 v21, 0, v20
	v_ldexp_f32 v19, |v19|, v21
	v_ldexp_f32 v21, |v22|, v21
	v_mul_f32_e32 v21, v21, v21
	v_fmac_f32_e32 v21, v19, v19
	v_sqrt_f32_e32 v19, v21
	v_cmp_neq_f32_e32 vcc, s64, v23
	v_rcp_f32_e32 v18, v18
	v_frexp_exp_i32_f32_e32 v9, v9
	v_ldexp_f32 v19, v19, v20
	v_cndmask_b32_e32 v19, v44, v19, vcc
	v_cmp_gt_f32_e32 vcc, s68, v19
	v_cndmask_b32_e32 v20, 1.0, v45, vcc
	v_mul_f32_e32 v19, v19, v20
	v_log_f32_e32 v19, v19
	v_mul_f32_e32 v20, 0x3f317217, v19
	v_fma_f32 v21, v19, s69, -v20
	v_fmac_f32_e32 v21, 0x3377d1cf, v19
	v_add_f32_e32 v20, v20, v21
	v_cmp_lt_f32_e64 s[16:17], |v19|, s64
	v_cndmask_b32_e64 v19, v19, v20, s[16:17]
	v_cndmask_b32_e32 v20, 0, v46, vcc
	v_sub_f32_e32 v19, v19, v20
	v_frexp_exp_i32_f32_e32 v20, v7
	v_frexp_mant_f32_e32 v7, v7
	v_mul_f32_e32 v7, v7, v18
	v_sub_u32_e32 v9, v20, v9
	v_ldexp_f32 v20, v7, v9
	v_mul_f32_e32 v7, v20, v20
	v_mov_b32_e32 v9, 0xbc7a590c
	v_fmac_f32_e32 v9, 0x3b2d2a58, v7
	v_fma_f32 v9, v7, v9, v38
	v_fma_f32 v9, v7, v9, v39
	;; [unrolled: 1-line block ×6, first 2 shown]
	v_mul_f32_e32 v7, v7, v9
	v_add_f32_e32 v19, 1.0, v19
	v_fmac_f32_e32 v20, v20, v7
.LBB63_93:                              ;   in Loop: Header=BB63_4 Depth=1
	s_or_b64 exec, exec, s[40:41]
	v_sub_f32_e32 v7, 0x3fc90fdb, v20
	v_cndmask_b32_e64 v20, v20, v7, s[14:15]
.LBB63_94:                              ;   in Loop: Header=BB63_4 Depth=1
	s_or_b64 exec, exec, s[38:39]
	v_cmp_neq_f32_e32 vcc, 0, v10
	v_cmp_class_f32_e64 s[14:15], v11, s78
	v_cmp_class_f32_e64 s[16:17], v10, s78
	v_cndmask_b32_e32 v7, 0, v20, vcc
	s_and_b64 vcc, s[14:15], s[16:17]
	v_cndmask_b32_e32 v7, v7, v50, vcc
	v_cmp_o_f32_e32 vcc, v10, v11
	v_cndmask_b32_e32 v7, v47, v7, vcc
	s_waitcnt lgkmcnt(0)
	v_add_f32_e32 v9, 0x3f317218, v19
	v_bfi_b32 v10, s63, v7, v10
	v_bfi_b32 v11, s63, v9, v11
.LBB63_95:                              ;   in Loop: Header=BB63_4 Depth=1
	s_or_b64 exec, exec, s[36:37]
.LBB63_96:                              ;   in Loop: Header=BB63_4 Depth=1
	s_andn2_saveexec_b64 s[14:15], s[34:35]
	s_cbranch_execz .LBB63_110
; %bb.97:                               ;   in Loop: Header=BB63_4 Depth=1
	v_cmp_neq_f32_e64 s[16:17], |v11|, s64
                                        ; implicit-def: $vgpr7
	s_and_saveexec_b64 s[34:35], s[16:17]
	s_xor_b64 s[16:17], exec, s[34:35]
	s_cbranch_execz .LBB63_107
; %bb.98:                               ;   in Loop: Header=BB63_4 Depth=1
	v_cmp_neq_f32_e64 s[34:35], |v10|, s64
                                        ; implicit-def: $vgpr7
	s_and_saveexec_b64 s[36:37], s[34:35]
	s_xor_b64 s[34:35], exec, s[36:37]
	s_cbranch_execz .LBB63_104
; %bb.99:                               ;   in Loop: Header=BB63_4 Depth=1
	v_cmp_neq_f32_e32 vcc, 0, v10
	s_and_saveexec_b64 s[36:37], vcc
	s_xor_b64 s[36:37], exec, s[36:37]
; %bb.100:                              ;   in Loop: Header=BB63_4 Depth=1
	v_add_f32_e32 v7, 0, v11
	v_add_f32_e32 v11, v10, v7
; %bb.101:                              ;   in Loop: Header=BB63_4 Depth=1
	s_or_saveexec_b64 s[36:37], s[36:37]
	v_mov_b32_e32 v7, v11
	s_xor_b64 exec, exec, s[36:37]
; %bb.102:                              ;   in Loop: Header=BB63_4 Depth=1
	v_add_f32_e32 v11, v11, v11
	v_mov_b32_e32 v7, v10
; %bb.103:                              ;   in Loop: Header=BB63_4 Depth=1
	s_or_b64 exec, exec, s[36:37]
.LBB63_104:                             ;   in Loop: Header=BB63_4 Depth=1
	s_andn2_saveexec_b64 s[34:35], s[34:35]
; %bb.105:                              ;   in Loop: Header=BB63_4 Depth=1
	v_add_f32_e32 v7, v11, v11
	v_mov_b32_e32 v11, v10
; %bb.106:                              ;   in Loop: Header=BB63_4 Depth=1
	s_or_b64 exec, exec, s[34:35]
.LBB63_107:                             ;   in Loop: Header=BB63_4 Depth=1
	s_andn2_saveexec_b64 s[16:17], s[16:17]
; %bb.108:                              ;   in Loop: Header=BB63_4 Depth=1
	v_add_f32_e32 v7, v10, v10
; %bb.109:                              ;   in Loop: Header=BB63_4 Depth=1
	s_or_b64 exec, exec, s[16:17]
	v_mov_b32_e32 v10, v7
.LBB63_110:                             ;   in Loop: Header=BB63_4 Depth=1
	s_or_b64 exec, exec, s[14:15]
	v_cmp_o_f32_e32 vcc, v15, v15
	v_cmp_o_f32_e64 s[14:15], v14, v14
	s_and_b64 s[14:15], vcc, s[14:15]
	s_and_saveexec_b64 s[16:17], s[14:15]
	s_xor_b64 s[34:35], exec, s[16:17]
	s_cbranch_execz .LBB63_194
; %bb.111:                              ;   in Loop: Header=BB63_4 Depth=1
	v_max_f32_e64 v18, |v14|, |v14|
	v_max_f32_e64 v7, |v15|, |v15|
	s_waitcnt lgkmcnt(0)
	v_max_f32_e32 v9, v7, v18
	v_cmp_nlt_f32_e32 vcc, s61, v9
	s_and_saveexec_b64 s[14:15], vcc
	s_xor_b64 s[16:17], exec, s[14:15]
	s_cbranch_execz .LBB63_171
; %bb.112:                              ;   in Loop: Header=BB63_4 Depth=1
	v_cmp_neq_f32_e32 vcc, 0, v15
	v_cmp_neq_f32_e64 s[14:15], 0, v14
	s_or_b64 s[14:15], vcc, s[14:15]
	s_and_saveexec_b64 s[36:37], s[14:15]
	s_cbranch_execz .LBB63_170
; %bb.113:                              ;   in Loop: Header=BB63_4 Depth=1
	v_pk_mov_b32 v[18:19], s[22:23], s[22:23] op_sel:[0,1]
	flat_store_dword v[18:19], v31
	s_waitcnt vmcnt(0)
	flat_load_dword v9, v[18:19] glc
	s_waitcnt vmcnt(0)
	v_pk_mov_b32 v[18:19], s[24:25], s[24:25] op_sel:[0,1]
	v_cmp_nlt_f32_e64 s[14:15], |v15|, s62
	v_cmp_nlt_f32_e64 s[38:39], |v14|, s62
	s_or_b64 s[14:15], s[14:15], s[38:39]
	s_waitcnt lgkmcnt(0)
	v_add_f32_e32 v9, 1.0, v9
	flat_store_dword v[18:19], v9
	s_waitcnt vmcnt(0)
	flat_load_dword v9, v[18:19] glc
	s_waitcnt vmcnt(0)
	s_and_saveexec_b64 s[38:39], s[14:15]
	s_cbranch_execz .LBB63_169
; %bb.114:                              ;   in Loop: Header=BB63_4 Depth=1
	v_and_b32_e32 v18, 0x7fffffff, v14
	v_pk_add_f32 v[22:23], v[18:19], s[28:29] op_sel_hi:[0,1]
	s_waitcnt lgkmcnt(0)
	v_max_f32_e64 v9, v7, |v23|
	v_max_f32_e64 v7, v7, |v22|
	v_cvt_f64_f32_e32 v[20:21], v7
	v_frexp_exp_i32_f64_e32 v19, v[20:21]
	v_sub_u32_e32 v20, 0, v19
	v_ldexp_f32 v21, |v15|, v20
	v_ldexp_f32 v20, |v22|, v20
	v_mul_f32_e32 v20, v20, v20
	v_fmac_f32_e32 v20, v21, v21
	v_sqrt_f32_e32 v24, v20
	v_cvt_f64_f32_e32 v[20:21], v9
	v_frexp_exp_i32_f64_e32 v20, v[20:21]
	v_sub_u32_e32 v21, 0, v20
	v_ldexp_f32 v25, |v15|, v21
	v_ldexp_f32 v21, |v23|, v21
	v_mul_f32_e32 v21, v21, v21
	v_fmac_f32_e32 v21, v25, v25
	v_sqrt_f32_e32 v21, v21
	v_ldexp_f32 v24, v24, v19
	v_cmp_neq_f32_e32 vcc, s64, v9
	v_ldexp_f32 v19, v21, v20
	v_cndmask_b32_e32 v19, v44, v19, vcc
	v_cmp_neq_f32_e32 vcc, s64, v7
	v_cndmask_b32_e32 v52, v44, v24, vcc
	v_add_f32_e32 v7, v52, v19
	v_mul_f32_e32 v7, 0.5, v7
	v_cmp_ngt_f32_e32 vcc, 1.0, v7
	v_cndmask_b32_e32 v20, 1.0, v7, vcc
	v_cmp_ngt_f32_e32 vcc, s65, v20
                                        ; implicit-def: $vgpr7
	s_and_saveexec_b64 s[14:15], vcc
	s_xor_b64 s[40:41], exec, s[14:15]
	s_cbranch_execz .LBB63_116
; %bb.115:                              ;   in Loop: Header=BB63_4 Depth=1
	v_fma_f32 v7, v20, v20, -1.0
	v_mul_f32_e32 v9, 0x4f800000, v7
	v_cmp_gt_f32_e32 vcc, s66, v7
	v_cndmask_b32_e32 v7, v7, v9, vcc
	v_sqrt_f32_e32 v9, v7
	v_add_u32_e32 v21, -1, v9
	v_fma_f32 v25, -v21, v9, v7
	v_add_u32_e32 v24, 1, v9
	v_cmp_ge_f32_e64 s[14:15], 0, v25
	v_cndmask_b32_e64 v21, v9, v21, s[14:15]
	v_fma_f32 v9, -v24, v9, v7
	v_cmp_lt_f32_e64 s[14:15], 0, v9
	v_cndmask_b32_e64 v9, v21, v24, s[14:15]
	v_mul_f32_e32 v21, 0x37800000, v9
	v_cndmask_b32_e32 v9, v9, v21, vcc
	v_cmp_class_f32_e32 vcc, v7, v32
	v_cndmask_b32_e32 v7, v9, v7, vcc
	v_add_f32_e32 v7, v20, v7
	v_cmp_gt_f32_e32 vcc, s68, v7
	v_cndmask_b32_e32 v9, 1.0, v45, vcc
	v_mul_f32_e32 v7, v7, v9
	v_log_f32_e32 v7, v7
	v_mul_f32_e32 v9, 0x3f317217, v7
	v_fma_f32 v21, v7, s69, -v9
	v_fmac_f32_e32 v21, 0x3377d1cf, v7
	v_add_f32_e32 v9, v9, v21
	v_cmp_lt_f32_e64 s[14:15], |v7|, s64
	v_cndmask_b32_e64 v7, v7, v9, s[14:15]
	v_cndmask_b32_e32 v9, 0, v46, vcc
	v_sub_f32_e32 v7, v7, v9
.LBB63_116:                             ;   in Loop: Header=BB63_4 Depth=1
	s_or_saveexec_b64 s[40:41], s[40:41]
	v_and_b32_e32 v25, 0x7fffffff, v15
	v_and_b32_e32 v53, 0x7fffffff, v23
	s_xor_b64 exec, exec, s[40:41]
	s_cbranch_execz .LBB63_138
; %bb.117:                              ;   in Loop: Header=BB63_4 Depth=1
	v_cmp_neq_f32_e64 s[14:15], |v14|, 1.0
	v_cmp_nlt_f32_e64 s[42:43], |v15|, s70
	s_or_b64 s[14:15], s[42:43], s[14:15]
                                        ; implicit-def: $vgpr7
	s_and_saveexec_b64 s[42:43], s[14:15]
	s_xor_b64 s[42:43], exec, s[42:43]
	s_cbranch_execz .LBB63_135
; %bb.118:                              ;   in Loop: Header=BB63_4 Depth=1
	v_mul_f32_e32 v7, 0x34000000, v53
	v_cmp_le_f32_e64 s[14:15], v7, |v15|
                                        ; implicit-def: $vgpr7
	s_and_saveexec_b64 s[44:45], s[14:15]
	s_xor_b64 s[44:45], exec, s[44:45]
	s_cbranch_execz .LBB63_128
; %bb.119:                              ;   in Loop: Header=BB63_4 Depth=1
	v_cmp_neq_f32_e32 vcc, 0, v22
	v_mov_b32_e32 v7, v25
	s_and_saveexec_b64 s[14:15], vcc
	s_cbranch_execz .LBB63_121
; %bb.120:                              ;   in Loop: Header=BB63_4 Depth=1
	v_mul_f32_e32 v7, v15, v15
	v_add_f32_e32 v9, v22, v52
	v_div_scale_f32 v21, s[46:47], v9, v9, v7
	v_rcp_f32_e32 v24, v21
	v_fma_f32 v54, -v21, v24, 1.0
	v_fmac_f32_e32 v24, v54, v24
	v_div_scale_f32 v54, vcc, v7, v9, v7
	v_mul_f32_e32 v55, v54, v24
	v_fma_f32 v56, -v21, v55, v54
	v_fmac_f32_e32 v55, v56, v24
	v_fma_f32 v21, -v21, v55, v54
	v_div_fmas_f32 v21, v21, v24, v55
	v_div_fixup_f32 v7, v21, v9, v7
.LBB63_121:                             ;   in Loop: Header=BB63_4 Depth=1
	s_or_b64 exec, exec, s[14:15]
	v_sub_f32_e64 v21, 1.0, |v14|
	v_cmp_ngt_f32_e32 vcc, 0, v21
                                        ; implicit-def: $vgpr9
	s_and_saveexec_b64 s[14:15], vcc
	s_xor_b64 s[14:15], exec, s[14:15]
	s_cbranch_execz .LBB63_125
; %bb.122:                              ;   in Loop: Header=BB63_4 Depth=1
	v_cmp_neq_f32_e32 vcc, 0, v21
	v_mov_b32_e32 v9, v25
	s_and_saveexec_b64 s[46:47], vcc
	s_cbranch_execz .LBB63_124
; %bb.123:                              ;   in Loop: Header=BB63_4 Depth=1
	v_mul_f32_e32 v9, v15, v15
	v_add_f32_e32 v21, v21, v19
	v_div_scale_f32 v24, s[48:49], v21, v21, v9
	v_rcp_f32_e32 v54, v24
	v_fma_f32 v55, -v24, v54, 1.0
	v_fmac_f32_e32 v54, v55, v54
	v_div_scale_f32 v55, vcc, v9, v21, v9
	v_mul_f32_e32 v56, v55, v54
	v_fma_f32 v57, -v24, v56, v55
	v_fmac_f32_e32 v56, v57, v54
	v_fma_f32 v24, -v24, v56, v55
	v_div_fmas_f32 v24, v24, v54, v56
	v_div_fixup_f32 v9, v24, v21, v9
.LBB63_124:                             ;   in Loop: Header=BB63_4 Depth=1
	s_or_b64 exec, exec, s[46:47]
                                        ; implicit-def: $vgpr21
.LBB63_125:                             ;   in Loop: Header=BB63_4 Depth=1
	s_andn2_saveexec_b64 s[14:15], s[14:15]
; %bb.126:                              ;   in Loop: Header=BB63_4 Depth=1
	v_sub_f32_e32 v9, v19, v21
; %bb.127:                              ;   in Loop: Header=BB63_4 Depth=1
	s_or_b64 exec, exec, s[14:15]
	v_mul_f32_e32 v21, 0.5, v7
	v_mul_f32_e32 v7, 0.5, v9
	v_pk_add_f32 v[54:55], v[20:21], v[6:7]
	v_mul_f32_e32 v7, v54, v55
	v_mul_f32_e32 v9, 0x4f800000, v7
	v_cmp_gt_f32_e32 vcc, s66, v7
	v_cndmask_b32_e32 v7, v7, v9, vcc
	v_sqrt_f32_e32 v9, v7
	v_add_u32_e32 v21, -1, v9
	v_fma_f32 v24, -v21, v9, v7
	v_cmp_ge_f32_e64 s[14:15], 0, v24
	v_add_u32_e32 v24, 1, v9
	v_cndmask_b32_e64 v21, v9, v21, s[14:15]
	v_fma_f32 v9, -v24, v9, v7
	v_cmp_lt_f32_e64 s[14:15], 0, v9
	v_cndmask_b32_e64 v9, v21, v24, s[14:15]
	v_mul_f32_e32 v21, 0x37800000, v9
	v_cndmask_b32_e32 v9, v9, v21, vcc
	v_cmp_class_f32_e32 vcc, v7, v32
	v_cndmask_b32_e32 v7, v9, v7, vcc
	v_add_f32_e32 v54, v55, v7
	v_add_f32_e32 v57, 1.0, v54
	v_add_f32_e32 v55, -1.0, v57
	v_mov_b32_e32 v56, v55
	v_pk_add_f32 v[58:59], v[54:55], v[56:57] neg_lo:[0,1] neg_hi:[0,1]
	v_add_f32_e32 v7, 1.0, v59
	v_add_f32_e32 v7, v58, v7
	v_frexp_mant_f32_e32 v9, v57
	v_cvt_f64_f32_e32 v[58:59], v57
	v_frexp_exp_i32_f64_e32 v21, v[58:59]
	v_cmp_gt_f32_e32 vcc, s71, v9
	v_subbrev_co_u32_e32 v21, vcc, 0, v21, vcc
	v_sub_u32_e32 v9, 0, v21
	v_ldexp_f32 v24, v57, v9
	v_ldexp_f32 v7, v7, v9
	v_add_f32_e32 v9, -1.0, v24
	v_add_f32_e32 v56, 1.0, v24
	v_add_f32_e32 v55, 1.0, v9
	v_add_f32_e32 v57, -1.0, v56
	v_sub_f32_e32 v55, v24, v55
	v_sub_f32_e32 v24, v24, v57
	v_add_f32_e32 v55, v7, v55
	v_add_f32_e32 v7, v7, v24
	;; [unrolled: 1-line block ×3, first 2 shown]
	v_rcp_f32_e32 v64, v24
	v_add_f32_e32 v57, v9, v55
	v_sub_f32_e32 v9, v57, v9
	v_sub_f32_e32 v9, v55, v9
	v_mul_f32_e32 v55, v57, v64
	v_sub_f32_e32 v56, v24, v56
	v_mul_f32_e32 v58, v24, v55
	v_sub_f32_e32 v7, v7, v56
	v_fma_f32 v60, v55, v24, -v58
	v_fmac_f32_e32 v60, v55, v7
	v_add_f32_e32 v56, v58, v60
	v_sub_f32_e32 v59, v57, v56
	v_pk_add_f32 v[62:63], v[56:57], v[58:59] neg_lo:[0,1] neg_hi:[0,1]
	v_mov_b32_e32 v61, v56
	v_pk_add_f32 v[56:57], v[62:63], v[60:61] neg_lo:[0,1] neg_hi:[0,1]
	v_add_f32_e32 v9, v9, v57
	v_add_f32_e32 v9, v56, v9
	;; [unrolled: 1-line block ×3, first 2 shown]
	v_mul_f32_e32 v65, v64, v57
	v_mul_f32_e32 v58, v24, v65
	v_fma_f32 v60, v65, v24, -v58
	v_fmac_f32_e32 v60, v65, v7
	v_add_f32_e32 v56, v58, v60
	v_sub_f32_e32 v7, v59, v57
	v_sub_f32_e32 v59, v57, v56
	v_pk_add_f32 v[62:63], v[56:57], v[58:59] neg_lo:[0,1] neg_hi:[0,1]
	v_mov_b32_e32 v61, v56
	v_add_f32_e32 v7, v9, v7
	v_pk_add_f32 v[56:57], v[62:63], v[60:61] neg_lo:[0,1] neg_hi:[0,1]
	v_add_f32_e32 v7, v7, v57
	v_add_f32_e32 v7, v56, v7
	;; [unrolled: 1-line block ×4, first 2 shown]
	v_sub_f32_e32 v9, v24, v55
	v_mul_f32_e32 v7, v64, v7
	v_sub_f32_e32 v9, v65, v9
	v_add_f32_e32 v7, v9, v7
	v_add_f32_e32 v55, v24, v7
	v_cvt_f32_i32_e32 v56, v21
	v_mul_f32_e32 v57, v55, v55
	v_mov_b32_e32 v9, 0x3ecc95a3
	v_fmac_f32_e32 v9, 0x3e9b6dac, v57
	v_fma_f32 v9, v57, v9, v33
	v_mul_f32_e32 v57, v55, v57
	v_pk_mul_f32 v[60:61], v[56:57], v[8:9]
	v_fma_f32 v58, v56, s72, -v60
	v_ldexp_f32 v59, v55, 1
	v_fmac_f32_e32 v58, 0xb102e308, v56
	v_sub_f32_e32 v21, v55, v24
	v_pk_add_f32 v[56:57], v[60:61], v[58:59]
	v_sub_f32_e32 v7, v7, v21
	v_sub_f32_e32 v9, v57, v59
	v_ldexp_f32 v7, v7, 1
	v_sub_f32_e32 v9, v61, v9
	v_add_f32_e32 v63, v7, v9
	v_mov_b32_e32 v62, v60
	v_pk_add_f32 v[60:61], v[56:57], v[60:61] neg_lo:[0,1] neg_hi:[0,1]
	v_pk_add_f32 v[64:65], v[56:57], v[62:63]
	v_mov_b32_e32 v61, v65
	v_mov_b32_e32 v59, v56
	v_pk_add_f32 v[66:67], v[58:59], v[60:61] neg_lo:[0,1] neg_hi:[0,1]
	v_pk_add_f32 v[58:59], v[58:59], v[60:61]
	v_mov_b32_e32 v24, v59
	v_pk_add_f32 v[60:61], v[24:25], v[56:57] neg_lo:[0,1] neg_hi:[0,1]
	v_mov_b32_e32 v7, v60
	v_pk_add_f32 v[68:69], v[64:65], v[6:7] neg_lo:[0,1] neg_hi:[0,1]
	v_mov_b32_e32 v58, v65
	v_mov_b32_e32 v64, v57
	;; [unrolled: 1-line block ×4, first 2 shown]
	v_pk_add_f32 v[58:59], v[58:59], v[64:65] neg_lo:[0,1] neg_hi:[0,1]
	v_mov_b32_e32 v60, v63
	v_mov_b32_e32 v61, v56
	v_pk_add_f32 v[56:57], v[60:61], v[58:59] neg_lo:[0,1] neg_hi:[0,1]
	v_mov_b32_e32 v68, v66
	v_pk_add_f32 v[58:59], v[68:69], v[56:57]
	v_mov_b32_e32 v60, v59
	v_pk_add_f32 v[60:61], v[58:59], v[60:61]
	v_pk_add_f32 v[62:63], v[24:25], v[60:61]
	v_mov_b32_e32 v59, v62
	v_pk_add_f32 v[64:65], v[58:59], v[66:67] neg_lo:[0,1] neg_hi:[0,1]
	v_mov_b32_e32 v57, v60
	v_sub_f32_e32 v7, v58, v64
	v_pk_add_f32 v[56:57], v[56:57], v[64:65] neg_lo:[0,1] neg_hi:[0,1]
	v_sub_f32_e32 v7, v66, v7
	v_add_f32_e32 v7, v56, v7
	v_add_f32_e32 v7, v7, v57
	;; [unrolled: 1-line block ×3, first 2 shown]
	v_cmp_eq_f32_e32 vcc, s64, v54
	v_cndmask_b32_e32 v7, v7, v54, vcc
	v_cmp_ngt_f32_e32 vcc, -1.0, v54
	v_cndmask_b32_e32 v7, v47, v7, vcc
	v_cmp_neq_f32_e32 vcc, -1.0, v54
	v_cndmask_b32_e32 v7, v48, v7, vcc
	v_cmp_lt_f32_e64 vcc, |v54|, s73
	v_cndmask_b32_e32 v7, v7, v54, vcc
.LBB63_128:                             ;   in Loop: Header=BB63_4 Depth=1
	s_andn2_saveexec_b64 s[44:45], s[44:45]
	s_cbranch_execz .LBB63_134
; %bb.129:                              ;   in Loop: Header=BB63_4 Depth=1
	v_cmp_nlt_f32_e64 s[14:15], |v14|, 1.0
                                        ; implicit-def: $vgpr7
	s_and_saveexec_b64 s[46:47], s[14:15]
	s_xor_b64 s[46:47], exec, s[46:47]
	s_cbranch_execz .LBB63_131
; %bb.130:                              ;   in Loop: Header=BB63_4 Depth=1
	v_mul_f32_e32 v7, v23, v22
	v_mul_f32_e32 v9, 0x4f800000, v7
	v_cmp_gt_f32_e32 vcc, s66, v7
	v_cndmask_b32_e32 v7, v7, v9, vcc
	v_sqrt_f32_e32 v9, v7
	v_add_u32_e32 v21, -1, v9
	v_fma_f32 v54, -v21, v9, v7
	v_add_u32_e32 v24, 1, v9
	v_cmp_ge_f32_e64 s[14:15], 0, v54
	v_cndmask_b32_e64 v21, v9, v21, s[14:15]
	v_fma_f32 v9, -v24, v9, v7
	v_cmp_lt_f32_e64 s[14:15], 0, v9
	v_cndmask_b32_e64 v9, v21, v24, s[14:15]
	v_mul_f32_e32 v21, 0x37800000, v9
	v_cndmask_b32_e32 v9, v9, v21, vcc
	v_cmp_class_f32_e32 vcc, v7, v32
	v_cndmask_b32_e32 v7, v9, v7, vcc
	v_add_f32_e32 v54, v23, v7
	v_add_f32_e32 v57, 1.0, v54
	v_add_f32_e32 v55, -1.0, v57
	v_mov_b32_e32 v56, v55
	v_pk_add_f32 v[58:59], v[54:55], v[56:57] neg_lo:[0,1] neg_hi:[0,1]
	v_add_f32_e32 v7, 1.0, v59
	v_add_f32_e32 v7, v58, v7
	v_frexp_mant_f32_e32 v9, v57
	v_cvt_f64_f32_e32 v[58:59], v57
	v_frexp_exp_i32_f64_e32 v21, v[58:59]
	v_cmp_gt_f32_e32 vcc, s71, v9
	v_subbrev_co_u32_e32 v21, vcc, 0, v21, vcc
	v_sub_u32_e32 v9, 0, v21
	v_ldexp_f32 v24, v57, v9
	v_ldexp_f32 v7, v7, v9
	v_add_f32_e32 v9, -1.0, v24
	v_add_f32_e32 v56, 1.0, v24
	v_add_f32_e32 v55, 1.0, v9
	v_add_f32_e32 v57, -1.0, v56
	v_sub_f32_e32 v55, v24, v55
	v_sub_f32_e32 v24, v24, v57
	v_add_f32_e32 v55, v7, v55
	v_add_f32_e32 v7, v7, v24
	;; [unrolled: 1-line block ×3, first 2 shown]
	v_rcp_f32_e32 v64, v24
	v_add_f32_e32 v57, v9, v55
	v_sub_f32_e32 v9, v57, v9
	v_sub_f32_e32 v9, v55, v9
	v_mul_f32_e32 v55, v57, v64
	v_sub_f32_e32 v56, v24, v56
	v_mul_f32_e32 v58, v24, v55
	v_sub_f32_e32 v7, v7, v56
	v_fma_f32 v60, v55, v24, -v58
	v_fmac_f32_e32 v60, v55, v7
	v_add_f32_e32 v56, v58, v60
	v_sub_f32_e32 v59, v57, v56
	v_pk_add_f32 v[62:63], v[56:57], v[58:59] neg_lo:[0,1] neg_hi:[0,1]
	v_mov_b32_e32 v61, v56
	v_pk_add_f32 v[56:57], v[62:63], v[60:61] neg_lo:[0,1] neg_hi:[0,1]
	v_add_f32_e32 v9, v9, v57
	v_add_f32_e32 v9, v56, v9
	;; [unrolled: 1-line block ×3, first 2 shown]
	v_mul_f32_e32 v65, v64, v57
	v_mul_f32_e32 v58, v24, v65
	v_fma_f32 v60, v65, v24, -v58
	v_fmac_f32_e32 v60, v65, v7
	v_add_f32_e32 v56, v58, v60
	v_sub_f32_e32 v7, v59, v57
	v_sub_f32_e32 v59, v57, v56
	v_pk_add_f32 v[62:63], v[56:57], v[58:59] neg_lo:[0,1] neg_hi:[0,1]
	v_mov_b32_e32 v61, v56
	v_add_f32_e32 v7, v9, v7
	v_pk_add_f32 v[56:57], v[62:63], v[60:61] neg_lo:[0,1] neg_hi:[0,1]
	v_add_f32_e32 v7, v7, v57
	v_add_f32_e32 v7, v56, v7
	v_add_f32_e32 v24, v55, v65
	v_add_f32_e32 v7, v59, v7
	v_sub_f32_e32 v9, v24, v55
	v_mul_f32_e32 v7, v64, v7
	v_sub_f32_e32 v9, v65, v9
	v_add_f32_e32 v7, v9, v7
	v_add_f32_e32 v55, v24, v7
	v_cvt_f32_i32_e32 v56, v21
	v_mul_f32_e32 v57, v55, v55
	v_mov_b32_e32 v9, 0x3ecc95a3
	v_fmac_f32_e32 v9, 0x3e9b6dac, v57
	v_fma_f32 v9, v57, v9, v33
	v_mul_f32_e32 v57, v55, v57
	v_pk_mul_f32 v[60:61], v[56:57], v[8:9]
	v_fma_f32 v58, v56, s72, -v60
	v_ldexp_f32 v59, v55, 1
	v_fmac_f32_e32 v58, 0xb102e308, v56
	v_sub_f32_e32 v21, v55, v24
	v_pk_add_f32 v[56:57], v[60:61], v[58:59]
	v_sub_f32_e32 v7, v7, v21
	v_sub_f32_e32 v9, v57, v59
	v_ldexp_f32 v7, v7, 1
	v_sub_f32_e32 v9, v61, v9
	v_add_f32_e32 v63, v7, v9
	v_mov_b32_e32 v62, v60
	v_pk_add_f32 v[60:61], v[56:57], v[60:61] neg_lo:[0,1] neg_hi:[0,1]
	v_pk_add_f32 v[64:65], v[56:57], v[62:63]
	v_mov_b32_e32 v61, v65
	v_mov_b32_e32 v59, v56
	v_pk_add_f32 v[66:67], v[58:59], v[60:61] neg_lo:[0,1] neg_hi:[0,1]
	v_pk_add_f32 v[58:59], v[58:59], v[60:61]
	v_mov_b32_e32 v24, v59
	v_pk_add_f32 v[60:61], v[24:25], v[56:57] neg_lo:[0,1] neg_hi:[0,1]
	v_mov_b32_e32 v7, v60
	v_pk_add_f32 v[68:69], v[64:65], v[6:7] neg_lo:[0,1] neg_hi:[0,1]
	v_mov_b32_e32 v58, v65
	v_mov_b32_e32 v64, v57
	v_mov_b32_e32 v65, v60
	v_mov_b32_e32 v67, v59
	v_pk_add_f32 v[58:59], v[58:59], v[64:65] neg_lo:[0,1] neg_hi:[0,1]
	v_mov_b32_e32 v60, v63
	v_mov_b32_e32 v61, v56
	v_pk_add_f32 v[56:57], v[60:61], v[58:59] neg_lo:[0,1] neg_hi:[0,1]
	v_mov_b32_e32 v68, v66
	v_pk_add_f32 v[58:59], v[68:69], v[56:57]
	v_mov_b32_e32 v60, v59
	v_pk_add_f32 v[60:61], v[58:59], v[60:61]
	v_pk_add_f32 v[62:63], v[24:25], v[60:61]
	v_mov_b32_e32 v59, v62
	v_pk_add_f32 v[64:65], v[58:59], v[66:67] neg_lo:[0,1] neg_hi:[0,1]
	v_mov_b32_e32 v57, v60
	v_sub_f32_e32 v7, v58, v64
	v_pk_add_f32 v[56:57], v[56:57], v[64:65] neg_lo:[0,1] neg_hi:[0,1]
	v_sub_f32_e32 v7, v66, v7
	v_add_f32_e32 v7, v56, v7
	v_add_f32_e32 v7, v7, v57
	;; [unrolled: 1-line block ×3, first 2 shown]
	v_cmp_eq_f32_e32 vcc, s64, v54
	v_cndmask_b32_e32 v7, v7, v54, vcc
	v_cmp_ngt_f32_e32 vcc, -1.0, v54
	v_cndmask_b32_e32 v7, v47, v7, vcc
	v_cmp_neq_f32_e32 vcc, -1.0, v54
	v_cndmask_b32_e32 v7, v48, v7, vcc
	v_cmp_lt_f32_e64 vcc, |v54|, s73
	v_cndmask_b32_e32 v7, v7, v54, vcc
.LBB63_131:                             ;   in Loop: Header=BB63_4 Depth=1
	s_andn2_saveexec_b64 s[46:47], s[46:47]
	s_cbranch_execz .LBB63_133
; %bb.132:                              ;   in Loop: Header=BB63_4 Depth=1
	v_sub_f32_e64 v7, 1.0, |v14|
	v_mul_f32_e32 v7, v7, v22
	v_mul_f32_e32 v9, 0x4f800000, v7
	v_cmp_gt_f32_e32 vcc, s66, v7
	v_cndmask_b32_e32 v7, v7, v9, vcc
	v_sqrt_f32_e32 v9, v7
	v_add_u32_e32 v21, -1, v9
	v_fma_f32 v54, -v21, v9, v7
	v_add_u32_e32 v24, 1, v9
	v_cmp_ge_f32_e64 s[14:15], 0, v54
	v_cndmask_b32_e64 v21, v9, v21, s[14:15]
	v_fma_f32 v9, -v24, v9, v7
	v_cmp_lt_f32_e64 s[14:15], 0, v9
	v_cndmask_b32_e64 v9, v21, v24, s[14:15]
	v_mul_f32_e32 v21, 0x37800000, v9
	v_cndmask_b32_e32 v9, v9, v21, vcc
	v_cmp_class_f32_e32 vcc, v7, v32
	v_cndmask_b32_e32 v7, v9, v7, vcc
	v_and_b32_e32 v9, 0x7fffffff, v15
	v_div_scale_f32 v21, s[14:15], v7, v7, v9
	v_rcp_f32_e32 v24, v21
	v_div_scale_f32 v9, vcc, v9, v7, v9
	v_fma_f32 v54, -v21, v24, 1.0
	v_fmac_f32_e32 v24, v54, v24
	v_mul_f32_e32 v54, v9, v24
	v_fma_f32 v55, -v21, v54, v9
	v_fmac_f32_e32 v54, v55, v24
	v_fma_f32 v9, -v21, v54, v9
	v_div_fmas_f32 v9, v9, v24, v54
	v_div_fixup_f32 v7, v9, v7, |v15|
.LBB63_133:                             ;   in Loop: Header=BB63_4 Depth=1
	s_or_b64 exec, exec, s[46:47]
.LBB63_134:                             ;   in Loop: Header=BB63_4 Depth=1
	s_or_b64 exec, exec, s[44:45]
.LBB63_135:                             ;   in Loop: Header=BB63_4 Depth=1
	s_andn2_saveexec_b64 s[42:43], s[42:43]
	s_cbranch_execz .LBB63_137
; %bb.136:                              ;   in Loop: Header=BB63_4 Depth=1
	v_mul_f32_e64 v7, |v15|, s67
	v_cmp_lt_f32_e64 vcc, |v15|, s66
	v_cndmask_b32_e64 v7, |v15|, v7, vcc
	v_sqrt_f32_e32 v9, v7
	v_add_u32_e32 v21, -1, v9
	v_fma_f32 v54, -v21, v9, v7
	v_add_u32_e32 v24, 1, v9
	v_cmp_ge_f32_e64 s[14:15], 0, v54
	v_cndmask_b32_e64 v21, v9, v21, s[14:15]
	v_fma_f32 v9, -v24, v9, v7
	v_cmp_lt_f32_e64 s[14:15], 0, v9
	v_cndmask_b32_e64 v9, v21, v24, s[14:15]
	v_mul_f32_e32 v21, 0x37800000, v9
	v_cndmask_b32_e32 v9, v9, v21, vcc
	v_cmp_class_f32_e32 vcc, v7, v32
	v_cndmask_b32_e32 v7, v9, v7, vcc
.LBB63_137:                             ;   in Loop: Header=BB63_4 Depth=1
	s_or_b64 exec, exec, s[42:43]
.LBB63_138:                             ;   in Loop: Header=BB63_4 Depth=1
	s_or_b64 exec, exec, s[40:41]
	v_cmp_nlt_f32_e64 s[40:41], |v14|, s74
                                        ; implicit-def: $sgpr14_sgpr15
                                        ; implicit-def: $vgpr24
                                        ; implicit-def: $vgpr9
	s_and_saveexec_b64 s[42:43], s[40:41]
	s_xor_b64 s[40:41], exec, s[42:43]
	s_cbranch_execz .LBB63_162
; %bb.139:                              ;   in Loop: Header=BB63_4 Depth=1
	v_div_scale_f32 v9, s[14:15], v20, v20, v18
	v_rcp_f32_e32 v21, v9
	v_div_scale_f32 v24, vcc, v18, v20, v18
	s_mov_b64 s[14:15], 0
	v_fma_f32 v54, -v9, v21, 1.0
	v_fmac_f32_e32 v21, v54, v21
	v_mul_f32_e32 v54, v24, v21
	v_fma_f32 v55, -v9, v54, v24
	v_fmac_f32_e32 v54, v55, v21
	v_fma_f32 v9, -v9, v54, v24
	v_div_fmas_f32 v9, v9, v21, v54
	v_div_fixup_f32 v9, v9, v20, |v14|
	v_cmp_lt_f32_e32 vcc, s75, v9
                                        ; implicit-def: $vgpr24
	s_and_saveexec_b64 s[42:43], vcc
	s_cbranch_execz .LBB63_161
; %bb.140:                              ;   in Loop: Header=BB63_4 Depth=1
	v_cmp_neq_f32_e64 s[14:15], |v14|, 1.0
	v_cmp_nlt_f32_e64 s[44:45], |v15|, s76
	s_or_b64 s[14:15], s[44:45], s[14:15]
                                        ; implicit-def: $sgpr46_sgpr47
                                        ; implicit-def: $vgpr24
	s_and_saveexec_b64 s[44:45], s[14:15]
	s_xor_b64 s[44:45], exec, s[44:45]
	s_cbranch_execz .LBB63_158
; %bb.141:                              ;   in Loop: Header=BB63_4 Depth=1
	v_mul_f32_e32 v21, 0x34000000, v53
	v_cmp_le_f32_e64 s[14:15], v21, |v15|
                                        ; implicit-def: $vgpr24
                                        ; implicit-def: $sgpr46_sgpr47
	s_and_saveexec_b64 s[48:49], s[14:15]
	s_xor_b64 s[48:49], exec, s[48:49]
	s_cbranch_execz .LBB63_151
; %bb.142:                              ;   in Loop: Header=BB63_4 Depth=1
	v_cmp_neq_f32_e32 vcc, 0, v22
	v_mov_b32_e32 v21, v25
	s_and_saveexec_b64 s[14:15], vcc
	s_cbranch_execz .LBB63_144
; %bb.143:                              ;   in Loop: Header=BB63_4 Depth=1
	v_mul_f32_e32 v21, v15, v15
	v_add_f32_e32 v22, v22, v52
	v_div_scale_f32 v24, s[46:47], v22, v22, v21
	v_rcp_f32_e32 v52, v24
	v_fma_f32 v53, -v24, v52, 1.0
	v_fmac_f32_e32 v52, v53, v52
	v_div_scale_f32 v53, vcc, v21, v22, v21
	v_mul_f32_e32 v54, v53, v52
	v_fma_f32 v55, -v24, v54, v53
	v_fmac_f32_e32 v54, v55, v52
	v_fma_f32 v24, -v24, v54, v53
	v_div_fmas_f32 v24, v24, v52, v54
	v_div_fixup_f32 v21, v24, v22, v21
.LBB63_144:                             ;   in Loop: Header=BB63_4 Depth=1
	s_or_b64 exec, exec, s[14:15]
	v_cmp_ngt_f32_e32 vcc, 0, v23
	s_and_saveexec_b64 s[14:15], vcc
	s_xor_b64 s[14:15], exec, s[14:15]
	s_cbranch_execz .LBB63_148
; %bb.145:                              ;   in Loop: Header=BB63_4 Depth=1
	v_cmp_neq_f32_e32 vcc, 0, v23
	s_and_saveexec_b64 s[46:47], vcc
	s_cbranch_execz .LBB63_147
; %bb.146:                              ;   in Loop: Header=BB63_4 Depth=1
	v_mul_f32_e32 v22, v15, v15
	v_add_f32_e32 v19, v23, v19
	v_div_scale_f32 v23, s[50:51], v19, v19, v22
	v_rcp_f32_e32 v24, v23
	v_fma_f32 v25, -v23, v24, 1.0
	v_fmac_f32_e32 v24, v25, v24
	v_div_scale_f32 v25, vcc, v22, v19, v22
	v_mul_f32_e32 v52, v25, v24
	v_fma_f32 v53, -v23, v52, v25
	v_fmac_f32_e32 v52, v53, v24
	v_fma_f32 v23, -v23, v52, v25
	v_div_fmas_f32 v23, v23, v24, v52
	v_div_fixup_f32 v25, v23, v19, v22
.LBB63_147:                             ;   in Loop: Header=BB63_4 Depth=1
	s_or_b64 exec, exec, s[46:47]
                                        ; implicit-def: $vgpr19
                                        ; implicit-def: $vgpr22_vgpr23
.LBB63_148:                             ;   in Loop: Header=BB63_4 Depth=1
	s_andn2_saveexec_b64 s[14:15], s[14:15]
; %bb.149:                              ;   in Loop: Header=BB63_4 Depth=1
	v_sub_f32_e32 v25, v19, v23
; %bb.150:                              ;   in Loop: Header=BB63_4 Depth=1
	s_or_b64 exec, exec, s[14:15]
	v_mul_f32_e32 v19, 0.5, v21
	v_mul_f32_e32 v21, 0.5, v25
	v_pk_add_f32 v[20:21], v[18:19], v[20:21]
	v_mul_f32_e32 v19, v20, v21
	v_mul_f32_e32 v20, 0x4f800000, v19
	v_cmp_gt_f32_e32 vcc, s66, v19
	v_cndmask_b32_e32 v19, v19, v20, vcc
	v_sqrt_f32_e32 v20, v19
	s_mov_b64 s[46:47], -1
	v_add_u32_e32 v21, -1, v20
	v_fma_f32 v22, -v21, v20, v19
	v_cmp_ge_f32_e64 s[14:15], 0, v22
	v_add_u32_e32 v22, 1, v20
	v_cndmask_b32_e64 v21, v20, v21, s[14:15]
	v_fma_f32 v20, -v22, v20, v19
	v_cmp_lt_f32_e64 s[14:15], 0, v20
	v_cndmask_b32_e64 v20, v21, v22, s[14:15]
	v_mul_f32_e32 v21, 0x37800000, v20
	v_cndmask_b32_e32 v20, v20, v21, vcc
	v_cmp_class_f32_e32 vcc, v19, v32
	v_cndmask_b32_e32 v24, v20, v19, vcc
                                        ; implicit-def: $vgpr22_vgpr23
.LBB63_151:                             ;   in Loop: Header=BB63_4 Depth=1
	s_andn2_saveexec_b64 s[48:49], s[48:49]
	s_cbranch_execz .LBB63_157
; %bb.152:                              ;   in Loop: Header=BB63_4 Depth=1
	v_cmp_ngt_f32_e64 s[14:15], |v14|, 1.0
                                        ; implicit-def: $vgpr24
                                        ; implicit-def: $sgpr50_sgpr51
	s_and_saveexec_b64 s[52:53], s[14:15]
	s_xor_b64 s[52:53], exec, s[52:53]
	s_cbranch_execz .LBB63_154
; %bb.153:                              ;   in Loop: Header=BB63_4 Depth=1
	v_sub_f32_e64 v19, 1.0, |v14|
	v_mul_f32_e32 v19, v19, v22
	v_mul_f32_e32 v20, 0x4f800000, v19
	v_cmp_gt_f32_e32 vcc, s66, v19
	v_cndmask_b32_e32 v19, v19, v20, vcc
	v_sqrt_f32_e32 v20, v19
	s_mov_b64 s[50:51], -1
	v_add_u32_e32 v21, -1, v20
	v_fma_f32 v23, -v21, v20, v19
	v_add_u32_e32 v22, 1, v20
	v_cmp_ge_f32_e64 s[14:15], 0, v23
	v_cndmask_b32_e64 v21, v20, v21, s[14:15]
	v_fma_f32 v20, -v22, v20, v19
	v_cmp_lt_f32_e64 s[14:15], 0, v20
	v_cndmask_b32_e64 v20, v21, v22, s[14:15]
	v_mul_f32_e32 v21, 0x37800000, v20
	v_cndmask_b32_e32 v20, v20, v21, vcc
	v_cmp_class_f32_e32 vcc, v19, v32
	v_cndmask_b32_e32 v24, v20, v19, vcc
                                        ; implicit-def: $vgpr22_vgpr23
.LBB63_154:                             ;   in Loop: Header=BB63_4 Depth=1
	s_andn2_saveexec_b64 s[52:53], s[52:53]
	s_cbranch_execz .LBB63_156
; %bb.155:                              ;   in Loop: Header=BB63_4 Depth=1
	v_mul_f32_e32 v18, v22, v23
	v_mul_f32_e32 v19, 0x4f800000, v18
	v_cmp_gt_f32_e32 vcc, s66, v18
	v_cndmask_b32_e32 v18, v18, v19, vcc
	v_sqrt_f32_e32 v19, v18
	v_mul_f32_e64 v20, |v15|, s77
	v_mul_f32_e64 v20, |v14|, v20
	s_or_b64 s[50:51], s[50:51], exec
	v_add_u32_e32 v21, -1, v19
	v_fma_f32 v22, -v21, v19, v18
	v_cmp_ge_f32_e64 s[14:15], 0, v22
	v_add_u32_e32 v22, 1, v19
	v_cndmask_b32_e64 v21, v19, v21, s[14:15]
	v_fma_f32 v19, -v22, v19, v18
	v_cmp_lt_f32_e64 s[14:15], 0, v19
	v_cndmask_b32_e64 v19, v21, v22, s[14:15]
	v_mul_f32_e32 v21, 0x37800000, v19
	v_cndmask_b32_e32 v19, v19, v21, vcc
	v_cmp_class_f32_e32 vcc, v18, v32
	v_cndmask_b32_e32 v18, v19, v18, vcc
	v_div_scale_f32 v19, s[14:15], v18, v18, v20
	v_rcp_f32_e32 v21, v19
	v_fma_f32 v22, -v19, v21, 1.0
	v_fmac_f32_e32 v21, v22, v21
	v_div_scale_f32 v22, vcc, v20, v18, v20
	v_mul_f32_e32 v23, v22, v21
	v_fma_f32 v24, -v19, v23, v22
	v_fmac_f32_e32 v23, v24, v21
	v_fma_f32 v19, -v19, v23, v22
	v_div_fmas_f32 v19, v19, v21, v23
	v_div_fixup_f32 v24, v19, v18, v20
	v_mul_f32_e64 v18, |v14|, s77
.LBB63_156:                             ;   in Loop: Header=BB63_4 Depth=1
	s_or_b64 exec, exec, s[52:53]
	s_andn2_b64 s[14:15], s[46:47], exec
	s_and_b64 s[46:47], s[50:51], exec
	s_or_b64 s[46:47], s[14:15], s[46:47]
.LBB63_157:                             ;   in Loop: Header=BB63_4 Depth=1
	s_or_b64 exec, exec, s[48:49]
	s_and_b64 s[46:47], s[46:47], exec
                                        ; implicit-def: $vgpr20
.LBB63_158:                             ;   in Loop: Header=BB63_4 Depth=1
	s_andn2_saveexec_b64 s[44:45], s[44:45]
	s_cbranch_execz .LBB63_160
; %bb.159:                              ;   in Loop: Header=BB63_4 Depth=1
	v_mul_f32_e64 v18, |v15|, s67
	v_cmp_lt_f32_e64 vcc, |v15|, s66
	v_cndmask_b32_e64 v18, |v15|, v18, vcc
	v_sqrt_f32_e32 v19, v18
	v_add_f32_e32 v20, 1.0, v20
	v_mul_f32_e32 v20, 0.5, v20
	s_or_b64 s[46:47], s[46:47], exec
	v_add_u32_e32 v21, -1, v19
	v_fma_f32 v23, -v21, v19, v18
	v_add_u32_e32 v22, 1, v19
	v_cmp_ge_f32_e64 s[14:15], 0, v23
	v_cndmask_b32_e64 v21, v19, v21, s[14:15]
	v_fma_f32 v19, -v22, v19, v18
	v_cmp_lt_f32_e64 s[14:15], 0, v19
	v_cndmask_b32_e64 v19, v21, v22, s[14:15]
	v_mul_f32_e32 v22, 0x4f800000, v20
	v_cmp_gt_f32_e64 s[14:15], s66, v20
	v_cndmask_b32_e64 v20, v20, v22, s[14:15]
	v_sqrt_f32_e32 v22, v20
	v_mul_f32_e32 v21, 0x37800000, v19
	v_cndmask_b32_e32 v19, v19, v21, vcc
	v_cmp_class_f32_e32 vcc, v18, v32
	v_cndmask_b32_e32 v18, v19, v18, vcc
	v_add_u32_e32 v19, -1, v22
	v_fma_f32 v21, -v19, v22, v20
	v_cmp_ge_f32_e32 vcc, 0, v21
	v_add_u32_e32 v21, 1, v22
	v_cndmask_b32_e32 v19, v22, v19, vcc
	v_fma_f32 v22, -v21, v22, v20
	v_cmp_lt_f32_e32 vcc, 0, v22
	v_cndmask_b32_e32 v19, v19, v21, vcc
	v_mul_f32_e32 v21, 0x37800000, v19
	v_cndmask_b32_e64 v19, v19, v21, s[14:15]
	v_cmp_class_f32_e32 vcc, v20, v32
	v_cndmask_b32_e32 v19, v19, v20, vcc
	v_mul_f32_e32 v24, v18, v19
	v_mov_b32_e32 v18, 1.0
.LBB63_160:                             ;   in Loop: Header=BB63_4 Depth=1
	s_or_b64 exec, exec, s[44:45]
	s_and_b64 s[14:15], s[46:47], exec
.LBB63_161:                             ;   in Loop: Header=BB63_4 Depth=1
	s_or_b64 exec, exec, s[42:43]
	s_and_b64 s[14:15], s[14:15], exec
                                        ; implicit-def: $vgpr20
.LBB63_162:                             ;   in Loop: Header=BB63_4 Depth=1
	s_andn2_saveexec_b64 s[40:41], s[40:41]
; %bb.163:                              ;   in Loop: Header=BB63_4 Depth=1
	v_mov_b32_e32 v21, v18
	v_pk_mul_f32 v[24:25], v[20:21], s[30:31] op_sel_hi:[1,0]
	s_or_b64 s[14:15], s[14:15], exec
	v_mov_b32_e32 v18, v25
                                        ; implicit-def: $vgpr9
; %bb.164:                              ;   in Loop: Header=BB63_4 Depth=1
	s_or_b64 exec, exec, s[40:41]
	s_xor_b64 s[14:15], s[14:15], -1
                                        ; implicit-def: $vgpr19
	s_and_saveexec_b64 s[40:41], s[14:15]
	s_xor_b64 s[14:15], exec, s[40:41]
	s_cbranch_execz .LBB63_166
; %bb.165:                              ;   in Loop: Header=BB63_4 Depth=1
	v_fma_f32 v18, |v9|, -0.5, 0.5
	v_mul_f32_e32 v19, v9, v9
	v_cmp_ge_f32_e64 vcc, |v9|, 0.5
	v_cndmask_b32_e32 v18, v19, v18, vcc
	v_mov_b32_e32 v19, 0x3c5fc5da
	v_fmac_f32_e32 v19, 0x3d1c21a7, v18
	v_fma_f32 v19, v18, v19, v34
	v_fma_f32 v19, v18, v19, v35
	v_sqrt_f32_e32 v20, v18
	v_fma_f32 v19, v18, v19, v36
	v_fma_f32 v19, v18, v19, v37
	v_mul_f32_e32 v18, v18, v19
	v_fmac_f32_e32 v20, v20, v18
	v_add_f32_e32 v19, v20, v20
	v_sub_f32_e32 v19, 0x3fc90fdb, v19
	v_fma_f32 v18, |v9|, v18, |v9|
	v_cmp_lt_f32_e64 vcc, |v9|, 0.5
	v_cndmask_b32_e32 v18, v19, v18, vcc
	v_bfi_b32 v19, s63, v18, v9
                                        ; implicit-def: $vgpr18
                                        ; implicit-def: $vgpr24
.LBB63_166:                             ;   in Loop: Header=BB63_4 Depth=1
	s_andn2_saveexec_b64 s[40:41], s[14:15]
	s_cbranch_execz .LBB63_168
; %bb.167:                              ;   in Loop: Header=BB63_4 Depth=1
	v_max_f32_e32 v9, v18, v18
	v_max_f32_e64 v19, |v24|, |v24|
	v_min_f32_e32 v20, v19, v9
	v_max_f32_e32 v9, v19, v9
	v_frexp_mant_f32_e32 v19, v9
	v_rcp_f32_e32 v19, v19
	v_frexp_exp_i32_f32_e32 v9, v9
	v_frexp_exp_i32_f32_e32 v21, v20
	v_frexp_mant_f32_e32 v20, v20
	v_mul_f32_e32 v19, v20, v19
	v_sub_u32_e32 v9, v21, v9
	v_ldexp_f32 v9, v19, v9
	v_mul_f32_e32 v19, v9, v9
	v_mov_b32_e32 v20, 0xbc7a590c
	v_fmac_f32_e32 v20, 0x3b2d2a58, v19
	v_fma_f32 v20, v19, v20, v38
	v_fma_f32 v20, v19, v20, v39
	;; [unrolled: 1-line block ×6, first 2 shown]
	v_mul_f32_e32 v19, v19, v20
	v_fmac_f32_e32 v9, v9, v19
	v_sub_f32_e32 v19, 0x3fc90fdb, v9
	v_cmp_gt_f32_e64 vcc, v18, |v24|
	v_cndmask_b32_e32 v9, v9, v19, vcc
	v_sub_f32_e32 v19, 0x40490fdb, v9
	v_cmp_gt_f32_e32 vcc, 0, v24
	v_cmp_gt_i32_e64 s[14:15], 0, v24
	v_cndmask_b32_e32 v9, v9, v19, vcc
	v_cndmask_b32_e64 v19, 0, v49, s[14:15]
	v_cmp_eq_f32_e64 s[14:15], 0, v18
	v_cndmask_b32_e64 v9, v9, v19, s[14:15]
	v_cndmask_b32_e32 v19, v50, v51, vcc
	v_cmp_class_f32_e64 s[14:15], v24, s78
	v_cmp_eq_f32_e32 vcc, s64, v18
	s_and_b64 vcc, vcc, s[14:15]
	v_cndmask_b32_e32 v9, v9, v19, vcc
	v_cmp_o_f32_e32 vcc, v24, v18
	v_cndmask_b32_e64 v19, v47, |v9|, vcc
.LBB63_168:                             ;   in Loop: Header=BB63_4 Depth=1
	s_or_b64 exec, exec, s[40:41]
	v_bfi_b32 v14, s63, v19, v14
	v_bfi_b32 v15, s63, v7, v15
.LBB63_169:                             ;   in Loop: Header=BB63_4 Depth=1
	s_or_b64 exec, exec, s[38:39]
.LBB63_170:                             ;   in Loop: Header=BB63_4 Depth=1
	s_or_b64 exec, exec, s[36:37]
                                        ; implicit-def: $vgpr7
                                        ; implicit-def: $vgpr18
                                        ; implicit-def: $vgpr9
.LBB63_171:                             ;   in Loop: Header=BB63_4 Depth=1
	s_andn2_saveexec_b64 s[36:37], s[16:17]
	s_cbranch_execz .LBB63_193
; %bb.172:                              ;   in Loop: Header=BB63_4 Depth=1
	v_cmp_lt_i32_e32 vcc, -1, v15
                                        ; implicit-def: $vgpr19
                                        ; implicit-def: $vgpr20
	s_and_saveexec_b64 s[14:15], vcc
	s_xor_b64 s[38:39], exec, s[14:15]
	s_cbranch_execz .LBB63_182
; %bb.173:                              ;   in Loop: Header=BB63_4 Depth=1
	v_cmp_lt_f32_e64 s[14:15], |v15|, |v14|
	v_cndmask_b32_e64 v21, |v15|, |v14|, s[14:15]
	v_cmp_nlt_f32_e32 vcc, s79, v21
                                        ; implicit-def: $vgpr19
                                        ; implicit-def: $vgpr20
	s_and_saveexec_b64 s[16:17], vcc
	s_xor_b64 s[40:41], exec, s[16:17]
	s_cbranch_execz .LBB63_179
; %bb.174:                              ;   in Loop: Header=BB63_4 Depth=1
	v_cndmask_b32_e64 v22, |v14|, |v15|, s[14:15]
	v_cmp_nlt_f32_e32 vcc, s80, v21
	v_cmp_ngt_f32_e64 s[16:17], s81, v22
	s_and_b64 s[16:17], vcc, s[16:17]
                                        ; implicit-def: $vgpr19
                                        ; implicit-def: $vgpr20
	s_and_saveexec_b64 s[42:43], s[16:17]
	s_xor_b64 s[16:17], exec, s[42:43]
	s_cbranch_execz .LBB63_176
; %bb.175:                              ;   in Loop: Header=BB63_4 Depth=1
	v_mul_f32_e32 v19, v22, v22
	v_fmac_f32_e32 v19, v21, v21
	v_cmp_gt_f32_e32 vcc, s68, v19
	v_cndmask_b32_e32 v20, 1.0, v45, vcc
	v_mul_f32_e32 v19, v19, v20
	v_log_f32_e32 v19, v19
	v_min_f32_e32 v7, v7, v18
	s_waitcnt lgkmcnt(0)
	v_frexp_mant_f32_e32 v18, v9
	v_rcp_f32_e32 v18, v18
	v_mul_f32_e32 v21, 0x3f317217, v19
	v_fma_f32 v22, v19, s69, -v21
	v_fmac_f32_e32 v22, 0x3377d1cf, v19
	v_cndmask_b32_e32 v20, 0, v46, vcc
	v_add_f32_e32 v21, v21, v22
	v_cmp_lt_f32_e64 vcc, |v19|, s64
	v_cndmask_b32_e32 v19, v19, v21, vcc
	v_sub_f32_e32 v19, v19, v20
	v_frexp_exp_i32_f32_e32 v9, v9
	v_frexp_exp_i32_f32_e32 v20, v7
	v_frexp_mant_f32_e32 v7, v7
	v_mul_f32_e32 v7, v7, v18
	v_sub_u32_e32 v9, v20, v9
	v_ldexp_f32 v20, v7, v9
	v_mul_f32_e32 v7, v20, v20
	v_mov_b32_e32 v9, 0xbc7a590c
	v_fmac_f32_e32 v9, 0x3b2d2a58, v7
	v_fma_f32 v9, v7, v9, v38
	v_fma_f32 v9, v7, v9, v39
	;; [unrolled: 1-line block ×6, first 2 shown]
	v_mul_f32_e32 v7, v7, v9
	v_mul_f32_e32 v19, 0.5, v19
	v_fmac_f32_e32 v20, v20, v7
                                        ; implicit-def: $vgpr9
                                        ; implicit-def: $vgpr7
                                        ; implicit-def: $vgpr18
.LBB63_176:                             ;   in Loop: Header=BB63_4 Depth=1
	s_andn2_saveexec_b64 s[16:17], s[16:17]
	s_cbranch_execz .LBB63_178
; %bb.177:                              ;   in Loop: Header=BB63_4 Depth=1
	s_waitcnt lgkmcnt(0)
	v_cvt_f64_f32_e32 v[20:21], v9
	v_frexp_exp_i32_f64_e32 v19, v[20:21]
	v_sub_u32_e32 v20, 0, v19
	v_ldexp_f32 v21, |v15|, v20
	v_ldexp_f32 v20, |v14|, v20
	v_mul_f32_e32 v20, v20, v20
	v_fmac_f32_e32 v20, v21, v21
	v_sqrt_f32_e32 v20, v20
	v_cmp_neq_f32_e32 vcc, s64, v9
	v_min_f32_e32 v7, v7, v18
	v_ldexp_f32 v19, v20, v19
	v_cndmask_b32_e32 v19, v44, v19, vcc
	v_cmp_gt_f32_e32 vcc, s68, v19
	v_cndmask_b32_e32 v20, 1.0, v45, vcc
	v_mul_f32_e32 v19, v19, v20
	v_log_f32_e32 v19, v19
	v_cndmask_b32_e32 v18, 0, v46, vcc
	v_mul_f32_e32 v20, 0x3f317217, v19
	v_fma_f32 v21, v19, s69, -v20
	v_fmac_f32_e32 v21, 0x3377d1cf, v19
	v_add_f32_e32 v20, v20, v21
	v_cmp_lt_f32_e64 vcc, |v19|, s64
	v_cndmask_b32_e32 v19, v19, v20, vcc
	v_sub_f32_e32 v19, v19, v18
	v_frexp_mant_f32_e32 v18, v9
	v_rcp_f32_e32 v18, v18
	v_frexp_exp_i32_f32_e32 v9, v9
	v_frexp_exp_i32_f32_e32 v20, v7
	v_frexp_mant_f32_e32 v7, v7
	v_mul_f32_e32 v7, v7, v18
	v_sub_u32_e32 v9, v20, v9
	v_ldexp_f32 v20, v7, v9
	v_mul_f32_e32 v7, v20, v20
	v_mov_b32_e32 v9, 0xbc7a590c
	v_fmac_f32_e32 v9, 0x3b2d2a58, v7
	v_fma_f32 v9, v7, v9, v38
	v_fma_f32 v9, v7, v9, v39
	;; [unrolled: 1-line block ×6, first 2 shown]
	v_mul_f32_e32 v7, v7, v9
	v_fmac_f32_e32 v20, v20, v7
.LBB63_178:                             ;   in Loop: Header=BB63_4 Depth=1
	s_or_b64 exec, exec, s[16:17]
                                        ; implicit-def: $vgpr7
                                        ; implicit-def: $vgpr18
                                        ; implicit-def: $vgpr9
.LBB63_179:                             ;   in Loop: Header=BB63_4 Depth=1
	s_andn2_saveexec_b64 s[40:41], s[40:41]
	s_cbranch_execz .LBB63_181
; %bb.180:                              ;   in Loop: Header=BB63_4 Depth=1
	v_div_scale_f32 v19, s[16:17], s82, s82, v15
	v_rcp_f32_e32 v20, v19
	v_div_scale_f32 v21, vcc, v15, s82, v15
	v_min_f32_e32 v7, v7, v18
	v_fma_f32 v22, -v19, v20, 1.0
	v_fmac_f32_e32 v20, v22, v20
	v_mul_f32_e32 v22, v21, v20
	v_fma_f32 v23, -v19, v22, v21
	v_fmac_f32_e32 v22, v23, v20
	v_fma_f32 v19, -v19, v22, v21
	v_div_scale_f32 v21, s[16:17], s82, s82, v14
	v_rcp_f32_e32 v23, v21
	v_div_fmas_f32 v19, v19, v20, v22
	v_div_fixup_f32 v19, v19, s82, v15
	s_waitcnt lgkmcnt(0)
	v_frexp_mant_f32_e32 v18, v9
	v_fma_f32 v20, -v21, v23, 1.0
	v_fmac_f32_e32 v23, v20, v23
	v_div_scale_f32 v20, vcc, v14, s82, v14
	v_mul_f32_e32 v22, v20, v23
	v_fma_f32 v24, -v21, v22, v20
	v_fmac_f32_e32 v22, v24, v23
	v_fma_f32 v20, -v21, v22, v20
	v_div_fmas_f32 v20, v20, v23, v22
	v_div_fixup_f32 v22, v20, s82, v14
	v_max_f32_e64 v23, |v19|, |v22|
	v_cvt_f64_f32_e32 v[20:21], v23
	v_frexp_exp_i32_f64_e32 v20, v[20:21]
	v_sub_u32_e32 v21, 0, v20
	v_ldexp_f32 v19, |v19|, v21
	v_ldexp_f32 v21, |v22|, v21
	v_mul_f32_e32 v21, v21, v21
	v_fmac_f32_e32 v21, v19, v19
	v_sqrt_f32_e32 v19, v21
	v_cmp_neq_f32_e32 vcc, s64, v23
	v_rcp_f32_e32 v18, v18
	v_frexp_exp_i32_f32_e32 v9, v9
	v_ldexp_f32 v19, v19, v20
	v_cndmask_b32_e32 v19, v44, v19, vcc
	v_cmp_gt_f32_e32 vcc, s68, v19
	v_cndmask_b32_e32 v20, 1.0, v45, vcc
	v_mul_f32_e32 v19, v19, v20
	v_log_f32_e32 v19, v19
	v_mul_f32_e32 v20, 0x3f317217, v19
	v_fma_f32 v21, v19, s69, -v20
	v_fmac_f32_e32 v21, 0x3377d1cf, v19
	v_add_f32_e32 v20, v20, v21
	v_cmp_lt_f32_e64 s[16:17], |v19|, s64
	v_cndmask_b32_e64 v19, v19, v20, s[16:17]
	v_cndmask_b32_e32 v20, 0, v46, vcc
	v_sub_f32_e32 v19, v19, v20
	v_frexp_exp_i32_f32_e32 v20, v7
	v_frexp_mant_f32_e32 v7, v7
	v_mul_f32_e32 v7, v7, v18
	v_sub_u32_e32 v9, v20, v9
	v_ldexp_f32 v20, v7, v9
	v_mul_f32_e32 v7, v20, v20
	v_mov_b32_e32 v9, 0xbc7a590c
	v_fmac_f32_e32 v9, 0x3b2d2a58, v7
	v_fma_f32 v9, v7, v9, v38
	v_fma_f32 v9, v7, v9, v39
	;; [unrolled: 1-line block ×6, first 2 shown]
	v_mul_f32_e32 v7, v7, v9
	v_add_f32_e32 v19, 1.0, v19
	v_fmac_f32_e32 v20, v20, v7
.LBB63_181:                             ;   in Loop: Header=BB63_4 Depth=1
	s_or_b64 exec, exec, s[40:41]
	v_sub_f32_e32 v7, 0x3fc90fdb, v20
	v_cndmask_b32_e64 v20, v20, v7, s[14:15]
                                        ; implicit-def: $vgpr7
                                        ; implicit-def: $vgpr18
                                        ; implicit-def: $vgpr9
.LBB63_182:                             ;   in Loop: Header=BB63_4 Depth=1
	s_andn2_saveexec_b64 s[38:39], s[38:39]
	s_cbranch_execz .LBB63_192
; %bb.183:                              ;   in Loop: Header=BB63_4 Depth=1
	v_cmp_lt_f32_e64 s[14:15], |v15|, |v14|
	v_cndmask_b32_e64 v21, |v15|, |v14|, s[14:15]
	v_cmp_nlt_f32_e32 vcc, s79, v21
                                        ; implicit-def: $vgpr19
                                        ; implicit-def: $vgpr20
	s_and_saveexec_b64 s[16:17], vcc
	s_xor_b64 s[40:41], exec, s[16:17]
	s_cbranch_execz .LBB63_189
; %bb.184:                              ;   in Loop: Header=BB63_4 Depth=1
	v_cndmask_b32_e64 v22, |v14|, |v15|, s[14:15]
	v_cmp_nlt_f32_e32 vcc, s80, v21
	v_cmp_ngt_f32_e64 s[16:17], s81, v22
	s_and_b64 s[16:17], vcc, s[16:17]
                                        ; implicit-def: $vgpr19
                                        ; implicit-def: $vgpr20
	s_and_saveexec_b64 s[42:43], s[16:17]
	s_xor_b64 s[16:17], exec, s[42:43]
	s_cbranch_execz .LBB63_186
; %bb.185:                              ;   in Loop: Header=BB63_4 Depth=1
	v_mul_f32_e32 v19, v22, v22
	v_fmac_f32_e32 v19, v21, v21
	v_cmp_gt_f32_e32 vcc, s68, v19
	v_cndmask_b32_e32 v20, 1.0, v45, vcc
	v_mul_f32_e32 v19, v19, v20
	v_log_f32_e32 v19, v19
	v_min_f32_e32 v7, v7, v18
	s_waitcnt lgkmcnt(0)
	v_frexp_mant_f32_e32 v18, v9
	v_rcp_f32_e32 v18, v18
	v_mul_f32_e32 v21, 0x3f317217, v19
	v_fma_f32 v22, v19, s69, -v21
	v_fmac_f32_e32 v22, 0x3377d1cf, v19
	v_cndmask_b32_e32 v20, 0, v46, vcc
	v_add_f32_e32 v21, v21, v22
	v_cmp_lt_f32_e64 vcc, |v19|, s64
	v_cndmask_b32_e32 v19, v19, v21, vcc
	v_sub_f32_e32 v19, v19, v20
	v_frexp_exp_i32_f32_e32 v9, v9
	v_frexp_exp_i32_f32_e32 v20, v7
	v_frexp_mant_f32_e32 v7, v7
	v_mul_f32_e32 v7, v7, v18
	v_sub_u32_e32 v9, v20, v9
	v_ldexp_f32 v20, v7, v9
	v_mul_f32_e32 v7, v20, v20
	v_mov_b32_e32 v9, 0xbc7a590c
	v_fmac_f32_e32 v9, 0x3b2d2a58, v7
	v_fma_f32 v9, v7, v9, v38
	v_fma_f32 v9, v7, v9, v39
	v_fma_f32 v9, v7, v9, v40
	v_fma_f32 v9, v7, v9, v41
	v_fma_f32 v9, v7, v9, v42
	v_fma_f32 v9, v7, v9, v43
	v_mul_f32_e32 v7, v7, v9
	v_mul_f32_e32 v19, 0.5, v19
	v_fmac_f32_e32 v20, v20, v7
                                        ; implicit-def: $vgpr9
                                        ; implicit-def: $vgpr7
                                        ; implicit-def: $vgpr18
.LBB63_186:                             ;   in Loop: Header=BB63_4 Depth=1
	s_andn2_saveexec_b64 s[16:17], s[16:17]
	s_cbranch_execz .LBB63_188
; %bb.187:                              ;   in Loop: Header=BB63_4 Depth=1
	s_waitcnt lgkmcnt(0)
	v_cvt_f64_f32_e32 v[20:21], v9
	v_frexp_exp_i32_f64_e32 v19, v[20:21]
	v_sub_u32_e32 v20, 0, v19
	v_ldexp_f32 v21, |v15|, v20
	v_ldexp_f32 v20, |v14|, v20
	v_mul_f32_e32 v20, v20, v20
	v_fmac_f32_e32 v20, v21, v21
	v_sqrt_f32_e32 v20, v20
	v_cmp_neq_f32_e32 vcc, s64, v9
	v_min_f32_e32 v7, v7, v18
	v_ldexp_f32 v19, v20, v19
	v_cndmask_b32_e32 v19, v44, v19, vcc
	v_cmp_gt_f32_e32 vcc, s68, v19
	v_cndmask_b32_e32 v20, 1.0, v45, vcc
	v_mul_f32_e32 v19, v19, v20
	v_log_f32_e32 v19, v19
	v_cndmask_b32_e32 v18, 0, v46, vcc
	v_mul_f32_e32 v20, 0x3f317217, v19
	v_fma_f32 v21, v19, s69, -v20
	v_fmac_f32_e32 v21, 0x3377d1cf, v19
	v_add_f32_e32 v20, v20, v21
	v_cmp_lt_f32_e64 vcc, |v19|, s64
	v_cndmask_b32_e32 v19, v19, v20, vcc
	v_sub_f32_e32 v19, v19, v18
	v_frexp_mant_f32_e32 v18, v9
	v_rcp_f32_e32 v18, v18
	v_frexp_exp_i32_f32_e32 v9, v9
	v_frexp_exp_i32_f32_e32 v20, v7
	v_frexp_mant_f32_e32 v7, v7
	v_mul_f32_e32 v7, v7, v18
	v_sub_u32_e32 v9, v20, v9
	v_ldexp_f32 v20, v7, v9
	v_mul_f32_e32 v7, v20, v20
	v_mov_b32_e32 v9, 0xbc7a590c
	v_fmac_f32_e32 v9, 0x3b2d2a58, v7
	v_fma_f32 v9, v7, v9, v38
	v_fma_f32 v9, v7, v9, v39
	;; [unrolled: 1-line block ×6, first 2 shown]
	v_mul_f32_e32 v7, v7, v9
	v_fmac_f32_e32 v20, v20, v7
.LBB63_188:                             ;   in Loop: Header=BB63_4 Depth=1
	s_or_b64 exec, exec, s[16:17]
                                        ; implicit-def: $vgpr7
                                        ; implicit-def: $vgpr18
                                        ; implicit-def: $vgpr9
.LBB63_189:                             ;   in Loop: Header=BB63_4 Depth=1
	s_andn2_saveexec_b64 s[40:41], s[40:41]
	s_cbranch_execz .LBB63_191
; %bb.190:                              ;   in Loop: Header=BB63_4 Depth=1
	v_div_scale_f32 v19, s[16:17], s83, s83, v15
	v_rcp_f32_e32 v20, v19
	v_div_scale_f32 v21, vcc, v15, s83, v15
	v_min_f32_e32 v7, v7, v18
	v_fma_f32 v22, -v19, v20, 1.0
	v_fmac_f32_e32 v20, v22, v20
	v_mul_f32_e32 v22, v21, v20
	v_fma_f32 v23, -v19, v22, v21
	v_fmac_f32_e32 v22, v23, v20
	v_fma_f32 v19, -v19, v22, v21
	v_div_scale_f32 v21, s[16:17], s83, s83, v14
	v_rcp_f32_e32 v23, v21
	v_div_fmas_f32 v19, v19, v20, v22
	v_div_fixup_f32 v19, v19, s83, v15
	s_waitcnt lgkmcnt(0)
	v_frexp_mant_f32_e32 v18, v9
	v_fma_f32 v20, -v21, v23, 1.0
	v_fmac_f32_e32 v23, v20, v23
	v_div_scale_f32 v20, vcc, v14, s83, v14
	v_mul_f32_e32 v22, v20, v23
	v_fma_f32 v24, -v21, v22, v20
	v_fmac_f32_e32 v22, v24, v23
	v_fma_f32 v20, -v21, v22, v20
	v_div_fmas_f32 v20, v20, v23, v22
	v_div_fixup_f32 v22, v20, s83, v14
	v_max_f32_e64 v23, |v19|, |v22|
	v_cvt_f64_f32_e32 v[20:21], v23
	v_frexp_exp_i32_f64_e32 v20, v[20:21]
	v_sub_u32_e32 v21, 0, v20
	v_ldexp_f32 v19, |v19|, v21
	v_ldexp_f32 v21, |v22|, v21
	v_mul_f32_e32 v21, v21, v21
	v_fmac_f32_e32 v21, v19, v19
	v_sqrt_f32_e32 v19, v21
	v_cmp_neq_f32_e32 vcc, s64, v23
	v_rcp_f32_e32 v18, v18
	v_frexp_exp_i32_f32_e32 v9, v9
	v_ldexp_f32 v19, v19, v20
	v_cndmask_b32_e32 v19, v44, v19, vcc
	v_cmp_gt_f32_e32 vcc, s68, v19
	v_cndmask_b32_e32 v20, 1.0, v45, vcc
	v_mul_f32_e32 v19, v19, v20
	v_log_f32_e32 v19, v19
	v_mul_f32_e32 v20, 0x3f317217, v19
	v_fma_f32 v21, v19, s69, -v20
	v_fmac_f32_e32 v21, 0x3377d1cf, v19
	v_add_f32_e32 v20, v20, v21
	v_cmp_lt_f32_e64 s[16:17], |v19|, s64
	v_cndmask_b32_e64 v19, v19, v20, s[16:17]
	v_cndmask_b32_e32 v20, 0, v46, vcc
	v_sub_f32_e32 v19, v19, v20
	v_frexp_exp_i32_f32_e32 v20, v7
	v_frexp_mant_f32_e32 v7, v7
	v_mul_f32_e32 v7, v7, v18
	v_sub_u32_e32 v9, v20, v9
	v_ldexp_f32 v20, v7, v9
	v_mul_f32_e32 v7, v20, v20
	v_mov_b32_e32 v9, 0xbc7a590c
	v_fmac_f32_e32 v9, 0x3b2d2a58, v7
	v_fma_f32 v9, v7, v9, v38
	v_fma_f32 v9, v7, v9, v39
	;; [unrolled: 1-line block ×6, first 2 shown]
	v_mul_f32_e32 v7, v7, v9
	v_add_f32_e32 v19, 1.0, v19
	v_fmac_f32_e32 v20, v20, v7
.LBB63_191:                             ;   in Loop: Header=BB63_4 Depth=1
	s_or_b64 exec, exec, s[40:41]
	v_sub_f32_e32 v7, 0x3fc90fdb, v20
	v_cndmask_b32_e64 v20, v20, v7, s[14:15]
.LBB63_192:                             ;   in Loop: Header=BB63_4 Depth=1
	s_or_b64 exec, exec, s[38:39]
	v_cmp_neq_f32_e32 vcc, 0, v14
	v_cmp_class_f32_e64 s[14:15], v15, s78
	v_cmp_class_f32_e64 s[16:17], v14, s78
	v_cndmask_b32_e32 v7, 0, v20, vcc
	s_and_b64 vcc, s[14:15], s[16:17]
	v_cndmask_b32_e32 v7, v7, v50, vcc
	v_cmp_o_f32_e32 vcc, v14, v15
	v_cndmask_b32_e32 v7, v47, v7, vcc
	s_waitcnt lgkmcnt(0)
	v_add_f32_e32 v9, 0x3f317218, v19
	v_bfi_b32 v14, s63, v7, v14
	v_bfi_b32 v15, s63, v9, v15
.LBB63_193:                             ;   in Loop: Header=BB63_4 Depth=1
	s_or_b64 exec, exec, s[36:37]
.LBB63_194:                             ;   in Loop: Header=BB63_4 Depth=1
	s_andn2_saveexec_b64 s[14:15], s[34:35]
	s_cbranch_execz .LBB63_208
; %bb.195:                              ;   in Loop: Header=BB63_4 Depth=1
	v_cmp_neq_f32_e64 s[16:17], |v15|, s64
                                        ; implicit-def: $vgpr7
	s_and_saveexec_b64 s[34:35], s[16:17]
	s_xor_b64 s[16:17], exec, s[34:35]
	s_cbranch_execz .LBB63_205
; %bb.196:                              ;   in Loop: Header=BB63_4 Depth=1
	v_cmp_neq_f32_e64 s[34:35], |v14|, s64
                                        ; implicit-def: $vgpr7
	s_and_saveexec_b64 s[36:37], s[34:35]
	s_xor_b64 s[34:35], exec, s[36:37]
	s_cbranch_execz .LBB63_202
; %bb.197:                              ;   in Loop: Header=BB63_4 Depth=1
	v_cmp_neq_f32_e32 vcc, 0, v14
	s_and_saveexec_b64 s[36:37], vcc
	s_xor_b64 s[36:37], exec, s[36:37]
; %bb.198:                              ;   in Loop: Header=BB63_4 Depth=1
	v_add_f32_e32 v7, 0, v15
	v_add_f32_e32 v15, v14, v7
; %bb.199:                              ;   in Loop: Header=BB63_4 Depth=1
	s_or_saveexec_b64 s[36:37], s[36:37]
	v_mov_b32_e32 v7, v15
	s_xor_b64 exec, exec, s[36:37]
; %bb.200:                              ;   in Loop: Header=BB63_4 Depth=1
	v_add_f32_e32 v15, v15, v15
	v_mov_b32_e32 v7, v14
; %bb.201:                              ;   in Loop: Header=BB63_4 Depth=1
	s_or_b64 exec, exec, s[36:37]
.LBB63_202:                             ;   in Loop: Header=BB63_4 Depth=1
	s_andn2_saveexec_b64 s[34:35], s[34:35]
; %bb.203:                              ;   in Loop: Header=BB63_4 Depth=1
	v_add_f32_e32 v7, v15, v15
	v_mov_b32_e32 v15, v14
; %bb.204:                              ;   in Loop: Header=BB63_4 Depth=1
	s_or_b64 exec, exec, s[34:35]
.LBB63_205:                             ;   in Loop: Header=BB63_4 Depth=1
	s_andn2_saveexec_b64 s[16:17], s[16:17]
; %bb.206:                              ;   in Loop: Header=BB63_4 Depth=1
	v_add_f32_e32 v7, v14, v14
; %bb.207:                              ;   in Loop: Header=BB63_4 Depth=1
	s_or_b64 exec, exec, s[16:17]
	v_mov_b32_e32 v14, v7
.LBB63_208:                             ;   in Loop: Header=BB63_4 Depth=1
	s_or_b64 exec, exec, s[14:15]
	v_cmp_o_f32_e32 vcc, v13, v13
	v_cmp_o_f32_e64 s[14:15], v12, v12
	s_and_b64 s[14:15], vcc, s[14:15]
	s_and_saveexec_b64 s[16:17], s[14:15]
	s_xor_b64 s[34:35], exec, s[16:17]
	s_cbranch_execz .LBB63_292
; %bb.209:                              ;   in Loop: Header=BB63_4 Depth=1
	v_max_f32_e64 v18, |v12|, |v12|
	v_max_f32_e64 v7, |v13|, |v13|
	s_waitcnt lgkmcnt(0)
	v_max_f32_e32 v9, v7, v18
	v_cmp_nlt_f32_e32 vcc, s61, v9
	s_and_saveexec_b64 s[14:15], vcc
	s_xor_b64 s[16:17], exec, s[14:15]
	s_cbranch_execz .LBB63_269
; %bb.210:                              ;   in Loop: Header=BB63_4 Depth=1
	v_cmp_neq_f32_e32 vcc, 0, v13
	v_cmp_neq_f32_e64 s[14:15], 0, v12
	s_or_b64 s[14:15], vcc, s[14:15]
	s_and_saveexec_b64 s[36:37], s[14:15]
	s_cbranch_execz .LBB63_268
; %bb.211:                              ;   in Loop: Header=BB63_4 Depth=1
	v_pk_mov_b32 v[18:19], s[22:23], s[22:23] op_sel:[0,1]
	flat_store_dword v[18:19], v31
	s_waitcnt vmcnt(0)
	flat_load_dword v9, v[18:19] glc
	s_waitcnt vmcnt(0)
	v_pk_mov_b32 v[18:19], s[24:25], s[24:25] op_sel:[0,1]
	v_cmp_nlt_f32_e64 s[14:15], |v13|, s62
	v_cmp_nlt_f32_e64 s[38:39], |v12|, s62
	s_or_b64 s[14:15], s[14:15], s[38:39]
	s_waitcnt lgkmcnt(0)
	v_add_f32_e32 v9, 1.0, v9
	flat_store_dword v[18:19], v9
	s_waitcnt vmcnt(0)
	flat_load_dword v9, v[18:19] glc
	s_waitcnt vmcnt(0)
	s_and_saveexec_b64 s[38:39], s[14:15]
	s_cbranch_execz .LBB63_267
; %bb.212:                              ;   in Loop: Header=BB63_4 Depth=1
	v_and_b32_e32 v18, 0x7fffffff, v12
	v_pk_add_f32 v[22:23], v[18:19], s[28:29] op_sel_hi:[0,1]
	s_waitcnt lgkmcnt(0)
	v_max_f32_e64 v9, v7, |v23|
	v_max_f32_e64 v7, v7, |v22|
	v_cvt_f64_f32_e32 v[20:21], v7
	v_frexp_exp_i32_f64_e32 v19, v[20:21]
	v_sub_u32_e32 v20, 0, v19
	v_ldexp_f32 v21, |v13|, v20
	v_ldexp_f32 v20, |v22|, v20
	v_mul_f32_e32 v20, v20, v20
	v_fmac_f32_e32 v20, v21, v21
	v_sqrt_f32_e32 v24, v20
	v_cvt_f64_f32_e32 v[20:21], v9
	v_frexp_exp_i32_f64_e32 v20, v[20:21]
	v_sub_u32_e32 v21, 0, v20
	v_ldexp_f32 v25, |v13|, v21
	v_ldexp_f32 v21, |v23|, v21
	v_mul_f32_e32 v21, v21, v21
	v_fmac_f32_e32 v21, v25, v25
	v_sqrt_f32_e32 v21, v21
	v_ldexp_f32 v24, v24, v19
	v_cmp_neq_f32_e32 vcc, s64, v9
	v_ldexp_f32 v19, v21, v20
	v_cndmask_b32_e32 v19, v44, v19, vcc
	v_cmp_neq_f32_e32 vcc, s64, v7
	v_cndmask_b32_e32 v52, v44, v24, vcc
	v_add_f32_e32 v7, v52, v19
	v_mul_f32_e32 v7, 0.5, v7
	v_cmp_ngt_f32_e32 vcc, 1.0, v7
	v_cndmask_b32_e32 v20, 1.0, v7, vcc
	v_cmp_ngt_f32_e32 vcc, s65, v20
                                        ; implicit-def: $vgpr7
	s_and_saveexec_b64 s[14:15], vcc
	s_xor_b64 s[40:41], exec, s[14:15]
	s_cbranch_execz .LBB63_214
; %bb.213:                              ;   in Loop: Header=BB63_4 Depth=1
	v_fma_f32 v7, v20, v20, -1.0
	v_mul_f32_e32 v9, 0x4f800000, v7
	v_cmp_gt_f32_e32 vcc, s66, v7
	v_cndmask_b32_e32 v7, v7, v9, vcc
	v_sqrt_f32_e32 v9, v7
	v_add_u32_e32 v21, -1, v9
	v_fma_f32 v25, -v21, v9, v7
	v_add_u32_e32 v24, 1, v9
	v_cmp_ge_f32_e64 s[14:15], 0, v25
	v_cndmask_b32_e64 v21, v9, v21, s[14:15]
	v_fma_f32 v9, -v24, v9, v7
	v_cmp_lt_f32_e64 s[14:15], 0, v9
	v_cndmask_b32_e64 v9, v21, v24, s[14:15]
	v_mul_f32_e32 v21, 0x37800000, v9
	v_cndmask_b32_e32 v9, v9, v21, vcc
	v_cmp_class_f32_e32 vcc, v7, v32
	v_cndmask_b32_e32 v7, v9, v7, vcc
	v_add_f32_e32 v7, v20, v7
	v_cmp_gt_f32_e32 vcc, s68, v7
	v_cndmask_b32_e32 v9, 1.0, v45, vcc
	v_mul_f32_e32 v7, v7, v9
	v_log_f32_e32 v7, v7
	v_mul_f32_e32 v9, 0x3f317217, v7
	v_fma_f32 v21, v7, s69, -v9
	v_fmac_f32_e32 v21, 0x3377d1cf, v7
	v_add_f32_e32 v9, v9, v21
	v_cmp_lt_f32_e64 s[14:15], |v7|, s64
	v_cndmask_b32_e64 v7, v7, v9, s[14:15]
	v_cndmask_b32_e32 v9, 0, v46, vcc
	v_sub_f32_e32 v7, v7, v9
.LBB63_214:                             ;   in Loop: Header=BB63_4 Depth=1
	s_or_saveexec_b64 s[40:41], s[40:41]
	v_and_b32_e32 v25, 0x7fffffff, v13
	v_and_b32_e32 v53, 0x7fffffff, v23
	s_xor_b64 exec, exec, s[40:41]
	s_cbranch_execz .LBB63_236
; %bb.215:                              ;   in Loop: Header=BB63_4 Depth=1
	v_cmp_neq_f32_e64 s[14:15], |v12|, 1.0
	v_cmp_nlt_f32_e64 s[42:43], |v13|, s70
	s_or_b64 s[14:15], s[42:43], s[14:15]
                                        ; implicit-def: $vgpr7
	s_and_saveexec_b64 s[42:43], s[14:15]
	s_xor_b64 s[42:43], exec, s[42:43]
	s_cbranch_execz .LBB63_233
; %bb.216:                              ;   in Loop: Header=BB63_4 Depth=1
	v_mul_f32_e32 v7, 0x34000000, v53
	v_cmp_le_f32_e64 s[14:15], v7, |v13|
                                        ; implicit-def: $vgpr7
	s_and_saveexec_b64 s[44:45], s[14:15]
	s_xor_b64 s[44:45], exec, s[44:45]
	s_cbranch_execz .LBB63_226
; %bb.217:                              ;   in Loop: Header=BB63_4 Depth=1
	v_cmp_neq_f32_e32 vcc, 0, v22
	v_mov_b32_e32 v7, v25
	s_and_saveexec_b64 s[14:15], vcc
	s_cbranch_execz .LBB63_219
; %bb.218:                              ;   in Loop: Header=BB63_4 Depth=1
	v_mul_f32_e32 v7, v13, v13
	v_add_f32_e32 v9, v22, v52
	v_div_scale_f32 v21, s[46:47], v9, v9, v7
	v_rcp_f32_e32 v24, v21
	v_fma_f32 v54, -v21, v24, 1.0
	v_fmac_f32_e32 v24, v54, v24
	v_div_scale_f32 v54, vcc, v7, v9, v7
	v_mul_f32_e32 v55, v54, v24
	v_fma_f32 v56, -v21, v55, v54
	v_fmac_f32_e32 v55, v56, v24
	v_fma_f32 v21, -v21, v55, v54
	v_div_fmas_f32 v21, v21, v24, v55
	v_div_fixup_f32 v7, v21, v9, v7
.LBB63_219:                             ;   in Loop: Header=BB63_4 Depth=1
	s_or_b64 exec, exec, s[14:15]
	v_sub_f32_e64 v21, 1.0, |v12|
	v_cmp_ngt_f32_e32 vcc, 0, v21
                                        ; implicit-def: $vgpr9
	s_and_saveexec_b64 s[14:15], vcc
	s_xor_b64 s[14:15], exec, s[14:15]
	s_cbranch_execz .LBB63_223
; %bb.220:                              ;   in Loop: Header=BB63_4 Depth=1
	v_cmp_neq_f32_e32 vcc, 0, v21
	v_mov_b32_e32 v9, v25
	s_and_saveexec_b64 s[46:47], vcc
	s_cbranch_execz .LBB63_222
; %bb.221:                              ;   in Loop: Header=BB63_4 Depth=1
	v_mul_f32_e32 v9, v13, v13
	v_add_f32_e32 v21, v21, v19
	v_div_scale_f32 v24, s[48:49], v21, v21, v9
	v_rcp_f32_e32 v54, v24
	v_fma_f32 v55, -v24, v54, 1.0
	v_fmac_f32_e32 v54, v55, v54
	v_div_scale_f32 v55, vcc, v9, v21, v9
	v_mul_f32_e32 v56, v55, v54
	v_fma_f32 v57, -v24, v56, v55
	v_fmac_f32_e32 v56, v57, v54
	v_fma_f32 v24, -v24, v56, v55
	v_div_fmas_f32 v24, v24, v54, v56
	v_div_fixup_f32 v9, v24, v21, v9
.LBB63_222:                             ;   in Loop: Header=BB63_4 Depth=1
	s_or_b64 exec, exec, s[46:47]
                                        ; implicit-def: $vgpr21
.LBB63_223:                             ;   in Loop: Header=BB63_4 Depth=1
	s_andn2_saveexec_b64 s[14:15], s[14:15]
; %bb.224:                              ;   in Loop: Header=BB63_4 Depth=1
	v_sub_f32_e32 v9, v19, v21
; %bb.225:                              ;   in Loop: Header=BB63_4 Depth=1
	s_or_b64 exec, exec, s[14:15]
	v_mul_f32_e32 v21, 0.5, v7
	v_mul_f32_e32 v7, 0.5, v9
	v_pk_add_f32 v[54:55], v[20:21], v[6:7]
	v_mul_f32_e32 v7, v54, v55
	v_mul_f32_e32 v9, 0x4f800000, v7
	v_cmp_gt_f32_e32 vcc, s66, v7
	v_cndmask_b32_e32 v7, v7, v9, vcc
	v_sqrt_f32_e32 v9, v7
	v_add_u32_e32 v21, -1, v9
	v_fma_f32 v24, -v21, v9, v7
	v_cmp_ge_f32_e64 s[14:15], 0, v24
	v_add_u32_e32 v24, 1, v9
	v_cndmask_b32_e64 v21, v9, v21, s[14:15]
	v_fma_f32 v9, -v24, v9, v7
	v_cmp_lt_f32_e64 s[14:15], 0, v9
	v_cndmask_b32_e64 v9, v21, v24, s[14:15]
	v_mul_f32_e32 v21, 0x37800000, v9
	v_cndmask_b32_e32 v9, v9, v21, vcc
	v_cmp_class_f32_e32 vcc, v7, v32
	v_cndmask_b32_e32 v7, v9, v7, vcc
	v_add_f32_e32 v54, v55, v7
	v_add_f32_e32 v57, 1.0, v54
	v_add_f32_e32 v55, -1.0, v57
	v_mov_b32_e32 v56, v55
	v_pk_add_f32 v[58:59], v[54:55], v[56:57] neg_lo:[0,1] neg_hi:[0,1]
	v_add_f32_e32 v7, 1.0, v59
	v_add_f32_e32 v7, v58, v7
	v_frexp_mant_f32_e32 v9, v57
	v_cvt_f64_f32_e32 v[58:59], v57
	v_frexp_exp_i32_f64_e32 v21, v[58:59]
	v_cmp_gt_f32_e32 vcc, s71, v9
	v_subbrev_co_u32_e32 v21, vcc, 0, v21, vcc
	v_sub_u32_e32 v9, 0, v21
	v_ldexp_f32 v24, v57, v9
	v_ldexp_f32 v7, v7, v9
	v_add_f32_e32 v9, -1.0, v24
	v_add_f32_e32 v56, 1.0, v24
	v_add_f32_e32 v55, 1.0, v9
	v_add_f32_e32 v57, -1.0, v56
	v_sub_f32_e32 v55, v24, v55
	v_sub_f32_e32 v24, v24, v57
	v_add_f32_e32 v55, v7, v55
	v_add_f32_e32 v7, v7, v24
	;; [unrolled: 1-line block ×3, first 2 shown]
	v_rcp_f32_e32 v64, v24
	v_add_f32_e32 v57, v9, v55
	v_sub_f32_e32 v9, v57, v9
	v_sub_f32_e32 v9, v55, v9
	v_mul_f32_e32 v55, v57, v64
	v_sub_f32_e32 v56, v24, v56
	v_mul_f32_e32 v58, v24, v55
	v_sub_f32_e32 v7, v7, v56
	v_fma_f32 v60, v55, v24, -v58
	v_fmac_f32_e32 v60, v55, v7
	v_add_f32_e32 v56, v58, v60
	v_sub_f32_e32 v59, v57, v56
	v_pk_add_f32 v[62:63], v[56:57], v[58:59] neg_lo:[0,1] neg_hi:[0,1]
	v_mov_b32_e32 v61, v56
	v_pk_add_f32 v[56:57], v[62:63], v[60:61] neg_lo:[0,1] neg_hi:[0,1]
	v_add_f32_e32 v9, v9, v57
	v_add_f32_e32 v9, v56, v9
	;; [unrolled: 1-line block ×3, first 2 shown]
	v_mul_f32_e32 v65, v64, v57
	v_mul_f32_e32 v58, v24, v65
	v_fma_f32 v60, v65, v24, -v58
	v_fmac_f32_e32 v60, v65, v7
	v_add_f32_e32 v56, v58, v60
	v_sub_f32_e32 v7, v59, v57
	v_sub_f32_e32 v59, v57, v56
	v_pk_add_f32 v[62:63], v[56:57], v[58:59] neg_lo:[0,1] neg_hi:[0,1]
	v_mov_b32_e32 v61, v56
	v_add_f32_e32 v7, v9, v7
	v_pk_add_f32 v[56:57], v[62:63], v[60:61] neg_lo:[0,1] neg_hi:[0,1]
	v_add_f32_e32 v7, v7, v57
	v_add_f32_e32 v7, v56, v7
	;; [unrolled: 1-line block ×4, first 2 shown]
	v_sub_f32_e32 v9, v24, v55
	v_mul_f32_e32 v7, v64, v7
	v_sub_f32_e32 v9, v65, v9
	v_add_f32_e32 v7, v9, v7
	v_add_f32_e32 v55, v24, v7
	v_cvt_f32_i32_e32 v56, v21
	v_mul_f32_e32 v57, v55, v55
	v_mov_b32_e32 v9, 0x3ecc95a3
	v_fmac_f32_e32 v9, 0x3e9b6dac, v57
	v_fma_f32 v9, v57, v9, v33
	v_mul_f32_e32 v57, v55, v57
	v_pk_mul_f32 v[60:61], v[56:57], v[8:9]
	v_fma_f32 v58, v56, s72, -v60
	v_ldexp_f32 v59, v55, 1
	v_fmac_f32_e32 v58, 0xb102e308, v56
	v_sub_f32_e32 v21, v55, v24
	v_pk_add_f32 v[56:57], v[60:61], v[58:59]
	v_sub_f32_e32 v7, v7, v21
	v_sub_f32_e32 v9, v57, v59
	v_ldexp_f32 v7, v7, 1
	v_sub_f32_e32 v9, v61, v9
	v_add_f32_e32 v63, v7, v9
	v_mov_b32_e32 v62, v60
	v_pk_add_f32 v[60:61], v[56:57], v[60:61] neg_lo:[0,1] neg_hi:[0,1]
	v_pk_add_f32 v[64:65], v[56:57], v[62:63]
	v_mov_b32_e32 v61, v65
	v_mov_b32_e32 v59, v56
	v_pk_add_f32 v[66:67], v[58:59], v[60:61] neg_lo:[0,1] neg_hi:[0,1]
	v_pk_add_f32 v[58:59], v[58:59], v[60:61]
	v_mov_b32_e32 v24, v59
	v_pk_add_f32 v[60:61], v[24:25], v[56:57] neg_lo:[0,1] neg_hi:[0,1]
	v_mov_b32_e32 v7, v60
	v_pk_add_f32 v[68:69], v[64:65], v[6:7] neg_lo:[0,1] neg_hi:[0,1]
	v_mov_b32_e32 v58, v65
	v_mov_b32_e32 v64, v57
	;; [unrolled: 1-line block ×4, first 2 shown]
	v_pk_add_f32 v[58:59], v[58:59], v[64:65] neg_lo:[0,1] neg_hi:[0,1]
	v_mov_b32_e32 v60, v63
	v_mov_b32_e32 v61, v56
	v_pk_add_f32 v[56:57], v[60:61], v[58:59] neg_lo:[0,1] neg_hi:[0,1]
	v_mov_b32_e32 v68, v66
	v_pk_add_f32 v[58:59], v[68:69], v[56:57]
	v_mov_b32_e32 v60, v59
	v_pk_add_f32 v[60:61], v[58:59], v[60:61]
	v_pk_add_f32 v[62:63], v[24:25], v[60:61]
	v_mov_b32_e32 v59, v62
	v_pk_add_f32 v[64:65], v[58:59], v[66:67] neg_lo:[0,1] neg_hi:[0,1]
	v_mov_b32_e32 v57, v60
	v_sub_f32_e32 v7, v58, v64
	v_pk_add_f32 v[56:57], v[56:57], v[64:65] neg_lo:[0,1] neg_hi:[0,1]
	v_sub_f32_e32 v7, v66, v7
	v_add_f32_e32 v7, v56, v7
	v_add_f32_e32 v7, v7, v57
	;; [unrolled: 1-line block ×3, first 2 shown]
	v_cmp_eq_f32_e32 vcc, s64, v54
	v_cndmask_b32_e32 v7, v7, v54, vcc
	v_cmp_ngt_f32_e32 vcc, -1.0, v54
	v_cndmask_b32_e32 v7, v47, v7, vcc
	v_cmp_neq_f32_e32 vcc, -1.0, v54
	v_cndmask_b32_e32 v7, v48, v7, vcc
	v_cmp_lt_f32_e64 vcc, |v54|, s73
	v_cndmask_b32_e32 v7, v7, v54, vcc
.LBB63_226:                             ;   in Loop: Header=BB63_4 Depth=1
	s_andn2_saveexec_b64 s[44:45], s[44:45]
	s_cbranch_execz .LBB63_232
; %bb.227:                              ;   in Loop: Header=BB63_4 Depth=1
	v_cmp_nlt_f32_e64 s[14:15], |v12|, 1.0
                                        ; implicit-def: $vgpr7
	s_and_saveexec_b64 s[46:47], s[14:15]
	s_xor_b64 s[46:47], exec, s[46:47]
	s_cbranch_execz .LBB63_229
; %bb.228:                              ;   in Loop: Header=BB63_4 Depth=1
	v_mul_f32_e32 v7, v23, v22
	v_mul_f32_e32 v9, 0x4f800000, v7
	v_cmp_gt_f32_e32 vcc, s66, v7
	v_cndmask_b32_e32 v7, v7, v9, vcc
	v_sqrt_f32_e32 v9, v7
	v_add_u32_e32 v21, -1, v9
	v_fma_f32 v54, -v21, v9, v7
	v_add_u32_e32 v24, 1, v9
	v_cmp_ge_f32_e64 s[14:15], 0, v54
	v_cndmask_b32_e64 v21, v9, v21, s[14:15]
	v_fma_f32 v9, -v24, v9, v7
	v_cmp_lt_f32_e64 s[14:15], 0, v9
	v_cndmask_b32_e64 v9, v21, v24, s[14:15]
	v_mul_f32_e32 v21, 0x37800000, v9
	v_cndmask_b32_e32 v9, v9, v21, vcc
	v_cmp_class_f32_e32 vcc, v7, v32
	v_cndmask_b32_e32 v7, v9, v7, vcc
	v_add_f32_e32 v54, v23, v7
	v_add_f32_e32 v57, 1.0, v54
	v_add_f32_e32 v55, -1.0, v57
	v_mov_b32_e32 v56, v55
	v_pk_add_f32 v[58:59], v[54:55], v[56:57] neg_lo:[0,1] neg_hi:[0,1]
	v_add_f32_e32 v7, 1.0, v59
	v_add_f32_e32 v7, v58, v7
	v_frexp_mant_f32_e32 v9, v57
	v_cvt_f64_f32_e32 v[58:59], v57
	v_frexp_exp_i32_f64_e32 v21, v[58:59]
	v_cmp_gt_f32_e32 vcc, s71, v9
	v_subbrev_co_u32_e32 v21, vcc, 0, v21, vcc
	v_sub_u32_e32 v9, 0, v21
	v_ldexp_f32 v24, v57, v9
	v_ldexp_f32 v7, v7, v9
	v_add_f32_e32 v9, -1.0, v24
	v_add_f32_e32 v56, 1.0, v24
	v_add_f32_e32 v55, 1.0, v9
	v_add_f32_e32 v57, -1.0, v56
	v_sub_f32_e32 v55, v24, v55
	v_sub_f32_e32 v24, v24, v57
	v_add_f32_e32 v55, v7, v55
	v_add_f32_e32 v7, v7, v24
	;; [unrolled: 1-line block ×3, first 2 shown]
	v_rcp_f32_e32 v64, v24
	v_add_f32_e32 v57, v9, v55
	v_sub_f32_e32 v9, v57, v9
	v_sub_f32_e32 v9, v55, v9
	v_mul_f32_e32 v55, v57, v64
	v_sub_f32_e32 v56, v24, v56
	v_mul_f32_e32 v58, v24, v55
	v_sub_f32_e32 v7, v7, v56
	v_fma_f32 v60, v55, v24, -v58
	v_fmac_f32_e32 v60, v55, v7
	v_add_f32_e32 v56, v58, v60
	v_sub_f32_e32 v59, v57, v56
	v_pk_add_f32 v[62:63], v[56:57], v[58:59] neg_lo:[0,1] neg_hi:[0,1]
	v_mov_b32_e32 v61, v56
	v_pk_add_f32 v[56:57], v[62:63], v[60:61] neg_lo:[0,1] neg_hi:[0,1]
	v_add_f32_e32 v9, v9, v57
	v_add_f32_e32 v9, v56, v9
	v_add_f32_e32 v57, v59, v9
	v_mul_f32_e32 v65, v64, v57
	v_mul_f32_e32 v58, v24, v65
	v_fma_f32 v60, v65, v24, -v58
	v_fmac_f32_e32 v60, v65, v7
	v_add_f32_e32 v56, v58, v60
	v_sub_f32_e32 v7, v59, v57
	v_sub_f32_e32 v59, v57, v56
	v_pk_add_f32 v[62:63], v[56:57], v[58:59] neg_lo:[0,1] neg_hi:[0,1]
	v_mov_b32_e32 v61, v56
	v_add_f32_e32 v7, v9, v7
	v_pk_add_f32 v[56:57], v[62:63], v[60:61] neg_lo:[0,1] neg_hi:[0,1]
	v_add_f32_e32 v7, v7, v57
	v_add_f32_e32 v7, v56, v7
	;; [unrolled: 1-line block ×4, first 2 shown]
	v_sub_f32_e32 v9, v24, v55
	v_mul_f32_e32 v7, v64, v7
	v_sub_f32_e32 v9, v65, v9
	v_add_f32_e32 v7, v9, v7
	v_add_f32_e32 v55, v24, v7
	v_cvt_f32_i32_e32 v56, v21
	v_mul_f32_e32 v57, v55, v55
	v_mov_b32_e32 v9, 0x3ecc95a3
	v_fmac_f32_e32 v9, 0x3e9b6dac, v57
	v_fma_f32 v9, v57, v9, v33
	v_mul_f32_e32 v57, v55, v57
	v_pk_mul_f32 v[60:61], v[56:57], v[8:9]
	v_fma_f32 v58, v56, s72, -v60
	v_ldexp_f32 v59, v55, 1
	v_fmac_f32_e32 v58, 0xb102e308, v56
	v_sub_f32_e32 v21, v55, v24
	v_pk_add_f32 v[56:57], v[60:61], v[58:59]
	v_sub_f32_e32 v7, v7, v21
	v_sub_f32_e32 v9, v57, v59
	v_ldexp_f32 v7, v7, 1
	v_sub_f32_e32 v9, v61, v9
	v_add_f32_e32 v63, v7, v9
	v_mov_b32_e32 v62, v60
	v_pk_add_f32 v[60:61], v[56:57], v[60:61] neg_lo:[0,1] neg_hi:[0,1]
	v_pk_add_f32 v[64:65], v[56:57], v[62:63]
	v_mov_b32_e32 v61, v65
	v_mov_b32_e32 v59, v56
	v_pk_add_f32 v[66:67], v[58:59], v[60:61] neg_lo:[0,1] neg_hi:[0,1]
	v_pk_add_f32 v[58:59], v[58:59], v[60:61]
	v_mov_b32_e32 v24, v59
	v_pk_add_f32 v[60:61], v[24:25], v[56:57] neg_lo:[0,1] neg_hi:[0,1]
	v_mov_b32_e32 v7, v60
	v_pk_add_f32 v[68:69], v[64:65], v[6:7] neg_lo:[0,1] neg_hi:[0,1]
	v_mov_b32_e32 v58, v65
	v_mov_b32_e32 v64, v57
	;; [unrolled: 1-line block ×4, first 2 shown]
	v_pk_add_f32 v[58:59], v[58:59], v[64:65] neg_lo:[0,1] neg_hi:[0,1]
	v_mov_b32_e32 v60, v63
	v_mov_b32_e32 v61, v56
	v_pk_add_f32 v[56:57], v[60:61], v[58:59] neg_lo:[0,1] neg_hi:[0,1]
	v_mov_b32_e32 v68, v66
	v_pk_add_f32 v[58:59], v[68:69], v[56:57]
	v_mov_b32_e32 v60, v59
	v_pk_add_f32 v[60:61], v[58:59], v[60:61]
	v_pk_add_f32 v[62:63], v[24:25], v[60:61]
	v_mov_b32_e32 v59, v62
	v_pk_add_f32 v[64:65], v[58:59], v[66:67] neg_lo:[0,1] neg_hi:[0,1]
	v_mov_b32_e32 v57, v60
	v_sub_f32_e32 v7, v58, v64
	v_pk_add_f32 v[56:57], v[56:57], v[64:65] neg_lo:[0,1] neg_hi:[0,1]
	v_sub_f32_e32 v7, v66, v7
	v_add_f32_e32 v7, v56, v7
	v_add_f32_e32 v7, v7, v57
	;; [unrolled: 1-line block ×3, first 2 shown]
	v_cmp_eq_f32_e32 vcc, s64, v54
	v_cndmask_b32_e32 v7, v7, v54, vcc
	v_cmp_ngt_f32_e32 vcc, -1.0, v54
	v_cndmask_b32_e32 v7, v47, v7, vcc
	v_cmp_neq_f32_e32 vcc, -1.0, v54
	v_cndmask_b32_e32 v7, v48, v7, vcc
	v_cmp_lt_f32_e64 vcc, |v54|, s73
	v_cndmask_b32_e32 v7, v7, v54, vcc
.LBB63_229:                             ;   in Loop: Header=BB63_4 Depth=1
	s_andn2_saveexec_b64 s[46:47], s[46:47]
	s_cbranch_execz .LBB63_231
; %bb.230:                              ;   in Loop: Header=BB63_4 Depth=1
	v_sub_f32_e64 v7, 1.0, |v12|
	v_mul_f32_e32 v7, v7, v22
	v_mul_f32_e32 v9, 0x4f800000, v7
	v_cmp_gt_f32_e32 vcc, s66, v7
	v_cndmask_b32_e32 v7, v7, v9, vcc
	v_sqrt_f32_e32 v9, v7
	v_add_u32_e32 v21, -1, v9
	v_fma_f32 v54, -v21, v9, v7
	v_add_u32_e32 v24, 1, v9
	v_cmp_ge_f32_e64 s[14:15], 0, v54
	v_cndmask_b32_e64 v21, v9, v21, s[14:15]
	v_fma_f32 v9, -v24, v9, v7
	v_cmp_lt_f32_e64 s[14:15], 0, v9
	v_cndmask_b32_e64 v9, v21, v24, s[14:15]
	v_mul_f32_e32 v21, 0x37800000, v9
	v_cndmask_b32_e32 v9, v9, v21, vcc
	v_cmp_class_f32_e32 vcc, v7, v32
	v_cndmask_b32_e32 v7, v9, v7, vcc
	v_and_b32_e32 v9, 0x7fffffff, v13
	v_div_scale_f32 v21, s[14:15], v7, v7, v9
	v_rcp_f32_e32 v24, v21
	v_div_scale_f32 v9, vcc, v9, v7, v9
	v_fma_f32 v54, -v21, v24, 1.0
	v_fmac_f32_e32 v24, v54, v24
	v_mul_f32_e32 v54, v9, v24
	v_fma_f32 v55, -v21, v54, v9
	v_fmac_f32_e32 v54, v55, v24
	v_fma_f32 v9, -v21, v54, v9
	v_div_fmas_f32 v9, v9, v24, v54
	v_div_fixup_f32 v7, v9, v7, |v13|
.LBB63_231:                             ;   in Loop: Header=BB63_4 Depth=1
	s_or_b64 exec, exec, s[46:47]
.LBB63_232:                             ;   in Loop: Header=BB63_4 Depth=1
	s_or_b64 exec, exec, s[44:45]
.LBB63_233:                             ;   in Loop: Header=BB63_4 Depth=1
	s_andn2_saveexec_b64 s[42:43], s[42:43]
	s_cbranch_execz .LBB63_235
; %bb.234:                              ;   in Loop: Header=BB63_4 Depth=1
	v_mul_f32_e64 v7, |v13|, s67
	v_cmp_lt_f32_e64 vcc, |v13|, s66
	v_cndmask_b32_e64 v7, |v13|, v7, vcc
	v_sqrt_f32_e32 v9, v7
	v_add_u32_e32 v21, -1, v9
	v_fma_f32 v54, -v21, v9, v7
	v_add_u32_e32 v24, 1, v9
	v_cmp_ge_f32_e64 s[14:15], 0, v54
	v_cndmask_b32_e64 v21, v9, v21, s[14:15]
	v_fma_f32 v9, -v24, v9, v7
	v_cmp_lt_f32_e64 s[14:15], 0, v9
	v_cndmask_b32_e64 v9, v21, v24, s[14:15]
	v_mul_f32_e32 v21, 0x37800000, v9
	v_cndmask_b32_e32 v9, v9, v21, vcc
	v_cmp_class_f32_e32 vcc, v7, v32
	v_cndmask_b32_e32 v7, v9, v7, vcc
.LBB63_235:                             ;   in Loop: Header=BB63_4 Depth=1
	s_or_b64 exec, exec, s[42:43]
.LBB63_236:                             ;   in Loop: Header=BB63_4 Depth=1
	s_or_b64 exec, exec, s[40:41]
	v_cmp_nlt_f32_e64 s[40:41], |v12|, s74
                                        ; implicit-def: $sgpr14_sgpr15
                                        ; implicit-def: $vgpr24
                                        ; implicit-def: $vgpr9
	s_and_saveexec_b64 s[42:43], s[40:41]
	s_xor_b64 s[40:41], exec, s[42:43]
	s_cbranch_execz .LBB63_260
; %bb.237:                              ;   in Loop: Header=BB63_4 Depth=1
	v_div_scale_f32 v9, s[14:15], v20, v20, v18
	v_rcp_f32_e32 v21, v9
	v_div_scale_f32 v24, vcc, v18, v20, v18
	s_mov_b64 s[14:15], 0
	v_fma_f32 v54, -v9, v21, 1.0
	v_fmac_f32_e32 v21, v54, v21
	v_mul_f32_e32 v54, v24, v21
	v_fma_f32 v55, -v9, v54, v24
	v_fmac_f32_e32 v54, v55, v21
	v_fma_f32 v9, -v9, v54, v24
	v_div_fmas_f32 v9, v9, v21, v54
	v_div_fixup_f32 v9, v9, v20, |v12|
	v_cmp_lt_f32_e32 vcc, s75, v9
                                        ; implicit-def: $vgpr24
	s_and_saveexec_b64 s[42:43], vcc
	s_cbranch_execz .LBB63_259
; %bb.238:                              ;   in Loop: Header=BB63_4 Depth=1
	v_cmp_neq_f32_e64 s[14:15], |v12|, 1.0
	v_cmp_nlt_f32_e64 s[44:45], |v13|, s76
	s_or_b64 s[14:15], s[44:45], s[14:15]
                                        ; implicit-def: $sgpr46_sgpr47
                                        ; implicit-def: $vgpr24
	s_and_saveexec_b64 s[44:45], s[14:15]
	s_xor_b64 s[44:45], exec, s[44:45]
	s_cbranch_execz .LBB63_256
; %bb.239:                              ;   in Loop: Header=BB63_4 Depth=1
	v_mul_f32_e32 v21, 0x34000000, v53
	v_cmp_le_f32_e64 s[14:15], v21, |v13|
                                        ; implicit-def: $vgpr24
                                        ; implicit-def: $sgpr46_sgpr47
	s_and_saveexec_b64 s[48:49], s[14:15]
	s_xor_b64 s[48:49], exec, s[48:49]
	s_cbranch_execz .LBB63_249
; %bb.240:                              ;   in Loop: Header=BB63_4 Depth=1
	v_cmp_neq_f32_e32 vcc, 0, v22
	v_mov_b32_e32 v21, v25
	s_and_saveexec_b64 s[14:15], vcc
	s_cbranch_execz .LBB63_242
; %bb.241:                              ;   in Loop: Header=BB63_4 Depth=1
	v_mul_f32_e32 v21, v13, v13
	v_add_f32_e32 v22, v22, v52
	v_div_scale_f32 v24, s[46:47], v22, v22, v21
	v_rcp_f32_e32 v52, v24
	v_fma_f32 v53, -v24, v52, 1.0
	v_fmac_f32_e32 v52, v53, v52
	v_div_scale_f32 v53, vcc, v21, v22, v21
	v_mul_f32_e32 v54, v53, v52
	v_fma_f32 v55, -v24, v54, v53
	v_fmac_f32_e32 v54, v55, v52
	v_fma_f32 v24, -v24, v54, v53
	v_div_fmas_f32 v24, v24, v52, v54
	v_div_fixup_f32 v21, v24, v22, v21
.LBB63_242:                             ;   in Loop: Header=BB63_4 Depth=1
	s_or_b64 exec, exec, s[14:15]
	v_cmp_ngt_f32_e32 vcc, 0, v23
	s_and_saveexec_b64 s[14:15], vcc
	s_xor_b64 s[14:15], exec, s[14:15]
	s_cbranch_execz .LBB63_246
; %bb.243:                              ;   in Loop: Header=BB63_4 Depth=1
	v_cmp_neq_f32_e32 vcc, 0, v23
	s_and_saveexec_b64 s[46:47], vcc
	s_cbranch_execz .LBB63_245
; %bb.244:                              ;   in Loop: Header=BB63_4 Depth=1
	v_mul_f32_e32 v22, v13, v13
	v_add_f32_e32 v19, v23, v19
	v_div_scale_f32 v23, s[50:51], v19, v19, v22
	v_rcp_f32_e32 v24, v23
	v_fma_f32 v25, -v23, v24, 1.0
	v_fmac_f32_e32 v24, v25, v24
	v_div_scale_f32 v25, vcc, v22, v19, v22
	v_mul_f32_e32 v52, v25, v24
	v_fma_f32 v53, -v23, v52, v25
	v_fmac_f32_e32 v52, v53, v24
	v_fma_f32 v23, -v23, v52, v25
	v_div_fmas_f32 v23, v23, v24, v52
	v_div_fixup_f32 v25, v23, v19, v22
.LBB63_245:                             ;   in Loop: Header=BB63_4 Depth=1
	s_or_b64 exec, exec, s[46:47]
                                        ; implicit-def: $vgpr19
                                        ; implicit-def: $vgpr22_vgpr23
.LBB63_246:                             ;   in Loop: Header=BB63_4 Depth=1
	s_andn2_saveexec_b64 s[14:15], s[14:15]
; %bb.247:                              ;   in Loop: Header=BB63_4 Depth=1
	v_sub_f32_e32 v25, v19, v23
; %bb.248:                              ;   in Loop: Header=BB63_4 Depth=1
	s_or_b64 exec, exec, s[14:15]
	v_mul_f32_e32 v19, 0.5, v21
	v_mul_f32_e32 v21, 0.5, v25
	v_pk_add_f32 v[20:21], v[18:19], v[20:21]
	v_mul_f32_e32 v19, v20, v21
	v_mul_f32_e32 v20, 0x4f800000, v19
	v_cmp_gt_f32_e32 vcc, s66, v19
	v_cndmask_b32_e32 v19, v19, v20, vcc
	v_sqrt_f32_e32 v20, v19
	s_mov_b64 s[46:47], -1
	v_add_u32_e32 v21, -1, v20
	v_fma_f32 v22, -v21, v20, v19
	v_cmp_ge_f32_e64 s[14:15], 0, v22
	v_add_u32_e32 v22, 1, v20
	v_cndmask_b32_e64 v21, v20, v21, s[14:15]
	v_fma_f32 v20, -v22, v20, v19
	v_cmp_lt_f32_e64 s[14:15], 0, v20
	v_cndmask_b32_e64 v20, v21, v22, s[14:15]
	v_mul_f32_e32 v21, 0x37800000, v20
	v_cndmask_b32_e32 v20, v20, v21, vcc
	v_cmp_class_f32_e32 vcc, v19, v32
	v_cndmask_b32_e32 v24, v20, v19, vcc
                                        ; implicit-def: $vgpr22_vgpr23
.LBB63_249:                             ;   in Loop: Header=BB63_4 Depth=1
	s_andn2_saveexec_b64 s[48:49], s[48:49]
	s_cbranch_execz .LBB63_255
; %bb.250:                              ;   in Loop: Header=BB63_4 Depth=1
	v_cmp_ngt_f32_e64 s[14:15], |v12|, 1.0
                                        ; implicit-def: $vgpr24
                                        ; implicit-def: $sgpr50_sgpr51
	s_and_saveexec_b64 s[52:53], s[14:15]
	s_xor_b64 s[52:53], exec, s[52:53]
	s_cbranch_execz .LBB63_252
; %bb.251:                              ;   in Loop: Header=BB63_4 Depth=1
	v_sub_f32_e64 v19, 1.0, |v12|
	v_mul_f32_e32 v19, v19, v22
	v_mul_f32_e32 v20, 0x4f800000, v19
	v_cmp_gt_f32_e32 vcc, s66, v19
	v_cndmask_b32_e32 v19, v19, v20, vcc
	v_sqrt_f32_e32 v20, v19
	s_mov_b64 s[50:51], -1
	v_add_u32_e32 v21, -1, v20
	v_fma_f32 v23, -v21, v20, v19
	v_add_u32_e32 v22, 1, v20
	v_cmp_ge_f32_e64 s[14:15], 0, v23
	v_cndmask_b32_e64 v21, v20, v21, s[14:15]
	v_fma_f32 v20, -v22, v20, v19
	v_cmp_lt_f32_e64 s[14:15], 0, v20
	v_cndmask_b32_e64 v20, v21, v22, s[14:15]
	v_mul_f32_e32 v21, 0x37800000, v20
	v_cndmask_b32_e32 v20, v20, v21, vcc
	v_cmp_class_f32_e32 vcc, v19, v32
	v_cndmask_b32_e32 v24, v20, v19, vcc
                                        ; implicit-def: $vgpr22_vgpr23
.LBB63_252:                             ;   in Loop: Header=BB63_4 Depth=1
	s_andn2_saveexec_b64 s[52:53], s[52:53]
	s_cbranch_execz .LBB63_254
; %bb.253:                              ;   in Loop: Header=BB63_4 Depth=1
	v_mul_f32_e32 v18, v22, v23
	v_mul_f32_e32 v19, 0x4f800000, v18
	v_cmp_gt_f32_e32 vcc, s66, v18
	v_cndmask_b32_e32 v18, v18, v19, vcc
	v_sqrt_f32_e32 v19, v18
	v_mul_f32_e64 v20, |v13|, s77
	v_mul_f32_e64 v20, |v12|, v20
	s_or_b64 s[50:51], s[50:51], exec
	v_add_u32_e32 v21, -1, v19
	v_fma_f32 v22, -v21, v19, v18
	v_cmp_ge_f32_e64 s[14:15], 0, v22
	v_add_u32_e32 v22, 1, v19
	v_cndmask_b32_e64 v21, v19, v21, s[14:15]
	v_fma_f32 v19, -v22, v19, v18
	v_cmp_lt_f32_e64 s[14:15], 0, v19
	v_cndmask_b32_e64 v19, v21, v22, s[14:15]
	v_mul_f32_e32 v21, 0x37800000, v19
	v_cndmask_b32_e32 v19, v19, v21, vcc
	v_cmp_class_f32_e32 vcc, v18, v32
	v_cndmask_b32_e32 v18, v19, v18, vcc
	v_div_scale_f32 v19, s[14:15], v18, v18, v20
	v_rcp_f32_e32 v21, v19
	v_fma_f32 v22, -v19, v21, 1.0
	v_fmac_f32_e32 v21, v22, v21
	v_div_scale_f32 v22, vcc, v20, v18, v20
	v_mul_f32_e32 v23, v22, v21
	v_fma_f32 v24, -v19, v23, v22
	v_fmac_f32_e32 v23, v24, v21
	v_fma_f32 v19, -v19, v23, v22
	v_div_fmas_f32 v19, v19, v21, v23
	v_div_fixup_f32 v24, v19, v18, v20
	v_mul_f32_e64 v18, |v12|, s77
.LBB63_254:                             ;   in Loop: Header=BB63_4 Depth=1
	s_or_b64 exec, exec, s[52:53]
	s_andn2_b64 s[14:15], s[46:47], exec
	s_and_b64 s[46:47], s[50:51], exec
	s_or_b64 s[46:47], s[14:15], s[46:47]
.LBB63_255:                             ;   in Loop: Header=BB63_4 Depth=1
	s_or_b64 exec, exec, s[48:49]
	s_and_b64 s[46:47], s[46:47], exec
                                        ; implicit-def: $vgpr20
.LBB63_256:                             ;   in Loop: Header=BB63_4 Depth=1
	s_andn2_saveexec_b64 s[44:45], s[44:45]
	s_cbranch_execz .LBB63_258
; %bb.257:                              ;   in Loop: Header=BB63_4 Depth=1
	v_mul_f32_e64 v18, |v13|, s67
	v_cmp_lt_f32_e64 vcc, |v13|, s66
	v_cndmask_b32_e64 v18, |v13|, v18, vcc
	v_sqrt_f32_e32 v19, v18
	v_add_f32_e32 v20, 1.0, v20
	v_mul_f32_e32 v20, 0.5, v20
	s_or_b64 s[46:47], s[46:47], exec
	v_add_u32_e32 v21, -1, v19
	v_fma_f32 v23, -v21, v19, v18
	v_add_u32_e32 v22, 1, v19
	v_cmp_ge_f32_e64 s[14:15], 0, v23
	v_cndmask_b32_e64 v21, v19, v21, s[14:15]
	v_fma_f32 v19, -v22, v19, v18
	v_cmp_lt_f32_e64 s[14:15], 0, v19
	v_cndmask_b32_e64 v19, v21, v22, s[14:15]
	v_mul_f32_e32 v22, 0x4f800000, v20
	v_cmp_gt_f32_e64 s[14:15], s66, v20
	v_cndmask_b32_e64 v20, v20, v22, s[14:15]
	v_sqrt_f32_e32 v22, v20
	v_mul_f32_e32 v21, 0x37800000, v19
	v_cndmask_b32_e32 v19, v19, v21, vcc
	v_cmp_class_f32_e32 vcc, v18, v32
	v_cndmask_b32_e32 v18, v19, v18, vcc
	v_add_u32_e32 v19, -1, v22
	v_fma_f32 v21, -v19, v22, v20
	v_cmp_ge_f32_e32 vcc, 0, v21
	v_add_u32_e32 v21, 1, v22
	v_cndmask_b32_e32 v19, v22, v19, vcc
	v_fma_f32 v22, -v21, v22, v20
	v_cmp_lt_f32_e32 vcc, 0, v22
	v_cndmask_b32_e32 v19, v19, v21, vcc
	v_mul_f32_e32 v21, 0x37800000, v19
	v_cndmask_b32_e64 v19, v19, v21, s[14:15]
	v_cmp_class_f32_e32 vcc, v20, v32
	v_cndmask_b32_e32 v19, v19, v20, vcc
	v_mul_f32_e32 v24, v18, v19
	v_mov_b32_e32 v18, 1.0
.LBB63_258:                             ;   in Loop: Header=BB63_4 Depth=1
	s_or_b64 exec, exec, s[44:45]
	s_and_b64 s[14:15], s[46:47], exec
.LBB63_259:                             ;   in Loop: Header=BB63_4 Depth=1
	s_or_b64 exec, exec, s[42:43]
	s_and_b64 s[14:15], s[14:15], exec
                                        ; implicit-def: $vgpr20
.LBB63_260:                             ;   in Loop: Header=BB63_4 Depth=1
	s_andn2_saveexec_b64 s[40:41], s[40:41]
; %bb.261:                              ;   in Loop: Header=BB63_4 Depth=1
	v_mov_b32_e32 v21, v18
	v_pk_mul_f32 v[24:25], v[20:21], s[30:31] op_sel_hi:[1,0]
	s_or_b64 s[14:15], s[14:15], exec
	v_mov_b32_e32 v18, v25
                                        ; implicit-def: $vgpr9
; %bb.262:                              ;   in Loop: Header=BB63_4 Depth=1
	s_or_b64 exec, exec, s[40:41]
	s_xor_b64 s[14:15], s[14:15], -1
                                        ; implicit-def: $vgpr19
	s_and_saveexec_b64 s[40:41], s[14:15]
	s_xor_b64 s[14:15], exec, s[40:41]
	s_cbranch_execz .LBB63_264
; %bb.263:                              ;   in Loop: Header=BB63_4 Depth=1
	v_fma_f32 v18, |v9|, -0.5, 0.5
	v_mul_f32_e32 v19, v9, v9
	v_cmp_ge_f32_e64 vcc, |v9|, 0.5
	v_cndmask_b32_e32 v18, v19, v18, vcc
	v_mov_b32_e32 v19, 0x3c5fc5da
	v_fmac_f32_e32 v19, 0x3d1c21a7, v18
	v_fma_f32 v19, v18, v19, v34
	v_fma_f32 v19, v18, v19, v35
	v_sqrt_f32_e32 v20, v18
	v_fma_f32 v19, v18, v19, v36
	v_fma_f32 v19, v18, v19, v37
	v_mul_f32_e32 v18, v18, v19
	v_fmac_f32_e32 v20, v20, v18
	v_add_f32_e32 v19, v20, v20
	v_sub_f32_e32 v19, 0x3fc90fdb, v19
	v_fma_f32 v18, |v9|, v18, |v9|
	v_cmp_lt_f32_e64 vcc, |v9|, 0.5
	v_cndmask_b32_e32 v18, v19, v18, vcc
	v_bfi_b32 v19, s63, v18, v9
                                        ; implicit-def: $vgpr18
                                        ; implicit-def: $vgpr24
.LBB63_264:                             ;   in Loop: Header=BB63_4 Depth=1
	s_andn2_saveexec_b64 s[40:41], s[14:15]
	s_cbranch_execz .LBB63_266
; %bb.265:                              ;   in Loop: Header=BB63_4 Depth=1
	v_max_f32_e32 v9, v18, v18
	v_max_f32_e64 v19, |v24|, |v24|
	v_min_f32_e32 v20, v19, v9
	v_max_f32_e32 v9, v19, v9
	v_frexp_mant_f32_e32 v19, v9
	v_rcp_f32_e32 v19, v19
	v_frexp_exp_i32_f32_e32 v9, v9
	v_frexp_exp_i32_f32_e32 v21, v20
	v_frexp_mant_f32_e32 v20, v20
	v_mul_f32_e32 v19, v20, v19
	v_sub_u32_e32 v9, v21, v9
	v_ldexp_f32 v9, v19, v9
	v_mul_f32_e32 v19, v9, v9
	v_mov_b32_e32 v20, 0xbc7a590c
	v_fmac_f32_e32 v20, 0x3b2d2a58, v19
	v_fma_f32 v20, v19, v20, v38
	v_fma_f32 v20, v19, v20, v39
	v_fma_f32 v20, v19, v20, v40
	v_fma_f32 v20, v19, v20, v41
	v_fma_f32 v20, v19, v20, v42
	v_fma_f32 v20, v19, v20, v43
	v_mul_f32_e32 v19, v19, v20
	v_fmac_f32_e32 v9, v9, v19
	v_sub_f32_e32 v19, 0x3fc90fdb, v9
	v_cmp_gt_f32_e64 vcc, v18, |v24|
	v_cndmask_b32_e32 v9, v9, v19, vcc
	v_sub_f32_e32 v19, 0x40490fdb, v9
	v_cmp_gt_f32_e32 vcc, 0, v24
	v_cmp_gt_i32_e64 s[14:15], 0, v24
	v_cndmask_b32_e32 v9, v9, v19, vcc
	v_cndmask_b32_e64 v19, 0, v49, s[14:15]
	v_cmp_eq_f32_e64 s[14:15], 0, v18
	v_cndmask_b32_e64 v9, v9, v19, s[14:15]
	v_cndmask_b32_e32 v19, v50, v51, vcc
	v_cmp_class_f32_e64 s[14:15], v24, s78
	v_cmp_eq_f32_e32 vcc, s64, v18
	s_and_b64 vcc, vcc, s[14:15]
	v_cndmask_b32_e32 v9, v9, v19, vcc
	v_cmp_o_f32_e32 vcc, v24, v18
	v_cndmask_b32_e64 v19, v47, |v9|, vcc
.LBB63_266:                             ;   in Loop: Header=BB63_4 Depth=1
	s_or_b64 exec, exec, s[40:41]
	v_bfi_b32 v12, s63, v19, v12
	v_bfi_b32 v13, s63, v7, v13
.LBB63_267:                             ;   in Loop: Header=BB63_4 Depth=1
	s_or_b64 exec, exec, s[38:39]
.LBB63_268:                             ;   in Loop: Header=BB63_4 Depth=1
	s_or_b64 exec, exec, s[36:37]
                                        ; implicit-def: $vgpr7
                                        ; implicit-def: $vgpr18
                                        ; implicit-def: $vgpr9
.LBB63_269:                             ;   in Loop: Header=BB63_4 Depth=1
	s_andn2_saveexec_b64 s[36:37], s[16:17]
	s_cbranch_execz .LBB63_291
; %bb.270:                              ;   in Loop: Header=BB63_4 Depth=1
	v_cmp_lt_i32_e32 vcc, -1, v13
                                        ; implicit-def: $vgpr19
                                        ; implicit-def: $vgpr20
	s_and_saveexec_b64 s[14:15], vcc
	s_xor_b64 s[38:39], exec, s[14:15]
	s_cbranch_execz .LBB63_280
; %bb.271:                              ;   in Loop: Header=BB63_4 Depth=1
	v_cmp_lt_f32_e64 s[14:15], |v13|, |v12|
	v_cndmask_b32_e64 v21, |v13|, |v12|, s[14:15]
	v_cmp_nlt_f32_e32 vcc, s79, v21
                                        ; implicit-def: $vgpr19
                                        ; implicit-def: $vgpr20
	s_and_saveexec_b64 s[16:17], vcc
	s_xor_b64 s[40:41], exec, s[16:17]
	s_cbranch_execz .LBB63_277
; %bb.272:                              ;   in Loop: Header=BB63_4 Depth=1
	v_cndmask_b32_e64 v22, |v12|, |v13|, s[14:15]
	v_cmp_nlt_f32_e32 vcc, s80, v21
	v_cmp_ngt_f32_e64 s[16:17], s81, v22
	s_and_b64 s[16:17], vcc, s[16:17]
                                        ; implicit-def: $vgpr19
                                        ; implicit-def: $vgpr20
	s_and_saveexec_b64 s[42:43], s[16:17]
	s_xor_b64 s[16:17], exec, s[42:43]
	s_cbranch_execz .LBB63_274
; %bb.273:                              ;   in Loop: Header=BB63_4 Depth=1
	v_mul_f32_e32 v19, v22, v22
	v_fmac_f32_e32 v19, v21, v21
	v_cmp_gt_f32_e32 vcc, s68, v19
	v_cndmask_b32_e32 v20, 1.0, v45, vcc
	v_mul_f32_e32 v19, v19, v20
	v_log_f32_e32 v19, v19
	v_min_f32_e32 v7, v7, v18
	s_waitcnt lgkmcnt(0)
	v_frexp_mant_f32_e32 v18, v9
	v_rcp_f32_e32 v18, v18
	v_mul_f32_e32 v21, 0x3f317217, v19
	v_fma_f32 v22, v19, s69, -v21
	v_fmac_f32_e32 v22, 0x3377d1cf, v19
	v_cndmask_b32_e32 v20, 0, v46, vcc
	v_add_f32_e32 v21, v21, v22
	v_cmp_lt_f32_e64 vcc, |v19|, s64
	v_cndmask_b32_e32 v19, v19, v21, vcc
	v_sub_f32_e32 v19, v19, v20
	v_frexp_exp_i32_f32_e32 v9, v9
	v_frexp_exp_i32_f32_e32 v20, v7
	v_frexp_mant_f32_e32 v7, v7
	v_mul_f32_e32 v7, v7, v18
	v_sub_u32_e32 v9, v20, v9
	v_ldexp_f32 v20, v7, v9
	v_mul_f32_e32 v7, v20, v20
	v_mov_b32_e32 v9, 0xbc7a590c
	v_fmac_f32_e32 v9, 0x3b2d2a58, v7
	v_fma_f32 v9, v7, v9, v38
	v_fma_f32 v9, v7, v9, v39
	;; [unrolled: 1-line block ×6, first 2 shown]
	v_mul_f32_e32 v7, v7, v9
	v_mul_f32_e32 v19, 0.5, v19
	v_fmac_f32_e32 v20, v20, v7
                                        ; implicit-def: $vgpr9
                                        ; implicit-def: $vgpr7
                                        ; implicit-def: $vgpr18
.LBB63_274:                             ;   in Loop: Header=BB63_4 Depth=1
	s_andn2_saveexec_b64 s[16:17], s[16:17]
	s_cbranch_execz .LBB63_276
; %bb.275:                              ;   in Loop: Header=BB63_4 Depth=1
	s_waitcnt lgkmcnt(0)
	v_cvt_f64_f32_e32 v[20:21], v9
	v_frexp_exp_i32_f64_e32 v19, v[20:21]
	v_sub_u32_e32 v20, 0, v19
	v_ldexp_f32 v21, |v13|, v20
	v_ldexp_f32 v20, |v12|, v20
	v_mul_f32_e32 v20, v20, v20
	v_fmac_f32_e32 v20, v21, v21
	v_sqrt_f32_e32 v20, v20
	v_cmp_neq_f32_e32 vcc, s64, v9
	v_min_f32_e32 v7, v7, v18
	v_ldexp_f32 v19, v20, v19
	v_cndmask_b32_e32 v19, v44, v19, vcc
	v_cmp_gt_f32_e32 vcc, s68, v19
	v_cndmask_b32_e32 v20, 1.0, v45, vcc
	v_mul_f32_e32 v19, v19, v20
	v_log_f32_e32 v19, v19
	v_cndmask_b32_e32 v18, 0, v46, vcc
	v_mul_f32_e32 v20, 0x3f317217, v19
	v_fma_f32 v21, v19, s69, -v20
	v_fmac_f32_e32 v21, 0x3377d1cf, v19
	v_add_f32_e32 v20, v20, v21
	v_cmp_lt_f32_e64 vcc, |v19|, s64
	v_cndmask_b32_e32 v19, v19, v20, vcc
	v_sub_f32_e32 v19, v19, v18
	v_frexp_mant_f32_e32 v18, v9
	v_rcp_f32_e32 v18, v18
	v_frexp_exp_i32_f32_e32 v9, v9
	v_frexp_exp_i32_f32_e32 v20, v7
	v_frexp_mant_f32_e32 v7, v7
	v_mul_f32_e32 v7, v7, v18
	v_sub_u32_e32 v9, v20, v9
	v_ldexp_f32 v20, v7, v9
	v_mul_f32_e32 v7, v20, v20
	v_mov_b32_e32 v9, 0xbc7a590c
	v_fmac_f32_e32 v9, 0x3b2d2a58, v7
	v_fma_f32 v9, v7, v9, v38
	v_fma_f32 v9, v7, v9, v39
	;; [unrolled: 1-line block ×6, first 2 shown]
	v_mul_f32_e32 v7, v7, v9
	v_fmac_f32_e32 v20, v20, v7
.LBB63_276:                             ;   in Loop: Header=BB63_4 Depth=1
	s_or_b64 exec, exec, s[16:17]
                                        ; implicit-def: $vgpr7
                                        ; implicit-def: $vgpr18
                                        ; implicit-def: $vgpr9
.LBB63_277:                             ;   in Loop: Header=BB63_4 Depth=1
	s_andn2_saveexec_b64 s[40:41], s[40:41]
	s_cbranch_execz .LBB63_279
; %bb.278:                              ;   in Loop: Header=BB63_4 Depth=1
	v_div_scale_f32 v19, s[16:17], s82, s82, v13
	v_rcp_f32_e32 v20, v19
	v_div_scale_f32 v21, vcc, v13, s82, v13
	v_min_f32_e32 v7, v7, v18
	v_fma_f32 v22, -v19, v20, 1.0
	v_fmac_f32_e32 v20, v22, v20
	v_mul_f32_e32 v22, v21, v20
	v_fma_f32 v23, -v19, v22, v21
	v_fmac_f32_e32 v22, v23, v20
	v_fma_f32 v19, -v19, v22, v21
	v_div_scale_f32 v21, s[16:17], s82, s82, v12
	v_rcp_f32_e32 v23, v21
	v_div_fmas_f32 v19, v19, v20, v22
	v_div_fixup_f32 v19, v19, s82, v13
	s_waitcnt lgkmcnt(0)
	v_frexp_mant_f32_e32 v18, v9
	v_fma_f32 v20, -v21, v23, 1.0
	v_fmac_f32_e32 v23, v20, v23
	v_div_scale_f32 v20, vcc, v12, s82, v12
	v_mul_f32_e32 v22, v20, v23
	v_fma_f32 v24, -v21, v22, v20
	v_fmac_f32_e32 v22, v24, v23
	v_fma_f32 v20, -v21, v22, v20
	v_div_fmas_f32 v20, v20, v23, v22
	v_div_fixup_f32 v22, v20, s82, v12
	v_max_f32_e64 v23, |v19|, |v22|
	v_cvt_f64_f32_e32 v[20:21], v23
	v_frexp_exp_i32_f64_e32 v20, v[20:21]
	v_sub_u32_e32 v21, 0, v20
	v_ldexp_f32 v19, |v19|, v21
	v_ldexp_f32 v21, |v22|, v21
	v_mul_f32_e32 v21, v21, v21
	v_fmac_f32_e32 v21, v19, v19
	v_sqrt_f32_e32 v19, v21
	v_cmp_neq_f32_e32 vcc, s64, v23
	v_rcp_f32_e32 v18, v18
	v_frexp_exp_i32_f32_e32 v9, v9
	v_ldexp_f32 v19, v19, v20
	v_cndmask_b32_e32 v19, v44, v19, vcc
	v_cmp_gt_f32_e32 vcc, s68, v19
	v_cndmask_b32_e32 v20, 1.0, v45, vcc
	v_mul_f32_e32 v19, v19, v20
	v_log_f32_e32 v19, v19
	v_mul_f32_e32 v20, 0x3f317217, v19
	v_fma_f32 v21, v19, s69, -v20
	v_fmac_f32_e32 v21, 0x3377d1cf, v19
	v_add_f32_e32 v20, v20, v21
	v_cmp_lt_f32_e64 s[16:17], |v19|, s64
	v_cndmask_b32_e64 v19, v19, v20, s[16:17]
	v_cndmask_b32_e32 v20, 0, v46, vcc
	v_sub_f32_e32 v19, v19, v20
	v_frexp_exp_i32_f32_e32 v20, v7
	v_frexp_mant_f32_e32 v7, v7
	v_mul_f32_e32 v7, v7, v18
	v_sub_u32_e32 v9, v20, v9
	v_ldexp_f32 v20, v7, v9
	v_mul_f32_e32 v7, v20, v20
	v_mov_b32_e32 v9, 0xbc7a590c
	v_fmac_f32_e32 v9, 0x3b2d2a58, v7
	v_fma_f32 v9, v7, v9, v38
	v_fma_f32 v9, v7, v9, v39
	;; [unrolled: 1-line block ×6, first 2 shown]
	v_mul_f32_e32 v7, v7, v9
	v_add_f32_e32 v19, 1.0, v19
	v_fmac_f32_e32 v20, v20, v7
.LBB63_279:                             ;   in Loop: Header=BB63_4 Depth=1
	s_or_b64 exec, exec, s[40:41]
	v_sub_f32_e32 v7, 0x3fc90fdb, v20
	v_cndmask_b32_e64 v20, v20, v7, s[14:15]
                                        ; implicit-def: $vgpr7
                                        ; implicit-def: $vgpr18
                                        ; implicit-def: $vgpr9
.LBB63_280:                             ;   in Loop: Header=BB63_4 Depth=1
	s_andn2_saveexec_b64 s[38:39], s[38:39]
	s_cbranch_execz .LBB63_290
; %bb.281:                              ;   in Loop: Header=BB63_4 Depth=1
	v_cmp_lt_f32_e64 s[14:15], |v13|, |v12|
	v_cndmask_b32_e64 v21, |v13|, |v12|, s[14:15]
	v_cmp_nlt_f32_e32 vcc, s79, v21
                                        ; implicit-def: $vgpr19
                                        ; implicit-def: $vgpr20
	s_and_saveexec_b64 s[16:17], vcc
	s_xor_b64 s[40:41], exec, s[16:17]
	s_cbranch_execz .LBB63_287
; %bb.282:                              ;   in Loop: Header=BB63_4 Depth=1
	v_cndmask_b32_e64 v22, |v12|, |v13|, s[14:15]
	v_cmp_nlt_f32_e32 vcc, s80, v21
	v_cmp_ngt_f32_e64 s[16:17], s81, v22
	s_and_b64 s[16:17], vcc, s[16:17]
                                        ; implicit-def: $vgpr19
                                        ; implicit-def: $vgpr20
	s_and_saveexec_b64 s[42:43], s[16:17]
	s_xor_b64 s[16:17], exec, s[42:43]
	s_cbranch_execz .LBB63_284
; %bb.283:                              ;   in Loop: Header=BB63_4 Depth=1
	v_mul_f32_e32 v19, v22, v22
	v_fmac_f32_e32 v19, v21, v21
	v_cmp_gt_f32_e32 vcc, s68, v19
	v_cndmask_b32_e32 v20, 1.0, v45, vcc
	v_mul_f32_e32 v19, v19, v20
	v_log_f32_e32 v19, v19
	v_min_f32_e32 v7, v7, v18
	s_waitcnt lgkmcnt(0)
	v_frexp_mant_f32_e32 v18, v9
	v_rcp_f32_e32 v18, v18
	v_mul_f32_e32 v21, 0x3f317217, v19
	v_fma_f32 v22, v19, s69, -v21
	v_fmac_f32_e32 v22, 0x3377d1cf, v19
	v_cndmask_b32_e32 v20, 0, v46, vcc
	v_add_f32_e32 v21, v21, v22
	v_cmp_lt_f32_e64 vcc, |v19|, s64
	v_cndmask_b32_e32 v19, v19, v21, vcc
	v_sub_f32_e32 v19, v19, v20
	v_frexp_exp_i32_f32_e32 v9, v9
	v_frexp_exp_i32_f32_e32 v20, v7
	v_frexp_mant_f32_e32 v7, v7
	v_mul_f32_e32 v7, v7, v18
	v_sub_u32_e32 v9, v20, v9
	v_ldexp_f32 v20, v7, v9
	v_mul_f32_e32 v7, v20, v20
	v_mov_b32_e32 v9, 0xbc7a590c
	v_fmac_f32_e32 v9, 0x3b2d2a58, v7
	v_fma_f32 v9, v7, v9, v38
	v_fma_f32 v9, v7, v9, v39
	;; [unrolled: 1-line block ×6, first 2 shown]
	v_mul_f32_e32 v7, v7, v9
	v_mul_f32_e32 v19, 0.5, v19
	v_fmac_f32_e32 v20, v20, v7
                                        ; implicit-def: $vgpr9
                                        ; implicit-def: $vgpr7
                                        ; implicit-def: $vgpr18
.LBB63_284:                             ;   in Loop: Header=BB63_4 Depth=1
	s_andn2_saveexec_b64 s[16:17], s[16:17]
	s_cbranch_execz .LBB63_286
; %bb.285:                              ;   in Loop: Header=BB63_4 Depth=1
	s_waitcnt lgkmcnt(0)
	v_cvt_f64_f32_e32 v[20:21], v9
	v_frexp_exp_i32_f64_e32 v19, v[20:21]
	v_sub_u32_e32 v20, 0, v19
	v_ldexp_f32 v21, |v13|, v20
	v_ldexp_f32 v20, |v12|, v20
	v_mul_f32_e32 v20, v20, v20
	v_fmac_f32_e32 v20, v21, v21
	v_sqrt_f32_e32 v20, v20
	v_cmp_neq_f32_e32 vcc, s64, v9
	v_min_f32_e32 v7, v7, v18
	v_ldexp_f32 v19, v20, v19
	v_cndmask_b32_e32 v19, v44, v19, vcc
	v_cmp_gt_f32_e32 vcc, s68, v19
	v_cndmask_b32_e32 v20, 1.0, v45, vcc
	v_mul_f32_e32 v19, v19, v20
	v_log_f32_e32 v19, v19
	v_cndmask_b32_e32 v18, 0, v46, vcc
	v_mul_f32_e32 v20, 0x3f317217, v19
	v_fma_f32 v21, v19, s69, -v20
	v_fmac_f32_e32 v21, 0x3377d1cf, v19
	v_add_f32_e32 v20, v20, v21
	v_cmp_lt_f32_e64 vcc, |v19|, s64
	v_cndmask_b32_e32 v19, v19, v20, vcc
	v_sub_f32_e32 v19, v19, v18
	v_frexp_mant_f32_e32 v18, v9
	v_rcp_f32_e32 v18, v18
	v_frexp_exp_i32_f32_e32 v9, v9
	v_frexp_exp_i32_f32_e32 v20, v7
	v_frexp_mant_f32_e32 v7, v7
	v_mul_f32_e32 v7, v7, v18
	v_sub_u32_e32 v9, v20, v9
	v_ldexp_f32 v20, v7, v9
	v_mul_f32_e32 v7, v20, v20
	v_mov_b32_e32 v9, 0xbc7a590c
	v_fmac_f32_e32 v9, 0x3b2d2a58, v7
	v_fma_f32 v9, v7, v9, v38
	v_fma_f32 v9, v7, v9, v39
	;; [unrolled: 1-line block ×6, first 2 shown]
	v_mul_f32_e32 v7, v7, v9
	v_fmac_f32_e32 v20, v20, v7
.LBB63_286:                             ;   in Loop: Header=BB63_4 Depth=1
	s_or_b64 exec, exec, s[16:17]
                                        ; implicit-def: $vgpr7
                                        ; implicit-def: $vgpr18
                                        ; implicit-def: $vgpr9
.LBB63_287:                             ;   in Loop: Header=BB63_4 Depth=1
	s_andn2_saveexec_b64 s[40:41], s[40:41]
	s_cbranch_execz .LBB63_289
; %bb.288:                              ;   in Loop: Header=BB63_4 Depth=1
	v_div_scale_f32 v19, s[16:17], s83, s83, v13
	v_rcp_f32_e32 v20, v19
	v_div_scale_f32 v21, vcc, v13, s83, v13
	v_min_f32_e32 v7, v7, v18
	v_fma_f32 v22, -v19, v20, 1.0
	v_fmac_f32_e32 v20, v22, v20
	v_mul_f32_e32 v22, v21, v20
	v_fma_f32 v23, -v19, v22, v21
	v_fmac_f32_e32 v22, v23, v20
	v_fma_f32 v19, -v19, v22, v21
	v_div_scale_f32 v21, s[16:17], s83, s83, v12
	v_rcp_f32_e32 v23, v21
	v_div_fmas_f32 v19, v19, v20, v22
	v_div_fixup_f32 v19, v19, s83, v13
	s_waitcnt lgkmcnt(0)
	v_frexp_mant_f32_e32 v18, v9
	v_fma_f32 v20, -v21, v23, 1.0
	v_fmac_f32_e32 v23, v20, v23
	v_div_scale_f32 v20, vcc, v12, s83, v12
	v_mul_f32_e32 v22, v20, v23
	v_fma_f32 v24, -v21, v22, v20
	v_fmac_f32_e32 v22, v24, v23
	v_fma_f32 v20, -v21, v22, v20
	v_div_fmas_f32 v20, v20, v23, v22
	v_div_fixup_f32 v22, v20, s83, v12
	v_max_f32_e64 v23, |v19|, |v22|
	v_cvt_f64_f32_e32 v[20:21], v23
	v_frexp_exp_i32_f64_e32 v20, v[20:21]
	v_sub_u32_e32 v21, 0, v20
	v_ldexp_f32 v19, |v19|, v21
	v_ldexp_f32 v21, |v22|, v21
	v_mul_f32_e32 v21, v21, v21
	v_fmac_f32_e32 v21, v19, v19
	v_sqrt_f32_e32 v19, v21
	v_cmp_neq_f32_e32 vcc, s64, v23
	v_rcp_f32_e32 v18, v18
	v_frexp_exp_i32_f32_e32 v9, v9
	v_ldexp_f32 v19, v19, v20
	v_cndmask_b32_e32 v19, v44, v19, vcc
	v_cmp_gt_f32_e32 vcc, s68, v19
	v_cndmask_b32_e32 v20, 1.0, v45, vcc
	v_mul_f32_e32 v19, v19, v20
	v_log_f32_e32 v19, v19
	v_mul_f32_e32 v20, 0x3f317217, v19
	v_fma_f32 v21, v19, s69, -v20
	v_fmac_f32_e32 v21, 0x3377d1cf, v19
	v_add_f32_e32 v20, v20, v21
	v_cmp_lt_f32_e64 s[16:17], |v19|, s64
	v_cndmask_b32_e64 v19, v19, v20, s[16:17]
	v_cndmask_b32_e32 v20, 0, v46, vcc
	v_sub_f32_e32 v19, v19, v20
	v_frexp_exp_i32_f32_e32 v20, v7
	v_frexp_mant_f32_e32 v7, v7
	v_mul_f32_e32 v7, v7, v18
	v_sub_u32_e32 v9, v20, v9
	v_ldexp_f32 v20, v7, v9
	v_mul_f32_e32 v7, v20, v20
	v_mov_b32_e32 v9, 0xbc7a590c
	v_fmac_f32_e32 v9, 0x3b2d2a58, v7
	v_fma_f32 v9, v7, v9, v38
	v_fma_f32 v9, v7, v9, v39
	;; [unrolled: 1-line block ×6, first 2 shown]
	v_mul_f32_e32 v7, v7, v9
	v_add_f32_e32 v19, 1.0, v19
	v_fmac_f32_e32 v20, v20, v7
.LBB63_289:                             ;   in Loop: Header=BB63_4 Depth=1
	s_or_b64 exec, exec, s[40:41]
	v_sub_f32_e32 v7, 0x3fc90fdb, v20
	v_cndmask_b32_e64 v20, v20, v7, s[14:15]
.LBB63_290:                             ;   in Loop: Header=BB63_4 Depth=1
	s_or_b64 exec, exec, s[38:39]
	v_cmp_neq_f32_e32 vcc, 0, v12
	v_cmp_class_f32_e64 s[14:15], v13, s78
	v_cmp_class_f32_e64 s[16:17], v12, s78
	v_cndmask_b32_e32 v7, 0, v20, vcc
	s_and_b64 vcc, s[14:15], s[16:17]
	v_cndmask_b32_e32 v7, v7, v50, vcc
	v_cmp_o_f32_e32 vcc, v12, v13
	v_cndmask_b32_e32 v7, v47, v7, vcc
	s_waitcnt lgkmcnt(0)
	v_add_f32_e32 v9, 0x3f317218, v19
	v_bfi_b32 v12, s63, v7, v12
	v_bfi_b32 v13, s63, v9, v13
.LBB63_291:                             ;   in Loop: Header=BB63_4 Depth=1
	s_or_b64 exec, exec, s[36:37]
.LBB63_292:                             ;   in Loop: Header=BB63_4 Depth=1
	s_andn2_saveexec_b64 s[14:15], s[34:35]
	s_cbranch_execz .LBB63_306
; %bb.293:                              ;   in Loop: Header=BB63_4 Depth=1
	v_cmp_neq_f32_e64 s[16:17], |v13|, s64
                                        ; implicit-def: $vgpr7
	s_and_saveexec_b64 s[34:35], s[16:17]
	s_xor_b64 s[16:17], exec, s[34:35]
	s_cbranch_execz .LBB63_303
; %bb.294:                              ;   in Loop: Header=BB63_4 Depth=1
	v_cmp_neq_f32_e64 s[34:35], |v12|, s64
                                        ; implicit-def: $vgpr7
	s_and_saveexec_b64 s[36:37], s[34:35]
	s_xor_b64 s[34:35], exec, s[36:37]
	s_cbranch_execz .LBB63_300
; %bb.295:                              ;   in Loop: Header=BB63_4 Depth=1
	v_cmp_neq_f32_e32 vcc, 0, v12
	s_and_saveexec_b64 s[36:37], vcc
	s_xor_b64 s[36:37], exec, s[36:37]
; %bb.296:                              ;   in Loop: Header=BB63_4 Depth=1
	v_add_f32_e32 v7, 0, v13
	v_add_f32_e32 v13, v12, v7
; %bb.297:                              ;   in Loop: Header=BB63_4 Depth=1
	s_or_saveexec_b64 s[36:37], s[36:37]
	v_mov_b32_e32 v7, v13
	s_xor_b64 exec, exec, s[36:37]
; %bb.298:                              ;   in Loop: Header=BB63_4 Depth=1
	v_add_f32_e32 v13, v13, v13
	v_mov_b32_e32 v7, v12
; %bb.299:                              ;   in Loop: Header=BB63_4 Depth=1
	s_or_b64 exec, exec, s[36:37]
.LBB63_300:                             ;   in Loop: Header=BB63_4 Depth=1
	s_andn2_saveexec_b64 s[34:35], s[34:35]
; %bb.301:                              ;   in Loop: Header=BB63_4 Depth=1
	v_add_f32_e32 v7, v13, v13
	v_mov_b32_e32 v13, v12
; %bb.302:                              ;   in Loop: Header=BB63_4 Depth=1
	s_or_b64 exec, exec, s[34:35]
.LBB63_303:                             ;   in Loop: Header=BB63_4 Depth=1
	s_andn2_saveexec_b64 s[16:17], s[16:17]
; %bb.304:                              ;   in Loop: Header=BB63_4 Depth=1
	v_add_f32_e32 v7, v12, v12
; %bb.305:                              ;   in Loop: Header=BB63_4 Depth=1
	s_or_b64 exec, exec, s[16:17]
	v_mov_b32_e32 v12, v7
.LBB63_306:                             ;   in Loop: Header=BB63_4 Depth=1
	s_or_b64 exec, exec, s[14:15]
	v_cmp_o_f32_e32 vcc, v17, v17
	v_cmp_o_f32_e64 s[14:15], v16, v16
	s_and_b64 s[14:15], vcc, s[14:15]
	s_and_saveexec_b64 s[16:17], s[14:15]
	s_xor_b64 s[34:35], exec, s[16:17]
	s_cbranch_execnz .LBB63_312
; %bb.307:                              ;   in Loop: Header=BB63_4 Depth=1
	s_andn2_saveexec_b64 s[14:15], s[34:35]
	s_cbranch_execnz .LBB63_395
.LBB63_308:                             ;   in Loop: Header=BB63_4 Depth=1
	s_or_b64 exec, exec, s[14:15]
	s_and_saveexec_b64 s[14:15], s[6:7]
	s_xor_b64 s[6:7], exec, s[14:15]
	s_cbranch_execnz .LBB63_408
.LBB63_309:                             ;   in Loop: Header=BB63_4 Depth=1
	s_or_b64 exec, exec, s[6:7]
	s_and_saveexec_b64 s[6:7], s[8:9]
	s_cbranch_execnz .LBB63_409
.LBB63_310:                             ;   in Loop: Header=BB63_4 Depth=1
	s_or_b64 exec, exec, s[6:7]
	s_and_saveexec_b64 s[6:7], s[10:11]
	s_cbranch_execnz .LBB63_410
.LBB63_311:                             ;   in Loop: Header=BB63_4 Depth=1
	s_or_b64 exec, exec, s[6:7]
	s_and_saveexec_b64 s[6:7], s[12:13]
	s_cbranch_execz .LBB63_3
	s_branch .LBB63_411
.LBB63_312:                             ;   in Loop: Header=BB63_4 Depth=1
	v_max_f32_e64 v18, |v16|, |v16|
	v_max_f32_e64 v7, |v17|, |v17|
	s_waitcnt lgkmcnt(0)
	v_max_f32_e32 v9, v7, v18
	v_cmp_nlt_f32_e32 vcc, s61, v9
	s_and_saveexec_b64 s[14:15], vcc
	s_xor_b64 s[16:17], exec, s[14:15]
	s_cbranch_execz .LBB63_372
; %bb.313:                              ;   in Loop: Header=BB63_4 Depth=1
	v_cmp_neq_f32_e32 vcc, 0, v17
	v_cmp_neq_f32_e64 s[14:15], 0, v16
	s_or_b64 s[14:15], vcc, s[14:15]
	s_and_saveexec_b64 s[36:37], s[14:15]
	s_cbranch_execz .LBB63_371
; %bb.314:                              ;   in Loop: Header=BB63_4 Depth=1
	v_pk_mov_b32 v[18:19], s[22:23], s[22:23] op_sel:[0,1]
	flat_store_dword v[18:19], v31
	s_waitcnt vmcnt(0)
	flat_load_dword v9, v[18:19] glc
	s_waitcnt vmcnt(0)
	v_pk_mov_b32 v[18:19], s[24:25], s[24:25] op_sel:[0,1]
	v_cmp_nlt_f32_e64 s[14:15], |v17|, s62
	v_cmp_nlt_f32_e64 s[38:39], |v16|, s62
	s_or_b64 s[14:15], s[14:15], s[38:39]
	s_waitcnt lgkmcnt(0)
	v_add_f32_e32 v9, 1.0, v9
	flat_store_dword v[18:19], v9
	s_waitcnt vmcnt(0)
	flat_load_dword v9, v[18:19] glc
	s_waitcnt vmcnt(0)
	s_and_saveexec_b64 s[38:39], s[14:15]
	s_cbranch_execz .LBB63_370
; %bb.315:                              ;   in Loop: Header=BB63_4 Depth=1
	v_and_b32_e32 v18, 0x7fffffff, v16
	v_pk_add_f32 v[22:23], v[18:19], s[28:29] op_sel_hi:[0,1]
	s_waitcnt lgkmcnt(0)
	v_max_f32_e64 v9, v7, |v23|
	v_max_f32_e64 v7, v7, |v22|
	v_cvt_f64_f32_e32 v[20:21], v7
	v_frexp_exp_i32_f64_e32 v19, v[20:21]
	v_sub_u32_e32 v20, 0, v19
	v_ldexp_f32 v21, |v17|, v20
	v_ldexp_f32 v20, |v22|, v20
	v_mul_f32_e32 v20, v20, v20
	v_fmac_f32_e32 v20, v21, v21
	v_sqrt_f32_e32 v24, v20
	v_cvt_f64_f32_e32 v[20:21], v9
	v_frexp_exp_i32_f64_e32 v20, v[20:21]
	v_sub_u32_e32 v21, 0, v20
	v_ldexp_f32 v25, |v17|, v21
	v_ldexp_f32 v21, |v23|, v21
	v_mul_f32_e32 v21, v21, v21
	v_fmac_f32_e32 v21, v25, v25
	v_sqrt_f32_e32 v21, v21
	v_ldexp_f32 v24, v24, v19
	v_cmp_neq_f32_e32 vcc, s64, v9
	v_ldexp_f32 v19, v21, v20
	v_cndmask_b32_e32 v19, v44, v19, vcc
	v_cmp_neq_f32_e32 vcc, s64, v7
	v_cndmask_b32_e32 v52, v44, v24, vcc
	v_add_f32_e32 v7, v52, v19
	v_mul_f32_e32 v7, 0.5, v7
	v_cmp_ngt_f32_e32 vcc, 1.0, v7
	v_cndmask_b32_e32 v20, 1.0, v7, vcc
	v_cmp_ngt_f32_e32 vcc, s65, v20
                                        ; implicit-def: $vgpr7
	s_and_saveexec_b64 s[14:15], vcc
	s_xor_b64 s[40:41], exec, s[14:15]
	s_cbranch_execz .LBB63_317
; %bb.316:                              ;   in Loop: Header=BB63_4 Depth=1
	v_fma_f32 v7, v20, v20, -1.0
	v_mul_f32_e32 v9, 0x4f800000, v7
	v_cmp_gt_f32_e32 vcc, s66, v7
	v_cndmask_b32_e32 v7, v7, v9, vcc
	v_sqrt_f32_e32 v9, v7
	v_add_u32_e32 v21, -1, v9
	v_fma_f32 v25, -v21, v9, v7
	v_add_u32_e32 v24, 1, v9
	v_cmp_ge_f32_e64 s[14:15], 0, v25
	v_cndmask_b32_e64 v21, v9, v21, s[14:15]
	v_fma_f32 v9, -v24, v9, v7
	v_cmp_lt_f32_e64 s[14:15], 0, v9
	v_cndmask_b32_e64 v9, v21, v24, s[14:15]
	v_mul_f32_e32 v21, 0x37800000, v9
	v_cndmask_b32_e32 v9, v9, v21, vcc
	v_cmp_class_f32_e32 vcc, v7, v32
	v_cndmask_b32_e32 v7, v9, v7, vcc
	v_add_f32_e32 v7, v20, v7
	v_cmp_gt_f32_e32 vcc, s68, v7
	v_cndmask_b32_e32 v9, 1.0, v45, vcc
	v_mul_f32_e32 v7, v7, v9
	v_log_f32_e32 v7, v7
	v_mul_f32_e32 v9, 0x3f317217, v7
	v_fma_f32 v21, v7, s69, -v9
	v_fmac_f32_e32 v21, 0x3377d1cf, v7
	v_add_f32_e32 v9, v9, v21
	v_cmp_lt_f32_e64 s[14:15], |v7|, s64
	v_cndmask_b32_e64 v7, v7, v9, s[14:15]
	v_cndmask_b32_e32 v9, 0, v46, vcc
	v_sub_f32_e32 v7, v7, v9
.LBB63_317:                             ;   in Loop: Header=BB63_4 Depth=1
	s_or_saveexec_b64 s[40:41], s[40:41]
	v_and_b32_e32 v25, 0x7fffffff, v17
	v_and_b32_e32 v53, 0x7fffffff, v23
	s_xor_b64 exec, exec, s[40:41]
	s_cbranch_execz .LBB63_339
; %bb.318:                              ;   in Loop: Header=BB63_4 Depth=1
	v_cmp_neq_f32_e64 s[14:15], |v16|, 1.0
	v_cmp_nlt_f32_e64 s[42:43], |v17|, s70
	s_or_b64 s[14:15], s[42:43], s[14:15]
                                        ; implicit-def: $vgpr7
	s_and_saveexec_b64 s[42:43], s[14:15]
	s_xor_b64 s[42:43], exec, s[42:43]
	s_cbranch_execz .LBB63_336
; %bb.319:                              ;   in Loop: Header=BB63_4 Depth=1
	v_mul_f32_e32 v7, 0x34000000, v53
	v_cmp_le_f32_e64 s[14:15], v7, |v17|
                                        ; implicit-def: $vgpr7
	s_and_saveexec_b64 s[44:45], s[14:15]
	s_xor_b64 s[44:45], exec, s[44:45]
	s_cbranch_execz .LBB63_329
; %bb.320:                              ;   in Loop: Header=BB63_4 Depth=1
	v_cmp_neq_f32_e32 vcc, 0, v22
	v_mov_b32_e32 v7, v25
	s_and_saveexec_b64 s[14:15], vcc
	s_cbranch_execz .LBB63_322
; %bb.321:                              ;   in Loop: Header=BB63_4 Depth=1
	v_mul_f32_e32 v7, v17, v17
	v_add_f32_e32 v9, v22, v52
	v_div_scale_f32 v21, s[46:47], v9, v9, v7
	v_rcp_f32_e32 v24, v21
	v_fma_f32 v54, -v21, v24, 1.0
	v_fmac_f32_e32 v24, v54, v24
	v_div_scale_f32 v54, vcc, v7, v9, v7
	v_mul_f32_e32 v55, v54, v24
	v_fma_f32 v56, -v21, v55, v54
	v_fmac_f32_e32 v55, v56, v24
	v_fma_f32 v21, -v21, v55, v54
	v_div_fmas_f32 v21, v21, v24, v55
	v_div_fixup_f32 v7, v21, v9, v7
.LBB63_322:                             ;   in Loop: Header=BB63_4 Depth=1
	s_or_b64 exec, exec, s[14:15]
	v_sub_f32_e64 v21, 1.0, |v16|
	v_cmp_ngt_f32_e32 vcc, 0, v21
                                        ; implicit-def: $vgpr9
	s_and_saveexec_b64 s[14:15], vcc
	s_xor_b64 s[14:15], exec, s[14:15]
	s_cbranch_execz .LBB63_326
; %bb.323:                              ;   in Loop: Header=BB63_4 Depth=1
	v_cmp_neq_f32_e32 vcc, 0, v21
	v_mov_b32_e32 v9, v25
	s_and_saveexec_b64 s[46:47], vcc
	s_cbranch_execz .LBB63_325
; %bb.324:                              ;   in Loop: Header=BB63_4 Depth=1
	v_mul_f32_e32 v9, v17, v17
	v_add_f32_e32 v21, v21, v19
	v_div_scale_f32 v24, s[48:49], v21, v21, v9
	v_rcp_f32_e32 v54, v24
	v_fma_f32 v55, -v24, v54, 1.0
	v_fmac_f32_e32 v54, v55, v54
	v_div_scale_f32 v55, vcc, v9, v21, v9
	v_mul_f32_e32 v56, v55, v54
	v_fma_f32 v57, -v24, v56, v55
	v_fmac_f32_e32 v56, v57, v54
	v_fma_f32 v24, -v24, v56, v55
	v_div_fmas_f32 v24, v24, v54, v56
	v_div_fixup_f32 v9, v24, v21, v9
.LBB63_325:                             ;   in Loop: Header=BB63_4 Depth=1
	s_or_b64 exec, exec, s[46:47]
                                        ; implicit-def: $vgpr21
.LBB63_326:                             ;   in Loop: Header=BB63_4 Depth=1
	s_andn2_saveexec_b64 s[14:15], s[14:15]
; %bb.327:                              ;   in Loop: Header=BB63_4 Depth=1
	v_sub_f32_e32 v9, v19, v21
; %bb.328:                              ;   in Loop: Header=BB63_4 Depth=1
	s_or_b64 exec, exec, s[14:15]
	v_mul_f32_e32 v21, 0.5, v7
	v_mul_f32_e32 v7, 0.5, v9
	v_pk_add_f32 v[54:55], v[20:21], v[6:7]
	v_mul_f32_e32 v7, v54, v55
	v_mul_f32_e32 v9, 0x4f800000, v7
	v_cmp_gt_f32_e32 vcc, s66, v7
	v_cndmask_b32_e32 v7, v7, v9, vcc
	v_sqrt_f32_e32 v9, v7
	v_add_u32_e32 v21, -1, v9
	v_fma_f32 v24, -v21, v9, v7
	v_cmp_ge_f32_e64 s[14:15], 0, v24
	v_add_u32_e32 v24, 1, v9
	v_cndmask_b32_e64 v21, v9, v21, s[14:15]
	v_fma_f32 v9, -v24, v9, v7
	v_cmp_lt_f32_e64 s[14:15], 0, v9
	v_cndmask_b32_e64 v9, v21, v24, s[14:15]
	v_mul_f32_e32 v21, 0x37800000, v9
	v_cndmask_b32_e32 v9, v9, v21, vcc
	v_cmp_class_f32_e32 vcc, v7, v32
	v_cndmask_b32_e32 v7, v9, v7, vcc
	v_add_f32_e32 v54, v55, v7
	v_add_f32_e32 v57, 1.0, v54
	v_add_f32_e32 v55, -1.0, v57
	v_mov_b32_e32 v56, v55
	v_pk_add_f32 v[58:59], v[54:55], v[56:57] neg_lo:[0,1] neg_hi:[0,1]
	v_add_f32_e32 v7, 1.0, v59
	v_add_f32_e32 v7, v58, v7
	v_frexp_mant_f32_e32 v9, v57
	v_cvt_f64_f32_e32 v[58:59], v57
	v_frexp_exp_i32_f64_e32 v21, v[58:59]
	v_cmp_gt_f32_e32 vcc, s71, v9
	v_subbrev_co_u32_e32 v21, vcc, 0, v21, vcc
	v_sub_u32_e32 v9, 0, v21
	v_ldexp_f32 v24, v57, v9
	v_ldexp_f32 v7, v7, v9
	v_add_f32_e32 v9, -1.0, v24
	v_add_f32_e32 v56, 1.0, v24
	v_add_f32_e32 v55, 1.0, v9
	v_add_f32_e32 v57, -1.0, v56
	v_sub_f32_e32 v55, v24, v55
	v_sub_f32_e32 v24, v24, v57
	v_add_f32_e32 v55, v7, v55
	v_add_f32_e32 v7, v7, v24
	;; [unrolled: 1-line block ×3, first 2 shown]
	v_rcp_f32_e32 v64, v24
	v_add_f32_e32 v57, v9, v55
	v_sub_f32_e32 v9, v57, v9
	v_sub_f32_e32 v9, v55, v9
	v_mul_f32_e32 v55, v57, v64
	v_sub_f32_e32 v56, v24, v56
	v_mul_f32_e32 v58, v24, v55
	v_sub_f32_e32 v7, v7, v56
	v_fma_f32 v60, v55, v24, -v58
	v_fmac_f32_e32 v60, v55, v7
	v_add_f32_e32 v56, v58, v60
	v_sub_f32_e32 v59, v57, v56
	v_pk_add_f32 v[62:63], v[56:57], v[58:59] neg_lo:[0,1] neg_hi:[0,1]
	v_mov_b32_e32 v61, v56
	v_pk_add_f32 v[56:57], v[62:63], v[60:61] neg_lo:[0,1] neg_hi:[0,1]
	v_add_f32_e32 v9, v9, v57
	v_add_f32_e32 v9, v56, v9
	;; [unrolled: 1-line block ×3, first 2 shown]
	v_mul_f32_e32 v65, v64, v57
	v_mul_f32_e32 v58, v24, v65
	v_fma_f32 v60, v65, v24, -v58
	v_fmac_f32_e32 v60, v65, v7
	v_add_f32_e32 v56, v58, v60
	v_sub_f32_e32 v7, v59, v57
	v_sub_f32_e32 v59, v57, v56
	v_pk_add_f32 v[62:63], v[56:57], v[58:59] neg_lo:[0,1] neg_hi:[0,1]
	v_mov_b32_e32 v61, v56
	v_add_f32_e32 v7, v9, v7
	v_pk_add_f32 v[56:57], v[62:63], v[60:61] neg_lo:[0,1] neg_hi:[0,1]
	v_add_f32_e32 v7, v7, v57
	v_add_f32_e32 v7, v56, v7
	v_add_f32_e32 v24, v55, v65
	v_add_f32_e32 v7, v59, v7
	v_sub_f32_e32 v9, v24, v55
	v_mul_f32_e32 v7, v64, v7
	v_sub_f32_e32 v9, v65, v9
	v_add_f32_e32 v7, v9, v7
	v_add_f32_e32 v55, v24, v7
	v_cvt_f32_i32_e32 v56, v21
	v_mul_f32_e32 v57, v55, v55
	v_mov_b32_e32 v9, 0x3ecc95a3
	v_fmac_f32_e32 v9, 0x3e9b6dac, v57
	v_fma_f32 v9, v57, v9, v33
	v_mul_f32_e32 v57, v55, v57
	v_pk_mul_f32 v[60:61], v[56:57], v[8:9]
	v_fma_f32 v58, v56, s72, -v60
	v_ldexp_f32 v59, v55, 1
	v_fmac_f32_e32 v58, 0xb102e308, v56
	v_sub_f32_e32 v21, v55, v24
	v_pk_add_f32 v[56:57], v[60:61], v[58:59]
	v_sub_f32_e32 v7, v7, v21
	v_sub_f32_e32 v9, v57, v59
	v_ldexp_f32 v7, v7, 1
	v_sub_f32_e32 v9, v61, v9
	v_add_f32_e32 v63, v7, v9
	v_mov_b32_e32 v62, v60
	v_pk_add_f32 v[60:61], v[56:57], v[60:61] neg_lo:[0,1] neg_hi:[0,1]
	v_pk_add_f32 v[64:65], v[56:57], v[62:63]
	v_mov_b32_e32 v61, v65
	v_mov_b32_e32 v59, v56
	v_pk_add_f32 v[66:67], v[58:59], v[60:61] neg_lo:[0,1] neg_hi:[0,1]
	v_pk_add_f32 v[58:59], v[58:59], v[60:61]
	v_mov_b32_e32 v24, v59
	v_pk_add_f32 v[60:61], v[24:25], v[56:57] neg_lo:[0,1] neg_hi:[0,1]
	v_mov_b32_e32 v7, v60
	v_pk_add_f32 v[68:69], v[64:65], v[6:7] neg_lo:[0,1] neg_hi:[0,1]
	v_mov_b32_e32 v58, v65
	v_mov_b32_e32 v64, v57
	;; [unrolled: 1-line block ×4, first 2 shown]
	v_pk_add_f32 v[58:59], v[58:59], v[64:65] neg_lo:[0,1] neg_hi:[0,1]
	v_mov_b32_e32 v60, v63
	v_mov_b32_e32 v61, v56
	v_pk_add_f32 v[56:57], v[60:61], v[58:59] neg_lo:[0,1] neg_hi:[0,1]
	v_mov_b32_e32 v68, v66
	v_pk_add_f32 v[58:59], v[68:69], v[56:57]
	v_mov_b32_e32 v60, v59
	v_pk_add_f32 v[60:61], v[58:59], v[60:61]
	v_pk_add_f32 v[62:63], v[24:25], v[60:61]
	v_mov_b32_e32 v59, v62
	v_pk_add_f32 v[64:65], v[58:59], v[66:67] neg_lo:[0,1] neg_hi:[0,1]
	v_mov_b32_e32 v57, v60
	v_sub_f32_e32 v7, v58, v64
	v_pk_add_f32 v[56:57], v[56:57], v[64:65] neg_lo:[0,1] neg_hi:[0,1]
	v_sub_f32_e32 v7, v66, v7
	v_add_f32_e32 v7, v56, v7
	v_add_f32_e32 v7, v7, v57
	;; [unrolled: 1-line block ×3, first 2 shown]
	v_cmp_eq_f32_e32 vcc, s64, v54
	v_cndmask_b32_e32 v7, v7, v54, vcc
	v_cmp_ngt_f32_e32 vcc, -1.0, v54
	v_cndmask_b32_e32 v7, v47, v7, vcc
	v_cmp_neq_f32_e32 vcc, -1.0, v54
	v_cndmask_b32_e32 v7, v48, v7, vcc
	v_cmp_lt_f32_e64 vcc, |v54|, s73
	v_cndmask_b32_e32 v7, v7, v54, vcc
.LBB63_329:                             ;   in Loop: Header=BB63_4 Depth=1
	s_andn2_saveexec_b64 s[44:45], s[44:45]
	s_cbranch_execz .LBB63_335
; %bb.330:                              ;   in Loop: Header=BB63_4 Depth=1
	v_cmp_nlt_f32_e64 s[14:15], |v16|, 1.0
                                        ; implicit-def: $vgpr7
	s_and_saveexec_b64 s[46:47], s[14:15]
	s_xor_b64 s[46:47], exec, s[46:47]
	s_cbranch_execz .LBB63_332
; %bb.331:                              ;   in Loop: Header=BB63_4 Depth=1
	v_mul_f32_e32 v7, v23, v22
	v_mul_f32_e32 v9, 0x4f800000, v7
	v_cmp_gt_f32_e32 vcc, s66, v7
	v_cndmask_b32_e32 v7, v7, v9, vcc
	v_sqrt_f32_e32 v9, v7
	v_add_u32_e32 v21, -1, v9
	v_fma_f32 v54, -v21, v9, v7
	v_add_u32_e32 v24, 1, v9
	v_cmp_ge_f32_e64 s[14:15], 0, v54
	v_cndmask_b32_e64 v21, v9, v21, s[14:15]
	v_fma_f32 v9, -v24, v9, v7
	v_cmp_lt_f32_e64 s[14:15], 0, v9
	v_cndmask_b32_e64 v9, v21, v24, s[14:15]
	v_mul_f32_e32 v21, 0x37800000, v9
	v_cndmask_b32_e32 v9, v9, v21, vcc
	v_cmp_class_f32_e32 vcc, v7, v32
	v_cndmask_b32_e32 v7, v9, v7, vcc
	v_add_f32_e32 v54, v23, v7
	v_add_f32_e32 v57, 1.0, v54
	v_add_f32_e32 v55, -1.0, v57
	v_mov_b32_e32 v56, v55
	v_pk_add_f32 v[58:59], v[54:55], v[56:57] neg_lo:[0,1] neg_hi:[0,1]
	v_add_f32_e32 v7, 1.0, v59
	v_add_f32_e32 v7, v58, v7
	v_frexp_mant_f32_e32 v9, v57
	v_cvt_f64_f32_e32 v[58:59], v57
	v_frexp_exp_i32_f64_e32 v21, v[58:59]
	v_cmp_gt_f32_e32 vcc, s71, v9
	v_subbrev_co_u32_e32 v21, vcc, 0, v21, vcc
	v_sub_u32_e32 v9, 0, v21
	v_ldexp_f32 v24, v57, v9
	v_ldexp_f32 v7, v7, v9
	v_add_f32_e32 v9, -1.0, v24
	v_add_f32_e32 v56, 1.0, v24
	v_add_f32_e32 v55, 1.0, v9
	v_add_f32_e32 v57, -1.0, v56
	v_sub_f32_e32 v55, v24, v55
	v_sub_f32_e32 v24, v24, v57
	v_add_f32_e32 v55, v7, v55
	v_add_f32_e32 v7, v7, v24
	;; [unrolled: 1-line block ×3, first 2 shown]
	v_rcp_f32_e32 v64, v24
	v_add_f32_e32 v57, v9, v55
	v_sub_f32_e32 v9, v57, v9
	v_sub_f32_e32 v9, v55, v9
	v_mul_f32_e32 v55, v57, v64
	v_sub_f32_e32 v56, v24, v56
	v_mul_f32_e32 v58, v24, v55
	v_sub_f32_e32 v7, v7, v56
	v_fma_f32 v60, v55, v24, -v58
	v_fmac_f32_e32 v60, v55, v7
	v_add_f32_e32 v56, v58, v60
	v_sub_f32_e32 v59, v57, v56
	v_pk_add_f32 v[62:63], v[56:57], v[58:59] neg_lo:[0,1] neg_hi:[0,1]
	v_mov_b32_e32 v61, v56
	v_pk_add_f32 v[56:57], v[62:63], v[60:61] neg_lo:[0,1] neg_hi:[0,1]
	v_add_f32_e32 v9, v9, v57
	v_add_f32_e32 v9, v56, v9
	;; [unrolled: 1-line block ×3, first 2 shown]
	v_mul_f32_e32 v65, v64, v57
	v_mul_f32_e32 v58, v24, v65
	v_fma_f32 v60, v65, v24, -v58
	v_fmac_f32_e32 v60, v65, v7
	v_add_f32_e32 v56, v58, v60
	v_sub_f32_e32 v7, v59, v57
	v_sub_f32_e32 v59, v57, v56
	v_pk_add_f32 v[62:63], v[56:57], v[58:59] neg_lo:[0,1] neg_hi:[0,1]
	v_mov_b32_e32 v61, v56
	v_add_f32_e32 v7, v9, v7
	v_pk_add_f32 v[56:57], v[62:63], v[60:61] neg_lo:[0,1] neg_hi:[0,1]
	v_add_f32_e32 v7, v7, v57
	v_add_f32_e32 v7, v56, v7
	;; [unrolled: 1-line block ×4, first 2 shown]
	v_sub_f32_e32 v9, v24, v55
	v_mul_f32_e32 v7, v64, v7
	v_sub_f32_e32 v9, v65, v9
	v_add_f32_e32 v7, v9, v7
	v_add_f32_e32 v55, v24, v7
	v_cvt_f32_i32_e32 v56, v21
	v_mul_f32_e32 v57, v55, v55
	v_mov_b32_e32 v9, 0x3ecc95a3
	v_fmac_f32_e32 v9, 0x3e9b6dac, v57
	v_fma_f32 v9, v57, v9, v33
	v_mul_f32_e32 v57, v55, v57
	v_pk_mul_f32 v[60:61], v[56:57], v[8:9]
	v_fma_f32 v58, v56, s72, -v60
	v_ldexp_f32 v59, v55, 1
	v_fmac_f32_e32 v58, 0xb102e308, v56
	v_sub_f32_e32 v21, v55, v24
	v_pk_add_f32 v[56:57], v[60:61], v[58:59]
	v_sub_f32_e32 v7, v7, v21
	v_sub_f32_e32 v9, v57, v59
	v_ldexp_f32 v7, v7, 1
	v_sub_f32_e32 v9, v61, v9
	v_add_f32_e32 v63, v7, v9
	v_mov_b32_e32 v62, v60
	v_pk_add_f32 v[60:61], v[56:57], v[60:61] neg_lo:[0,1] neg_hi:[0,1]
	v_pk_add_f32 v[64:65], v[56:57], v[62:63]
	v_mov_b32_e32 v61, v65
	v_mov_b32_e32 v59, v56
	v_pk_add_f32 v[66:67], v[58:59], v[60:61] neg_lo:[0,1] neg_hi:[0,1]
	v_pk_add_f32 v[58:59], v[58:59], v[60:61]
	v_mov_b32_e32 v24, v59
	v_pk_add_f32 v[60:61], v[24:25], v[56:57] neg_lo:[0,1] neg_hi:[0,1]
	v_mov_b32_e32 v7, v60
	v_pk_add_f32 v[68:69], v[64:65], v[6:7] neg_lo:[0,1] neg_hi:[0,1]
	v_mov_b32_e32 v58, v65
	v_mov_b32_e32 v64, v57
	v_mov_b32_e32 v65, v60
	v_mov_b32_e32 v67, v59
	v_pk_add_f32 v[58:59], v[58:59], v[64:65] neg_lo:[0,1] neg_hi:[0,1]
	v_mov_b32_e32 v60, v63
	v_mov_b32_e32 v61, v56
	v_pk_add_f32 v[56:57], v[60:61], v[58:59] neg_lo:[0,1] neg_hi:[0,1]
	v_mov_b32_e32 v68, v66
	v_pk_add_f32 v[58:59], v[68:69], v[56:57]
	v_mov_b32_e32 v60, v59
	v_pk_add_f32 v[60:61], v[58:59], v[60:61]
	v_pk_add_f32 v[62:63], v[24:25], v[60:61]
	v_mov_b32_e32 v59, v62
	v_pk_add_f32 v[64:65], v[58:59], v[66:67] neg_lo:[0,1] neg_hi:[0,1]
	v_mov_b32_e32 v57, v60
	v_sub_f32_e32 v7, v58, v64
	v_pk_add_f32 v[56:57], v[56:57], v[64:65] neg_lo:[0,1] neg_hi:[0,1]
	v_sub_f32_e32 v7, v66, v7
	v_add_f32_e32 v7, v56, v7
	v_add_f32_e32 v7, v7, v57
	;; [unrolled: 1-line block ×3, first 2 shown]
	v_cmp_eq_f32_e32 vcc, s64, v54
	v_cndmask_b32_e32 v7, v7, v54, vcc
	v_cmp_ngt_f32_e32 vcc, -1.0, v54
	v_cndmask_b32_e32 v7, v47, v7, vcc
	v_cmp_neq_f32_e32 vcc, -1.0, v54
	v_cndmask_b32_e32 v7, v48, v7, vcc
	v_cmp_lt_f32_e64 vcc, |v54|, s73
	v_cndmask_b32_e32 v7, v7, v54, vcc
.LBB63_332:                             ;   in Loop: Header=BB63_4 Depth=1
	s_andn2_saveexec_b64 s[46:47], s[46:47]
	s_cbranch_execz .LBB63_334
; %bb.333:                              ;   in Loop: Header=BB63_4 Depth=1
	v_sub_f32_e64 v7, 1.0, |v16|
	v_mul_f32_e32 v7, v7, v22
	v_mul_f32_e32 v9, 0x4f800000, v7
	v_cmp_gt_f32_e32 vcc, s66, v7
	v_cndmask_b32_e32 v7, v7, v9, vcc
	v_sqrt_f32_e32 v9, v7
	v_add_u32_e32 v21, -1, v9
	v_fma_f32 v54, -v21, v9, v7
	v_add_u32_e32 v24, 1, v9
	v_cmp_ge_f32_e64 s[14:15], 0, v54
	v_cndmask_b32_e64 v21, v9, v21, s[14:15]
	v_fma_f32 v9, -v24, v9, v7
	v_cmp_lt_f32_e64 s[14:15], 0, v9
	v_cndmask_b32_e64 v9, v21, v24, s[14:15]
	v_mul_f32_e32 v21, 0x37800000, v9
	v_cndmask_b32_e32 v9, v9, v21, vcc
	v_cmp_class_f32_e32 vcc, v7, v32
	v_cndmask_b32_e32 v7, v9, v7, vcc
	v_and_b32_e32 v9, 0x7fffffff, v17
	v_div_scale_f32 v21, s[14:15], v7, v7, v9
	v_rcp_f32_e32 v24, v21
	v_div_scale_f32 v9, vcc, v9, v7, v9
	v_fma_f32 v54, -v21, v24, 1.0
	v_fmac_f32_e32 v24, v54, v24
	v_mul_f32_e32 v54, v9, v24
	v_fma_f32 v55, -v21, v54, v9
	v_fmac_f32_e32 v54, v55, v24
	v_fma_f32 v9, -v21, v54, v9
	v_div_fmas_f32 v9, v9, v24, v54
	v_div_fixup_f32 v7, v9, v7, |v17|
.LBB63_334:                             ;   in Loop: Header=BB63_4 Depth=1
	s_or_b64 exec, exec, s[46:47]
.LBB63_335:                             ;   in Loop: Header=BB63_4 Depth=1
	s_or_b64 exec, exec, s[44:45]
.LBB63_336:                             ;   in Loop: Header=BB63_4 Depth=1
	s_andn2_saveexec_b64 s[42:43], s[42:43]
	s_cbranch_execz .LBB63_338
; %bb.337:                              ;   in Loop: Header=BB63_4 Depth=1
	v_mul_f32_e64 v7, |v17|, s67
	v_cmp_lt_f32_e64 vcc, |v17|, s66
	v_cndmask_b32_e64 v7, |v17|, v7, vcc
	v_sqrt_f32_e32 v9, v7
	v_add_u32_e32 v21, -1, v9
	v_fma_f32 v54, -v21, v9, v7
	v_add_u32_e32 v24, 1, v9
	v_cmp_ge_f32_e64 s[14:15], 0, v54
	v_cndmask_b32_e64 v21, v9, v21, s[14:15]
	v_fma_f32 v9, -v24, v9, v7
	v_cmp_lt_f32_e64 s[14:15], 0, v9
	v_cndmask_b32_e64 v9, v21, v24, s[14:15]
	v_mul_f32_e32 v21, 0x37800000, v9
	v_cndmask_b32_e32 v9, v9, v21, vcc
	v_cmp_class_f32_e32 vcc, v7, v32
	v_cndmask_b32_e32 v7, v9, v7, vcc
.LBB63_338:                             ;   in Loop: Header=BB63_4 Depth=1
	s_or_b64 exec, exec, s[42:43]
.LBB63_339:                             ;   in Loop: Header=BB63_4 Depth=1
	s_or_b64 exec, exec, s[40:41]
	v_cmp_nlt_f32_e64 s[40:41], |v16|, s74
                                        ; implicit-def: $sgpr14_sgpr15
                                        ; implicit-def: $vgpr24
                                        ; implicit-def: $vgpr9
	s_and_saveexec_b64 s[42:43], s[40:41]
	s_xor_b64 s[40:41], exec, s[42:43]
	s_cbranch_execz .LBB63_363
; %bb.340:                              ;   in Loop: Header=BB63_4 Depth=1
	v_div_scale_f32 v9, s[14:15], v20, v20, v18
	v_rcp_f32_e32 v21, v9
	v_div_scale_f32 v24, vcc, v18, v20, v18
	s_mov_b64 s[14:15], 0
	v_fma_f32 v54, -v9, v21, 1.0
	v_fmac_f32_e32 v21, v54, v21
	v_mul_f32_e32 v54, v24, v21
	v_fma_f32 v55, -v9, v54, v24
	v_fmac_f32_e32 v54, v55, v21
	v_fma_f32 v9, -v9, v54, v24
	v_div_fmas_f32 v9, v9, v21, v54
	v_div_fixup_f32 v9, v9, v20, |v16|
	v_cmp_lt_f32_e32 vcc, s75, v9
                                        ; implicit-def: $vgpr24
	s_and_saveexec_b64 s[42:43], vcc
	s_cbranch_execz .LBB63_362
; %bb.341:                              ;   in Loop: Header=BB63_4 Depth=1
	v_cmp_neq_f32_e64 s[14:15], |v16|, 1.0
	v_cmp_nlt_f32_e64 s[44:45], |v17|, s76
	s_or_b64 s[14:15], s[44:45], s[14:15]
                                        ; implicit-def: $sgpr46_sgpr47
                                        ; implicit-def: $vgpr24
	s_and_saveexec_b64 s[44:45], s[14:15]
	s_xor_b64 s[44:45], exec, s[44:45]
	s_cbranch_execz .LBB63_359
; %bb.342:                              ;   in Loop: Header=BB63_4 Depth=1
	v_mul_f32_e32 v21, 0x34000000, v53
	v_cmp_le_f32_e64 s[14:15], v21, |v17|
                                        ; implicit-def: $vgpr24
                                        ; implicit-def: $sgpr46_sgpr47
	s_and_saveexec_b64 s[48:49], s[14:15]
	s_xor_b64 s[48:49], exec, s[48:49]
	s_cbranch_execz .LBB63_352
; %bb.343:                              ;   in Loop: Header=BB63_4 Depth=1
	v_cmp_neq_f32_e32 vcc, 0, v22
	v_mov_b32_e32 v21, v25
	s_and_saveexec_b64 s[14:15], vcc
	s_cbranch_execz .LBB63_345
; %bb.344:                              ;   in Loop: Header=BB63_4 Depth=1
	v_mul_f32_e32 v21, v17, v17
	v_add_f32_e32 v22, v22, v52
	v_div_scale_f32 v24, s[46:47], v22, v22, v21
	v_rcp_f32_e32 v52, v24
	v_fma_f32 v53, -v24, v52, 1.0
	v_fmac_f32_e32 v52, v53, v52
	v_div_scale_f32 v53, vcc, v21, v22, v21
	v_mul_f32_e32 v54, v53, v52
	v_fma_f32 v55, -v24, v54, v53
	v_fmac_f32_e32 v54, v55, v52
	v_fma_f32 v24, -v24, v54, v53
	v_div_fmas_f32 v24, v24, v52, v54
	v_div_fixup_f32 v21, v24, v22, v21
.LBB63_345:                             ;   in Loop: Header=BB63_4 Depth=1
	s_or_b64 exec, exec, s[14:15]
	v_cmp_ngt_f32_e32 vcc, 0, v23
	s_and_saveexec_b64 s[14:15], vcc
	s_xor_b64 s[14:15], exec, s[14:15]
	s_cbranch_execz .LBB63_349
; %bb.346:                              ;   in Loop: Header=BB63_4 Depth=1
	v_cmp_neq_f32_e32 vcc, 0, v23
	s_and_saveexec_b64 s[46:47], vcc
	s_cbranch_execz .LBB63_348
; %bb.347:                              ;   in Loop: Header=BB63_4 Depth=1
	v_mul_f32_e32 v22, v17, v17
	v_add_f32_e32 v19, v23, v19
	v_div_scale_f32 v23, s[50:51], v19, v19, v22
	v_rcp_f32_e32 v24, v23
	v_fma_f32 v25, -v23, v24, 1.0
	v_fmac_f32_e32 v24, v25, v24
	v_div_scale_f32 v25, vcc, v22, v19, v22
	v_mul_f32_e32 v52, v25, v24
	v_fma_f32 v53, -v23, v52, v25
	v_fmac_f32_e32 v52, v53, v24
	v_fma_f32 v23, -v23, v52, v25
	v_div_fmas_f32 v23, v23, v24, v52
	v_div_fixup_f32 v25, v23, v19, v22
.LBB63_348:                             ;   in Loop: Header=BB63_4 Depth=1
	s_or_b64 exec, exec, s[46:47]
                                        ; implicit-def: $vgpr19
                                        ; implicit-def: $vgpr22_vgpr23
.LBB63_349:                             ;   in Loop: Header=BB63_4 Depth=1
	s_andn2_saveexec_b64 s[14:15], s[14:15]
; %bb.350:                              ;   in Loop: Header=BB63_4 Depth=1
	v_sub_f32_e32 v25, v19, v23
; %bb.351:                              ;   in Loop: Header=BB63_4 Depth=1
	s_or_b64 exec, exec, s[14:15]
	v_mul_f32_e32 v19, 0.5, v21
	v_mul_f32_e32 v21, 0.5, v25
	v_pk_add_f32 v[20:21], v[18:19], v[20:21]
	v_mul_f32_e32 v19, v20, v21
	v_mul_f32_e32 v20, 0x4f800000, v19
	v_cmp_gt_f32_e32 vcc, s66, v19
	v_cndmask_b32_e32 v19, v19, v20, vcc
	v_sqrt_f32_e32 v20, v19
	s_mov_b64 s[46:47], -1
	v_add_u32_e32 v21, -1, v20
	v_fma_f32 v22, -v21, v20, v19
	v_cmp_ge_f32_e64 s[14:15], 0, v22
	v_add_u32_e32 v22, 1, v20
	v_cndmask_b32_e64 v21, v20, v21, s[14:15]
	v_fma_f32 v20, -v22, v20, v19
	v_cmp_lt_f32_e64 s[14:15], 0, v20
	v_cndmask_b32_e64 v20, v21, v22, s[14:15]
	v_mul_f32_e32 v21, 0x37800000, v20
	v_cndmask_b32_e32 v20, v20, v21, vcc
	v_cmp_class_f32_e32 vcc, v19, v32
	v_cndmask_b32_e32 v24, v20, v19, vcc
                                        ; implicit-def: $vgpr22_vgpr23
.LBB63_352:                             ;   in Loop: Header=BB63_4 Depth=1
	s_andn2_saveexec_b64 s[48:49], s[48:49]
	s_cbranch_execz .LBB63_358
; %bb.353:                              ;   in Loop: Header=BB63_4 Depth=1
	v_cmp_ngt_f32_e64 s[14:15], |v16|, 1.0
                                        ; implicit-def: $vgpr24
                                        ; implicit-def: $sgpr50_sgpr51
	s_and_saveexec_b64 s[52:53], s[14:15]
	s_xor_b64 s[52:53], exec, s[52:53]
	s_cbranch_execz .LBB63_355
; %bb.354:                              ;   in Loop: Header=BB63_4 Depth=1
	v_sub_f32_e64 v19, 1.0, |v16|
	v_mul_f32_e32 v19, v19, v22
	v_mul_f32_e32 v20, 0x4f800000, v19
	v_cmp_gt_f32_e32 vcc, s66, v19
	v_cndmask_b32_e32 v19, v19, v20, vcc
	v_sqrt_f32_e32 v20, v19
	s_mov_b64 s[50:51], -1
	v_add_u32_e32 v21, -1, v20
	v_fma_f32 v23, -v21, v20, v19
	v_add_u32_e32 v22, 1, v20
	v_cmp_ge_f32_e64 s[14:15], 0, v23
	v_cndmask_b32_e64 v21, v20, v21, s[14:15]
	v_fma_f32 v20, -v22, v20, v19
	v_cmp_lt_f32_e64 s[14:15], 0, v20
	v_cndmask_b32_e64 v20, v21, v22, s[14:15]
	v_mul_f32_e32 v21, 0x37800000, v20
	v_cndmask_b32_e32 v20, v20, v21, vcc
	v_cmp_class_f32_e32 vcc, v19, v32
	v_cndmask_b32_e32 v24, v20, v19, vcc
                                        ; implicit-def: $vgpr22_vgpr23
.LBB63_355:                             ;   in Loop: Header=BB63_4 Depth=1
	s_andn2_saveexec_b64 s[52:53], s[52:53]
	s_cbranch_execz .LBB63_357
; %bb.356:                              ;   in Loop: Header=BB63_4 Depth=1
	v_mul_f32_e32 v18, v22, v23
	v_mul_f32_e32 v19, 0x4f800000, v18
	v_cmp_gt_f32_e32 vcc, s66, v18
	v_cndmask_b32_e32 v18, v18, v19, vcc
	v_sqrt_f32_e32 v19, v18
	v_mul_f32_e64 v20, |v17|, s77
	v_mul_f32_e64 v20, |v16|, v20
	s_or_b64 s[50:51], s[50:51], exec
	v_add_u32_e32 v21, -1, v19
	v_fma_f32 v22, -v21, v19, v18
	v_cmp_ge_f32_e64 s[14:15], 0, v22
	v_add_u32_e32 v22, 1, v19
	v_cndmask_b32_e64 v21, v19, v21, s[14:15]
	v_fma_f32 v19, -v22, v19, v18
	v_cmp_lt_f32_e64 s[14:15], 0, v19
	v_cndmask_b32_e64 v19, v21, v22, s[14:15]
	v_mul_f32_e32 v21, 0x37800000, v19
	v_cndmask_b32_e32 v19, v19, v21, vcc
	v_cmp_class_f32_e32 vcc, v18, v32
	v_cndmask_b32_e32 v18, v19, v18, vcc
	v_div_scale_f32 v19, s[14:15], v18, v18, v20
	v_rcp_f32_e32 v21, v19
	v_fma_f32 v22, -v19, v21, 1.0
	v_fmac_f32_e32 v21, v22, v21
	v_div_scale_f32 v22, vcc, v20, v18, v20
	v_mul_f32_e32 v23, v22, v21
	v_fma_f32 v24, -v19, v23, v22
	v_fmac_f32_e32 v23, v24, v21
	v_fma_f32 v19, -v19, v23, v22
	v_div_fmas_f32 v19, v19, v21, v23
	v_div_fixup_f32 v24, v19, v18, v20
	v_mul_f32_e64 v18, |v16|, s77
.LBB63_357:                             ;   in Loop: Header=BB63_4 Depth=1
	s_or_b64 exec, exec, s[52:53]
	s_andn2_b64 s[14:15], s[46:47], exec
	s_and_b64 s[46:47], s[50:51], exec
	s_or_b64 s[46:47], s[14:15], s[46:47]
.LBB63_358:                             ;   in Loop: Header=BB63_4 Depth=1
	s_or_b64 exec, exec, s[48:49]
	s_and_b64 s[46:47], s[46:47], exec
                                        ; implicit-def: $vgpr20
.LBB63_359:                             ;   in Loop: Header=BB63_4 Depth=1
	s_andn2_saveexec_b64 s[44:45], s[44:45]
	s_cbranch_execz .LBB63_361
; %bb.360:                              ;   in Loop: Header=BB63_4 Depth=1
	v_mul_f32_e64 v18, |v17|, s67
	v_cmp_lt_f32_e64 vcc, |v17|, s66
	v_cndmask_b32_e64 v18, |v17|, v18, vcc
	v_sqrt_f32_e32 v19, v18
	v_add_f32_e32 v20, 1.0, v20
	v_mul_f32_e32 v20, 0.5, v20
	s_or_b64 s[46:47], s[46:47], exec
	v_add_u32_e32 v21, -1, v19
	v_fma_f32 v23, -v21, v19, v18
	v_add_u32_e32 v22, 1, v19
	v_cmp_ge_f32_e64 s[14:15], 0, v23
	v_cndmask_b32_e64 v21, v19, v21, s[14:15]
	v_fma_f32 v19, -v22, v19, v18
	v_cmp_lt_f32_e64 s[14:15], 0, v19
	v_cndmask_b32_e64 v19, v21, v22, s[14:15]
	v_mul_f32_e32 v22, 0x4f800000, v20
	v_cmp_gt_f32_e64 s[14:15], s66, v20
	v_cndmask_b32_e64 v20, v20, v22, s[14:15]
	v_sqrt_f32_e32 v22, v20
	v_mul_f32_e32 v21, 0x37800000, v19
	v_cndmask_b32_e32 v19, v19, v21, vcc
	v_cmp_class_f32_e32 vcc, v18, v32
	v_cndmask_b32_e32 v18, v19, v18, vcc
	v_add_u32_e32 v19, -1, v22
	v_fma_f32 v21, -v19, v22, v20
	v_cmp_ge_f32_e32 vcc, 0, v21
	v_add_u32_e32 v21, 1, v22
	v_cndmask_b32_e32 v19, v22, v19, vcc
	v_fma_f32 v22, -v21, v22, v20
	v_cmp_lt_f32_e32 vcc, 0, v22
	v_cndmask_b32_e32 v19, v19, v21, vcc
	v_mul_f32_e32 v21, 0x37800000, v19
	v_cndmask_b32_e64 v19, v19, v21, s[14:15]
	v_cmp_class_f32_e32 vcc, v20, v32
	v_cndmask_b32_e32 v19, v19, v20, vcc
	v_mul_f32_e32 v24, v18, v19
	v_mov_b32_e32 v18, 1.0
.LBB63_361:                             ;   in Loop: Header=BB63_4 Depth=1
	s_or_b64 exec, exec, s[44:45]
	s_and_b64 s[14:15], s[46:47], exec
.LBB63_362:                             ;   in Loop: Header=BB63_4 Depth=1
	s_or_b64 exec, exec, s[42:43]
	s_and_b64 s[14:15], s[14:15], exec
                                        ; implicit-def: $vgpr20
.LBB63_363:                             ;   in Loop: Header=BB63_4 Depth=1
	s_andn2_saveexec_b64 s[40:41], s[40:41]
; %bb.364:                              ;   in Loop: Header=BB63_4 Depth=1
	v_mov_b32_e32 v21, v18
	v_pk_mul_f32 v[24:25], v[20:21], s[30:31] op_sel_hi:[1,0]
	s_or_b64 s[14:15], s[14:15], exec
	v_mov_b32_e32 v18, v25
                                        ; implicit-def: $vgpr9
; %bb.365:                              ;   in Loop: Header=BB63_4 Depth=1
	s_or_b64 exec, exec, s[40:41]
	s_xor_b64 s[14:15], s[14:15], -1
                                        ; implicit-def: $vgpr19
	s_and_saveexec_b64 s[40:41], s[14:15]
	s_xor_b64 s[14:15], exec, s[40:41]
	s_cbranch_execz .LBB63_367
; %bb.366:                              ;   in Loop: Header=BB63_4 Depth=1
	v_fma_f32 v18, |v9|, -0.5, 0.5
	v_mul_f32_e32 v19, v9, v9
	v_cmp_ge_f32_e64 vcc, |v9|, 0.5
	v_cndmask_b32_e32 v18, v19, v18, vcc
	v_mov_b32_e32 v19, 0x3c5fc5da
	v_fmac_f32_e32 v19, 0x3d1c21a7, v18
	v_fma_f32 v19, v18, v19, v34
	v_fma_f32 v19, v18, v19, v35
	v_sqrt_f32_e32 v20, v18
	v_fma_f32 v19, v18, v19, v36
	v_fma_f32 v19, v18, v19, v37
	v_mul_f32_e32 v18, v18, v19
	v_fmac_f32_e32 v20, v20, v18
	v_add_f32_e32 v19, v20, v20
	v_sub_f32_e32 v19, 0x3fc90fdb, v19
	v_fma_f32 v18, |v9|, v18, |v9|
	v_cmp_lt_f32_e64 vcc, |v9|, 0.5
	v_cndmask_b32_e32 v18, v19, v18, vcc
	v_bfi_b32 v19, s63, v18, v9
                                        ; implicit-def: $vgpr18
                                        ; implicit-def: $vgpr24
.LBB63_367:                             ;   in Loop: Header=BB63_4 Depth=1
	s_andn2_saveexec_b64 s[40:41], s[14:15]
	s_cbranch_execz .LBB63_369
; %bb.368:                              ;   in Loop: Header=BB63_4 Depth=1
	v_max_f32_e32 v9, v18, v18
	v_max_f32_e64 v19, |v24|, |v24|
	v_min_f32_e32 v20, v19, v9
	v_max_f32_e32 v9, v19, v9
	v_frexp_mant_f32_e32 v19, v9
	v_rcp_f32_e32 v19, v19
	v_frexp_exp_i32_f32_e32 v9, v9
	v_frexp_exp_i32_f32_e32 v21, v20
	v_frexp_mant_f32_e32 v20, v20
	v_mul_f32_e32 v19, v20, v19
	v_sub_u32_e32 v9, v21, v9
	v_ldexp_f32 v9, v19, v9
	v_mul_f32_e32 v19, v9, v9
	v_mov_b32_e32 v20, 0xbc7a590c
	v_fmac_f32_e32 v20, 0x3b2d2a58, v19
	v_fma_f32 v20, v19, v20, v38
	v_fma_f32 v20, v19, v20, v39
	;; [unrolled: 1-line block ×6, first 2 shown]
	v_mul_f32_e32 v19, v19, v20
	v_fmac_f32_e32 v9, v9, v19
	v_sub_f32_e32 v19, 0x3fc90fdb, v9
	v_cmp_gt_f32_e64 vcc, v18, |v24|
	v_cndmask_b32_e32 v9, v9, v19, vcc
	v_sub_f32_e32 v19, 0x40490fdb, v9
	v_cmp_gt_f32_e32 vcc, 0, v24
	v_cmp_gt_i32_e64 s[14:15], 0, v24
	v_cndmask_b32_e32 v9, v9, v19, vcc
	v_cndmask_b32_e64 v19, 0, v49, s[14:15]
	v_cmp_eq_f32_e64 s[14:15], 0, v18
	v_cndmask_b32_e64 v9, v9, v19, s[14:15]
	v_cndmask_b32_e32 v19, v50, v51, vcc
	v_cmp_class_f32_e64 s[14:15], v24, s78
	v_cmp_eq_f32_e32 vcc, s64, v18
	s_and_b64 vcc, vcc, s[14:15]
	v_cndmask_b32_e32 v9, v9, v19, vcc
	v_cmp_o_f32_e32 vcc, v24, v18
	v_cndmask_b32_e64 v19, v47, |v9|, vcc
.LBB63_369:                             ;   in Loop: Header=BB63_4 Depth=1
	s_or_b64 exec, exec, s[40:41]
	v_bfi_b32 v16, s63, v19, v16
	v_bfi_b32 v17, s63, v7, v17
.LBB63_370:                             ;   in Loop: Header=BB63_4 Depth=1
	s_or_b64 exec, exec, s[38:39]
.LBB63_371:                             ;   in Loop: Header=BB63_4 Depth=1
	s_or_b64 exec, exec, s[36:37]
                                        ; implicit-def: $vgpr7
                                        ; implicit-def: $vgpr18
                                        ; implicit-def: $vgpr9
.LBB63_372:                             ;   in Loop: Header=BB63_4 Depth=1
	s_andn2_saveexec_b64 s[36:37], s[16:17]
	s_cbranch_execz .LBB63_394
; %bb.373:                              ;   in Loop: Header=BB63_4 Depth=1
	v_cmp_lt_i32_e32 vcc, -1, v17
                                        ; implicit-def: $vgpr19
                                        ; implicit-def: $vgpr20
	s_and_saveexec_b64 s[14:15], vcc
	s_xor_b64 s[38:39], exec, s[14:15]
	s_cbranch_execz .LBB63_383
; %bb.374:                              ;   in Loop: Header=BB63_4 Depth=1
	v_cmp_lt_f32_e64 s[14:15], |v17|, |v16|
	v_cndmask_b32_e64 v21, |v17|, |v16|, s[14:15]
	v_cmp_nlt_f32_e32 vcc, s79, v21
                                        ; implicit-def: $vgpr19
                                        ; implicit-def: $vgpr20
	s_and_saveexec_b64 s[16:17], vcc
	s_xor_b64 s[40:41], exec, s[16:17]
	s_cbranch_execz .LBB63_380
; %bb.375:                              ;   in Loop: Header=BB63_4 Depth=1
	v_cndmask_b32_e64 v22, |v16|, |v17|, s[14:15]
	v_cmp_nlt_f32_e32 vcc, s80, v21
	v_cmp_ngt_f32_e64 s[16:17], s81, v22
	s_and_b64 s[16:17], vcc, s[16:17]
                                        ; implicit-def: $vgpr19
                                        ; implicit-def: $vgpr20
	s_and_saveexec_b64 s[42:43], s[16:17]
	s_xor_b64 s[16:17], exec, s[42:43]
	s_cbranch_execz .LBB63_377
; %bb.376:                              ;   in Loop: Header=BB63_4 Depth=1
	v_mul_f32_e32 v19, v22, v22
	v_fmac_f32_e32 v19, v21, v21
	v_cmp_gt_f32_e32 vcc, s68, v19
	v_cndmask_b32_e32 v20, 1.0, v45, vcc
	v_mul_f32_e32 v19, v19, v20
	v_log_f32_e32 v19, v19
	v_min_f32_e32 v7, v7, v18
	s_waitcnt lgkmcnt(0)
	v_frexp_mant_f32_e32 v18, v9
	v_rcp_f32_e32 v18, v18
	v_mul_f32_e32 v21, 0x3f317217, v19
	v_fma_f32 v22, v19, s69, -v21
	v_fmac_f32_e32 v22, 0x3377d1cf, v19
	v_cndmask_b32_e32 v20, 0, v46, vcc
	v_add_f32_e32 v21, v21, v22
	v_cmp_lt_f32_e64 vcc, |v19|, s64
	v_cndmask_b32_e32 v19, v19, v21, vcc
	v_sub_f32_e32 v19, v19, v20
	v_frexp_exp_i32_f32_e32 v9, v9
	v_frexp_exp_i32_f32_e32 v20, v7
	v_frexp_mant_f32_e32 v7, v7
	v_mul_f32_e32 v7, v7, v18
	v_sub_u32_e32 v9, v20, v9
	v_ldexp_f32 v20, v7, v9
	v_mul_f32_e32 v7, v20, v20
	v_mov_b32_e32 v9, 0xbc7a590c
	v_fmac_f32_e32 v9, 0x3b2d2a58, v7
	v_fma_f32 v9, v7, v9, v38
	v_fma_f32 v9, v7, v9, v39
	;; [unrolled: 1-line block ×6, first 2 shown]
	v_mul_f32_e32 v7, v7, v9
	v_mul_f32_e32 v19, 0.5, v19
	v_fmac_f32_e32 v20, v20, v7
                                        ; implicit-def: $vgpr9
                                        ; implicit-def: $vgpr7
                                        ; implicit-def: $vgpr18
.LBB63_377:                             ;   in Loop: Header=BB63_4 Depth=1
	s_andn2_saveexec_b64 s[16:17], s[16:17]
	s_cbranch_execz .LBB63_379
; %bb.378:                              ;   in Loop: Header=BB63_4 Depth=1
	s_waitcnt lgkmcnt(0)
	v_cvt_f64_f32_e32 v[20:21], v9
	v_frexp_exp_i32_f64_e32 v19, v[20:21]
	v_sub_u32_e32 v20, 0, v19
	v_ldexp_f32 v21, |v17|, v20
	v_ldexp_f32 v20, |v16|, v20
	v_mul_f32_e32 v20, v20, v20
	v_fmac_f32_e32 v20, v21, v21
	v_sqrt_f32_e32 v20, v20
	v_cmp_neq_f32_e32 vcc, s64, v9
	v_min_f32_e32 v7, v7, v18
	v_ldexp_f32 v19, v20, v19
	v_cndmask_b32_e32 v19, v44, v19, vcc
	v_cmp_gt_f32_e32 vcc, s68, v19
	v_cndmask_b32_e32 v20, 1.0, v45, vcc
	v_mul_f32_e32 v19, v19, v20
	v_log_f32_e32 v19, v19
	v_cndmask_b32_e32 v18, 0, v46, vcc
	v_mul_f32_e32 v20, 0x3f317217, v19
	v_fma_f32 v21, v19, s69, -v20
	v_fmac_f32_e32 v21, 0x3377d1cf, v19
	v_add_f32_e32 v20, v20, v21
	v_cmp_lt_f32_e64 vcc, |v19|, s64
	v_cndmask_b32_e32 v19, v19, v20, vcc
	v_sub_f32_e32 v19, v19, v18
	v_frexp_mant_f32_e32 v18, v9
	v_rcp_f32_e32 v18, v18
	v_frexp_exp_i32_f32_e32 v9, v9
	v_frexp_exp_i32_f32_e32 v20, v7
	v_frexp_mant_f32_e32 v7, v7
	v_mul_f32_e32 v7, v7, v18
	v_sub_u32_e32 v9, v20, v9
	v_ldexp_f32 v20, v7, v9
	v_mul_f32_e32 v7, v20, v20
	v_mov_b32_e32 v9, 0xbc7a590c
	v_fmac_f32_e32 v9, 0x3b2d2a58, v7
	v_fma_f32 v9, v7, v9, v38
	v_fma_f32 v9, v7, v9, v39
	;; [unrolled: 1-line block ×6, first 2 shown]
	v_mul_f32_e32 v7, v7, v9
	v_fmac_f32_e32 v20, v20, v7
.LBB63_379:                             ;   in Loop: Header=BB63_4 Depth=1
	s_or_b64 exec, exec, s[16:17]
                                        ; implicit-def: $vgpr7
                                        ; implicit-def: $vgpr18
                                        ; implicit-def: $vgpr9
.LBB63_380:                             ;   in Loop: Header=BB63_4 Depth=1
	s_andn2_saveexec_b64 s[40:41], s[40:41]
	s_cbranch_execz .LBB63_382
; %bb.381:                              ;   in Loop: Header=BB63_4 Depth=1
	v_div_scale_f32 v19, s[16:17], s82, s82, v17
	v_rcp_f32_e32 v20, v19
	v_div_scale_f32 v21, vcc, v17, s82, v17
	v_min_f32_e32 v7, v7, v18
	v_fma_f32 v22, -v19, v20, 1.0
	v_fmac_f32_e32 v20, v22, v20
	v_mul_f32_e32 v22, v21, v20
	v_fma_f32 v23, -v19, v22, v21
	v_fmac_f32_e32 v22, v23, v20
	v_fma_f32 v19, -v19, v22, v21
	v_div_scale_f32 v21, s[16:17], s82, s82, v16
	v_rcp_f32_e32 v23, v21
	v_div_fmas_f32 v19, v19, v20, v22
	v_div_fixup_f32 v19, v19, s82, v17
	s_waitcnt lgkmcnt(0)
	v_frexp_mant_f32_e32 v18, v9
	v_fma_f32 v20, -v21, v23, 1.0
	v_fmac_f32_e32 v23, v20, v23
	v_div_scale_f32 v20, vcc, v16, s82, v16
	v_mul_f32_e32 v22, v20, v23
	v_fma_f32 v24, -v21, v22, v20
	v_fmac_f32_e32 v22, v24, v23
	v_fma_f32 v20, -v21, v22, v20
	v_div_fmas_f32 v20, v20, v23, v22
	v_div_fixup_f32 v22, v20, s82, v16
	v_max_f32_e64 v23, |v19|, |v22|
	v_cvt_f64_f32_e32 v[20:21], v23
	v_frexp_exp_i32_f64_e32 v20, v[20:21]
	v_sub_u32_e32 v21, 0, v20
	v_ldexp_f32 v19, |v19|, v21
	v_ldexp_f32 v21, |v22|, v21
	v_mul_f32_e32 v21, v21, v21
	v_fmac_f32_e32 v21, v19, v19
	v_sqrt_f32_e32 v19, v21
	v_cmp_neq_f32_e32 vcc, s64, v23
	v_rcp_f32_e32 v18, v18
	v_frexp_exp_i32_f32_e32 v9, v9
	v_ldexp_f32 v19, v19, v20
	v_cndmask_b32_e32 v19, v44, v19, vcc
	v_cmp_gt_f32_e32 vcc, s68, v19
	v_cndmask_b32_e32 v20, 1.0, v45, vcc
	v_mul_f32_e32 v19, v19, v20
	v_log_f32_e32 v19, v19
	v_mul_f32_e32 v20, 0x3f317217, v19
	v_fma_f32 v21, v19, s69, -v20
	v_fmac_f32_e32 v21, 0x3377d1cf, v19
	v_add_f32_e32 v20, v20, v21
	v_cmp_lt_f32_e64 s[16:17], |v19|, s64
	v_cndmask_b32_e64 v19, v19, v20, s[16:17]
	v_cndmask_b32_e32 v20, 0, v46, vcc
	v_sub_f32_e32 v19, v19, v20
	v_frexp_exp_i32_f32_e32 v20, v7
	v_frexp_mant_f32_e32 v7, v7
	v_mul_f32_e32 v7, v7, v18
	v_sub_u32_e32 v9, v20, v9
	v_ldexp_f32 v20, v7, v9
	v_mul_f32_e32 v7, v20, v20
	v_mov_b32_e32 v9, 0xbc7a590c
	v_fmac_f32_e32 v9, 0x3b2d2a58, v7
	v_fma_f32 v9, v7, v9, v38
	v_fma_f32 v9, v7, v9, v39
	;; [unrolled: 1-line block ×6, first 2 shown]
	v_mul_f32_e32 v7, v7, v9
	v_add_f32_e32 v19, 1.0, v19
	v_fmac_f32_e32 v20, v20, v7
.LBB63_382:                             ;   in Loop: Header=BB63_4 Depth=1
	s_or_b64 exec, exec, s[40:41]
	v_sub_f32_e32 v7, 0x3fc90fdb, v20
	v_cndmask_b32_e64 v20, v20, v7, s[14:15]
                                        ; implicit-def: $vgpr7
                                        ; implicit-def: $vgpr18
                                        ; implicit-def: $vgpr9
.LBB63_383:                             ;   in Loop: Header=BB63_4 Depth=1
	s_andn2_saveexec_b64 s[38:39], s[38:39]
	s_cbranch_execz .LBB63_393
; %bb.384:                              ;   in Loop: Header=BB63_4 Depth=1
	v_cmp_lt_f32_e64 s[14:15], |v17|, |v16|
	v_cndmask_b32_e64 v21, |v17|, |v16|, s[14:15]
	v_cmp_nlt_f32_e32 vcc, s79, v21
                                        ; implicit-def: $vgpr19
                                        ; implicit-def: $vgpr20
	s_and_saveexec_b64 s[16:17], vcc
	s_xor_b64 s[40:41], exec, s[16:17]
	s_cbranch_execz .LBB63_390
; %bb.385:                              ;   in Loop: Header=BB63_4 Depth=1
	v_cndmask_b32_e64 v22, |v16|, |v17|, s[14:15]
	v_cmp_nlt_f32_e32 vcc, s80, v21
	v_cmp_ngt_f32_e64 s[16:17], s81, v22
	s_and_b64 s[16:17], vcc, s[16:17]
                                        ; implicit-def: $vgpr19
                                        ; implicit-def: $vgpr20
	s_and_saveexec_b64 s[42:43], s[16:17]
	s_xor_b64 s[16:17], exec, s[42:43]
	s_cbranch_execz .LBB63_387
; %bb.386:                              ;   in Loop: Header=BB63_4 Depth=1
	v_mul_f32_e32 v19, v22, v22
	v_fmac_f32_e32 v19, v21, v21
	v_cmp_gt_f32_e32 vcc, s68, v19
	v_cndmask_b32_e32 v20, 1.0, v45, vcc
	v_mul_f32_e32 v19, v19, v20
	v_log_f32_e32 v19, v19
	v_min_f32_e32 v7, v7, v18
	s_waitcnt lgkmcnt(0)
	v_frexp_mant_f32_e32 v18, v9
	v_rcp_f32_e32 v18, v18
	v_mul_f32_e32 v21, 0x3f317217, v19
	v_fma_f32 v22, v19, s69, -v21
	v_fmac_f32_e32 v22, 0x3377d1cf, v19
	v_cndmask_b32_e32 v20, 0, v46, vcc
	v_add_f32_e32 v21, v21, v22
	v_cmp_lt_f32_e64 vcc, |v19|, s64
	v_cndmask_b32_e32 v19, v19, v21, vcc
	v_sub_f32_e32 v19, v19, v20
	v_frexp_exp_i32_f32_e32 v9, v9
	v_frexp_exp_i32_f32_e32 v20, v7
	v_frexp_mant_f32_e32 v7, v7
	v_mul_f32_e32 v7, v7, v18
	v_sub_u32_e32 v9, v20, v9
	v_ldexp_f32 v20, v7, v9
	v_mul_f32_e32 v7, v20, v20
	v_mov_b32_e32 v9, 0xbc7a590c
	v_fmac_f32_e32 v9, 0x3b2d2a58, v7
	v_fma_f32 v9, v7, v9, v38
	v_fma_f32 v9, v7, v9, v39
	;; [unrolled: 1-line block ×6, first 2 shown]
	v_mul_f32_e32 v7, v7, v9
	v_mul_f32_e32 v19, 0.5, v19
	v_fmac_f32_e32 v20, v20, v7
                                        ; implicit-def: $vgpr9
                                        ; implicit-def: $vgpr7
                                        ; implicit-def: $vgpr18
.LBB63_387:                             ;   in Loop: Header=BB63_4 Depth=1
	s_andn2_saveexec_b64 s[16:17], s[16:17]
	s_cbranch_execz .LBB63_389
; %bb.388:                              ;   in Loop: Header=BB63_4 Depth=1
	s_waitcnt lgkmcnt(0)
	v_cvt_f64_f32_e32 v[20:21], v9
	v_frexp_exp_i32_f64_e32 v19, v[20:21]
	v_sub_u32_e32 v20, 0, v19
	v_ldexp_f32 v21, |v17|, v20
	v_ldexp_f32 v20, |v16|, v20
	v_mul_f32_e32 v20, v20, v20
	v_fmac_f32_e32 v20, v21, v21
	v_sqrt_f32_e32 v20, v20
	v_cmp_neq_f32_e32 vcc, s64, v9
	v_min_f32_e32 v7, v7, v18
	v_ldexp_f32 v19, v20, v19
	v_cndmask_b32_e32 v19, v44, v19, vcc
	v_cmp_gt_f32_e32 vcc, s68, v19
	v_cndmask_b32_e32 v20, 1.0, v45, vcc
	v_mul_f32_e32 v19, v19, v20
	v_log_f32_e32 v19, v19
	v_cndmask_b32_e32 v18, 0, v46, vcc
	v_mul_f32_e32 v20, 0x3f317217, v19
	v_fma_f32 v21, v19, s69, -v20
	v_fmac_f32_e32 v21, 0x3377d1cf, v19
	v_add_f32_e32 v20, v20, v21
	v_cmp_lt_f32_e64 vcc, |v19|, s64
	v_cndmask_b32_e32 v19, v19, v20, vcc
	v_sub_f32_e32 v19, v19, v18
	v_frexp_mant_f32_e32 v18, v9
	v_rcp_f32_e32 v18, v18
	v_frexp_exp_i32_f32_e32 v9, v9
	v_frexp_exp_i32_f32_e32 v20, v7
	v_frexp_mant_f32_e32 v7, v7
	v_mul_f32_e32 v7, v7, v18
	v_sub_u32_e32 v9, v20, v9
	v_ldexp_f32 v20, v7, v9
	v_mul_f32_e32 v7, v20, v20
	v_mov_b32_e32 v9, 0xbc7a590c
	v_fmac_f32_e32 v9, 0x3b2d2a58, v7
	v_fma_f32 v9, v7, v9, v38
	v_fma_f32 v9, v7, v9, v39
	;; [unrolled: 1-line block ×6, first 2 shown]
	v_mul_f32_e32 v7, v7, v9
	v_fmac_f32_e32 v20, v20, v7
.LBB63_389:                             ;   in Loop: Header=BB63_4 Depth=1
	s_or_b64 exec, exec, s[16:17]
                                        ; implicit-def: $vgpr7
                                        ; implicit-def: $vgpr18
                                        ; implicit-def: $vgpr9
.LBB63_390:                             ;   in Loop: Header=BB63_4 Depth=1
	s_andn2_saveexec_b64 s[40:41], s[40:41]
	s_cbranch_execz .LBB63_392
; %bb.391:                              ;   in Loop: Header=BB63_4 Depth=1
	v_div_scale_f32 v19, s[16:17], s83, s83, v17
	v_rcp_f32_e32 v20, v19
	v_div_scale_f32 v21, vcc, v17, s83, v17
	v_min_f32_e32 v7, v7, v18
	v_fma_f32 v22, -v19, v20, 1.0
	v_fmac_f32_e32 v20, v22, v20
	v_mul_f32_e32 v22, v21, v20
	v_fma_f32 v23, -v19, v22, v21
	v_fmac_f32_e32 v22, v23, v20
	v_fma_f32 v19, -v19, v22, v21
	v_div_scale_f32 v21, s[16:17], s83, s83, v16
	v_rcp_f32_e32 v23, v21
	v_div_fmas_f32 v19, v19, v20, v22
	v_div_fixup_f32 v19, v19, s83, v17
	s_waitcnt lgkmcnt(0)
	v_frexp_mant_f32_e32 v18, v9
	v_fma_f32 v20, -v21, v23, 1.0
	v_fmac_f32_e32 v23, v20, v23
	v_div_scale_f32 v20, vcc, v16, s83, v16
	v_mul_f32_e32 v22, v20, v23
	v_fma_f32 v24, -v21, v22, v20
	v_fmac_f32_e32 v22, v24, v23
	v_fma_f32 v20, -v21, v22, v20
	v_div_fmas_f32 v20, v20, v23, v22
	v_div_fixup_f32 v22, v20, s83, v16
	v_max_f32_e64 v23, |v19|, |v22|
	v_cvt_f64_f32_e32 v[20:21], v23
	v_frexp_exp_i32_f64_e32 v20, v[20:21]
	v_sub_u32_e32 v21, 0, v20
	v_ldexp_f32 v19, |v19|, v21
	v_ldexp_f32 v21, |v22|, v21
	v_mul_f32_e32 v21, v21, v21
	v_fmac_f32_e32 v21, v19, v19
	v_sqrt_f32_e32 v19, v21
	v_cmp_neq_f32_e32 vcc, s64, v23
	v_rcp_f32_e32 v18, v18
	v_frexp_exp_i32_f32_e32 v9, v9
	v_ldexp_f32 v19, v19, v20
	v_cndmask_b32_e32 v19, v44, v19, vcc
	v_cmp_gt_f32_e32 vcc, s68, v19
	v_cndmask_b32_e32 v20, 1.0, v45, vcc
	v_mul_f32_e32 v19, v19, v20
	v_log_f32_e32 v19, v19
	v_mul_f32_e32 v20, 0x3f317217, v19
	v_fma_f32 v21, v19, s69, -v20
	v_fmac_f32_e32 v21, 0x3377d1cf, v19
	v_add_f32_e32 v20, v20, v21
	v_cmp_lt_f32_e64 s[16:17], |v19|, s64
	v_cndmask_b32_e64 v19, v19, v20, s[16:17]
	v_cndmask_b32_e32 v20, 0, v46, vcc
	v_sub_f32_e32 v19, v19, v20
	v_frexp_exp_i32_f32_e32 v20, v7
	v_frexp_mant_f32_e32 v7, v7
	v_mul_f32_e32 v7, v7, v18
	v_sub_u32_e32 v9, v20, v9
	v_ldexp_f32 v20, v7, v9
	v_mul_f32_e32 v7, v20, v20
	v_mov_b32_e32 v9, 0xbc7a590c
	v_fmac_f32_e32 v9, 0x3b2d2a58, v7
	v_fma_f32 v9, v7, v9, v38
	v_fma_f32 v9, v7, v9, v39
	;; [unrolled: 1-line block ×6, first 2 shown]
	v_mul_f32_e32 v7, v7, v9
	v_add_f32_e32 v19, 1.0, v19
	v_fmac_f32_e32 v20, v20, v7
.LBB63_392:                             ;   in Loop: Header=BB63_4 Depth=1
	s_or_b64 exec, exec, s[40:41]
	v_sub_f32_e32 v7, 0x3fc90fdb, v20
	v_cndmask_b32_e64 v20, v20, v7, s[14:15]
.LBB63_393:                             ;   in Loop: Header=BB63_4 Depth=1
	s_or_b64 exec, exec, s[38:39]
	v_cmp_neq_f32_e32 vcc, 0, v16
	v_cmp_class_f32_e64 s[14:15], v17, s78
	v_cmp_class_f32_e64 s[16:17], v16, s78
	v_cndmask_b32_e32 v7, 0, v20, vcc
	s_and_b64 vcc, s[14:15], s[16:17]
	v_cndmask_b32_e32 v7, v7, v50, vcc
	v_cmp_o_f32_e32 vcc, v16, v17
	v_cndmask_b32_e32 v7, v47, v7, vcc
	s_waitcnt lgkmcnt(0)
	v_add_f32_e32 v9, 0x3f317218, v19
	v_bfi_b32 v16, s63, v7, v16
	v_bfi_b32 v17, s63, v9, v17
.LBB63_394:                             ;   in Loop: Header=BB63_4 Depth=1
	s_or_b64 exec, exec, s[36:37]
	s_andn2_saveexec_b64 s[14:15], s[34:35]
	s_cbranch_execz .LBB63_308
.LBB63_395:                             ;   in Loop: Header=BB63_4 Depth=1
	v_cmp_neq_f32_e64 s[16:17], |v17|, s64
                                        ; implicit-def: $vgpr7
	s_and_saveexec_b64 s[34:35], s[16:17]
	s_xor_b64 s[16:17], exec, s[34:35]
	s_cbranch_execz .LBB63_405
; %bb.396:                              ;   in Loop: Header=BB63_4 Depth=1
	v_cmp_neq_f32_e64 s[34:35], |v16|, s64
                                        ; implicit-def: $vgpr7
	s_and_saveexec_b64 s[36:37], s[34:35]
	s_xor_b64 s[34:35], exec, s[36:37]
	s_cbranch_execz .LBB63_402
; %bb.397:                              ;   in Loop: Header=BB63_4 Depth=1
	v_cmp_neq_f32_e32 vcc, 0, v16
	s_and_saveexec_b64 s[36:37], vcc
	s_xor_b64 s[36:37], exec, s[36:37]
; %bb.398:                              ;   in Loop: Header=BB63_4 Depth=1
	v_add_f32_e32 v7, 0, v17
	v_add_f32_e32 v17, v16, v7
; %bb.399:                              ;   in Loop: Header=BB63_4 Depth=1
	s_or_saveexec_b64 s[36:37], s[36:37]
	v_mov_b32_e32 v7, v17
	s_xor_b64 exec, exec, s[36:37]
; %bb.400:                              ;   in Loop: Header=BB63_4 Depth=1
	v_add_f32_e32 v17, v17, v17
	v_mov_b32_e32 v7, v16
; %bb.401:                              ;   in Loop: Header=BB63_4 Depth=1
	s_or_b64 exec, exec, s[36:37]
.LBB63_402:                             ;   in Loop: Header=BB63_4 Depth=1
	s_andn2_saveexec_b64 s[34:35], s[34:35]
; %bb.403:                              ;   in Loop: Header=BB63_4 Depth=1
	v_add_f32_e32 v7, v17, v17
	v_mov_b32_e32 v17, v16
; %bb.404:                              ;   in Loop: Header=BB63_4 Depth=1
	s_or_b64 exec, exec, s[34:35]
.LBB63_405:                             ;   in Loop: Header=BB63_4 Depth=1
	s_andn2_saveexec_b64 s[16:17], s[16:17]
; %bb.406:                              ;   in Loop: Header=BB63_4 Depth=1
	v_add_f32_e32 v7, v16, v16
; %bb.407:                              ;   in Loop: Header=BB63_4 Depth=1
	s_or_b64 exec, exec, s[16:17]
	v_mov_b32_e32 v16, v7
	s_or_b64 exec, exec, s[14:15]
	s_and_saveexec_b64 s[14:15], s[6:7]
	s_xor_b64 s[6:7], exec, s[14:15]
	s_cbranch_execz .LBB63_309
.LBB63_408:                             ;   in Loop: Header=BB63_4 Depth=1
	global_store_dwordx2 v[2:3], v[10:11], off
	s_or_b64 exec, exec, s[6:7]
	s_and_saveexec_b64 s[6:7], s[8:9]
	s_cbranch_execz .LBB63_310
.LBB63_409:                             ;   in Loop: Header=BB63_4 Depth=1
	global_store_dwordx2 v[4:5], v[14:15], off
	s_or_b64 exec, exec, s[6:7]
	s_and_saveexec_b64 s[6:7], s[10:11]
	s_cbranch_execz .LBB63_311
.LBB63_410:                             ;   in Loop: Header=BB63_4 Depth=1
	v_mov_b32_e32 v7, s60
	v_add_co_u32_e32 v10, vcc, s59, v2
	v_addc_co_u32_e32 v11, vcc, v3, v7, vcc
	global_store_dwordx2 v[10:11], v[12:13], off
	s_or_b64 exec, exec, s[6:7]
	s_and_saveexec_b64 s[6:7], s[12:13]
	s_cbranch_execz .LBB63_3
.LBB63_411:                             ;   in Loop: Header=BB63_4 Depth=1
	v_mov_b32_e32 v7, s58
	v_add_co_u32_e32 v10, vcc, s57, v2
	v_addc_co_u32_e32 v11, vcc, v3, v7, vcc
	global_store_dwordx2 v[10:11], v[16:17], off
	s_branch .LBB63_3
.LBB63_412:
	s_cbranch_execz .LBB63_414
	s_branch .LBB63_809
.LBB63_413:
.LBB63_414:
	v_mov_b32_e32 v3, 0
	v_lshlrev_b32_e32 v2, 2, v0
	v_cmp_gt_i64_e32 vcc, s[18:19], v[2:3]
	s_and_saveexec_b64 s[6:7], vcc
	s_cbranch_execz .LBB63_809
; %bb.415:
	s_add_u32 s8, s4, 0xd30
	s_mov_b64 s[10:11], src_private_base
	s_mov_b32 s16, 1.0
	v_mov_b32_e32 v1, v3
	s_addc_u32 s9, s5, 0
	s_mov_b32 s10, 0
	s_mov_b32 s12, 4
	;; [unrolled: 1-line block ×3, first 2 shown]
	s_mov_b64 s[14:15], 0
	v_mov_b32_e32 v24, s31
	s_mov_b32 s21, 0x4b000000
	v_mov_b32_e32 v25, 0xd800000
	s_mov_b32 s17, -1.0
	s_mov_b32 s46, 0x395db3d7
	s_brev_b32 s47, -2
	s_mov_b32 s48, 0x7f800000
	s_mov_b32 s49, 0x41200000
	;; [unrolled: 1-line block ×4, first 2 shown]
	v_mov_b32_e32 v26, 0x260
	s_mov_b32 s52, 0x800000
	s_mov_b32 s53, 0x3f317217
	s_mov_b32 s54, 0x25000000
	s_mov_b32 s55, 0x3f2aaaab
	v_mov_b32_e32 v27, 0x3f2aaada
	s_mov_b32 s56, 0x3f317218
	s_mov_b32 s57, 0x33800000
	;; [unrolled: 1-line block ×7, first 2 shown]
	v_mov_b32_e32 v28, 0x3d034c3c
	v_mov_b32_e32 v29, 0x3d3641b1
	;; [unrolled: 1-line block ×10, first 2 shown]
	s_movk_i32 s62, 0x204
	s_mov_b32 s63, 0x7effffff
	s_mov_b32 s64, 0x5e000000
	s_brev_b32 s65, 4
	s_mov_b32 s66, 0x402df854
	s_mov_b32 s67, 0xc02df854
	s_mov_b64 s[22:23], 0xffff
	v_mov_b32_e32 v38, 0x7f800000
	v_mov_b32_e32 v39, 0x4f800000
	;; [unrolled: 1-line block ×3, first 2 shown]
	v_mov_b32_e32 v14, 1.0
	v_mov_b32_e32 v16, 0x3f317218
	v_mov_b32_e32 v41, 0x7fc00000
	;; [unrolled: 1-line block ×6, first 2 shown]
	s_branch .LBB63_418
.LBB63_416:                             ;   in Loop: Header=BB63_418 Depth=1
	s_or_b64 exec, exec, s[6:7]
.LBB63_417:                             ;   in Loop: Header=BB63_418 Depth=1
	s_or_b64 exec, exec, s[4:5]
	s_waitcnt lgkmcnt(0)
	global_store_dwordx4 v[18:19], v[6:9], off
	global_store_dwordx4 v[18:19], v[10:13], off offset:16
	s_load_dword s4, s[8:9], 0xc
	s_waitcnt lgkmcnt(0)
	s_and_b32 s4, s4, 0xffff
	v_add_co_u32_e32 v0, vcc, s4, v0
	v_addc_co_u32_e32 v1, vcc, 0, v1, vcc
	v_lshlrev_b64 v[2:3], 2, v[0:1]
	v_cmp_le_i64_e32 vcc, s[18:19], v[2:3]
	v_cmp_lt_u64_e64 s[4:5], s[22:23], v[2:3]
	s_or_b64 s[4:5], vcc, s[4:5]
	s_and_b64 s[4:5], exec, s[4:5]
	s_or_b64 s[14:15], s[4:5], s[14:15]
	s_andn2_b64 exec, exec, s[14:15]
	s_cbranch_execz .LBB63_809
.LBB63_418:                             ; =>This Inner Loop Header: Depth=1
	v_lshlrev_b64 v[2:3], 5, v[0:1]
	v_add_co_u32_e32 v18, vcc, s33, v2
	v_addc_co_u32_e32 v19, vcc, v24, v3, vcc
	global_load_dwordx4 v[10:13], v[18:19], off
	global_load_dwordx4 v[2:5], v[18:19], off offset:16
                                        ; implicit-def: $vgpr7
	s_waitcnt vmcnt(0)
	v_cmp_o_f32_e32 vcc, v11, v11
	v_cmp_o_f32_e64 s[4:5], v10, v10
	s_and_b64 s[4:5], vcc, s[4:5]
	s_and_saveexec_b64 s[6:7], s[4:5]
	s_xor_b64 s[24:25], exec, s[6:7]
	s_cbranch_execz .LBB63_502
; %bb.419:                              ;   in Loop: Header=BB63_418 Depth=1
	v_max_f32_e64 v8, |v11|, |v11|
	v_max_f32_e64 v15, |v10|, |v10|
	s_waitcnt lgkmcnt(0)
	v_max_f32_e32 v9, v15, v8
	v_cmp_nlt_f32_e32 vcc, s21, v9
                                        ; implicit-def: $vgpr7
	s_and_saveexec_b64 s[4:5], vcc
	s_xor_b64 s[6:7], exec, s[4:5]
	s_cbranch_execz .LBB63_479
; %bb.420:                              ;   in Loop: Header=BB63_418 Depth=1
	v_cmp_neq_f32_e32 vcc, 0, v11
	v_cmp_neq_f32_e64 s[4:5], 0, v10
	s_or_b64 s[4:5], vcc, s[4:5]
	v_mov_b32_e32 v7, v11
	v_mov_b32_e32 v6, v10
	s_and_saveexec_b64 s[26:27], s[4:5]
	s_cbranch_execz .LBB63_478
; %bb.421:                              ;   in Loop: Header=BB63_418 Depth=1
	v_pk_mov_b32 v[6:7], s[10:11], s[10:11] op_sel:[0,1]
	flat_store_dword v[6:7], v25
	s_waitcnt vmcnt(0)
	flat_load_dword v6, v[6:7] glc
	s_waitcnt vmcnt(0)
	v_cmp_nlt_f32_e64 s[4:5], |v11|, s46
	v_cmp_nlt_f32_e64 s[28:29], |v10|, s46
	s_or_b64 s[4:5], s[28:29], s[4:5]
	s_waitcnt lgkmcnt(0)
	v_add_f32_e32 v9, 1.0, v6
	v_pk_mov_b32 v[6:7], s[12:13], s[12:13] op_sel:[0,1]
	flat_store_dword v[6:7], v9
	s_waitcnt vmcnt(0)
	flat_load_dword v6, v[6:7] glc
	s_waitcnt vmcnt(0)
	v_mov_b32_e32 v7, v11
	s_waitcnt lgkmcnt(0)
	v_mov_b32_e32 v6, v10
	s_and_saveexec_b64 s[28:29], s[4:5]
	s_cbranch_execz .LBB63_477
; %bb.422:                              ;   in Loop: Header=BB63_418 Depth=1
	v_and_b32_e32 v6, 0x7fffffff, v10
	v_pk_add_f32 v[20:21], v[6:7], s[16:17] op_sel_hi:[0,1]
	v_max_f32_e64 v15, v8, |v20|
	v_max_f32_e64 v7, v8, |v21|
	v_cvt_f64_f32_e32 v[8:9], v15
	v_frexp_exp_i32_f64_e32 v17, v[8:9]
	v_sub_u32_e32 v8, 0, v17
	v_ldexp_f32 v9, |v11|, v8
	v_ldexp_f32 v8, |v20|, v8
	v_mul_f32_e32 v8, v8, v8
	v_fmac_f32_e32 v8, v9, v9
	v_sqrt_f32_e32 v22, v8
	v_cvt_f64_f32_e32 v[8:9], v7
	v_frexp_exp_i32_f64_e32 v8, v[8:9]
	v_sub_u32_e32 v9, 0, v8
	v_ldexp_f32 v23, |v11|, v9
	v_ldexp_f32 v9, |v21|, v9
	v_mul_f32_e32 v9, v9, v9
	v_fmac_f32_e32 v9, v23, v23
	v_sqrt_f32_e32 v9, v9
	v_cmp_neq_f32_e32 vcc, s48, v7
	v_ldexp_f32 v17, v22, v17
	v_ldexp_f32 v8, v9, v8
	v_cndmask_b32_e32 v7, v38, v8, vcc
	v_cmp_neq_f32_e32 vcc, s48, v15
	v_cndmask_b32_e32 v46, v38, v17, vcc
	v_add_f32_e32 v8, v46, v7
	v_mul_f32_e32 v8, 0.5, v8
	v_cmp_ngt_f32_e32 vcc, 1.0, v8
	v_cndmask_b32_e32 v8, 1.0, v8, vcc
	v_cmp_ngt_f32_e32 vcc, s49, v8
                                        ; implicit-def: $vgpr15
	s_and_saveexec_b64 s[4:5], vcc
	s_xor_b64 s[30:31], exec, s[4:5]
	s_cbranch_execz .LBB63_424
; %bb.423:                              ;   in Loop: Header=BB63_418 Depth=1
	v_fma_f32 v9, v8, v8, -1.0
	v_mul_f32_e32 v15, 0x4f800000, v9
	v_cmp_gt_f32_e32 vcc, s50, v9
	v_cndmask_b32_e32 v9, v9, v15, vcc
	v_sqrt_f32_e32 v15, v9
	v_add_u32_e32 v17, -1, v15
	v_fma_f32 v23, -v17, v15, v9
	v_add_u32_e32 v22, 1, v15
	v_cmp_ge_f32_e64 s[4:5], 0, v23
	v_cndmask_b32_e64 v17, v15, v17, s[4:5]
	v_fma_f32 v15, -v22, v15, v9
	v_cmp_lt_f32_e64 s[4:5], 0, v15
	v_cndmask_b32_e64 v15, v17, v22, s[4:5]
	v_mul_f32_e32 v17, 0x37800000, v15
	v_cndmask_b32_e32 v15, v15, v17, vcc
	v_cmp_class_f32_e32 vcc, v9, v26
	v_cndmask_b32_e32 v9, v15, v9, vcc
	v_add_f32_e32 v9, v8, v9
	v_cmp_gt_f32_e32 vcc, s52, v9
	v_cndmask_b32_e32 v15, 1.0, v39, vcc
	v_mul_f32_e32 v9, v9, v15
	v_log_f32_e32 v9, v9
	v_mul_f32_e32 v15, 0x3f317217, v9
	v_fma_f32 v17, v9, s53, -v15
	v_fmac_f32_e32 v17, 0x3377d1cf, v9
	v_add_f32_e32 v15, v15, v17
	v_cmp_lt_f32_e64 s[4:5], |v9|, s48
	v_cndmask_b32_e64 v9, v9, v15, s[4:5]
	v_cndmask_b32_e32 v15, 0, v40, vcc
	v_sub_f32_e32 v15, v9, v15
.LBB63_424:                             ;   in Loop: Header=BB63_418 Depth=1
	s_or_saveexec_b64 s[30:31], s[30:31]
	v_and_b32_e32 v23, 0x7fffffff, v11
	v_and_b32_e32 v47, 0x7fffffff, v21
	s_xor_b64 exec, exec, s[30:31]
	s_cbranch_execz .LBB63_446
; %bb.425:                              ;   in Loop: Header=BB63_418 Depth=1
	v_cmp_neq_f32_e64 s[4:5], |v10|, 1.0
	v_cmp_nlt_f32_e64 s[34:35], |v11|, s54
	s_or_b64 s[4:5], s[4:5], s[34:35]
                                        ; implicit-def: $vgpr15
	s_and_saveexec_b64 s[34:35], s[4:5]
	s_xor_b64 s[34:35], exec, s[34:35]
	s_cbranch_execz .LBB63_443
; %bb.426:                              ;   in Loop: Header=BB63_418 Depth=1
	v_mul_f32_e32 v9, 0x34000000, v47
	v_cmp_le_f32_e64 s[4:5], v9, |v11|
                                        ; implicit-def: $vgpr15
	s_and_saveexec_b64 s[36:37], s[4:5]
	s_xor_b64 s[36:37], exec, s[36:37]
	s_cbranch_execz .LBB63_436
; %bb.427:                              ;   in Loop: Header=BB63_418 Depth=1
	v_cmp_neq_f32_e32 vcc, 0, v20
	v_mov_b32_e32 v9, v23
	s_and_saveexec_b64 s[4:5], vcc
	s_cbranch_execz .LBB63_429
; %bb.428:                              ;   in Loop: Header=BB63_418 Depth=1
	v_mul_f32_e32 v9, v11, v11
	v_add_f32_e32 v15, v20, v46
	v_div_scale_f32 v17, s[38:39], v15, v15, v9
	v_rcp_f32_e32 v22, v17
	v_fma_f32 v48, -v17, v22, 1.0
	v_fmac_f32_e32 v22, v48, v22
	v_div_scale_f32 v48, vcc, v9, v15, v9
	v_mul_f32_e32 v49, v48, v22
	v_fma_f32 v50, -v17, v49, v48
	v_fmac_f32_e32 v49, v50, v22
	v_fma_f32 v17, -v17, v49, v48
	v_div_fmas_f32 v17, v17, v22, v49
	v_div_fixup_f32 v9, v17, v15, v9
.LBB63_429:                             ;   in Loop: Header=BB63_418 Depth=1
	s_or_b64 exec, exec, s[4:5]
	v_sub_f32_e64 v17, 1.0, |v10|
	v_cmp_ngt_f32_e32 vcc, 0, v17
                                        ; implicit-def: $vgpr15
	s_and_saveexec_b64 s[4:5], vcc
	s_xor_b64 s[4:5], exec, s[4:5]
	s_cbranch_execz .LBB63_433
; %bb.430:                              ;   in Loop: Header=BB63_418 Depth=1
	v_cmp_neq_f32_e32 vcc, 0, v17
	v_mov_b32_e32 v15, v23
	s_and_saveexec_b64 s[38:39], vcc
	s_cbranch_execz .LBB63_432
; %bb.431:                              ;   in Loop: Header=BB63_418 Depth=1
	v_mul_f32_e32 v15, v11, v11
	v_add_f32_e32 v17, v17, v7
	v_div_scale_f32 v22, s[40:41], v17, v17, v15
	v_rcp_f32_e32 v48, v22
	v_fma_f32 v49, -v22, v48, 1.0
	v_fmac_f32_e32 v48, v49, v48
	v_div_scale_f32 v49, vcc, v15, v17, v15
	v_mul_f32_e32 v50, v49, v48
	v_fma_f32 v51, -v22, v50, v49
	v_fmac_f32_e32 v50, v51, v48
	v_fma_f32 v22, -v22, v50, v49
	v_div_fmas_f32 v22, v22, v48, v50
	v_div_fixup_f32 v15, v22, v17, v15
.LBB63_432:                             ;   in Loop: Header=BB63_418 Depth=1
	s_or_b64 exec, exec, s[38:39]
                                        ; implicit-def: $vgpr17
.LBB63_433:                             ;   in Loop: Header=BB63_418 Depth=1
	s_andn2_saveexec_b64 s[4:5], s[4:5]
; %bb.434:                              ;   in Loop: Header=BB63_418 Depth=1
	v_sub_f32_e32 v15, v7, v17
; %bb.435:                              ;   in Loop: Header=BB63_418 Depth=1
	s_or_b64 exec, exec, s[4:5]
	v_mul_f32_e32 v9, 0.5, v9
	v_mul_f32_e32 v15, 0.5, v15
	v_pk_add_f32 v[48:49], v[8:9], v[14:15]
	v_mul_f32_e32 v9, v48, v49
	v_mul_f32_e32 v15, 0x4f800000, v9
	v_cmp_gt_f32_e32 vcc, s50, v9
	v_cndmask_b32_e32 v9, v9, v15, vcc
	v_sqrt_f32_e32 v15, v9
	v_add_u32_e32 v17, -1, v15
	v_fma_f32 v22, -v17, v15, v9
	v_cmp_ge_f32_e64 s[4:5], 0, v22
	v_add_u32_e32 v22, 1, v15
	v_cndmask_b32_e64 v17, v15, v17, s[4:5]
	v_fma_f32 v15, -v22, v15, v9
	v_cmp_lt_f32_e64 s[4:5], 0, v15
	v_cndmask_b32_e64 v15, v17, v22, s[4:5]
	v_mul_f32_e32 v17, 0x37800000, v15
	v_cndmask_b32_e32 v15, v15, v17, vcc
	v_cmp_class_f32_e32 vcc, v9, v26
	v_cndmask_b32_e32 v9, v15, v9, vcc
	v_add_f32_e32 v48, v49, v9
	v_add_f32_e32 v51, 1.0, v48
	v_add_f32_e32 v49, -1.0, v51
	v_mov_b32_e32 v50, v49
	v_pk_add_f32 v[52:53], v[48:49], v[50:51] neg_lo:[0,1] neg_hi:[0,1]
	v_add_f32_e32 v9, 1.0, v53
	v_add_f32_e32 v9, v52, v9
	v_frexp_mant_f32_e32 v15, v51
	v_cvt_f64_f32_e32 v[52:53], v51
	v_frexp_exp_i32_f64_e32 v17, v[52:53]
	v_cmp_gt_f32_e32 vcc, s55, v15
	v_subbrev_co_u32_e32 v15, vcc, 0, v17, vcc
	v_sub_u32_e32 v17, 0, v15
	v_ldexp_f32 v22, v51, v17
	v_ldexp_f32 v9, v9, v17
	v_add_f32_e32 v17, -1.0, v22
	v_add_f32_e32 v50, 1.0, v22
	v_add_f32_e32 v49, 1.0, v17
	v_add_f32_e32 v51, -1.0, v50
	v_sub_f32_e32 v49, v22, v49
	v_sub_f32_e32 v22, v22, v51
	v_add_f32_e32 v49, v9, v49
	v_add_f32_e32 v9, v9, v22
	;; [unrolled: 1-line block ×3, first 2 shown]
	v_rcp_f32_e32 v58, v22
	v_add_f32_e32 v51, v17, v49
	v_sub_f32_e32 v17, v51, v17
	v_sub_f32_e32 v17, v49, v17
	v_mul_f32_e32 v49, v51, v58
	v_sub_f32_e32 v50, v22, v50
	v_mul_f32_e32 v52, v22, v49
	v_sub_f32_e32 v9, v9, v50
	v_fma_f32 v54, v49, v22, -v52
	v_fmac_f32_e32 v54, v49, v9
	v_add_f32_e32 v50, v52, v54
	v_sub_f32_e32 v53, v51, v50
	v_pk_add_f32 v[56:57], v[50:51], v[52:53] neg_lo:[0,1] neg_hi:[0,1]
	v_mov_b32_e32 v55, v50
	v_pk_add_f32 v[50:51], v[56:57], v[54:55] neg_lo:[0,1] neg_hi:[0,1]
	v_add_f32_e32 v17, v17, v51
	v_add_f32_e32 v17, v50, v17
	;; [unrolled: 1-line block ×3, first 2 shown]
	v_mul_f32_e32 v59, v58, v51
	v_mul_f32_e32 v52, v22, v59
	v_fma_f32 v54, v59, v22, -v52
	v_fmac_f32_e32 v54, v59, v9
	v_add_f32_e32 v50, v52, v54
	v_sub_f32_e32 v9, v53, v51
	v_sub_f32_e32 v53, v51, v50
	v_pk_add_f32 v[56:57], v[50:51], v[52:53] neg_lo:[0,1] neg_hi:[0,1]
	v_mov_b32_e32 v55, v50
	v_add_f32_e32 v9, v17, v9
	v_pk_add_f32 v[50:51], v[56:57], v[54:55] neg_lo:[0,1] neg_hi:[0,1]
	v_add_f32_e32 v9, v9, v51
	v_add_f32_e32 v9, v50, v9
	;; [unrolled: 1-line block ×4, first 2 shown]
	v_sub_f32_e32 v17, v22, v49
	v_mul_f32_e32 v9, v58, v9
	v_sub_f32_e32 v17, v59, v17
	v_add_f32_e32 v9, v17, v9
	v_add_f32_e32 v49, v22, v9
	v_cvt_f32_i32_e32 v50, v15
	v_mul_f32_e32 v51, v49, v49
	v_mov_b32_e32 v17, 0x3ecc95a3
	v_fmac_f32_e32 v17, 0x3e9b6dac, v51
	v_fma_f32 v17, v51, v17, v27
	v_mul_f32_e32 v51, v49, v51
	v_pk_mul_f32 v[54:55], v[50:51], v[16:17]
	v_fma_f32 v52, v50, s56, -v54
	v_ldexp_f32 v53, v49, 1
	v_fmac_f32_e32 v52, 0xb102e308, v50
	v_sub_f32_e32 v15, v49, v22
	v_pk_add_f32 v[50:51], v[54:55], v[52:53]
	v_sub_f32_e32 v9, v9, v15
	v_sub_f32_e32 v15, v51, v53
	v_ldexp_f32 v9, v9, 1
	v_sub_f32_e32 v15, v55, v15
	v_add_f32_e32 v57, v9, v15
	v_mov_b32_e32 v56, v54
	v_pk_add_f32 v[54:55], v[50:51], v[54:55] neg_lo:[0,1] neg_hi:[0,1]
	v_pk_add_f32 v[58:59], v[50:51], v[56:57]
	v_mov_b32_e32 v55, v59
	v_mov_b32_e32 v53, v50
	v_pk_add_f32 v[60:61], v[52:53], v[54:55] neg_lo:[0,1] neg_hi:[0,1]
	v_pk_add_f32 v[52:53], v[52:53], v[54:55]
	v_mov_b32_e32 v22, v53
	v_pk_add_f32 v[54:55], v[22:23], v[50:51] neg_lo:[0,1] neg_hi:[0,1]
	v_mov_b32_e32 v9, v54
	v_pk_add_f32 v[62:63], v[58:59], v[8:9] neg_lo:[0,1] neg_hi:[0,1]
	v_mov_b32_e32 v52, v59
	v_mov_b32_e32 v58, v51
	;; [unrolled: 1-line block ×4, first 2 shown]
	v_pk_add_f32 v[52:53], v[52:53], v[58:59] neg_lo:[0,1] neg_hi:[0,1]
	v_mov_b32_e32 v54, v57
	v_mov_b32_e32 v55, v50
	v_pk_add_f32 v[50:51], v[54:55], v[52:53] neg_lo:[0,1] neg_hi:[0,1]
	v_mov_b32_e32 v62, v60
	v_pk_add_f32 v[52:53], v[62:63], v[50:51]
	v_mov_b32_e32 v54, v53
	v_pk_add_f32 v[54:55], v[52:53], v[54:55]
	v_pk_add_f32 v[56:57], v[22:23], v[54:55]
	v_mov_b32_e32 v53, v56
	v_pk_add_f32 v[58:59], v[52:53], v[60:61] neg_lo:[0,1] neg_hi:[0,1]
	v_mov_b32_e32 v51, v54
	v_sub_f32_e32 v9, v52, v58
	v_pk_add_f32 v[50:51], v[50:51], v[58:59] neg_lo:[0,1] neg_hi:[0,1]
	v_sub_f32_e32 v9, v60, v9
	v_add_f32_e32 v9, v50, v9
	v_add_f32_e32 v9, v9, v51
	;; [unrolled: 1-line block ×3, first 2 shown]
	v_cmp_eq_f32_e32 vcc, s48, v48
	v_cndmask_b32_e32 v9, v9, v48, vcc
	v_cmp_ngt_f32_e32 vcc, -1.0, v48
	v_cndmask_b32_e32 v9, v41, v9, vcc
	v_cmp_neq_f32_e32 vcc, -1.0, v48
	v_cndmask_b32_e32 v9, v42, v9, vcc
	v_cmp_lt_f32_e64 vcc, |v48|, s57
	v_cndmask_b32_e32 v15, v9, v48, vcc
.LBB63_436:                             ;   in Loop: Header=BB63_418 Depth=1
	s_andn2_saveexec_b64 s[36:37], s[36:37]
	s_cbranch_execz .LBB63_442
; %bb.437:                              ;   in Loop: Header=BB63_418 Depth=1
	v_cmp_nlt_f32_e64 s[4:5], |v10|, 1.0
                                        ; implicit-def: $vgpr15
	s_and_saveexec_b64 s[38:39], s[4:5]
	s_xor_b64 s[38:39], exec, s[38:39]
	s_cbranch_execz .LBB63_439
; %bb.438:                              ;   in Loop: Header=BB63_418 Depth=1
	v_mul_f32_e32 v9, v21, v20
	v_mul_f32_e32 v15, 0x4f800000, v9
	v_cmp_gt_f32_e32 vcc, s50, v9
	v_cndmask_b32_e32 v9, v9, v15, vcc
	v_sqrt_f32_e32 v15, v9
	v_add_u32_e32 v17, -1, v15
	v_fma_f32 v48, -v17, v15, v9
	v_add_u32_e32 v22, 1, v15
	v_cmp_ge_f32_e64 s[4:5], 0, v48
	v_cndmask_b32_e64 v17, v15, v17, s[4:5]
	v_fma_f32 v15, -v22, v15, v9
	v_cmp_lt_f32_e64 s[4:5], 0, v15
	v_cndmask_b32_e64 v15, v17, v22, s[4:5]
	v_mul_f32_e32 v17, 0x37800000, v15
	v_cndmask_b32_e32 v15, v15, v17, vcc
	v_cmp_class_f32_e32 vcc, v9, v26
	v_cndmask_b32_e32 v9, v15, v9, vcc
	v_add_f32_e32 v48, v21, v9
	v_add_f32_e32 v51, 1.0, v48
	v_add_f32_e32 v49, -1.0, v51
	v_mov_b32_e32 v50, v49
	v_pk_add_f32 v[52:53], v[48:49], v[50:51] neg_lo:[0,1] neg_hi:[0,1]
	v_add_f32_e32 v9, 1.0, v53
	v_add_f32_e32 v9, v52, v9
	v_frexp_mant_f32_e32 v15, v51
	v_cvt_f64_f32_e32 v[52:53], v51
	v_frexp_exp_i32_f64_e32 v17, v[52:53]
	v_cmp_gt_f32_e32 vcc, s55, v15
	v_subbrev_co_u32_e32 v15, vcc, 0, v17, vcc
	v_sub_u32_e32 v17, 0, v15
	v_ldexp_f32 v22, v51, v17
	v_ldexp_f32 v9, v9, v17
	v_add_f32_e32 v17, -1.0, v22
	v_add_f32_e32 v50, 1.0, v22
	v_add_f32_e32 v49, 1.0, v17
	v_add_f32_e32 v51, -1.0, v50
	v_sub_f32_e32 v49, v22, v49
	v_sub_f32_e32 v22, v22, v51
	v_add_f32_e32 v49, v9, v49
	v_add_f32_e32 v9, v9, v22
	;; [unrolled: 1-line block ×3, first 2 shown]
	v_rcp_f32_e32 v58, v22
	v_add_f32_e32 v51, v17, v49
	v_sub_f32_e32 v17, v51, v17
	v_sub_f32_e32 v17, v49, v17
	v_mul_f32_e32 v49, v51, v58
	v_sub_f32_e32 v50, v22, v50
	v_mul_f32_e32 v52, v22, v49
	v_sub_f32_e32 v9, v9, v50
	v_fma_f32 v54, v49, v22, -v52
	v_fmac_f32_e32 v54, v49, v9
	v_add_f32_e32 v50, v52, v54
	v_sub_f32_e32 v53, v51, v50
	v_pk_add_f32 v[56:57], v[50:51], v[52:53] neg_lo:[0,1] neg_hi:[0,1]
	v_mov_b32_e32 v55, v50
	v_pk_add_f32 v[50:51], v[56:57], v[54:55] neg_lo:[0,1] neg_hi:[0,1]
	v_add_f32_e32 v17, v17, v51
	v_add_f32_e32 v17, v50, v17
	;; [unrolled: 1-line block ×3, first 2 shown]
	v_mul_f32_e32 v59, v58, v51
	v_mul_f32_e32 v52, v22, v59
	v_fma_f32 v54, v59, v22, -v52
	v_fmac_f32_e32 v54, v59, v9
	v_add_f32_e32 v50, v52, v54
	v_sub_f32_e32 v9, v53, v51
	v_sub_f32_e32 v53, v51, v50
	v_pk_add_f32 v[56:57], v[50:51], v[52:53] neg_lo:[0,1] neg_hi:[0,1]
	v_mov_b32_e32 v55, v50
	v_add_f32_e32 v9, v17, v9
	v_pk_add_f32 v[50:51], v[56:57], v[54:55] neg_lo:[0,1] neg_hi:[0,1]
	v_add_f32_e32 v9, v9, v51
	v_add_f32_e32 v9, v50, v9
	;; [unrolled: 1-line block ×4, first 2 shown]
	v_sub_f32_e32 v17, v22, v49
	v_mul_f32_e32 v9, v58, v9
	v_sub_f32_e32 v17, v59, v17
	v_add_f32_e32 v9, v17, v9
	v_add_f32_e32 v49, v22, v9
	v_cvt_f32_i32_e32 v50, v15
	v_mul_f32_e32 v51, v49, v49
	v_mov_b32_e32 v17, 0x3ecc95a3
	v_fmac_f32_e32 v17, 0x3e9b6dac, v51
	v_fma_f32 v17, v51, v17, v27
	v_mul_f32_e32 v51, v49, v51
	v_pk_mul_f32 v[54:55], v[50:51], v[16:17]
	v_fma_f32 v52, v50, s56, -v54
	v_ldexp_f32 v53, v49, 1
	v_fmac_f32_e32 v52, 0xb102e308, v50
	v_sub_f32_e32 v15, v49, v22
	v_pk_add_f32 v[50:51], v[54:55], v[52:53]
	v_sub_f32_e32 v9, v9, v15
	v_sub_f32_e32 v15, v51, v53
	v_ldexp_f32 v9, v9, 1
	v_sub_f32_e32 v15, v55, v15
	v_add_f32_e32 v57, v9, v15
	v_mov_b32_e32 v56, v54
	v_pk_add_f32 v[54:55], v[50:51], v[54:55] neg_lo:[0,1] neg_hi:[0,1]
	v_pk_add_f32 v[58:59], v[50:51], v[56:57]
	v_mov_b32_e32 v55, v59
	v_mov_b32_e32 v53, v50
	v_pk_add_f32 v[60:61], v[52:53], v[54:55] neg_lo:[0,1] neg_hi:[0,1]
	v_pk_add_f32 v[52:53], v[52:53], v[54:55]
	v_mov_b32_e32 v22, v53
	v_pk_add_f32 v[54:55], v[22:23], v[50:51] neg_lo:[0,1] neg_hi:[0,1]
	v_mov_b32_e32 v9, v54
	v_pk_add_f32 v[62:63], v[58:59], v[8:9] neg_lo:[0,1] neg_hi:[0,1]
	v_mov_b32_e32 v52, v59
	v_mov_b32_e32 v58, v51
	;; [unrolled: 1-line block ×4, first 2 shown]
	v_pk_add_f32 v[52:53], v[52:53], v[58:59] neg_lo:[0,1] neg_hi:[0,1]
	v_mov_b32_e32 v54, v57
	v_mov_b32_e32 v55, v50
	v_pk_add_f32 v[50:51], v[54:55], v[52:53] neg_lo:[0,1] neg_hi:[0,1]
	v_mov_b32_e32 v62, v60
	v_pk_add_f32 v[52:53], v[62:63], v[50:51]
	v_mov_b32_e32 v54, v53
	v_pk_add_f32 v[54:55], v[52:53], v[54:55]
	v_pk_add_f32 v[56:57], v[22:23], v[54:55]
	v_mov_b32_e32 v53, v56
	v_pk_add_f32 v[58:59], v[52:53], v[60:61] neg_lo:[0,1] neg_hi:[0,1]
	v_mov_b32_e32 v51, v54
	v_sub_f32_e32 v9, v52, v58
	v_pk_add_f32 v[50:51], v[50:51], v[58:59] neg_lo:[0,1] neg_hi:[0,1]
	v_sub_f32_e32 v9, v60, v9
	v_add_f32_e32 v9, v50, v9
	v_add_f32_e32 v9, v9, v51
	;; [unrolled: 1-line block ×3, first 2 shown]
	v_cmp_eq_f32_e32 vcc, s48, v48
	v_cndmask_b32_e32 v9, v9, v48, vcc
	v_cmp_ngt_f32_e32 vcc, -1.0, v48
	v_cndmask_b32_e32 v9, v41, v9, vcc
	v_cmp_neq_f32_e32 vcc, -1.0, v48
	v_cndmask_b32_e32 v9, v42, v9, vcc
	v_cmp_lt_f32_e64 vcc, |v48|, s57
	v_cndmask_b32_e32 v15, v9, v48, vcc
.LBB63_439:                             ;   in Loop: Header=BB63_418 Depth=1
	s_andn2_saveexec_b64 s[38:39], s[38:39]
	s_cbranch_execz .LBB63_441
; %bb.440:                              ;   in Loop: Header=BB63_418 Depth=1
	v_sub_f32_e64 v9, 1.0, |v10|
	v_mul_f32_e32 v9, v9, v20
	v_mul_f32_e32 v15, 0x4f800000, v9
	v_cmp_gt_f32_e32 vcc, s50, v9
	v_cndmask_b32_e32 v9, v9, v15, vcc
	v_sqrt_f32_e32 v15, v9
	v_add_u32_e32 v17, -1, v15
	v_fma_f32 v48, -v17, v15, v9
	v_add_u32_e32 v22, 1, v15
	v_cmp_ge_f32_e64 s[4:5], 0, v48
	v_cndmask_b32_e64 v17, v15, v17, s[4:5]
	v_fma_f32 v15, -v22, v15, v9
	v_cmp_lt_f32_e64 s[4:5], 0, v15
	v_cndmask_b32_e64 v15, v17, v22, s[4:5]
	v_mul_f32_e32 v17, 0x37800000, v15
	v_cndmask_b32_e32 v15, v15, v17, vcc
	v_cmp_class_f32_e32 vcc, v9, v26
	v_cndmask_b32_e32 v9, v15, v9, vcc
	v_and_b32_e32 v15, 0x7fffffff, v11
	v_div_scale_f32 v17, s[4:5], v9, v9, v15
	v_rcp_f32_e32 v22, v17
	v_div_scale_f32 v15, vcc, v15, v9, v15
	v_fma_f32 v48, -v17, v22, 1.0
	v_fmac_f32_e32 v22, v48, v22
	v_mul_f32_e32 v48, v15, v22
	v_fma_f32 v49, -v17, v48, v15
	v_fmac_f32_e32 v48, v49, v22
	v_fma_f32 v15, -v17, v48, v15
	v_div_fmas_f32 v15, v15, v22, v48
	v_div_fixup_f32 v15, v15, v9, |v11|
.LBB63_441:                             ;   in Loop: Header=BB63_418 Depth=1
	s_or_b64 exec, exec, s[38:39]
.LBB63_442:                             ;   in Loop: Header=BB63_418 Depth=1
	s_or_b64 exec, exec, s[36:37]
.LBB63_443:                             ;   in Loop: Header=BB63_418 Depth=1
	s_andn2_saveexec_b64 s[34:35], s[34:35]
	s_cbranch_execz .LBB63_445
; %bb.444:                              ;   in Loop: Header=BB63_418 Depth=1
	v_mul_f32_e64 v9, |v11|, s51
	v_cmp_lt_f32_e64 vcc, |v11|, s50
	v_cndmask_b32_e64 v9, |v11|, v9, vcc
	v_sqrt_f32_e32 v15, v9
	v_add_u32_e32 v17, -1, v15
	v_fma_f32 v48, -v17, v15, v9
	v_add_u32_e32 v22, 1, v15
	v_cmp_ge_f32_e64 s[4:5], 0, v48
	v_cndmask_b32_e64 v17, v15, v17, s[4:5]
	v_fma_f32 v15, -v22, v15, v9
	v_cmp_lt_f32_e64 s[4:5], 0, v15
	v_cndmask_b32_e64 v15, v17, v22, s[4:5]
	v_mul_f32_e32 v17, 0x37800000, v15
	v_cndmask_b32_e32 v15, v15, v17, vcc
	v_cmp_class_f32_e32 vcc, v9, v26
	v_cndmask_b32_e32 v15, v15, v9, vcc
.LBB63_445:                             ;   in Loop: Header=BB63_418 Depth=1
	s_or_b64 exec, exec, s[34:35]
.LBB63_446:                             ;   in Loop: Header=BB63_418 Depth=1
	s_or_b64 exec, exec, s[30:31]
	v_cmp_nlt_f32_e64 s[30:31], |v10|, s58
                                        ; implicit-def: $sgpr4_sgpr5
                                        ; implicit-def: $vgpr22
                                        ; implicit-def: $vgpr17
	s_and_saveexec_b64 s[34:35], s[30:31]
	s_xor_b64 s[30:31], exec, s[34:35]
	s_cbranch_execz .LBB63_470
; %bb.447:                              ;   in Loop: Header=BB63_418 Depth=1
	v_div_scale_f32 v9, s[4:5], v8, v8, v6
	v_rcp_f32_e32 v17, v9
	v_div_scale_f32 v22, vcc, v6, v8, v6
	s_mov_b64 s[4:5], 0
	v_fma_f32 v48, -v9, v17, 1.0
	v_fmac_f32_e32 v17, v48, v17
	v_mul_f32_e32 v48, v22, v17
	v_fma_f32 v49, -v9, v48, v22
	v_fmac_f32_e32 v48, v49, v17
	v_fma_f32 v9, -v9, v48, v22
	v_div_fmas_f32 v9, v9, v17, v48
	v_div_fixup_f32 v17, v9, v8, |v10|
	v_cmp_lt_f32_e32 vcc, s59, v17
                                        ; implicit-def: $vgpr22
	s_and_saveexec_b64 s[34:35], vcc
	s_cbranch_execz .LBB63_469
; %bb.448:                              ;   in Loop: Header=BB63_418 Depth=1
	v_cmp_neq_f32_e64 s[4:5], |v10|, 1.0
	v_cmp_nlt_f32_e64 s[36:37], |v11|, s60
	s_or_b64 s[4:5], s[4:5], s[36:37]
                                        ; implicit-def: $sgpr38_sgpr39
                                        ; implicit-def: $vgpr22
	s_and_saveexec_b64 s[36:37], s[4:5]
	s_xor_b64 s[36:37], exec, s[36:37]
	s_cbranch_execz .LBB63_466
; %bb.449:                              ;   in Loop: Header=BB63_418 Depth=1
	v_mul_f32_e32 v9, 0x34000000, v47
	v_cmp_le_f32_e64 s[4:5], v9, |v11|
                                        ; implicit-def: $vgpr22
                                        ; implicit-def: $sgpr38_sgpr39
	s_and_saveexec_b64 s[40:41], s[4:5]
	s_xor_b64 s[40:41], exec, s[40:41]
	s_cbranch_execz .LBB63_459
; %bb.450:                              ;   in Loop: Header=BB63_418 Depth=1
	v_cmp_neq_f32_e32 vcc, 0, v20
	v_mov_b32_e32 v9, v23
	s_and_saveexec_b64 s[4:5], vcc
	s_cbranch_execz .LBB63_452
; %bb.451:                              ;   in Loop: Header=BB63_418 Depth=1
	v_mul_f32_e32 v9, v11, v11
	v_add_f32_e32 v20, v20, v46
	v_div_scale_f32 v22, s[38:39], v20, v20, v9
	v_rcp_f32_e32 v46, v22
	v_fma_f32 v47, -v22, v46, 1.0
	v_fmac_f32_e32 v46, v47, v46
	v_div_scale_f32 v47, vcc, v9, v20, v9
	v_mul_f32_e32 v48, v47, v46
	v_fma_f32 v49, -v22, v48, v47
	v_fmac_f32_e32 v48, v49, v46
	v_fma_f32 v22, -v22, v48, v47
	v_div_fmas_f32 v22, v22, v46, v48
	v_div_fixup_f32 v9, v22, v20, v9
.LBB63_452:                             ;   in Loop: Header=BB63_418 Depth=1
	s_or_b64 exec, exec, s[4:5]
	v_cmp_ngt_f32_e32 vcc, 0, v21
	s_and_saveexec_b64 s[4:5], vcc
	s_xor_b64 s[4:5], exec, s[4:5]
	s_cbranch_execz .LBB63_456
; %bb.453:                              ;   in Loop: Header=BB63_418 Depth=1
	v_cmp_neq_f32_e32 vcc, 0, v21
	s_and_saveexec_b64 s[38:39], vcc
	s_cbranch_execz .LBB63_455
; %bb.454:                              ;   in Loop: Header=BB63_418 Depth=1
	v_mul_f32_e32 v20, v11, v11
	v_add_f32_e32 v7, v21, v7
	v_div_scale_f32 v21, s[42:43], v7, v7, v20
	v_rcp_f32_e32 v22, v21
	v_fma_f32 v23, -v21, v22, 1.0
	v_fmac_f32_e32 v22, v23, v22
	v_div_scale_f32 v23, vcc, v20, v7, v20
	v_mul_f32_e32 v46, v23, v22
	v_fma_f32 v47, -v21, v46, v23
	v_fmac_f32_e32 v46, v47, v22
	v_fma_f32 v21, -v21, v46, v23
	v_div_fmas_f32 v21, v21, v22, v46
	v_div_fixup_f32 v23, v21, v7, v20
.LBB63_455:                             ;   in Loop: Header=BB63_418 Depth=1
	s_or_b64 exec, exec, s[38:39]
                                        ; implicit-def: $vgpr7
                                        ; implicit-def: $vgpr20_vgpr21
.LBB63_456:                             ;   in Loop: Header=BB63_418 Depth=1
	s_andn2_saveexec_b64 s[4:5], s[4:5]
; %bb.457:                              ;   in Loop: Header=BB63_418 Depth=1
	v_sub_f32_e32 v23, v7, v21
; %bb.458:                              ;   in Loop: Header=BB63_418 Depth=1
	s_or_b64 exec, exec, s[4:5]
	v_mul_f32_e32 v7, 0.5, v9
	v_mul_f32_e32 v9, 0.5, v23
	v_pk_add_f32 v[8:9], v[6:7], v[8:9]
	v_mul_f32_e32 v7, v8, v9
	v_mul_f32_e32 v8, 0x4f800000, v7
	v_cmp_gt_f32_e32 vcc, s50, v7
	v_cndmask_b32_e32 v7, v7, v8, vcc
	v_sqrt_f32_e32 v8, v7
	s_mov_b64 s[38:39], -1
	v_add_u32_e32 v9, -1, v8
	v_fma_f32 v20, -v9, v8, v7
	v_cmp_ge_f32_e64 s[4:5], 0, v20
	v_add_u32_e32 v20, 1, v8
	v_cndmask_b32_e64 v9, v8, v9, s[4:5]
	v_fma_f32 v8, -v20, v8, v7
	v_cmp_lt_f32_e64 s[4:5], 0, v8
	v_cndmask_b32_e64 v8, v9, v20, s[4:5]
	v_mul_f32_e32 v9, 0x37800000, v8
	v_cndmask_b32_e32 v8, v8, v9, vcc
	v_cmp_class_f32_e32 vcc, v7, v26
	v_cndmask_b32_e32 v22, v8, v7, vcc
                                        ; implicit-def: $vgpr20_vgpr21
.LBB63_459:                             ;   in Loop: Header=BB63_418 Depth=1
	s_andn2_saveexec_b64 s[40:41], s[40:41]
	s_cbranch_execz .LBB63_465
; %bb.460:                              ;   in Loop: Header=BB63_418 Depth=1
	v_cmp_ngt_f32_e64 s[4:5], |v10|, 1.0
                                        ; implicit-def: $vgpr22
                                        ; implicit-def: $sgpr42_sgpr43
	s_and_saveexec_b64 s[44:45], s[4:5]
	s_xor_b64 s[44:45], exec, s[44:45]
	s_cbranch_execz .LBB63_462
; %bb.461:                              ;   in Loop: Header=BB63_418 Depth=1
	v_sub_f32_e64 v7, 1.0, |v10|
	v_mul_f32_e32 v7, v7, v20
	v_mul_f32_e32 v8, 0x4f800000, v7
	v_cmp_gt_f32_e32 vcc, s50, v7
	v_cndmask_b32_e32 v7, v7, v8, vcc
	v_sqrt_f32_e32 v8, v7
	s_mov_b64 s[42:43], -1
	v_add_u32_e32 v9, -1, v8
	v_fma_f32 v21, -v9, v8, v7
	v_add_u32_e32 v20, 1, v8
	v_cmp_ge_f32_e64 s[4:5], 0, v21
	v_cndmask_b32_e64 v9, v8, v9, s[4:5]
	v_fma_f32 v8, -v20, v8, v7
	v_cmp_lt_f32_e64 s[4:5], 0, v8
	v_cndmask_b32_e64 v8, v9, v20, s[4:5]
	v_mul_f32_e32 v9, 0x37800000, v8
	v_cndmask_b32_e32 v8, v8, v9, vcc
	v_cmp_class_f32_e32 vcc, v7, v26
	v_cndmask_b32_e32 v22, v8, v7, vcc
                                        ; implicit-def: $vgpr20_vgpr21
.LBB63_462:                             ;   in Loop: Header=BB63_418 Depth=1
	s_andn2_saveexec_b64 s[44:45], s[44:45]
	s_cbranch_execz .LBB63_464
; %bb.463:                              ;   in Loop: Header=BB63_418 Depth=1
	v_mul_f32_e32 v6, v20, v21
	v_mul_f32_e32 v7, 0x4f800000, v6
	v_cmp_gt_f32_e32 vcc, s50, v6
	v_cndmask_b32_e32 v6, v6, v7, vcc
	v_sqrt_f32_e32 v7, v6
	v_mul_f32_e64 v8, |v11|, s61
	v_mul_f32_e64 v8, |v10|, v8
	s_or_b64 s[42:43], s[42:43], exec
	v_add_u32_e32 v9, -1, v7
	v_fma_f32 v20, -v9, v7, v6
	v_cmp_ge_f32_e64 s[4:5], 0, v20
	v_add_u32_e32 v20, 1, v7
	v_cndmask_b32_e64 v9, v7, v9, s[4:5]
	v_fma_f32 v7, -v20, v7, v6
	v_cmp_lt_f32_e64 s[4:5], 0, v7
	v_cndmask_b32_e64 v7, v9, v20, s[4:5]
	v_mul_f32_e32 v9, 0x37800000, v7
	v_cndmask_b32_e32 v7, v7, v9, vcc
	v_cmp_class_f32_e32 vcc, v6, v26
	v_cndmask_b32_e32 v6, v7, v6, vcc
	v_div_scale_f32 v7, s[4:5], v6, v6, v8
	v_rcp_f32_e32 v9, v7
	v_fma_f32 v20, -v7, v9, 1.0
	v_fmac_f32_e32 v9, v20, v9
	v_div_scale_f32 v20, vcc, v8, v6, v8
	v_mul_f32_e32 v21, v20, v9
	v_fma_f32 v22, -v7, v21, v20
	v_fmac_f32_e32 v21, v22, v9
	v_fma_f32 v7, -v7, v21, v20
	v_div_fmas_f32 v7, v7, v9, v21
	v_div_fixup_f32 v22, v7, v6, v8
	v_mul_f32_e64 v6, |v10|, s61
.LBB63_464:                             ;   in Loop: Header=BB63_418 Depth=1
	s_or_b64 exec, exec, s[44:45]
	s_andn2_b64 s[4:5], s[38:39], exec
	s_and_b64 s[38:39], s[42:43], exec
	s_or_b64 s[38:39], s[4:5], s[38:39]
.LBB63_465:                             ;   in Loop: Header=BB63_418 Depth=1
	s_or_b64 exec, exec, s[40:41]
	s_and_b64 s[38:39], s[38:39], exec
                                        ; implicit-def: $vgpr8
.LBB63_466:                             ;   in Loop: Header=BB63_418 Depth=1
	s_andn2_saveexec_b64 s[36:37], s[36:37]
	s_cbranch_execz .LBB63_468
; %bb.467:                              ;   in Loop: Header=BB63_418 Depth=1
	v_mul_f32_e64 v6, |v11|, s51
	v_cmp_lt_f32_e64 vcc, |v11|, s50
	v_cndmask_b32_e64 v6, |v11|, v6, vcc
	v_sqrt_f32_e32 v7, v6
	v_add_f32_e32 v8, 1.0, v8
	v_mul_f32_e32 v8, 0.5, v8
	s_or_b64 s[38:39], s[38:39], exec
	v_add_u32_e32 v9, -1, v7
	v_fma_f32 v21, -v9, v7, v6
	v_add_u32_e32 v20, 1, v7
	v_cmp_ge_f32_e64 s[4:5], 0, v21
	v_cndmask_b32_e64 v9, v7, v9, s[4:5]
	v_fma_f32 v7, -v20, v7, v6
	v_cmp_lt_f32_e64 s[4:5], 0, v7
	v_cndmask_b32_e64 v7, v9, v20, s[4:5]
	v_mul_f32_e32 v20, 0x4f800000, v8
	v_cmp_gt_f32_e64 s[4:5], s50, v8
	v_cndmask_b32_e64 v8, v8, v20, s[4:5]
	v_sqrt_f32_e32 v20, v8
	v_mul_f32_e32 v9, 0x37800000, v7
	v_cndmask_b32_e32 v7, v7, v9, vcc
	v_cmp_class_f32_e32 vcc, v6, v26
	v_cndmask_b32_e32 v6, v7, v6, vcc
	v_add_u32_e32 v7, -1, v20
	v_fma_f32 v9, -v7, v20, v8
	v_cmp_ge_f32_e32 vcc, 0, v9
	v_add_u32_e32 v9, 1, v20
	v_cndmask_b32_e32 v7, v20, v7, vcc
	v_fma_f32 v20, -v9, v20, v8
	v_cmp_lt_f32_e32 vcc, 0, v20
	v_cndmask_b32_e32 v7, v7, v9, vcc
	v_mul_f32_e32 v9, 0x37800000, v7
	v_cndmask_b32_e64 v7, v7, v9, s[4:5]
	v_cmp_class_f32_e32 vcc, v8, v26
	v_cndmask_b32_e32 v7, v7, v8, vcc
	v_mul_f32_e32 v22, v6, v7
	v_mov_b32_e32 v6, 1.0
.LBB63_468:                             ;   in Loop: Header=BB63_418 Depth=1
	s_or_b64 exec, exec, s[36:37]
	s_and_b64 s[4:5], s[38:39], exec
.LBB63_469:                             ;   in Loop: Header=BB63_418 Depth=1
	s_or_b64 exec, exec, s[34:35]
	s_and_b64 s[4:5], s[4:5], exec
                                        ; implicit-def: $vgpr8
.LBB63_470:                             ;   in Loop: Header=BB63_418 Depth=1
	s_andn2_saveexec_b64 s[30:31], s[30:31]
; %bb.471:                              ;   in Loop: Header=BB63_418 Depth=1
	v_mov_b32_e32 v9, v6
	v_pk_mul_f32 v[22:23], v[8:9], s[20:21] op_sel_hi:[1,0]
	s_or_b64 s[4:5], s[4:5], exec
	v_mov_b32_e32 v6, v23
                                        ; implicit-def: $vgpr17
; %bb.472:                              ;   in Loop: Header=BB63_418 Depth=1
	s_or_b64 exec, exec, s[30:31]
	s_xor_b64 s[4:5], s[4:5], -1
                                        ; implicit-def: $vgpr7
	s_and_saveexec_b64 s[30:31], s[4:5]
	s_xor_b64 s[4:5], exec, s[30:31]
	s_cbranch_execz .LBB63_474
; %bb.473:                              ;   in Loop: Header=BB63_418 Depth=1
	v_fma_f32 v6, |v17|, -0.5, 0.5
	v_mul_f32_e32 v7, v17, v17
	v_cmp_ge_f32_e64 vcc, |v17|, 0.5
	v_cndmask_b32_e32 v6, v7, v6, vcc
	v_mov_b32_e32 v7, 0x3c5fc5da
	v_fmac_f32_e32 v7, 0x3d1c21a7, v6
	v_fma_f32 v7, v6, v7, v28
	v_fma_f32 v7, v6, v7, v29
	v_sqrt_f32_e32 v8, v6
	v_fma_f32 v7, v6, v7, v30
	v_fma_f32 v7, v6, v7, v31
	v_mul_f32_e32 v6, v6, v7
	v_fmac_f32_e32 v8, v8, v6
	v_add_f32_e32 v7, v8, v8
	v_sub_f32_e32 v7, 0x3fc90fdb, v7
	v_fma_f32 v6, |v17|, v6, |v17|
	v_cmp_lt_f32_e64 vcc, |v17|, 0.5
	v_cndmask_b32_e32 v6, v7, v6, vcc
	v_bfi_b32 v7, s47, v6, v17
                                        ; implicit-def: $vgpr6
                                        ; implicit-def: $vgpr22
.LBB63_474:                             ;   in Loop: Header=BB63_418 Depth=1
	s_andn2_saveexec_b64 s[30:31], s[4:5]
	s_cbranch_execz .LBB63_476
; %bb.475:                              ;   in Loop: Header=BB63_418 Depth=1
	v_max_f32_e32 v7, v6, v6
	v_max_f32_e64 v8, |v22|, |v22|
	v_min_f32_e32 v9, v8, v7
	v_max_f32_e32 v7, v8, v7
	v_frexp_mant_f32_e32 v8, v7
	v_rcp_f32_e32 v8, v8
	v_frexp_exp_i32_f32_e32 v7, v7
	v_frexp_exp_i32_f32_e32 v17, v9
	v_frexp_mant_f32_e32 v9, v9
	v_mul_f32_e32 v8, v9, v8
	v_sub_u32_e32 v7, v17, v7
	v_ldexp_f32 v7, v8, v7
	v_mul_f32_e32 v8, v7, v7
	v_mov_b32_e32 v9, 0xbc7a590c
	v_fmac_f32_e32 v9, 0x3b2d2a58, v8
	v_fma_f32 v9, v8, v9, v32
	v_fma_f32 v9, v8, v9, v33
	;; [unrolled: 1-line block ×6, first 2 shown]
	v_mul_f32_e32 v8, v8, v9
	v_fmac_f32_e32 v7, v7, v8
	v_sub_f32_e32 v8, 0x3fc90fdb, v7
	v_cmp_gt_f32_e64 vcc, v6, |v22|
	v_cndmask_b32_e32 v7, v7, v8, vcc
	v_sub_f32_e32 v8, 0x40490fdb, v7
	v_cmp_gt_f32_e32 vcc, 0, v22
	v_cmp_gt_i32_e64 s[4:5], 0, v22
	v_cndmask_b32_e32 v7, v7, v8, vcc
	v_cndmask_b32_e64 v8, 0, v43, s[4:5]
	v_cmp_eq_f32_e64 s[4:5], 0, v6
	v_cndmask_b32_e64 v7, v7, v8, s[4:5]
	v_cndmask_b32_e32 v8, v44, v45, vcc
	v_cmp_class_f32_e64 s[4:5], v22, s62
	v_cmp_eq_f32_e32 vcc, s48, v6
	s_and_b64 vcc, vcc, s[4:5]
	v_cndmask_b32_e32 v7, v7, v8, vcc
	v_cmp_o_f32_e32 vcc, v22, v6
	v_cndmask_b32_e64 v7, v41, |v7|, vcc
.LBB63_476:                             ;   in Loop: Header=BB63_418 Depth=1
	s_or_b64 exec, exec, s[30:31]
	v_bfi_b32 v6, s47, v7, v10
	v_bfi_b32 v7, s47, v15, v11
.LBB63_477:                             ;   in Loop: Header=BB63_418 Depth=1
	s_or_b64 exec, exec, s[28:29]
.LBB63_478:                             ;   in Loop: Header=BB63_418 Depth=1
	s_or_b64 exec, exec, s[26:27]
                                        ; implicit-def: $vgpr8
                                        ; implicit-def: $vgpr15
                                        ; implicit-def: $vgpr9
.LBB63_479:                             ;   in Loop: Header=BB63_418 Depth=1
	s_andn2_saveexec_b64 s[26:27], s[6:7]
	s_cbranch_execz .LBB63_501
; %bb.480:                              ;   in Loop: Header=BB63_418 Depth=1
	v_cmp_lt_i32_e32 vcc, -1, v11
                                        ; implicit-def: $vgpr6
                                        ; implicit-def: $vgpr7
	s_and_saveexec_b64 s[4:5], vcc
	s_xor_b64 s[28:29], exec, s[4:5]
	s_cbranch_execz .LBB63_490
; %bb.481:                              ;   in Loop: Header=BB63_418 Depth=1
	v_cmp_lt_f32_e64 s[4:5], |v11|, |v10|
	v_cndmask_b32_e64 v17, |v11|, |v10|, s[4:5]
	v_cmp_nlt_f32_e32 vcc, s63, v17
                                        ; implicit-def: $vgpr6
                                        ; implicit-def: $vgpr7
	s_and_saveexec_b64 s[6:7], vcc
	s_xor_b64 s[30:31], exec, s[6:7]
	s_cbranch_execz .LBB63_487
; %bb.482:                              ;   in Loop: Header=BB63_418 Depth=1
	v_cndmask_b32_e64 v20, |v10|, |v11|, s[4:5]
	v_cmp_nlt_f32_e32 vcc, s64, v17
	v_cmp_ngt_f32_e64 s[6:7], s65, v20
	s_and_b64 s[6:7], vcc, s[6:7]
                                        ; implicit-def: $vgpr6
                                        ; implicit-def: $vgpr7
	s_and_saveexec_b64 s[34:35], s[6:7]
	s_xor_b64 s[6:7], exec, s[34:35]
	s_cbranch_execz .LBB63_484
; %bb.483:                              ;   in Loop: Header=BB63_418 Depth=1
	v_mul_f32_e32 v6, v20, v20
	v_fmac_f32_e32 v6, v17, v17
	v_cmp_gt_f32_e32 vcc, s52, v6
	v_cndmask_b32_e32 v7, 1.0, v39, vcc
	v_mul_f32_e32 v6, v6, v7
	v_log_f32_e32 v6, v6
	v_cndmask_b32_e32 v7, 0, v40, vcc
	v_mul_f32_e32 v17, 0x3f317217, v6
	v_fma_f32 v20, v6, s53, -v17
	v_fmac_f32_e32 v20, 0x3377d1cf, v6
	v_add_f32_e32 v17, v17, v20
	v_cmp_lt_f32_e64 vcc, |v6|, s48
	v_cndmask_b32_e32 v6, v6, v17, vcc
	v_sub_f32_e32 v6, v6, v7
	v_min_f32_e32 v7, v8, v15
	v_frexp_mant_f32_e32 v8, v9
	v_rcp_f32_e32 v8, v8
	v_frexp_exp_i32_f32_e32 v9, v9
	v_frexp_exp_i32_f32_e32 v15, v7
	v_frexp_mant_f32_e32 v7, v7
	v_mul_f32_e32 v7, v7, v8
	v_sub_u32_e32 v8, v15, v9
	v_ldexp_f32 v7, v7, v8
	v_mul_f32_e32 v8, v7, v7
	v_mov_b32_e32 v9, 0xbc7a590c
	v_fmac_f32_e32 v9, 0x3b2d2a58, v8
	v_fma_f32 v9, v8, v9, v32
	v_fma_f32 v9, v8, v9, v33
	;; [unrolled: 1-line block ×6, first 2 shown]
	v_mul_f32_e32 v8, v8, v9
	v_mul_f32_e32 v6, 0.5, v6
	v_fmac_f32_e32 v7, v7, v8
                                        ; implicit-def: $vgpr9
                                        ; implicit-def: $vgpr8
                                        ; implicit-def: $vgpr15
.LBB63_484:                             ;   in Loop: Header=BB63_418 Depth=1
	s_andn2_saveexec_b64 s[6:7], s[6:7]
	s_cbranch_execz .LBB63_486
; %bb.485:                              ;   in Loop: Header=BB63_418 Depth=1
	v_cvt_f64_f32_e32 v[6:7], v9
	v_frexp_exp_i32_f64_e32 v6, v[6:7]
	v_sub_u32_e32 v7, 0, v6
	v_ldexp_f32 v17, |v11|, v7
	v_ldexp_f32 v7, |v10|, v7
	v_mul_f32_e32 v7, v7, v7
	v_fmac_f32_e32 v7, v17, v17
	v_sqrt_f32_e32 v7, v7
	v_cmp_neq_f32_e32 vcc, s48, v9
	v_ldexp_f32 v6, v7, v6
	v_cndmask_b32_e32 v6, v38, v6, vcc
	v_cmp_gt_f32_e32 vcc, s52, v6
	v_cndmask_b32_e32 v7, 1.0, v39, vcc
	v_mul_f32_e32 v6, v6, v7
	v_log_f32_e32 v6, v6
	v_min_f32_e32 v7, v8, v15
	v_cndmask_b32_e32 v8, 0, v40, vcc
	v_mul_f32_e32 v15, 0x3f317217, v6
	v_fma_f32 v17, v6, s53, -v15
	v_fmac_f32_e32 v17, 0x3377d1cf, v6
	v_add_f32_e32 v15, v15, v17
	v_cmp_lt_f32_e64 vcc, |v6|, s48
	v_cndmask_b32_e32 v6, v6, v15, vcc
	v_sub_f32_e32 v6, v6, v8
	v_frexp_mant_f32_e32 v8, v9
	v_rcp_f32_e32 v8, v8
	v_frexp_exp_i32_f32_e32 v9, v9
	v_frexp_exp_i32_f32_e32 v15, v7
	v_frexp_mant_f32_e32 v7, v7
	v_mul_f32_e32 v7, v7, v8
	v_sub_u32_e32 v8, v15, v9
	v_ldexp_f32 v7, v7, v8
	v_mul_f32_e32 v8, v7, v7
	v_mov_b32_e32 v9, 0xbc7a590c
	v_fmac_f32_e32 v9, 0x3b2d2a58, v8
	v_fma_f32 v9, v8, v9, v32
	v_fma_f32 v9, v8, v9, v33
	;; [unrolled: 1-line block ×6, first 2 shown]
	v_mul_f32_e32 v8, v8, v9
	v_fmac_f32_e32 v7, v7, v8
.LBB63_486:                             ;   in Loop: Header=BB63_418 Depth=1
	s_or_b64 exec, exec, s[6:7]
                                        ; implicit-def: $vgpr8
                                        ; implicit-def: $vgpr15
                                        ; implicit-def: $vgpr9
.LBB63_487:                             ;   in Loop: Header=BB63_418 Depth=1
	s_andn2_saveexec_b64 s[30:31], s[30:31]
	s_cbranch_execz .LBB63_489
; %bb.488:                              ;   in Loop: Header=BB63_418 Depth=1
	v_div_scale_f32 v6, s[6:7], s66, s66, v11
	v_rcp_f32_e32 v7, v6
	v_div_scale_f32 v17, vcc, v11, s66, v11
	v_fma_f32 v20, -v6, v7, 1.0
	v_fmac_f32_e32 v7, v20, v7
	v_mul_f32_e32 v20, v17, v7
	v_fma_f32 v21, -v6, v20, v17
	v_fmac_f32_e32 v20, v21, v7
	v_fma_f32 v6, -v6, v20, v17
	v_div_scale_f32 v17, s[6:7], s66, s66, v10
	v_rcp_f32_e32 v21, v17
	v_div_fmas_f32 v6, v6, v7, v20
	v_div_fixup_f32 v20, v6, s66, v11
	v_fma_f32 v6, -v17, v21, 1.0
	v_fmac_f32_e32 v21, v6, v21
	v_div_scale_f32 v6, vcc, v10, s66, v10
	v_mul_f32_e32 v7, v6, v21
	v_fma_f32 v22, -v17, v7, v6
	v_fmac_f32_e32 v7, v22, v21
	v_fma_f32 v6, -v17, v7, v6
	v_div_fmas_f32 v6, v6, v21, v7
	v_div_fixup_f32 v17, v6, s66, v10
	v_max_f32_e64 v21, |v20|, |v17|
	v_cvt_f64_f32_e32 v[6:7], v21
	v_frexp_exp_i32_f64_e32 v6, v[6:7]
	v_sub_u32_e32 v7, 0, v6
	v_ldexp_f32 v20, |v20|, v7
	v_ldexp_f32 v7, |v17|, v7
	v_mul_f32_e32 v7, v7, v7
	v_fmac_f32_e32 v7, v20, v20
	v_sqrt_f32_e32 v7, v7
	v_cmp_neq_f32_e32 vcc, s48, v21
	v_ldexp_f32 v6, v7, v6
	v_cndmask_b32_e32 v6, v38, v6, vcc
	v_cmp_gt_f32_e32 vcc, s52, v6
	v_cndmask_b32_e32 v7, 1.0, v39, vcc
	v_mul_f32_e32 v6, v6, v7
	v_log_f32_e32 v6, v6
	v_mul_f32_e32 v7, 0x3f317217, v6
	v_fma_f32 v17, v6, s53, -v7
	v_fmac_f32_e32 v17, 0x3377d1cf, v6
	v_add_f32_e32 v7, v7, v17
	v_cmp_lt_f32_e64 s[6:7], |v6|, s48
	v_cndmask_b32_e64 v6, v6, v7, s[6:7]
	v_cndmask_b32_e32 v7, 0, v40, vcc
	v_sub_f32_e32 v6, v6, v7
	v_min_f32_e32 v7, v8, v15
	v_frexp_mant_f32_e32 v8, v9
	v_rcp_f32_e32 v8, v8
	v_frexp_exp_i32_f32_e32 v9, v9
	v_frexp_exp_i32_f32_e32 v15, v7
	v_frexp_mant_f32_e32 v7, v7
	v_mul_f32_e32 v7, v7, v8
	v_sub_u32_e32 v8, v15, v9
	v_ldexp_f32 v7, v7, v8
	v_mul_f32_e32 v8, v7, v7
	v_mov_b32_e32 v9, 0xbc7a590c
	v_fmac_f32_e32 v9, 0x3b2d2a58, v8
	v_fma_f32 v9, v8, v9, v32
	v_fma_f32 v9, v8, v9, v33
	;; [unrolled: 1-line block ×6, first 2 shown]
	v_mul_f32_e32 v8, v8, v9
	v_add_f32_e32 v6, 1.0, v6
	v_fmac_f32_e32 v7, v7, v8
.LBB63_489:                             ;   in Loop: Header=BB63_418 Depth=1
	s_or_b64 exec, exec, s[30:31]
	v_sub_f32_e32 v8, 0x3fc90fdb, v7
	v_cndmask_b32_e64 v7, v7, v8, s[4:5]
                                        ; implicit-def: $vgpr8
                                        ; implicit-def: $vgpr15
                                        ; implicit-def: $vgpr9
.LBB63_490:                             ;   in Loop: Header=BB63_418 Depth=1
	s_andn2_saveexec_b64 s[28:29], s[28:29]
	s_cbranch_execz .LBB63_500
; %bb.491:                              ;   in Loop: Header=BB63_418 Depth=1
	v_cmp_lt_f32_e64 s[4:5], |v11|, |v10|
	v_cndmask_b32_e64 v17, |v11|, |v10|, s[4:5]
	v_cmp_nlt_f32_e32 vcc, s63, v17
                                        ; implicit-def: $vgpr6
                                        ; implicit-def: $vgpr7
	s_and_saveexec_b64 s[6:7], vcc
	s_xor_b64 s[30:31], exec, s[6:7]
	s_cbranch_execz .LBB63_497
; %bb.492:                              ;   in Loop: Header=BB63_418 Depth=1
	v_cndmask_b32_e64 v20, |v10|, |v11|, s[4:5]
	v_cmp_nlt_f32_e32 vcc, s64, v17
	v_cmp_ngt_f32_e64 s[6:7], s65, v20
	s_and_b64 s[6:7], vcc, s[6:7]
                                        ; implicit-def: $vgpr6
                                        ; implicit-def: $vgpr7
	s_and_saveexec_b64 s[34:35], s[6:7]
	s_xor_b64 s[6:7], exec, s[34:35]
	s_cbranch_execz .LBB63_494
; %bb.493:                              ;   in Loop: Header=BB63_418 Depth=1
	v_mul_f32_e32 v6, v20, v20
	v_fmac_f32_e32 v6, v17, v17
	v_cmp_gt_f32_e32 vcc, s52, v6
	v_cndmask_b32_e32 v7, 1.0, v39, vcc
	v_mul_f32_e32 v6, v6, v7
	v_log_f32_e32 v6, v6
	v_cndmask_b32_e32 v7, 0, v40, vcc
	v_mul_f32_e32 v17, 0x3f317217, v6
	v_fma_f32 v20, v6, s53, -v17
	v_fmac_f32_e32 v20, 0x3377d1cf, v6
	v_add_f32_e32 v17, v17, v20
	v_cmp_lt_f32_e64 vcc, |v6|, s48
	v_cndmask_b32_e32 v6, v6, v17, vcc
	v_sub_f32_e32 v6, v6, v7
	v_min_f32_e32 v7, v8, v15
	v_frexp_mant_f32_e32 v8, v9
	v_rcp_f32_e32 v8, v8
	v_frexp_exp_i32_f32_e32 v9, v9
	v_frexp_exp_i32_f32_e32 v15, v7
	v_frexp_mant_f32_e32 v7, v7
	v_mul_f32_e32 v7, v7, v8
	v_sub_u32_e32 v8, v15, v9
	v_ldexp_f32 v7, v7, v8
	v_mul_f32_e32 v8, v7, v7
	v_mov_b32_e32 v9, 0xbc7a590c
	v_fmac_f32_e32 v9, 0x3b2d2a58, v8
	v_fma_f32 v9, v8, v9, v32
	v_fma_f32 v9, v8, v9, v33
	v_fma_f32 v9, v8, v9, v34
	v_fma_f32 v9, v8, v9, v35
	v_fma_f32 v9, v8, v9, v36
	v_fma_f32 v9, v8, v9, v37
	v_mul_f32_e32 v8, v8, v9
	v_mul_f32_e32 v6, 0.5, v6
	v_fmac_f32_e32 v7, v7, v8
                                        ; implicit-def: $vgpr9
                                        ; implicit-def: $vgpr8
                                        ; implicit-def: $vgpr15
.LBB63_494:                             ;   in Loop: Header=BB63_418 Depth=1
	s_andn2_saveexec_b64 s[6:7], s[6:7]
	s_cbranch_execz .LBB63_496
; %bb.495:                              ;   in Loop: Header=BB63_418 Depth=1
	v_cvt_f64_f32_e32 v[6:7], v9
	v_frexp_exp_i32_f64_e32 v6, v[6:7]
	v_sub_u32_e32 v7, 0, v6
	v_ldexp_f32 v17, |v11|, v7
	v_ldexp_f32 v7, |v10|, v7
	v_mul_f32_e32 v7, v7, v7
	v_fmac_f32_e32 v7, v17, v17
	v_sqrt_f32_e32 v7, v7
	v_cmp_neq_f32_e32 vcc, s48, v9
	v_ldexp_f32 v6, v7, v6
	v_cndmask_b32_e32 v6, v38, v6, vcc
	v_cmp_gt_f32_e32 vcc, s52, v6
	v_cndmask_b32_e32 v7, 1.0, v39, vcc
	v_mul_f32_e32 v6, v6, v7
	v_log_f32_e32 v6, v6
	v_min_f32_e32 v7, v8, v15
	v_cndmask_b32_e32 v8, 0, v40, vcc
	v_mul_f32_e32 v15, 0x3f317217, v6
	v_fma_f32 v17, v6, s53, -v15
	v_fmac_f32_e32 v17, 0x3377d1cf, v6
	v_add_f32_e32 v15, v15, v17
	v_cmp_lt_f32_e64 vcc, |v6|, s48
	v_cndmask_b32_e32 v6, v6, v15, vcc
	v_sub_f32_e32 v6, v6, v8
	v_frexp_mant_f32_e32 v8, v9
	v_rcp_f32_e32 v8, v8
	v_frexp_exp_i32_f32_e32 v9, v9
	v_frexp_exp_i32_f32_e32 v15, v7
	v_frexp_mant_f32_e32 v7, v7
	v_mul_f32_e32 v7, v7, v8
	v_sub_u32_e32 v8, v15, v9
	v_ldexp_f32 v7, v7, v8
	v_mul_f32_e32 v8, v7, v7
	v_mov_b32_e32 v9, 0xbc7a590c
	v_fmac_f32_e32 v9, 0x3b2d2a58, v8
	v_fma_f32 v9, v8, v9, v32
	v_fma_f32 v9, v8, v9, v33
	;; [unrolled: 1-line block ×6, first 2 shown]
	v_mul_f32_e32 v8, v8, v9
	v_fmac_f32_e32 v7, v7, v8
.LBB63_496:                             ;   in Loop: Header=BB63_418 Depth=1
	s_or_b64 exec, exec, s[6:7]
                                        ; implicit-def: $vgpr8
                                        ; implicit-def: $vgpr15
                                        ; implicit-def: $vgpr9
.LBB63_497:                             ;   in Loop: Header=BB63_418 Depth=1
	s_andn2_saveexec_b64 s[30:31], s[30:31]
	s_cbranch_execz .LBB63_499
; %bb.498:                              ;   in Loop: Header=BB63_418 Depth=1
	v_div_scale_f32 v6, s[6:7], s67, s67, v11
	v_rcp_f32_e32 v7, v6
	v_div_scale_f32 v17, vcc, v11, s67, v11
	v_fma_f32 v20, -v6, v7, 1.0
	v_fmac_f32_e32 v7, v20, v7
	v_mul_f32_e32 v20, v17, v7
	v_fma_f32 v21, -v6, v20, v17
	v_fmac_f32_e32 v20, v21, v7
	v_fma_f32 v6, -v6, v20, v17
	v_div_scale_f32 v17, s[6:7], s67, s67, v10
	v_rcp_f32_e32 v21, v17
	v_div_fmas_f32 v6, v6, v7, v20
	v_div_fixup_f32 v20, v6, s67, v11
	v_fma_f32 v6, -v17, v21, 1.0
	v_fmac_f32_e32 v21, v6, v21
	v_div_scale_f32 v6, vcc, v10, s67, v10
	v_mul_f32_e32 v7, v6, v21
	v_fma_f32 v22, -v17, v7, v6
	v_fmac_f32_e32 v7, v22, v21
	v_fma_f32 v6, -v17, v7, v6
	v_div_fmas_f32 v6, v6, v21, v7
	v_div_fixup_f32 v17, v6, s67, v10
	v_max_f32_e64 v21, |v20|, |v17|
	v_cvt_f64_f32_e32 v[6:7], v21
	v_frexp_exp_i32_f64_e32 v6, v[6:7]
	v_sub_u32_e32 v7, 0, v6
	v_ldexp_f32 v20, |v20|, v7
	v_ldexp_f32 v7, |v17|, v7
	v_mul_f32_e32 v7, v7, v7
	v_fmac_f32_e32 v7, v20, v20
	v_sqrt_f32_e32 v7, v7
	v_cmp_neq_f32_e32 vcc, s48, v21
	v_ldexp_f32 v6, v7, v6
	v_cndmask_b32_e32 v6, v38, v6, vcc
	v_cmp_gt_f32_e32 vcc, s52, v6
	v_cndmask_b32_e32 v7, 1.0, v39, vcc
	v_mul_f32_e32 v6, v6, v7
	v_log_f32_e32 v6, v6
	v_mul_f32_e32 v7, 0x3f317217, v6
	v_fma_f32 v17, v6, s53, -v7
	v_fmac_f32_e32 v17, 0x3377d1cf, v6
	v_add_f32_e32 v7, v7, v17
	v_cmp_lt_f32_e64 s[6:7], |v6|, s48
	v_cndmask_b32_e64 v6, v6, v7, s[6:7]
	v_cndmask_b32_e32 v7, 0, v40, vcc
	v_sub_f32_e32 v6, v6, v7
	v_min_f32_e32 v7, v8, v15
	v_frexp_mant_f32_e32 v8, v9
	v_rcp_f32_e32 v8, v8
	v_frexp_exp_i32_f32_e32 v9, v9
	v_frexp_exp_i32_f32_e32 v15, v7
	v_frexp_mant_f32_e32 v7, v7
	v_mul_f32_e32 v7, v7, v8
	v_sub_u32_e32 v8, v15, v9
	v_ldexp_f32 v7, v7, v8
	v_mul_f32_e32 v8, v7, v7
	v_mov_b32_e32 v9, 0xbc7a590c
	v_fmac_f32_e32 v9, 0x3b2d2a58, v8
	v_fma_f32 v9, v8, v9, v32
	v_fma_f32 v9, v8, v9, v33
	;; [unrolled: 1-line block ×6, first 2 shown]
	v_mul_f32_e32 v8, v8, v9
	v_add_f32_e32 v6, 1.0, v6
	v_fmac_f32_e32 v7, v7, v8
.LBB63_499:                             ;   in Loop: Header=BB63_418 Depth=1
	s_or_b64 exec, exec, s[30:31]
	v_sub_f32_e32 v8, 0x3fc90fdb, v7
	v_cndmask_b32_e64 v7, v7, v8, s[4:5]
.LBB63_500:                             ;   in Loop: Header=BB63_418 Depth=1
	s_or_b64 exec, exec, s[28:29]
	v_cmp_neq_f32_e32 vcc, 0, v10
	v_cmp_class_f32_e64 s[4:5], v11, s62
	v_cmp_class_f32_e64 s[6:7], v10, s62
	v_cndmask_b32_e32 v7, 0, v7, vcc
	s_and_b64 vcc, s[6:7], s[4:5]
	v_cndmask_b32_e32 v7, v7, v44, vcc
	v_cmp_o_f32_e32 vcc, v10, v11
	v_cndmask_b32_e32 v7, v41, v7, vcc
	v_add_f32_e32 v8, 0x3f317218, v6
	v_bfi_b32 v6, s47, v7, v10
	v_bfi_b32 v7, s47, v8, v11
.LBB63_501:                             ;   in Loop: Header=BB63_418 Depth=1
	s_or_b64 exec, exec, s[26:27]
.LBB63_502:                             ;   in Loop: Header=BB63_418 Depth=1
	s_andn2_saveexec_b64 s[4:5], s[24:25]
	s_cbranch_execz .LBB63_516
; %bb.503:                              ;   in Loop: Header=BB63_418 Depth=1
	v_cmp_neq_f32_e64 s[6:7], |v11|, s48
                                        ; implicit-def: $vgpr7
	s_and_saveexec_b64 s[24:25], s[6:7]
	s_xor_b64 s[6:7], exec, s[24:25]
	s_cbranch_execz .LBB63_513
; %bb.504:                              ;   in Loop: Header=BB63_418 Depth=1
	v_cmp_neq_f32_e64 s[24:25], |v10|, s48
                                        ; implicit-def: $vgpr7
	s_and_saveexec_b64 s[26:27], s[24:25]
	s_xor_b64 s[24:25], exec, s[26:27]
	s_cbranch_execz .LBB63_510
; %bb.505:                              ;   in Loop: Header=BB63_418 Depth=1
	v_cmp_neq_f32_e32 vcc, 0, v10
                                        ; implicit-def: $vgpr7
	s_and_saveexec_b64 s[26:27], vcc
	s_xor_b64 s[26:27], exec, s[26:27]
; %bb.506:                              ;   in Loop: Header=BB63_418 Depth=1
	v_add_f32_e32 v6, 0, v11
	v_add_f32_e32 v7, v10, v6
; %bb.507:                              ;   in Loop: Header=BB63_418 Depth=1
	s_or_saveexec_b64 s[26:27], s[26:27]
	v_mov_b32_e32 v6, v7
	s_xor_b64 exec, exec, s[26:27]
; %bb.508:                              ;   in Loop: Header=BB63_418 Depth=1
	v_pk_add_f32 v[6:7], v[10:11], v[10:11]
	v_mov_b32_e32 v6, v10
; %bb.509:                              ;   in Loop: Header=BB63_418 Depth=1
	s_or_b64 exec, exec, s[26:27]
.LBB63_510:                             ;   in Loop: Header=BB63_418 Depth=1
	s_andn2_saveexec_b64 s[24:25], s[24:25]
; %bb.511:                              ;   in Loop: Header=BB63_418 Depth=1
	v_add_f32_e32 v6, v11, v11
	v_mov_b32_e32 v7, v10
; %bb.512:                              ;   in Loop: Header=BB63_418 Depth=1
	s_or_b64 exec, exec, s[24:25]
.LBB63_513:                             ;   in Loop: Header=BB63_418 Depth=1
	s_andn2_saveexec_b64 s[6:7], s[6:7]
; %bb.514:                              ;   in Loop: Header=BB63_418 Depth=1
	v_add_f32_e32 v6, v10, v10
	v_mov_b32_e32 v7, v11
; %bb.515:                              ;   in Loop: Header=BB63_418 Depth=1
	s_or_b64 exec, exec, s[6:7]
.LBB63_516:                             ;   in Loop: Header=BB63_418 Depth=1
	s_or_b64 exec, exec, s[4:5]
	v_cmp_o_f32_e32 vcc, v13, v13
	v_cmp_o_f32_e64 s[4:5], v12, v12
	s_and_b64 s[4:5], vcc, s[4:5]
	s_and_saveexec_b64 s[6:7], s[4:5]
	s_xor_b64 s[24:25], exec, s[6:7]
	s_cbranch_execz .LBB63_600
; %bb.517:                              ;   in Loop: Header=BB63_418 Depth=1
	v_max_f32_e64 v10, |v13|, |v13|
	v_max_f32_e64 v15, |v12|, |v12|
	v_max_f32_e32 v11, v15, v10
	v_cmp_nlt_f32_e32 vcc, s21, v11
	s_and_saveexec_b64 s[4:5], vcc
	s_xor_b64 s[6:7], exec, s[4:5]
	s_cbranch_execz .LBB63_577
; %bb.518:                              ;   in Loop: Header=BB63_418 Depth=1
	v_cmp_neq_f32_e32 vcc, 0, v13
	v_cmp_neq_f32_e64 s[4:5], 0, v12
	s_or_b64 s[4:5], vcc, s[4:5]
	s_and_saveexec_b64 s[26:27], s[4:5]
	s_cbranch_execz .LBB63_576
; %bb.519:                              ;   in Loop: Header=BB63_418 Depth=1
	s_waitcnt lgkmcnt(0)
	v_pk_mov_b32 v[8:9], s[10:11], s[10:11] op_sel:[0,1]
	flat_store_dword v[8:9], v25
	s_waitcnt vmcnt(0)
	flat_load_dword v8, v[8:9] glc
	s_waitcnt vmcnt(0)
	v_cmp_nlt_f32_e64 s[4:5], |v13|, s46
	v_cmp_nlt_f32_e64 s[28:29], |v12|, s46
	s_or_b64 s[4:5], s[28:29], s[4:5]
	s_waitcnt lgkmcnt(0)
	v_add_f32_e32 v11, 1.0, v8
	v_pk_mov_b32 v[8:9], s[12:13], s[12:13] op_sel:[0,1]
	flat_store_dword v[8:9], v11
	s_waitcnt vmcnt(0)
	flat_load_dword v8, v[8:9] glc
	s_waitcnt vmcnt(0)
	s_and_saveexec_b64 s[28:29], s[4:5]
	s_cbranch_execz .LBB63_575
; %bb.520:                              ;   in Loop: Header=BB63_418 Depth=1
	s_waitcnt lgkmcnt(0)
	v_and_b32_e32 v8, 0x7fffffff, v12
	v_pk_add_f32 v[20:21], v[8:9], s[16:17] op_sel_hi:[0,1]
	v_max_f32_e64 v15, v10, |v20|
	v_max_f32_e64 v9, v10, |v21|
	v_cvt_f64_f32_e32 v[10:11], v15
	v_frexp_exp_i32_f64_e32 v17, v[10:11]
	v_sub_u32_e32 v10, 0, v17
	v_ldexp_f32 v11, |v13|, v10
	v_ldexp_f32 v10, |v20|, v10
	v_mul_f32_e32 v10, v10, v10
	v_fmac_f32_e32 v10, v11, v11
	v_sqrt_f32_e32 v22, v10
	v_cvt_f64_f32_e32 v[10:11], v9
	v_frexp_exp_i32_f64_e32 v10, v[10:11]
	v_sub_u32_e32 v11, 0, v10
	v_ldexp_f32 v23, |v13|, v11
	v_ldexp_f32 v11, |v21|, v11
	v_mul_f32_e32 v11, v11, v11
	v_fmac_f32_e32 v11, v23, v23
	v_sqrt_f32_e32 v11, v11
	v_cmp_neq_f32_e32 vcc, s48, v9
	v_ldexp_f32 v17, v22, v17
	v_ldexp_f32 v10, v11, v10
	v_cndmask_b32_e32 v9, v38, v10, vcc
	v_cmp_neq_f32_e32 vcc, s48, v15
	v_cndmask_b32_e32 v46, v38, v17, vcc
	v_add_f32_e32 v10, v46, v9
	v_mul_f32_e32 v10, 0.5, v10
	v_cmp_ngt_f32_e32 vcc, 1.0, v10
	v_cndmask_b32_e32 v10, 1.0, v10, vcc
	v_cmp_ngt_f32_e32 vcc, s49, v10
                                        ; implicit-def: $vgpr15
	s_and_saveexec_b64 s[4:5], vcc
	s_xor_b64 s[30:31], exec, s[4:5]
	s_cbranch_execz .LBB63_522
; %bb.521:                              ;   in Loop: Header=BB63_418 Depth=1
	v_fma_f32 v11, v10, v10, -1.0
	v_mul_f32_e32 v15, 0x4f800000, v11
	v_cmp_gt_f32_e32 vcc, s50, v11
	v_cndmask_b32_e32 v11, v11, v15, vcc
	v_sqrt_f32_e32 v15, v11
	v_add_u32_e32 v17, -1, v15
	v_fma_f32 v23, -v17, v15, v11
	v_add_u32_e32 v22, 1, v15
	v_cmp_ge_f32_e64 s[4:5], 0, v23
	v_cndmask_b32_e64 v17, v15, v17, s[4:5]
	v_fma_f32 v15, -v22, v15, v11
	v_cmp_lt_f32_e64 s[4:5], 0, v15
	v_cndmask_b32_e64 v15, v17, v22, s[4:5]
	v_mul_f32_e32 v17, 0x37800000, v15
	v_cndmask_b32_e32 v15, v15, v17, vcc
	v_cmp_class_f32_e32 vcc, v11, v26
	v_cndmask_b32_e32 v11, v15, v11, vcc
	v_add_f32_e32 v11, v10, v11
	v_cmp_gt_f32_e32 vcc, s52, v11
	v_cndmask_b32_e32 v15, 1.0, v39, vcc
	v_mul_f32_e32 v11, v11, v15
	v_log_f32_e32 v11, v11
	v_mul_f32_e32 v15, 0x3f317217, v11
	v_fma_f32 v17, v11, s53, -v15
	v_fmac_f32_e32 v17, 0x3377d1cf, v11
	v_add_f32_e32 v15, v15, v17
	v_cmp_lt_f32_e64 s[4:5], |v11|, s48
	v_cndmask_b32_e64 v11, v11, v15, s[4:5]
	v_cndmask_b32_e32 v15, 0, v40, vcc
	v_sub_f32_e32 v15, v11, v15
.LBB63_522:                             ;   in Loop: Header=BB63_418 Depth=1
	s_or_saveexec_b64 s[30:31], s[30:31]
	v_and_b32_e32 v23, 0x7fffffff, v13
	v_and_b32_e32 v47, 0x7fffffff, v21
	s_xor_b64 exec, exec, s[30:31]
	s_cbranch_execz .LBB63_544
; %bb.523:                              ;   in Loop: Header=BB63_418 Depth=1
	v_cmp_neq_f32_e64 s[4:5], |v12|, 1.0
	v_cmp_nlt_f32_e64 s[34:35], |v13|, s54
	s_or_b64 s[4:5], s[4:5], s[34:35]
                                        ; implicit-def: $vgpr15
	s_and_saveexec_b64 s[34:35], s[4:5]
	s_xor_b64 s[34:35], exec, s[34:35]
	s_cbranch_execz .LBB63_541
; %bb.524:                              ;   in Loop: Header=BB63_418 Depth=1
	v_mul_f32_e32 v11, 0x34000000, v47
	v_cmp_le_f32_e64 s[4:5], v11, |v13|
                                        ; implicit-def: $vgpr15
	s_and_saveexec_b64 s[36:37], s[4:5]
	s_xor_b64 s[36:37], exec, s[36:37]
	s_cbranch_execz .LBB63_534
; %bb.525:                              ;   in Loop: Header=BB63_418 Depth=1
	v_cmp_neq_f32_e32 vcc, 0, v20
	v_mov_b32_e32 v11, v23
	s_and_saveexec_b64 s[4:5], vcc
	s_cbranch_execz .LBB63_527
; %bb.526:                              ;   in Loop: Header=BB63_418 Depth=1
	v_mul_f32_e32 v11, v13, v13
	v_add_f32_e32 v15, v20, v46
	v_div_scale_f32 v17, s[38:39], v15, v15, v11
	v_rcp_f32_e32 v22, v17
	v_fma_f32 v48, -v17, v22, 1.0
	v_fmac_f32_e32 v22, v48, v22
	v_div_scale_f32 v48, vcc, v11, v15, v11
	v_mul_f32_e32 v49, v48, v22
	v_fma_f32 v50, -v17, v49, v48
	v_fmac_f32_e32 v49, v50, v22
	v_fma_f32 v17, -v17, v49, v48
	v_div_fmas_f32 v17, v17, v22, v49
	v_div_fixup_f32 v11, v17, v15, v11
.LBB63_527:                             ;   in Loop: Header=BB63_418 Depth=1
	s_or_b64 exec, exec, s[4:5]
	v_sub_f32_e64 v17, 1.0, |v12|
	v_cmp_ngt_f32_e32 vcc, 0, v17
                                        ; implicit-def: $vgpr15
	s_and_saveexec_b64 s[4:5], vcc
	s_xor_b64 s[4:5], exec, s[4:5]
	s_cbranch_execz .LBB63_531
; %bb.528:                              ;   in Loop: Header=BB63_418 Depth=1
	v_cmp_neq_f32_e32 vcc, 0, v17
	v_mov_b32_e32 v15, v23
	s_and_saveexec_b64 s[38:39], vcc
	s_cbranch_execz .LBB63_530
; %bb.529:                              ;   in Loop: Header=BB63_418 Depth=1
	v_mul_f32_e32 v15, v13, v13
	v_add_f32_e32 v17, v17, v9
	v_div_scale_f32 v22, s[40:41], v17, v17, v15
	v_rcp_f32_e32 v48, v22
	v_fma_f32 v49, -v22, v48, 1.0
	v_fmac_f32_e32 v48, v49, v48
	v_div_scale_f32 v49, vcc, v15, v17, v15
	v_mul_f32_e32 v50, v49, v48
	v_fma_f32 v51, -v22, v50, v49
	v_fmac_f32_e32 v50, v51, v48
	v_fma_f32 v22, -v22, v50, v49
	v_div_fmas_f32 v22, v22, v48, v50
	v_div_fixup_f32 v15, v22, v17, v15
.LBB63_530:                             ;   in Loop: Header=BB63_418 Depth=1
	s_or_b64 exec, exec, s[38:39]
                                        ; implicit-def: $vgpr17
.LBB63_531:                             ;   in Loop: Header=BB63_418 Depth=1
	s_andn2_saveexec_b64 s[4:5], s[4:5]
; %bb.532:                              ;   in Loop: Header=BB63_418 Depth=1
	v_sub_f32_e32 v15, v9, v17
; %bb.533:                              ;   in Loop: Header=BB63_418 Depth=1
	s_or_b64 exec, exec, s[4:5]
	v_mul_f32_e32 v11, 0.5, v11
	v_mul_f32_e32 v15, 0.5, v15
	v_pk_add_f32 v[48:49], v[10:11], v[14:15]
	v_mul_f32_e32 v11, v48, v49
	v_mul_f32_e32 v15, 0x4f800000, v11
	v_cmp_gt_f32_e32 vcc, s50, v11
	v_cndmask_b32_e32 v11, v11, v15, vcc
	v_sqrt_f32_e32 v15, v11
	v_add_u32_e32 v17, -1, v15
	v_fma_f32 v22, -v17, v15, v11
	v_cmp_ge_f32_e64 s[4:5], 0, v22
	v_add_u32_e32 v22, 1, v15
	v_cndmask_b32_e64 v17, v15, v17, s[4:5]
	v_fma_f32 v15, -v22, v15, v11
	v_cmp_lt_f32_e64 s[4:5], 0, v15
	v_cndmask_b32_e64 v15, v17, v22, s[4:5]
	v_mul_f32_e32 v17, 0x37800000, v15
	v_cndmask_b32_e32 v15, v15, v17, vcc
	v_cmp_class_f32_e32 vcc, v11, v26
	v_cndmask_b32_e32 v11, v15, v11, vcc
	v_add_f32_e32 v48, v49, v11
	v_add_f32_e32 v51, 1.0, v48
	v_add_f32_e32 v49, -1.0, v51
	v_mov_b32_e32 v50, v49
	v_pk_add_f32 v[52:53], v[48:49], v[50:51] neg_lo:[0,1] neg_hi:[0,1]
	v_add_f32_e32 v11, 1.0, v53
	v_add_f32_e32 v11, v52, v11
	v_frexp_mant_f32_e32 v15, v51
	v_cvt_f64_f32_e32 v[52:53], v51
	v_frexp_exp_i32_f64_e32 v17, v[52:53]
	v_cmp_gt_f32_e32 vcc, s55, v15
	v_subbrev_co_u32_e32 v15, vcc, 0, v17, vcc
	v_sub_u32_e32 v17, 0, v15
	v_ldexp_f32 v22, v51, v17
	v_ldexp_f32 v11, v11, v17
	v_add_f32_e32 v17, -1.0, v22
	v_add_f32_e32 v50, 1.0, v22
	v_add_f32_e32 v49, 1.0, v17
	v_add_f32_e32 v51, -1.0, v50
	v_sub_f32_e32 v49, v22, v49
	v_sub_f32_e32 v22, v22, v51
	v_add_f32_e32 v49, v11, v49
	v_add_f32_e32 v11, v11, v22
	;; [unrolled: 1-line block ×3, first 2 shown]
	v_rcp_f32_e32 v58, v22
	v_add_f32_e32 v51, v17, v49
	v_sub_f32_e32 v17, v51, v17
	v_sub_f32_e32 v17, v49, v17
	v_mul_f32_e32 v49, v51, v58
	v_sub_f32_e32 v50, v22, v50
	v_mul_f32_e32 v52, v22, v49
	v_sub_f32_e32 v11, v11, v50
	v_fma_f32 v54, v49, v22, -v52
	v_fmac_f32_e32 v54, v49, v11
	v_add_f32_e32 v50, v52, v54
	v_sub_f32_e32 v53, v51, v50
	v_pk_add_f32 v[56:57], v[50:51], v[52:53] neg_lo:[0,1] neg_hi:[0,1]
	v_mov_b32_e32 v55, v50
	v_pk_add_f32 v[50:51], v[56:57], v[54:55] neg_lo:[0,1] neg_hi:[0,1]
	v_add_f32_e32 v17, v17, v51
	v_add_f32_e32 v17, v50, v17
	v_add_f32_e32 v51, v53, v17
	v_mul_f32_e32 v59, v58, v51
	v_mul_f32_e32 v52, v22, v59
	v_fma_f32 v54, v59, v22, -v52
	v_fmac_f32_e32 v54, v59, v11
	v_add_f32_e32 v50, v52, v54
	v_sub_f32_e32 v11, v53, v51
	v_sub_f32_e32 v53, v51, v50
	v_pk_add_f32 v[56:57], v[50:51], v[52:53] neg_lo:[0,1] neg_hi:[0,1]
	v_mov_b32_e32 v55, v50
	v_add_f32_e32 v11, v17, v11
	v_pk_add_f32 v[50:51], v[56:57], v[54:55] neg_lo:[0,1] neg_hi:[0,1]
	v_add_f32_e32 v11, v11, v51
	v_add_f32_e32 v11, v50, v11
	;; [unrolled: 1-line block ×4, first 2 shown]
	v_sub_f32_e32 v17, v22, v49
	v_mul_f32_e32 v11, v58, v11
	v_sub_f32_e32 v17, v59, v17
	v_add_f32_e32 v11, v17, v11
	v_add_f32_e32 v49, v22, v11
	v_cvt_f32_i32_e32 v50, v15
	v_mul_f32_e32 v51, v49, v49
	v_mov_b32_e32 v17, 0x3ecc95a3
	v_fmac_f32_e32 v17, 0x3e9b6dac, v51
	v_fma_f32 v17, v51, v17, v27
	v_mul_f32_e32 v51, v49, v51
	v_pk_mul_f32 v[54:55], v[50:51], v[16:17]
	v_fma_f32 v52, v50, s56, -v54
	v_ldexp_f32 v53, v49, 1
	v_fmac_f32_e32 v52, 0xb102e308, v50
	v_sub_f32_e32 v15, v49, v22
	v_pk_add_f32 v[50:51], v[54:55], v[52:53]
	v_sub_f32_e32 v11, v11, v15
	v_sub_f32_e32 v15, v51, v53
	v_ldexp_f32 v11, v11, 1
	v_sub_f32_e32 v15, v55, v15
	v_add_f32_e32 v57, v11, v15
	v_mov_b32_e32 v56, v54
	v_pk_add_f32 v[54:55], v[50:51], v[54:55] neg_lo:[0,1] neg_hi:[0,1]
	v_pk_add_f32 v[58:59], v[50:51], v[56:57]
	v_mov_b32_e32 v55, v59
	v_mov_b32_e32 v53, v50
	v_pk_add_f32 v[60:61], v[52:53], v[54:55] neg_lo:[0,1] neg_hi:[0,1]
	v_pk_add_f32 v[52:53], v[52:53], v[54:55]
	v_mov_b32_e32 v22, v53
	v_pk_add_f32 v[54:55], v[22:23], v[50:51] neg_lo:[0,1] neg_hi:[0,1]
	v_mov_b32_e32 v11, v54
	v_pk_add_f32 v[62:63], v[58:59], v[10:11] neg_lo:[0,1] neg_hi:[0,1]
	v_mov_b32_e32 v52, v59
	v_mov_b32_e32 v58, v51
	;; [unrolled: 1-line block ×4, first 2 shown]
	v_pk_add_f32 v[52:53], v[52:53], v[58:59] neg_lo:[0,1] neg_hi:[0,1]
	v_mov_b32_e32 v54, v57
	v_mov_b32_e32 v55, v50
	v_pk_add_f32 v[50:51], v[54:55], v[52:53] neg_lo:[0,1] neg_hi:[0,1]
	v_mov_b32_e32 v62, v60
	v_pk_add_f32 v[52:53], v[62:63], v[50:51]
	v_mov_b32_e32 v54, v53
	v_pk_add_f32 v[54:55], v[52:53], v[54:55]
	v_pk_add_f32 v[56:57], v[22:23], v[54:55]
	v_mov_b32_e32 v53, v56
	v_pk_add_f32 v[58:59], v[52:53], v[60:61] neg_lo:[0,1] neg_hi:[0,1]
	v_mov_b32_e32 v51, v54
	v_sub_f32_e32 v11, v52, v58
	v_pk_add_f32 v[50:51], v[50:51], v[58:59] neg_lo:[0,1] neg_hi:[0,1]
	v_sub_f32_e32 v11, v60, v11
	v_add_f32_e32 v11, v50, v11
	v_add_f32_e32 v11, v11, v51
	;; [unrolled: 1-line block ×3, first 2 shown]
	v_cmp_eq_f32_e32 vcc, s48, v48
	v_cndmask_b32_e32 v11, v11, v48, vcc
	v_cmp_ngt_f32_e32 vcc, -1.0, v48
	v_cndmask_b32_e32 v11, v41, v11, vcc
	v_cmp_neq_f32_e32 vcc, -1.0, v48
	v_cndmask_b32_e32 v11, v42, v11, vcc
	v_cmp_lt_f32_e64 vcc, |v48|, s57
	v_cndmask_b32_e32 v15, v11, v48, vcc
.LBB63_534:                             ;   in Loop: Header=BB63_418 Depth=1
	s_andn2_saveexec_b64 s[36:37], s[36:37]
	s_cbranch_execz .LBB63_540
; %bb.535:                              ;   in Loop: Header=BB63_418 Depth=1
	v_cmp_nlt_f32_e64 s[4:5], |v12|, 1.0
                                        ; implicit-def: $vgpr15
	s_and_saveexec_b64 s[38:39], s[4:5]
	s_xor_b64 s[38:39], exec, s[38:39]
	s_cbranch_execz .LBB63_537
; %bb.536:                              ;   in Loop: Header=BB63_418 Depth=1
	v_mul_f32_e32 v11, v21, v20
	v_mul_f32_e32 v15, 0x4f800000, v11
	v_cmp_gt_f32_e32 vcc, s50, v11
	v_cndmask_b32_e32 v11, v11, v15, vcc
	v_sqrt_f32_e32 v15, v11
	v_add_u32_e32 v17, -1, v15
	v_fma_f32 v48, -v17, v15, v11
	v_add_u32_e32 v22, 1, v15
	v_cmp_ge_f32_e64 s[4:5], 0, v48
	v_cndmask_b32_e64 v17, v15, v17, s[4:5]
	v_fma_f32 v15, -v22, v15, v11
	v_cmp_lt_f32_e64 s[4:5], 0, v15
	v_cndmask_b32_e64 v15, v17, v22, s[4:5]
	v_mul_f32_e32 v17, 0x37800000, v15
	v_cndmask_b32_e32 v15, v15, v17, vcc
	v_cmp_class_f32_e32 vcc, v11, v26
	v_cndmask_b32_e32 v11, v15, v11, vcc
	v_add_f32_e32 v48, v21, v11
	v_add_f32_e32 v51, 1.0, v48
	v_add_f32_e32 v49, -1.0, v51
	v_mov_b32_e32 v50, v49
	v_pk_add_f32 v[52:53], v[48:49], v[50:51] neg_lo:[0,1] neg_hi:[0,1]
	v_add_f32_e32 v11, 1.0, v53
	v_add_f32_e32 v11, v52, v11
	v_frexp_mant_f32_e32 v15, v51
	v_cvt_f64_f32_e32 v[52:53], v51
	v_frexp_exp_i32_f64_e32 v17, v[52:53]
	v_cmp_gt_f32_e32 vcc, s55, v15
	v_subbrev_co_u32_e32 v15, vcc, 0, v17, vcc
	v_sub_u32_e32 v17, 0, v15
	v_ldexp_f32 v22, v51, v17
	v_ldexp_f32 v11, v11, v17
	v_add_f32_e32 v17, -1.0, v22
	v_add_f32_e32 v50, 1.0, v22
	v_add_f32_e32 v49, 1.0, v17
	v_add_f32_e32 v51, -1.0, v50
	v_sub_f32_e32 v49, v22, v49
	v_sub_f32_e32 v22, v22, v51
	v_add_f32_e32 v49, v11, v49
	v_add_f32_e32 v11, v11, v22
	;; [unrolled: 1-line block ×3, first 2 shown]
	v_rcp_f32_e32 v58, v22
	v_add_f32_e32 v51, v17, v49
	v_sub_f32_e32 v17, v51, v17
	v_sub_f32_e32 v17, v49, v17
	v_mul_f32_e32 v49, v51, v58
	v_sub_f32_e32 v50, v22, v50
	v_mul_f32_e32 v52, v22, v49
	v_sub_f32_e32 v11, v11, v50
	v_fma_f32 v54, v49, v22, -v52
	v_fmac_f32_e32 v54, v49, v11
	v_add_f32_e32 v50, v52, v54
	v_sub_f32_e32 v53, v51, v50
	v_pk_add_f32 v[56:57], v[50:51], v[52:53] neg_lo:[0,1] neg_hi:[0,1]
	v_mov_b32_e32 v55, v50
	v_pk_add_f32 v[50:51], v[56:57], v[54:55] neg_lo:[0,1] neg_hi:[0,1]
	v_add_f32_e32 v17, v17, v51
	v_add_f32_e32 v17, v50, v17
	;; [unrolled: 1-line block ×3, first 2 shown]
	v_mul_f32_e32 v59, v58, v51
	v_mul_f32_e32 v52, v22, v59
	v_fma_f32 v54, v59, v22, -v52
	v_fmac_f32_e32 v54, v59, v11
	v_add_f32_e32 v50, v52, v54
	v_sub_f32_e32 v11, v53, v51
	v_sub_f32_e32 v53, v51, v50
	v_pk_add_f32 v[56:57], v[50:51], v[52:53] neg_lo:[0,1] neg_hi:[0,1]
	v_mov_b32_e32 v55, v50
	v_add_f32_e32 v11, v17, v11
	v_pk_add_f32 v[50:51], v[56:57], v[54:55] neg_lo:[0,1] neg_hi:[0,1]
	v_add_f32_e32 v11, v11, v51
	v_add_f32_e32 v11, v50, v11
	;; [unrolled: 1-line block ×4, first 2 shown]
	v_sub_f32_e32 v17, v22, v49
	v_mul_f32_e32 v11, v58, v11
	v_sub_f32_e32 v17, v59, v17
	v_add_f32_e32 v11, v17, v11
	v_add_f32_e32 v49, v22, v11
	v_cvt_f32_i32_e32 v50, v15
	v_mul_f32_e32 v51, v49, v49
	v_mov_b32_e32 v17, 0x3ecc95a3
	v_fmac_f32_e32 v17, 0x3e9b6dac, v51
	v_fma_f32 v17, v51, v17, v27
	v_mul_f32_e32 v51, v49, v51
	v_pk_mul_f32 v[54:55], v[50:51], v[16:17]
	v_fma_f32 v52, v50, s56, -v54
	v_ldexp_f32 v53, v49, 1
	v_fmac_f32_e32 v52, 0xb102e308, v50
	v_sub_f32_e32 v15, v49, v22
	v_pk_add_f32 v[50:51], v[54:55], v[52:53]
	v_sub_f32_e32 v11, v11, v15
	v_sub_f32_e32 v15, v51, v53
	v_ldexp_f32 v11, v11, 1
	v_sub_f32_e32 v15, v55, v15
	v_add_f32_e32 v57, v11, v15
	v_mov_b32_e32 v56, v54
	v_pk_add_f32 v[54:55], v[50:51], v[54:55] neg_lo:[0,1] neg_hi:[0,1]
	v_pk_add_f32 v[58:59], v[50:51], v[56:57]
	v_mov_b32_e32 v55, v59
	v_mov_b32_e32 v53, v50
	v_pk_add_f32 v[60:61], v[52:53], v[54:55] neg_lo:[0,1] neg_hi:[0,1]
	v_pk_add_f32 v[52:53], v[52:53], v[54:55]
	v_mov_b32_e32 v22, v53
	v_pk_add_f32 v[54:55], v[22:23], v[50:51] neg_lo:[0,1] neg_hi:[0,1]
	v_mov_b32_e32 v11, v54
	v_pk_add_f32 v[62:63], v[58:59], v[10:11] neg_lo:[0,1] neg_hi:[0,1]
	v_mov_b32_e32 v52, v59
	v_mov_b32_e32 v58, v51
	;; [unrolled: 1-line block ×4, first 2 shown]
	v_pk_add_f32 v[52:53], v[52:53], v[58:59] neg_lo:[0,1] neg_hi:[0,1]
	v_mov_b32_e32 v54, v57
	v_mov_b32_e32 v55, v50
	v_pk_add_f32 v[50:51], v[54:55], v[52:53] neg_lo:[0,1] neg_hi:[0,1]
	v_mov_b32_e32 v62, v60
	v_pk_add_f32 v[52:53], v[62:63], v[50:51]
	v_mov_b32_e32 v54, v53
	v_pk_add_f32 v[54:55], v[52:53], v[54:55]
	v_pk_add_f32 v[56:57], v[22:23], v[54:55]
	v_mov_b32_e32 v53, v56
	v_pk_add_f32 v[58:59], v[52:53], v[60:61] neg_lo:[0,1] neg_hi:[0,1]
	v_mov_b32_e32 v51, v54
	v_sub_f32_e32 v11, v52, v58
	v_pk_add_f32 v[50:51], v[50:51], v[58:59] neg_lo:[0,1] neg_hi:[0,1]
	v_sub_f32_e32 v11, v60, v11
	v_add_f32_e32 v11, v50, v11
	v_add_f32_e32 v11, v11, v51
	;; [unrolled: 1-line block ×3, first 2 shown]
	v_cmp_eq_f32_e32 vcc, s48, v48
	v_cndmask_b32_e32 v11, v11, v48, vcc
	v_cmp_ngt_f32_e32 vcc, -1.0, v48
	v_cndmask_b32_e32 v11, v41, v11, vcc
	v_cmp_neq_f32_e32 vcc, -1.0, v48
	v_cndmask_b32_e32 v11, v42, v11, vcc
	v_cmp_lt_f32_e64 vcc, |v48|, s57
	v_cndmask_b32_e32 v15, v11, v48, vcc
.LBB63_537:                             ;   in Loop: Header=BB63_418 Depth=1
	s_andn2_saveexec_b64 s[38:39], s[38:39]
	s_cbranch_execz .LBB63_539
; %bb.538:                              ;   in Loop: Header=BB63_418 Depth=1
	v_sub_f32_e64 v11, 1.0, |v12|
	v_mul_f32_e32 v11, v11, v20
	v_mul_f32_e32 v15, 0x4f800000, v11
	v_cmp_gt_f32_e32 vcc, s50, v11
	v_cndmask_b32_e32 v11, v11, v15, vcc
	v_sqrt_f32_e32 v15, v11
	v_add_u32_e32 v17, -1, v15
	v_fma_f32 v48, -v17, v15, v11
	v_add_u32_e32 v22, 1, v15
	v_cmp_ge_f32_e64 s[4:5], 0, v48
	v_cndmask_b32_e64 v17, v15, v17, s[4:5]
	v_fma_f32 v15, -v22, v15, v11
	v_cmp_lt_f32_e64 s[4:5], 0, v15
	v_cndmask_b32_e64 v15, v17, v22, s[4:5]
	v_mul_f32_e32 v17, 0x37800000, v15
	v_cndmask_b32_e32 v15, v15, v17, vcc
	v_cmp_class_f32_e32 vcc, v11, v26
	v_cndmask_b32_e32 v11, v15, v11, vcc
	v_and_b32_e32 v15, 0x7fffffff, v13
	v_div_scale_f32 v17, s[4:5], v11, v11, v15
	v_rcp_f32_e32 v22, v17
	v_div_scale_f32 v15, vcc, v15, v11, v15
	v_fma_f32 v48, -v17, v22, 1.0
	v_fmac_f32_e32 v22, v48, v22
	v_mul_f32_e32 v48, v15, v22
	v_fma_f32 v49, -v17, v48, v15
	v_fmac_f32_e32 v48, v49, v22
	v_fma_f32 v15, -v17, v48, v15
	v_div_fmas_f32 v15, v15, v22, v48
	v_div_fixup_f32 v15, v15, v11, |v13|
.LBB63_539:                             ;   in Loop: Header=BB63_418 Depth=1
	s_or_b64 exec, exec, s[38:39]
.LBB63_540:                             ;   in Loop: Header=BB63_418 Depth=1
	s_or_b64 exec, exec, s[36:37]
.LBB63_541:                             ;   in Loop: Header=BB63_418 Depth=1
	s_andn2_saveexec_b64 s[34:35], s[34:35]
	s_cbranch_execz .LBB63_543
; %bb.542:                              ;   in Loop: Header=BB63_418 Depth=1
	v_mul_f32_e64 v11, |v13|, s51
	v_cmp_lt_f32_e64 vcc, |v13|, s50
	v_cndmask_b32_e64 v11, |v13|, v11, vcc
	v_sqrt_f32_e32 v15, v11
	v_add_u32_e32 v17, -1, v15
	v_fma_f32 v48, -v17, v15, v11
	v_add_u32_e32 v22, 1, v15
	v_cmp_ge_f32_e64 s[4:5], 0, v48
	v_cndmask_b32_e64 v17, v15, v17, s[4:5]
	v_fma_f32 v15, -v22, v15, v11
	v_cmp_lt_f32_e64 s[4:5], 0, v15
	v_cndmask_b32_e64 v15, v17, v22, s[4:5]
	v_mul_f32_e32 v17, 0x37800000, v15
	v_cndmask_b32_e32 v15, v15, v17, vcc
	v_cmp_class_f32_e32 vcc, v11, v26
	v_cndmask_b32_e32 v15, v15, v11, vcc
.LBB63_543:                             ;   in Loop: Header=BB63_418 Depth=1
	s_or_b64 exec, exec, s[34:35]
.LBB63_544:                             ;   in Loop: Header=BB63_418 Depth=1
	s_or_b64 exec, exec, s[30:31]
	v_cmp_nlt_f32_e64 s[30:31], |v12|, s58
                                        ; implicit-def: $sgpr4_sgpr5
                                        ; implicit-def: $vgpr22
                                        ; implicit-def: $vgpr17
	s_and_saveexec_b64 s[34:35], s[30:31]
	s_xor_b64 s[30:31], exec, s[34:35]
	s_cbranch_execz .LBB63_568
; %bb.545:                              ;   in Loop: Header=BB63_418 Depth=1
	v_div_scale_f32 v11, s[4:5], v10, v10, v8
	v_rcp_f32_e32 v17, v11
	v_div_scale_f32 v22, vcc, v8, v10, v8
	s_mov_b64 s[4:5], 0
	v_fma_f32 v48, -v11, v17, 1.0
	v_fmac_f32_e32 v17, v48, v17
	v_mul_f32_e32 v48, v22, v17
	v_fma_f32 v49, -v11, v48, v22
	v_fmac_f32_e32 v48, v49, v17
	v_fma_f32 v11, -v11, v48, v22
	v_div_fmas_f32 v11, v11, v17, v48
	v_div_fixup_f32 v17, v11, v10, |v12|
	v_cmp_lt_f32_e32 vcc, s59, v17
                                        ; implicit-def: $vgpr22
	s_and_saveexec_b64 s[34:35], vcc
	s_cbranch_execz .LBB63_567
; %bb.546:                              ;   in Loop: Header=BB63_418 Depth=1
	v_cmp_neq_f32_e64 s[4:5], |v12|, 1.0
	v_cmp_nlt_f32_e64 s[36:37], |v13|, s60
	s_or_b64 s[4:5], s[4:5], s[36:37]
                                        ; implicit-def: $sgpr38_sgpr39
                                        ; implicit-def: $vgpr22
	s_and_saveexec_b64 s[36:37], s[4:5]
	s_xor_b64 s[36:37], exec, s[36:37]
	s_cbranch_execz .LBB63_564
; %bb.547:                              ;   in Loop: Header=BB63_418 Depth=1
	v_mul_f32_e32 v11, 0x34000000, v47
	v_cmp_le_f32_e64 s[4:5], v11, |v13|
                                        ; implicit-def: $vgpr22
                                        ; implicit-def: $sgpr38_sgpr39
	s_and_saveexec_b64 s[40:41], s[4:5]
	s_xor_b64 s[40:41], exec, s[40:41]
	s_cbranch_execz .LBB63_557
; %bb.548:                              ;   in Loop: Header=BB63_418 Depth=1
	v_cmp_neq_f32_e32 vcc, 0, v20
	v_mov_b32_e32 v11, v23
	s_and_saveexec_b64 s[4:5], vcc
	s_cbranch_execz .LBB63_550
; %bb.549:                              ;   in Loop: Header=BB63_418 Depth=1
	v_mul_f32_e32 v11, v13, v13
	v_add_f32_e32 v20, v20, v46
	v_div_scale_f32 v22, s[38:39], v20, v20, v11
	v_rcp_f32_e32 v46, v22
	v_fma_f32 v47, -v22, v46, 1.0
	v_fmac_f32_e32 v46, v47, v46
	v_div_scale_f32 v47, vcc, v11, v20, v11
	v_mul_f32_e32 v48, v47, v46
	v_fma_f32 v49, -v22, v48, v47
	v_fmac_f32_e32 v48, v49, v46
	v_fma_f32 v22, -v22, v48, v47
	v_div_fmas_f32 v22, v22, v46, v48
	v_div_fixup_f32 v11, v22, v20, v11
.LBB63_550:                             ;   in Loop: Header=BB63_418 Depth=1
	s_or_b64 exec, exec, s[4:5]
	v_cmp_ngt_f32_e32 vcc, 0, v21
	s_and_saveexec_b64 s[4:5], vcc
	s_xor_b64 s[4:5], exec, s[4:5]
	s_cbranch_execz .LBB63_554
; %bb.551:                              ;   in Loop: Header=BB63_418 Depth=1
	v_cmp_neq_f32_e32 vcc, 0, v21
	s_and_saveexec_b64 s[38:39], vcc
	s_cbranch_execz .LBB63_553
; %bb.552:                              ;   in Loop: Header=BB63_418 Depth=1
	v_mul_f32_e32 v20, v13, v13
	v_add_f32_e32 v9, v21, v9
	v_div_scale_f32 v21, s[42:43], v9, v9, v20
	v_rcp_f32_e32 v22, v21
	v_fma_f32 v23, -v21, v22, 1.0
	v_fmac_f32_e32 v22, v23, v22
	v_div_scale_f32 v23, vcc, v20, v9, v20
	v_mul_f32_e32 v46, v23, v22
	v_fma_f32 v47, -v21, v46, v23
	v_fmac_f32_e32 v46, v47, v22
	v_fma_f32 v21, -v21, v46, v23
	v_div_fmas_f32 v21, v21, v22, v46
	v_div_fixup_f32 v23, v21, v9, v20
.LBB63_553:                             ;   in Loop: Header=BB63_418 Depth=1
	s_or_b64 exec, exec, s[38:39]
                                        ; implicit-def: $vgpr9
                                        ; implicit-def: $vgpr20_vgpr21
.LBB63_554:                             ;   in Loop: Header=BB63_418 Depth=1
	s_andn2_saveexec_b64 s[4:5], s[4:5]
; %bb.555:                              ;   in Loop: Header=BB63_418 Depth=1
	v_sub_f32_e32 v23, v9, v21
; %bb.556:                              ;   in Loop: Header=BB63_418 Depth=1
	s_or_b64 exec, exec, s[4:5]
	v_mul_f32_e32 v9, 0.5, v11
	v_mul_f32_e32 v11, 0.5, v23
	v_pk_add_f32 v[10:11], v[8:9], v[10:11]
	v_mul_f32_e32 v9, v10, v11
	v_mul_f32_e32 v10, 0x4f800000, v9
	v_cmp_gt_f32_e32 vcc, s50, v9
	v_cndmask_b32_e32 v9, v9, v10, vcc
	v_sqrt_f32_e32 v10, v9
	s_mov_b64 s[38:39], -1
	v_add_u32_e32 v11, -1, v10
	v_fma_f32 v20, -v11, v10, v9
	v_cmp_ge_f32_e64 s[4:5], 0, v20
	v_add_u32_e32 v20, 1, v10
	v_cndmask_b32_e64 v11, v10, v11, s[4:5]
	v_fma_f32 v10, -v20, v10, v9
	v_cmp_lt_f32_e64 s[4:5], 0, v10
	v_cndmask_b32_e64 v10, v11, v20, s[4:5]
	v_mul_f32_e32 v11, 0x37800000, v10
	v_cndmask_b32_e32 v10, v10, v11, vcc
	v_cmp_class_f32_e32 vcc, v9, v26
	v_cndmask_b32_e32 v22, v10, v9, vcc
                                        ; implicit-def: $vgpr20_vgpr21
.LBB63_557:                             ;   in Loop: Header=BB63_418 Depth=1
	s_andn2_saveexec_b64 s[40:41], s[40:41]
	s_cbranch_execz .LBB63_563
; %bb.558:                              ;   in Loop: Header=BB63_418 Depth=1
	v_cmp_ngt_f32_e64 s[4:5], |v12|, 1.0
                                        ; implicit-def: $vgpr22
                                        ; implicit-def: $sgpr42_sgpr43
	s_and_saveexec_b64 s[44:45], s[4:5]
	s_xor_b64 s[44:45], exec, s[44:45]
	s_cbranch_execz .LBB63_560
; %bb.559:                              ;   in Loop: Header=BB63_418 Depth=1
	v_sub_f32_e64 v9, 1.0, |v12|
	v_mul_f32_e32 v9, v9, v20
	v_mul_f32_e32 v10, 0x4f800000, v9
	v_cmp_gt_f32_e32 vcc, s50, v9
	v_cndmask_b32_e32 v9, v9, v10, vcc
	v_sqrt_f32_e32 v10, v9
	s_mov_b64 s[42:43], -1
	v_add_u32_e32 v11, -1, v10
	v_fma_f32 v21, -v11, v10, v9
	v_add_u32_e32 v20, 1, v10
	v_cmp_ge_f32_e64 s[4:5], 0, v21
	v_cndmask_b32_e64 v11, v10, v11, s[4:5]
	v_fma_f32 v10, -v20, v10, v9
	v_cmp_lt_f32_e64 s[4:5], 0, v10
	v_cndmask_b32_e64 v10, v11, v20, s[4:5]
	v_mul_f32_e32 v11, 0x37800000, v10
	v_cndmask_b32_e32 v10, v10, v11, vcc
	v_cmp_class_f32_e32 vcc, v9, v26
	v_cndmask_b32_e32 v22, v10, v9, vcc
                                        ; implicit-def: $vgpr20_vgpr21
.LBB63_560:                             ;   in Loop: Header=BB63_418 Depth=1
	s_andn2_saveexec_b64 s[44:45], s[44:45]
	s_cbranch_execz .LBB63_562
; %bb.561:                              ;   in Loop: Header=BB63_418 Depth=1
	v_mul_f32_e32 v8, v20, v21
	v_mul_f32_e32 v9, 0x4f800000, v8
	v_cmp_gt_f32_e32 vcc, s50, v8
	v_cndmask_b32_e32 v8, v8, v9, vcc
	v_sqrt_f32_e32 v9, v8
	v_mul_f32_e64 v10, |v13|, s61
	v_mul_f32_e64 v10, |v12|, v10
	s_or_b64 s[42:43], s[42:43], exec
	v_add_u32_e32 v11, -1, v9
	v_fma_f32 v20, -v11, v9, v8
	v_cmp_ge_f32_e64 s[4:5], 0, v20
	v_add_u32_e32 v20, 1, v9
	v_cndmask_b32_e64 v11, v9, v11, s[4:5]
	v_fma_f32 v9, -v20, v9, v8
	v_cmp_lt_f32_e64 s[4:5], 0, v9
	v_cndmask_b32_e64 v9, v11, v20, s[4:5]
	v_mul_f32_e32 v11, 0x37800000, v9
	v_cndmask_b32_e32 v9, v9, v11, vcc
	v_cmp_class_f32_e32 vcc, v8, v26
	v_cndmask_b32_e32 v8, v9, v8, vcc
	v_div_scale_f32 v9, s[4:5], v8, v8, v10
	v_rcp_f32_e32 v11, v9
	v_fma_f32 v20, -v9, v11, 1.0
	v_fmac_f32_e32 v11, v20, v11
	v_div_scale_f32 v20, vcc, v10, v8, v10
	v_mul_f32_e32 v21, v20, v11
	v_fma_f32 v22, -v9, v21, v20
	v_fmac_f32_e32 v21, v22, v11
	v_fma_f32 v9, -v9, v21, v20
	v_div_fmas_f32 v9, v9, v11, v21
	v_div_fixup_f32 v22, v9, v8, v10
	v_mul_f32_e64 v8, |v12|, s61
.LBB63_562:                             ;   in Loop: Header=BB63_418 Depth=1
	s_or_b64 exec, exec, s[44:45]
	s_andn2_b64 s[4:5], s[38:39], exec
	s_and_b64 s[38:39], s[42:43], exec
	s_or_b64 s[38:39], s[4:5], s[38:39]
.LBB63_563:                             ;   in Loop: Header=BB63_418 Depth=1
	s_or_b64 exec, exec, s[40:41]
	s_and_b64 s[38:39], s[38:39], exec
                                        ; implicit-def: $vgpr10
.LBB63_564:                             ;   in Loop: Header=BB63_418 Depth=1
	s_andn2_saveexec_b64 s[36:37], s[36:37]
	s_cbranch_execz .LBB63_566
; %bb.565:                              ;   in Loop: Header=BB63_418 Depth=1
	v_mul_f32_e64 v8, |v13|, s51
	v_cmp_lt_f32_e64 vcc, |v13|, s50
	v_cndmask_b32_e64 v8, |v13|, v8, vcc
	v_sqrt_f32_e32 v9, v8
	v_add_f32_e32 v10, 1.0, v10
	v_mul_f32_e32 v10, 0.5, v10
	s_or_b64 s[38:39], s[38:39], exec
	v_add_u32_e32 v11, -1, v9
	v_fma_f32 v21, -v11, v9, v8
	v_add_u32_e32 v20, 1, v9
	v_cmp_ge_f32_e64 s[4:5], 0, v21
	v_cndmask_b32_e64 v11, v9, v11, s[4:5]
	v_fma_f32 v9, -v20, v9, v8
	v_cmp_lt_f32_e64 s[4:5], 0, v9
	v_cndmask_b32_e64 v9, v11, v20, s[4:5]
	v_mul_f32_e32 v20, 0x4f800000, v10
	v_cmp_gt_f32_e64 s[4:5], s50, v10
	v_cndmask_b32_e64 v10, v10, v20, s[4:5]
	v_sqrt_f32_e32 v20, v10
	v_mul_f32_e32 v11, 0x37800000, v9
	v_cndmask_b32_e32 v9, v9, v11, vcc
	v_cmp_class_f32_e32 vcc, v8, v26
	v_cndmask_b32_e32 v8, v9, v8, vcc
	v_add_u32_e32 v9, -1, v20
	v_fma_f32 v11, -v9, v20, v10
	v_cmp_ge_f32_e32 vcc, 0, v11
	v_add_u32_e32 v11, 1, v20
	v_cndmask_b32_e32 v9, v20, v9, vcc
	v_fma_f32 v20, -v11, v20, v10
	v_cmp_lt_f32_e32 vcc, 0, v20
	v_cndmask_b32_e32 v9, v9, v11, vcc
	v_mul_f32_e32 v11, 0x37800000, v9
	v_cndmask_b32_e64 v9, v9, v11, s[4:5]
	v_cmp_class_f32_e32 vcc, v10, v26
	v_cndmask_b32_e32 v9, v9, v10, vcc
	v_mul_f32_e32 v22, v8, v9
	v_mov_b32_e32 v8, 1.0
.LBB63_566:                             ;   in Loop: Header=BB63_418 Depth=1
	s_or_b64 exec, exec, s[36:37]
	s_and_b64 s[4:5], s[38:39], exec
.LBB63_567:                             ;   in Loop: Header=BB63_418 Depth=1
	s_or_b64 exec, exec, s[34:35]
	s_and_b64 s[4:5], s[4:5], exec
                                        ; implicit-def: $vgpr10
.LBB63_568:                             ;   in Loop: Header=BB63_418 Depth=1
	s_andn2_saveexec_b64 s[30:31], s[30:31]
; %bb.569:                              ;   in Loop: Header=BB63_418 Depth=1
	v_mov_b32_e32 v11, v8
	v_pk_mul_f32 v[22:23], v[10:11], s[20:21] op_sel_hi:[1,0]
	s_or_b64 s[4:5], s[4:5], exec
	v_mov_b32_e32 v8, v23
                                        ; implicit-def: $vgpr17
; %bb.570:                              ;   in Loop: Header=BB63_418 Depth=1
	s_or_b64 exec, exec, s[30:31]
	s_xor_b64 s[4:5], s[4:5], -1
                                        ; implicit-def: $vgpr9
	s_and_saveexec_b64 s[30:31], s[4:5]
	s_xor_b64 s[4:5], exec, s[30:31]
	s_cbranch_execz .LBB63_572
; %bb.571:                              ;   in Loop: Header=BB63_418 Depth=1
	v_fma_f32 v8, |v17|, -0.5, 0.5
	v_mul_f32_e32 v9, v17, v17
	v_cmp_ge_f32_e64 vcc, |v17|, 0.5
	v_cndmask_b32_e32 v8, v9, v8, vcc
	v_mov_b32_e32 v9, 0x3c5fc5da
	v_fmac_f32_e32 v9, 0x3d1c21a7, v8
	v_fma_f32 v9, v8, v9, v28
	v_fma_f32 v9, v8, v9, v29
	v_sqrt_f32_e32 v10, v8
	v_fma_f32 v9, v8, v9, v30
	v_fma_f32 v9, v8, v9, v31
	v_mul_f32_e32 v8, v8, v9
	v_fmac_f32_e32 v10, v10, v8
	v_add_f32_e32 v9, v10, v10
	v_sub_f32_e32 v9, 0x3fc90fdb, v9
	v_fma_f32 v8, |v17|, v8, |v17|
	v_cmp_lt_f32_e64 vcc, |v17|, 0.5
	v_cndmask_b32_e32 v8, v9, v8, vcc
	v_bfi_b32 v9, s47, v8, v17
                                        ; implicit-def: $vgpr8
                                        ; implicit-def: $vgpr22
.LBB63_572:                             ;   in Loop: Header=BB63_418 Depth=1
	s_andn2_saveexec_b64 s[30:31], s[4:5]
	s_cbranch_execz .LBB63_574
; %bb.573:                              ;   in Loop: Header=BB63_418 Depth=1
	v_max_f32_e32 v9, v8, v8
	v_max_f32_e64 v10, |v22|, |v22|
	v_min_f32_e32 v11, v10, v9
	v_max_f32_e32 v9, v10, v9
	v_frexp_mant_f32_e32 v10, v9
	v_rcp_f32_e32 v10, v10
	v_frexp_exp_i32_f32_e32 v9, v9
	v_frexp_exp_i32_f32_e32 v17, v11
	v_frexp_mant_f32_e32 v11, v11
	v_mul_f32_e32 v10, v11, v10
	v_sub_u32_e32 v9, v17, v9
	v_ldexp_f32 v9, v10, v9
	v_mul_f32_e32 v10, v9, v9
	v_mov_b32_e32 v11, 0xbc7a590c
	v_fmac_f32_e32 v11, 0x3b2d2a58, v10
	v_fma_f32 v11, v10, v11, v32
	v_fma_f32 v11, v10, v11, v33
	;; [unrolled: 1-line block ×6, first 2 shown]
	v_mul_f32_e32 v10, v10, v11
	v_fmac_f32_e32 v9, v9, v10
	v_sub_f32_e32 v10, 0x3fc90fdb, v9
	v_cmp_gt_f32_e64 vcc, v8, |v22|
	v_cndmask_b32_e32 v9, v9, v10, vcc
	v_sub_f32_e32 v10, 0x40490fdb, v9
	v_cmp_gt_f32_e32 vcc, 0, v22
	v_cmp_gt_i32_e64 s[4:5], 0, v22
	v_cndmask_b32_e32 v9, v9, v10, vcc
	v_cndmask_b32_e64 v10, 0, v43, s[4:5]
	v_cmp_eq_f32_e64 s[4:5], 0, v8
	v_cndmask_b32_e64 v9, v9, v10, s[4:5]
	v_cndmask_b32_e32 v10, v44, v45, vcc
	v_cmp_class_f32_e64 s[4:5], v22, s62
	v_cmp_eq_f32_e32 vcc, s48, v8
	s_and_b64 vcc, vcc, s[4:5]
	v_cndmask_b32_e32 v9, v9, v10, vcc
	v_cmp_o_f32_e32 vcc, v22, v8
	v_cndmask_b32_e64 v9, v41, |v9|, vcc
.LBB63_574:                             ;   in Loop: Header=BB63_418 Depth=1
	s_or_b64 exec, exec, s[30:31]
	v_bfi_b32 v12, s47, v9, v12
	v_bfi_b32 v13, s47, v15, v13
.LBB63_575:                             ;   in Loop: Header=BB63_418 Depth=1
	s_or_b64 exec, exec, s[28:29]
.LBB63_576:                             ;   in Loop: Header=BB63_418 Depth=1
	s_or_b64 exec, exec, s[26:27]
	s_waitcnt lgkmcnt(0)
	v_mov_b32_e32 v9, v13
	v_mov_b32_e32 v8, v12
                                        ; implicit-def: $vgpr10_vgpr11_vgpr12_vgpr13
                                        ; implicit-def: $vgpr10
                                        ; implicit-def: $vgpr15
                                        ; implicit-def: $vgpr11
.LBB63_577:                             ;   in Loop: Header=BB63_418 Depth=1
	s_andn2_saveexec_b64 s[26:27], s[6:7]
	s_cbranch_execz .LBB63_599
; %bb.578:                              ;   in Loop: Header=BB63_418 Depth=1
	v_cmp_lt_i32_e32 vcc, -1, v13
                                        ; implicit-def: $vgpr8
                                        ; implicit-def: $vgpr9
	s_and_saveexec_b64 s[4:5], vcc
	s_xor_b64 s[28:29], exec, s[4:5]
	s_cbranch_execz .LBB63_588
; %bb.579:                              ;   in Loop: Header=BB63_418 Depth=1
	v_cmp_lt_f32_e64 s[4:5], |v13|, |v12|
	v_cndmask_b32_e64 v17, |v13|, |v12|, s[4:5]
	v_cmp_nlt_f32_e32 vcc, s63, v17
                                        ; implicit-def: $vgpr8
                                        ; implicit-def: $vgpr9
	s_and_saveexec_b64 s[6:7], vcc
	s_xor_b64 s[30:31], exec, s[6:7]
	s_cbranch_execz .LBB63_585
; %bb.580:                              ;   in Loop: Header=BB63_418 Depth=1
	v_cndmask_b32_e64 v20, |v12|, |v13|, s[4:5]
	v_cmp_nlt_f32_e32 vcc, s64, v17
	v_cmp_ngt_f32_e64 s[6:7], s65, v20
	s_and_b64 s[6:7], vcc, s[6:7]
                                        ; implicit-def: $vgpr8
                                        ; implicit-def: $vgpr9
	s_and_saveexec_b64 s[34:35], s[6:7]
	s_xor_b64 s[6:7], exec, s[34:35]
	s_cbranch_execz .LBB63_582
; %bb.581:                              ;   in Loop: Header=BB63_418 Depth=1
	v_mul_f32_e32 v8, v20, v20
	v_fmac_f32_e32 v8, v17, v17
	v_cmp_gt_f32_e32 vcc, s52, v8
	s_waitcnt lgkmcnt(0)
	v_cndmask_b32_e32 v9, 1.0, v39, vcc
	v_mul_f32_e32 v8, v8, v9
	v_log_f32_e32 v8, v8
	v_cndmask_b32_e32 v9, 0, v40, vcc
	v_mul_f32_e32 v17, 0x3f317217, v8
	v_fma_f32 v20, v8, s53, -v17
	v_fmac_f32_e32 v20, 0x3377d1cf, v8
	v_add_f32_e32 v17, v17, v20
	v_cmp_lt_f32_e64 vcc, |v8|, s48
	v_cndmask_b32_e32 v8, v8, v17, vcc
	v_sub_f32_e32 v8, v8, v9
	v_min_f32_e32 v9, v10, v15
	v_frexp_mant_f32_e32 v10, v11
	v_rcp_f32_e32 v10, v10
	v_frexp_exp_i32_f32_e32 v11, v11
	v_frexp_exp_i32_f32_e32 v15, v9
	v_frexp_mant_f32_e32 v9, v9
	v_mul_f32_e32 v9, v9, v10
	v_sub_u32_e32 v10, v15, v11
	v_ldexp_f32 v9, v9, v10
	v_mul_f32_e32 v10, v9, v9
	v_mov_b32_e32 v11, 0xbc7a590c
	v_fmac_f32_e32 v11, 0x3b2d2a58, v10
	v_fma_f32 v11, v10, v11, v32
	v_fma_f32 v11, v10, v11, v33
	;; [unrolled: 1-line block ×6, first 2 shown]
	v_mul_f32_e32 v10, v10, v11
	v_mul_f32_e32 v8, 0.5, v8
	v_fmac_f32_e32 v9, v9, v10
                                        ; implicit-def: $vgpr11
                                        ; implicit-def: $vgpr10
                                        ; implicit-def: $vgpr15
.LBB63_582:                             ;   in Loop: Header=BB63_418 Depth=1
	s_andn2_saveexec_b64 s[6:7], s[6:7]
	s_cbranch_execz .LBB63_584
; %bb.583:                              ;   in Loop: Header=BB63_418 Depth=1
	s_waitcnt lgkmcnt(0)
	v_cvt_f64_f32_e32 v[8:9], v11
	v_frexp_exp_i32_f64_e32 v8, v[8:9]
	v_sub_u32_e32 v9, 0, v8
	v_ldexp_f32 v17, |v13|, v9
	v_ldexp_f32 v9, |v12|, v9
	v_mul_f32_e32 v9, v9, v9
	v_fmac_f32_e32 v9, v17, v17
	v_sqrt_f32_e32 v9, v9
	v_cmp_neq_f32_e32 vcc, s48, v11
	v_ldexp_f32 v8, v9, v8
	v_cndmask_b32_e32 v8, v38, v8, vcc
	v_cmp_gt_f32_e32 vcc, s52, v8
	v_cndmask_b32_e32 v9, 1.0, v39, vcc
	v_mul_f32_e32 v8, v8, v9
	v_log_f32_e32 v8, v8
	v_min_f32_e32 v9, v10, v15
	v_cndmask_b32_e32 v10, 0, v40, vcc
	v_mul_f32_e32 v15, 0x3f317217, v8
	v_fma_f32 v17, v8, s53, -v15
	v_fmac_f32_e32 v17, 0x3377d1cf, v8
	v_add_f32_e32 v15, v15, v17
	v_cmp_lt_f32_e64 vcc, |v8|, s48
	v_cndmask_b32_e32 v8, v8, v15, vcc
	v_sub_f32_e32 v8, v8, v10
	v_frexp_mant_f32_e32 v10, v11
	v_rcp_f32_e32 v10, v10
	v_frexp_exp_i32_f32_e32 v11, v11
	v_frexp_exp_i32_f32_e32 v15, v9
	v_frexp_mant_f32_e32 v9, v9
	v_mul_f32_e32 v9, v9, v10
	v_sub_u32_e32 v10, v15, v11
	v_ldexp_f32 v9, v9, v10
	v_mul_f32_e32 v10, v9, v9
	v_mov_b32_e32 v11, 0xbc7a590c
	v_fmac_f32_e32 v11, 0x3b2d2a58, v10
	v_fma_f32 v11, v10, v11, v32
	v_fma_f32 v11, v10, v11, v33
	v_fma_f32 v11, v10, v11, v34
	v_fma_f32 v11, v10, v11, v35
	v_fma_f32 v11, v10, v11, v36
	v_fma_f32 v11, v10, v11, v37
	v_mul_f32_e32 v10, v10, v11
	v_fmac_f32_e32 v9, v9, v10
.LBB63_584:                             ;   in Loop: Header=BB63_418 Depth=1
	s_or_b64 exec, exec, s[6:7]
                                        ; implicit-def: $vgpr10
                                        ; implicit-def: $vgpr15
                                        ; implicit-def: $vgpr11
.LBB63_585:                             ;   in Loop: Header=BB63_418 Depth=1
	s_andn2_saveexec_b64 s[30:31], s[30:31]
	s_cbranch_execz .LBB63_587
; %bb.586:                              ;   in Loop: Header=BB63_418 Depth=1
	v_div_scale_f32 v8, s[6:7], s66, s66, v13
	s_waitcnt lgkmcnt(0)
	v_rcp_f32_e32 v9, v8
	v_div_scale_f32 v17, vcc, v13, s66, v13
	v_fma_f32 v20, -v8, v9, 1.0
	v_fmac_f32_e32 v9, v20, v9
	v_mul_f32_e32 v20, v17, v9
	v_fma_f32 v21, -v8, v20, v17
	v_fmac_f32_e32 v20, v21, v9
	v_fma_f32 v8, -v8, v20, v17
	v_div_scale_f32 v17, s[6:7], s66, s66, v12
	v_rcp_f32_e32 v21, v17
	v_div_fmas_f32 v8, v8, v9, v20
	v_div_fixup_f32 v20, v8, s66, v13
	v_fma_f32 v8, -v17, v21, 1.0
	v_fmac_f32_e32 v21, v8, v21
	v_div_scale_f32 v8, vcc, v12, s66, v12
	v_mul_f32_e32 v9, v8, v21
	v_fma_f32 v22, -v17, v9, v8
	v_fmac_f32_e32 v9, v22, v21
	v_fma_f32 v8, -v17, v9, v8
	v_div_fmas_f32 v8, v8, v21, v9
	v_div_fixup_f32 v17, v8, s66, v12
	v_max_f32_e64 v21, |v20|, |v17|
	v_cvt_f64_f32_e32 v[8:9], v21
	v_frexp_exp_i32_f64_e32 v8, v[8:9]
	v_sub_u32_e32 v9, 0, v8
	v_ldexp_f32 v20, |v20|, v9
	v_ldexp_f32 v9, |v17|, v9
	v_mul_f32_e32 v9, v9, v9
	v_fmac_f32_e32 v9, v20, v20
	v_sqrt_f32_e32 v9, v9
	v_cmp_neq_f32_e32 vcc, s48, v21
	v_ldexp_f32 v8, v9, v8
	v_cndmask_b32_e32 v8, v38, v8, vcc
	v_cmp_gt_f32_e32 vcc, s52, v8
	v_cndmask_b32_e32 v9, 1.0, v39, vcc
	v_mul_f32_e32 v8, v8, v9
	v_log_f32_e32 v8, v8
	v_mul_f32_e32 v9, 0x3f317217, v8
	v_fma_f32 v17, v8, s53, -v9
	v_fmac_f32_e32 v17, 0x3377d1cf, v8
	v_add_f32_e32 v9, v9, v17
	v_cmp_lt_f32_e64 s[6:7], |v8|, s48
	v_cndmask_b32_e64 v8, v8, v9, s[6:7]
	v_cndmask_b32_e32 v9, 0, v40, vcc
	v_sub_f32_e32 v8, v8, v9
	v_min_f32_e32 v9, v10, v15
	v_frexp_mant_f32_e32 v10, v11
	v_rcp_f32_e32 v10, v10
	v_frexp_exp_i32_f32_e32 v11, v11
	v_frexp_exp_i32_f32_e32 v15, v9
	v_frexp_mant_f32_e32 v9, v9
	v_mul_f32_e32 v9, v9, v10
	v_sub_u32_e32 v10, v15, v11
	v_ldexp_f32 v9, v9, v10
	v_mul_f32_e32 v10, v9, v9
	v_mov_b32_e32 v11, 0xbc7a590c
	v_fmac_f32_e32 v11, 0x3b2d2a58, v10
	v_fma_f32 v11, v10, v11, v32
	v_fma_f32 v11, v10, v11, v33
	;; [unrolled: 1-line block ×6, first 2 shown]
	v_mul_f32_e32 v10, v10, v11
	v_add_f32_e32 v8, 1.0, v8
	v_fmac_f32_e32 v9, v9, v10
.LBB63_587:                             ;   in Loop: Header=BB63_418 Depth=1
	s_or_b64 exec, exec, s[30:31]
	s_waitcnt lgkmcnt(0)
	v_sub_f32_e32 v10, 0x3fc90fdb, v9
	v_cndmask_b32_e64 v9, v9, v10, s[4:5]
                                        ; implicit-def: $vgpr10
                                        ; implicit-def: $vgpr15
                                        ; implicit-def: $vgpr11
.LBB63_588:                             ;   in Loop: Header=BB63_418 Depth=1
	s_andn2_saveexec_b64 s[28:29], s[28:29]
	s_cbranch_execz .LBB63_598
; %bb.589:                              ;   in Loop: Header=BB63_418 Depth=1
	v_cmp_lt_f32_e64 s[4:5], |v13|, |v12|
	v_cndmask_b32_e64 v17, |v13|, |v12|, s[4:5]
	v_cmp_nlt_f32_e32 vcc, s63, v17
                                        ; implicit-def: $vgpr8
                                        ; implicit-def: $vgpr9
	s_and_saveexec_b64 s[6:7], vcc
	s_xor_b64 s[30:31], exec, s[6:7]
	s_cbranch_execz .LBB63_595
; %bb.590:                              ;   in Loop: Header=BB63_418 Depth=1
	v_cndmask_b32_e64 v20, |v12|, |v13|, s[4:5]
	v_cmp_nlt_f32_e32 vcc, s64, v17
	v_cmp_ngt_f32_e64 s[6:7], s65, v20
	s_and_b64 s[6:7], vcc, s[6:7]
                                        ; implicit-def: $vgpr8
                                        ; implicit-def: $vgpr9
	s_and_saveexec_b64 s[34:35], s[6:7]
	s_xor_b64 s[6:7], exec, s[34:35]
	s_cbranch_execz .LBB63_592
; %bb.591:                              ;   in Loop: Header=BB63_418 Depth=1
	v_mul_f32_e32 v8, v20, v20
	v_fmac_f32_e32 v8, v17, v17
	v_cmp_gt_f32_e32 vcc, s52, v8
	s_waitcnt lgkmcnt(0)
	v_cndmask_b32_e32 v9, 1.0, v39, vcc
	v_mul_f32_e32 v8, v8, v9
	v_log_f32_e32 v8, v8
	v_cndmask_b32_e32 v9, 0, v40, vcc
	v_mul_f32_e32 v17, 0x3f317217, v8
	v_fma_f32 v20, v8, s53, -v17
	v_fmac_f32_e32 v20, 0x3377d1cf, v8
	v_add_f32_e32 v17, v17, v20
	v_cmp_lt_f32_e64 vcc, |v8|, s48
	v_cndmask_b32_e32 v8, v8, v17, vcc
	v_sub_f32_e32 v8, v8, v9
	v_min_f32_e32 v9, v10, v15
	v_frexp_mant_f32_e32 v10, v11
	v_rcp_f32_e32 v10, v10
	v_frexp_exp_i32_f32_e32 v11, v11
	v_frexp_exp_i32_f32_e32 v15, v9
	v_frexp_mant_f32_e32 v9, v9
	v_mul_f32_e32 v9, v9, v10
	v_sub_u32_e32 v10, v15, v11
	v_ldexp_f32 v9, v9, v10
	v_mul_f32_e32 v10, v9, v9
	v_mov_b32_e32 v11, 0xbc7a590c
	v_fmac_f32_e32 v11, 0x3b2d2a58, v10
	v_fma_f32 v11, v10, v11, v32
	v_fma_f32 v11, v10, v11, v33
	;; [unrolled: 1-line block ×6, first 2 shown]
	v_mul_f32_e32 v10, v10, v11
	v_mul_f32_e32 v8, 0.5, v8
	v_fmac_f32_e32 v9, v9, v10
                                        ; implicit-def: $vgpr11
                                        ; implicit-def: $vgpr10
                                        ; implicit-def: $vgpr15
.LBB63_592:                             ;   in Loop: Header=BB63_418 Depth=1
	s_andn2_saveexec_b64 s[6:7], s[6:7]
	s_cbranch_execz .LBB63_594
; %bb.593:                              ;   in Loop: Header=BB63_418 Depth=1
	s_waitcnt lgkmcnt(0)
	v_cvt_f64_f32_e32 v[8:9], v11
	v_frexp_exp_i32_f64_e32 v8, v[8:9]
	v_sub_u32_e32 v9, 0, v8
	v_ldexp_f32 v17, |v13|, v9
	v_ldexp_f32 v9, |v12|, v9
	v_mul_f32_e32 v9, v9, v9
	v_fmac_f32_e32 v9, v17, v17
	v_sqrt_f32_e32 v9, v9
	v_cmp_neq_f32_e32 vcc, s48, v11
	v_ldexp_f32 v8, v9, v8
	v_cndmask_b32_e32 v8, v38, v8, vcc
	v_cmp_gt_f32_e32 vcc, s52, v8
	v_cndmask_b32_e32 v9, 1.0, v39, vcc
	v_mul_f32_e32 v8, v8, v9
	v_log_f32_e32 v8, v8
	v_min_f32_e32 v9, v10, v15
	v_cndmask_b32_e32 v10, 0, v40, vcc
	v_mul_f32_e32 v15, 0x3f317217, v8
	v_fma_f32 v17, v8, s53, -v15
	v_fmac_f32_e32 v17, 0x3377d1cf, v8
	v_add_f32_e32 v15, v15, v17
	v_cmp_lt_f32_e64 vcc, |v8|, s48
	v_cndmask_b32_e32 v8, v8, v15, vcc
	v_sub_f32_e32 v8, v8, v10
	v_frexp_mant_f32_e32 v10, v11
	v_rcp_f32_e32 v10, v10
	v_frexp_exp_i32_f32_e32 v11, v11
	v_frexp_exp_i32_f32_e32 v15, v9
	v_frexp_mant_f32_e32 v9, v9
	v_mul_f32_e32 v9, v9, v10
	v_sub_u32_e32 v10, v15, v11
	v_ldexp_f32 v9, v9, v10
	v_mul_f32_e32 v10, v9, v9
	v_mov_b32_e32 v11, 0xbc7a590c
	v_fmac_f32_e32 v11, 0x3b2d2a58, v10
	v_fma_f32 v11, v10, v11, v32
	v_fma_f32 v11, v10, v11, v33
	;; [unrolled: 1-line block ×6, first 2 shown]
	v_mul_f32_e32 v10, v10, v11
	v_fmac_f32_e32 v9, v9, v10
.LBB63_594:                             ;   in Loop: Header=BB63_418 Depth=1
	s_or_b64 exec, exec, s[6:7]
                                        ; implicit-def: $vgpr10
                                        ; implicit-def: $vgpr15
                                        ; implicit-def: $vgpr11
.LBB63_595:                             ;   in Loop: Header=BB63_418 Depth=1
	s_andn2_saveexec_b64 s[30:31], s[30:31]
	s_cbranch_execz .LBB63_597
; %bb.596:                              ;   in Loop: Header=BB63_418 Depth=1
	v_div_scale_f32 v8, s[6:7], s67, s67, v13
	s_waitcnt lgkmcnt(0)
	v_rcp_f32_e32 v9, v8
	v_div_scale_f32 v17, vcc, v13, s67, v13
	v_fma_f32 v20, -v8, v9, 1.0
	v_fmac_f32_e32 v9, v20, v9
	v_mul_f32_e32 v20, v17, v9
	v_fma_f32 v21, -v8, v20, v17
	v_fmac_f32_e32 v20, v21, v9
	v_fma_f32 v8, -v8, v20, v17
	v_div_scale_f32 v17, s[6:7], s67, s67, v12
	v_rcp_f32_e32 v21, v17
	v_div_fmas_f32 v8, v8, v9, v20
	v_div_fixup_f32 v20, v8, s67, v13
	v_fma_f32 v8, -v17, v21, 1.0
	v_fmac_f32_e32 v21, v8, v21
	v_div_scale_f32 v8, vcc, v12, s67, v12
	v_mul_f32_e32 v9, v8, v21
	v_fma_f32 v22, -v17, v9, v8
	v_fmac_f32_e32 v9, v22, v21
	v_fma_f32 v8, -v17, v9, v8
	v_div_fmas_f32 v8, v8, v21, v9
	v_div_fixup_f32 v17, v8, s67, v12
	v_max_f32_e64 v21, |v20|, |v17|
	v_cvt_f64_f32_e32 v[8:9], v21
	v_frexp_exp_i32_f64_e32 v8, v[8:9]
	v_sub_u32_e32 v9, 0, v8
	v_ldexp_f32 v20, |v20|, v9
	v_ldexp_f32 v9, |v17|, v9
	v_mul_f32_e32 v9, v9, v9
	v_fmac_f32_e32 v9, v20, v20
	v_sqrt_f32_e32 v9, v9
	v_cmp_neq_f32_e32 vcc, s48, v21
	v_ldexp_f32 v8, v9, v8
	v_cndmask_b32_e32 v8, v38, v8, vcc
	v_cmp_gt_f32_e32 vcc, s52, v8
	v_cndmask_b32_e32 v9, 1.0, v39, vcc
	v_mul_f32_e32 v8, v8, v9
	v_log_f32_e32 v8, v8
	v_mul_f32_e32 v9, 0x3f317217, v8
	v_fma_f32 v17, v8, s53, -v9
	v_fmac_f32_e32 v17, 0x3377d1cf, v8
	v_add_f32_e32 v9, v9, v17
	v_cmp_lt_f32_e64 s[6:7], |v8|, s48
	v_cndmask_b32_e64 v8, v8, v9, s[6:7]
	v_cndmask_b32_e32 v9, 0, v40, vcc
	v_sub_f32_e32 v8, v8, v9
	v_min_f32_e32 v9, v10, v15
	v_frexp_mant_f32_e32 v10, v11
	v_rcp_f32_e32 v10, v10
	v_frexp_exp_i32_f32_e32 v11, v11
	v_frexp_exp_i32_f32_e32 v15, v9
	v_frexp_mant_f32_e32 v9, v9
	v_mul_f32_e32 v9, v9, v10
	v_sub_u32_e32 v10, v15, v11
	v_ldexp_f32 v9, v9, v10
	v_mul_f32_e32 v10, v9, v9
	v_mov_b32_e32 v11, 0xbc7a590c
	v_fmac_f32_e32 v11, 0x3b2d2a58, v10
	v_fma_f32 v11, v10, v11, v32
	v_fma_f32 v11, v10, v11, v33
	;; [unrolled: 1-line block ×6, first 2 shown]
	v_mul_f32_e32 v10, v10, v11
	v_add_f32_e32 v8, 1.0, v8
	v_fmac_f32_e32 v9, v9, v10
.LBB63_597:                             ;   in Loop: Header=BB63_418 Depth=1
	s_or_b64 exec, exec, s[30:31]
	s_waitcnt lgkmcnt(0)
	v_sub_f32_e32 v10, 0x3fc90fdb, v9
	v_cndmask_b32_e64 v9, v9, v10, s[4:5]
.LBB63_598:                             ;   in Loop: Header=BB63_418 Depth=1
	s_or_b64 exec, exec, s[28:29]
	v_cmp_neq_f32_e32 vcc, 0, v12
	v_cmp_class_f32_e64 s[4:5], v13, s62
	v_cmp_class_f32_e64 s[6:7], v12, s62
	s_waitcnt lgkmcnt(0)
	v_cndmask_b32_e32 v9, 0, v9, vcc
	s_and_b64 vcc, s[6:7], s[4:5]
	v_cndmask_b32_e32 v9, v9, v44, vcc
	v_cmp_o_f32_e32 vcc, v12, v13
	v_cndmask_b32_e32 v9, v41, v9, vcc
	v_add_f32_e32 v10, 0x3f317218, v8
	v_bfi_b32 v8, s47, v9, v12
	v_bfi_b32 v9, s47, v10, v13
.LBB63_599:                             ;   in Loop: Header=BB63_418 Depth=1
	s_or_b64 exec, exec, s[26:27]
                                        ; implicit-def: $vgpr12_vgpr13
.LBB63_600:                             ;   in Loop: Header=BB63_418 Depth=1
	s_andn2_saveexec_b64 s[4:5], s[24:25]
	s_cbranch_execz .LBB63_614
; %bb.601:                              ;   in Loop: Header=BB63_418 Depth=1
	v_cmp_neq_f32_e64 s[6:7], |v13|, s48
	s_and_saveexec_b64 s[24:25], s[6:7]
	s_xor_b64 s[6:7], exec, s[24:25]
	s_cbranch_execz .LBB63_611
; %bb.602:                              ;   in Loop: Header=BB63_418 Depth=1
	v_cmp_neq_f32_e64 s[24:25], |v12|, s48
	s_and_saveexec_b64 s[26:27], s[24:25]
	s_xor_b64 s[24:25], exec, s[26:27]
	s_cbranch_execz .LBB63_608
; %bb.603:                              ;   in Loop: Header=BB63_418 Depth=1
	v_cmp_neq_f32_e32 vcc, 0, v12
	s_and_saveexec_b64 s[26:27], vcc
	s_xor_b64 s[26:27], exec, s[26:27]
	s_cbranch_execz .LBB63_605
; %bb.604:                              ;   in Loop: Header=BB63_418 Depth=1
	v_add_f32_e32 v8, 0, v13
	s_waitcnt lgkmcnt(0)
	v_add_f32_e32 v9, v12, v8
                                        ; implicit-def: $vgpr12_vgpr13
.LBB63_605:                             ;   in Loop: Header=BB63_418 Depth=1
	s_or_saveexec_b64 s[26:27], s[26:27]
	s_waitcnt lgkmcnt(0)
	v_mov_b32_e32 v8, v9
	s_xor_b64 exec, exec, s[26:27]
; %bb.606:                              ;   in Loop: Header=BB63_418 Depth=1
	v_pk_add_f32 v[8:9], v[12:13], v[12:13]
	v_mov_b32_e32 v8, v12
; %bb.607:                              ;   in Loop: Header=BB63_418 Depth=1
	s_or_b64 exec, exec, s[26:27]
                                        ; implicit-def: $vgpr12_vgpr13
.LBB63_608:                             ;   in Loop: Header=BB63_418 Depth=1
	s_andn2_saveexec_b64 s[24:25], s[24:25]
	s_cbranch_execz .LBB63_610
; %bb.609:                              ;   in Loop: Header=BB63_418 Depth=1
	v_add_f32_e32 v8, v13, v13
	s_waitcnt lgkmcnt(0)
	v_mov_b32_e32 v9, v12
.LBB63_610:                             ;   in Loop: Header=BB63_418 Depth=1
	s_or_b64 exec, exec, s[24:25]
                                        ; implicit-def: $vgpr12_vgpr13
.LBB63_611:                             ;   in Loop: Header=BB63_418 Depth=1
	s_andn2_saveexec_b64 s[6:7], s[6:7]
	s_cbranch_execz .LBB63_613
; %bb.612:                              ;   in Loop: Header=BB63_418 Depth=1
	v_add_f32_e32 v8, v12, v12
	s_waitcnt lgkmcnt(0)
	v_mov_b32_e32 v9, v13
.LBB63_613:                             ;   in Loop: Header=BB63_418 Depth=1
	s_or_b64 exec, exec, s[6:7]
.LBB63_614:                             ;   in Loop: Header=BB63_418 Depth=1
	s_or_b64 exec, exec, s[4:5]
	v_cmp_o_f32_e32 vcc, v3, v3
	v_cmp_o_f32_e64 s[4:5], v2, v2
	s_and_b64 s[4:5], vcc, s[4:5]
                                        ; implicit-def: $vgpr11
	s_and_saveexec_b64 s[6:7], s[4:5]
	s_xor_b64 s[24:25], exec, s[6:7]
	s_cbranch_execz .LBB63_698
; %bb.615:                              ;   in Loop: Header=BB63_418 Depth=1
	v_max_f32_e64 v12, |v3|, |v3|
	v_max_f32_e64 v15, |v2|, |v2|
	v_max_f32_e32 v13, v15, v12
	v_cmp_nlt_f32_e32 vcc, s21, v13
                                        ; implicit-def: $vgpr11
	s_and_saveexec_b64 s[4:5], vcc
	s_xor_b64 s[6:7], exec, s[4:5]
	s_cbranch_execz .LBB63_675
; %bb.616:                              ;   in Loop: Header=BB63_418 Depth=1
	v_cmp_neq_f32_e32 vcc, 0, v3
	v_cmp_neq_f32_e64 s[4:5], 0, v2
	s_or_b64 s[4:5], vcc, s[4:5]
	v_mov_b32_e32 v11, v3
	v_mov_b32_e32 v10, v2
	s_and_saveexec_b64 s[26:27], s[4:5]
	s_cbranch_execz .LBB63_674
; %bb.617:                              ;   in Loop: Header=BB63_418 Depth=1
	v_pk_mov_b32 v[10:11], s[10:11], s[10:11] op_sel:[0,1]
	flat_store_dword v[10:11], v25
	s_waitcnt vmcnt(0)
	flat_load_dword v10, v[10:11] glc
	s_waitcnt vmcnt(0)
	v_cmp_nlt_f32_e64 s[4:5], |v3|, s46
	v_cmp_nlt_f32_e64 s[28:29], |v2|, s46
	s_or_b64 s[4:5], s[28:29], s[4:5]
	s_waitcnt lgkmcnt(0)
	v_add_f32_e32 v13, 1.0, v10
	v_pk_mov_b32 v[10:11], s[12:13], s[12:13] op_sel:[0,1]
	flat_store_dword v[10:11], v13
	s_waitcnt vmcnt(0)
	flat_load_dword v10, v[10:11] glc
	s_waitcnt vmcnt(0)
	v_mov_b32_e32 v11, v3
	s_waitcnt lgkmcnt(0)
	v_mov_b32_e32 v10, v2
	s_and_saveexec_b64 s[28:29], s[4:5]
	s_cbranch_execz .LBB63_673
; %bb.618:                              ;   in Loop: Header=BB63_418 Depth=1
	v_and_b32_e32 v10, 0x7fffffff, v2
	v_pk_add_f32 v[20:21], v[10:11], s[16:17] op_sel_hi:[0,1]
	v_max_f32_e64 v15, v12, |v20|
	v_max_f32_e64 v11, v12, |v21|
	v_cvt_f64_f32_e32 v[12:13], v15
	v_frexp_exp_i32_f64_e32 v17, v[12:13]
	v_sub_u32_e32 v12, 0, v17
	v_ldexp_f32 v13, |v3|, v12
	v_ldexp_f32 v12, |v20|, v12
	v_mul_f32_e32 v12, v12, v12
	v_fmac_f32_e32 v12, v13, v13
	v_sqrt_f32_e32 v22, v12
	v_cvt_f64_f32_e32 v[12:13], v11
	v_frexp_exp_i32_f64_e32 v12, v[12:13]
	v_sub_u32_e32 v13, 0, v12
	v_ldexp_f32 v23, |v3|, v13
	v_ldexp_f32 v13, |v21|, v13
	v_mul_f32_e32 v13, v13, v13
	v_fmac_f32_e32 v13, v23, v23
	v_sqrt_f32_e32 v13, v13
	v_cmp_neq_f32_e32 vcc, s48, v11
	v_ldexp_f32 v17, v22, v17
	v_ldexp_f32 v12, v13, v12
	v_cndmask_b32_e32 v11, v38, v12, vcc
	v_cmp_neq_f32_e32 vcc, s48, v15
	v_cndmask_b32_e32 v46, v38, v17, vcc
	v_add_f32_e32 v12, v46, v11
	v_mul_f32_e32 v12, 0.5, v12
	v_cmp_ngt_f32_e32 vcc, 1.0, v12
	v_cndmask_b32_e32 v12, 1.0, v12, vcc
	v_cmp_ngt_f32_e32 vcc, s49, v12
                                        ; implicit-def: $vgpr15
	s_and_saveexec_b64 s[4:5], vcc
	s_xor_b64 s[30:31], exec, s[4:5]
	s_cbranch_execz .LBB63_620
; %bb.619:                              ;   in Loop: Header=BB63_418 Depth=1
	v_fma_f32 v13, v12, v12, -1.0
	v_mul_f32_e32 v15, 0x4f800000, v13
	v_cmp_gt_f32_e32 vcc, s50, v13
	v_cndmask_b32_e32 v13, v13, v15, vcc
	v_sqrt_f32_e32 v15, v13
	v_add_u32_e32 v17, -1, v15
	v_fma_f32 v23, -v17, v15, v13
	v_add_u32_e32 v22, 1, v15
	v_cmp_ge_f32_e64 s[4:5], 0, v23
	v_cndmask_b32_e64 v17, v15, v17, s[4:5]
	v_fma_f32 v15, -v22, v15, v13
	v_cmp_lt_f32_e64 s[4:5], 0, v15
	v_cndmask_b32_e64 v15, v17, v22, s[4:5]
	v_mul_f32_e32 v17, 0x37800000, v15
	v_cndmask_b32_e32 v15, v15, v17, vcc
	v_cmp_class_f32_e32 vcc, v13, v26
	v_cndmask_b32_e32 v13, v15, v13, vcc
	v_add_f32_e32 v13, v12, v13
	v_cmp_gt_f32_e32 vcc, s52, v13
	v_cndmask_b32_e32 v15, 1.0, v39, vcc
	v_mul_f32_e32 v13, v13, v15
	v_log_f32_e32 v13, v13
	v_mul_f32_e32 v15, 0x3f317217, v13
	v_fma_f32 v17, v13, s53, -v15
	v_fmac_f32_e32 v17, 0x3377d1cf, v13
	v_add_f32_e32 v15, v15, v17
	v_cmp_lt_f32_e64 s[4:5], |v13|, s48
	v_cndmask_b32_e64 v13, v13, v15, s[4:5]
	v_cndmask_b32_e32 v15, 0, v40, vcc
	v_sub_f32_e32 v15, v13, v15
.LBB63_620:                             ;   in Loop: Header=BB63_418 Depth=1
	s_or_saveexec_b64 s[30:31], s[30:31]
	v_and_b32_e32 v23, 0x7fffffff, v3
	v_and_b32_e32 v47, 0x7fffffff, v21
	s_xor_b64 exec, exec, s[30:31]
	s_cbranch_execz .LBB63_642
; %bb.621:                              ;   in Loop: Header=BB63_418 Depth=1
	v_cmp_neq_f32_e64 s[4:5], |v2|, 1.0
	v_cmp_nlt_f32_e64 s[34:35], |v3|, s54
	s_or_b64 s[4:5], s[4:5], s[34:35]
                                        ; implicit-def: $vgpr15
	s_and_saveexec_b64 s[34:35], s[4:5]
	s_xor_b64 s[34:35], exec, s[34:35]
	s_cbranch_execz .LBB63_639
; %bb.622:                              ;   in Loop: Header=BB63_418 Depth=1
	v_mul_f32_e32 v13, 0x34000000, v47
	v_cmp_le_f32_e64 s[4:5], v13, |v3|
                                        ; implicit-def: $vgpr15
	s_and_saveexec_b64 s[36:37], s[4:5]
	s_xor_b64 s[36:37], exec, s[36:37]
	s_cbranch_execz .LBB63_632
; %bb.623:                              ;   in Loop: Header=BB63_418 Depth=1
	v_cmp_neq_f32_e32 vcc, 0, v20
	v_mov_b32_e32 v13, v23
	s_and_saveexec_b64 s[4:5], vcc
	s_cbranch_execz .LBB63_625
; %bb.624:                              ;   in Loop: Header=BB63_418 Depth=1
	v_mul_f32_e32 v13, v3, v3
	v_add_f32_e32 v15, v20, v46
	v_div_scale_f32 v17, s[38:39], v15, v15, v13
	v_rcp_f32_e32 v22, v17
	v_fma_f32 v48, -v17, v22, 1.0
	v_fmac_f32_e32 v22, v48, v22
	v_div_scale_f32 v48, vcc, v13, v15, v13
	v_mul_f32_e32 v49, v48, v22
	v_fma_f32 v50, -v17, v49, v48
	v_fmac_f32_e32 v49, v50, v22
	v_fma_f32 v17, -v17, v49, v48
	v_div_fmas_f32 v17, v17, v22, v49
	v_div_fixup_f32 v13, v17, v15, v13
.LBB63_625:                             ;   in Loop: Header=BB63_418 Depth=1
	s_or_b64 exec, exec, s[4:5]
	v_sub_f32_e64 v17, 1.0, |v2|
	v_cmp_ngt_f32_e32 vcc, 0, v17
                                        ; implicit-def: $vgpr15
	s_and_saveexec_b64 s[4:5], vcc
	s_xor_b64 s[4:5], exec, s[4:5]
	s_cbranch_execz .LBB63_629
; %bb.626:                              ;   in Loop: Header=BB63_418 Depth=1
	v_cmp_neq_f32_e32 vcc, 0, v17
	v_mov_b32_e32 v15, v23
	s_and_saveexec_b64 s[38:39], vcc
	s_cbranch_execz .LBB63_628
; %bb.627:                              ;   in Loop: Header=BB63_418 Depth=1
	v_mul_f32_e32 v15, v3, v3
	v_add_f32_e32 v17, v17, v11
	v_div_scale_f32 v22, s[40:41], v17, v17, v15
	v_rcp_f32_e32 v48, v22
	v_fma_f32 v49, -v22, v48, 1.0
	v_fmac_f32_e32 v48, v49, v48
	v_div_scale_f32 v49, vcc, v15, v17, v15
	v_mul_f32_e32 v50, v49, v48
	v_fma_f32 v51, -v22, v50, v49
	v_fmac_f32_e32 v50, v51, v48
	v_fma_f32 v22, -v22, v50, v49
	v_div_fmas_f32 v22, v22, v48, v50
	v_div_fixup_f32 v15, v22, v17, v15
.LBB63_628:                             ;   in Loop: Header=BB63_418 Depth=1
	s_or_b64 exec, exec, s[38:39]
                                        ; implicit-def: $vgpr17
.LBB63_629:                             ;   in Loop: Header=BB63_418 Depth=1
	s_andn2_saveexec_b64 s[4:5], s[4:5]
; %bb.630:                              ;   in Loop: Header=BB63_418 Depth=1
	v_sub_f32_e32 v15, v11, v17
; %bb.631:                              ;   in Loop: Header=BB63_418 Depth=1
	s_or_b64 exec, exec, s[4:5]
	v_mul_f32_e32 v13, 0.5, v13
	v_mul_f32_e32 v15, 0.5, v15
	v_pk_add_f32 v[48:49], v[12:13], v[14:15]
	v_mul_f32_e32 v13, v48, v49
	v_mul_f32_e32 v15, 0x4f800000, v13
	v_cmp_gt_f32_e32 vcc, s50, v13
	v_cndmask_b32_e32 v13, v13, v15, vcc
	v_sqrt_f32_e32 v15, v13
	v_add_u32_e32 v17, -1, v15
	v_fma_f32 v22, -v17, v15, v13
	v_cmp_ge_f32_e64 s[4:5], 0, v22
	v_add_u32_e32 v22, 1, v15
	v_cndmask_b32_e64 v17, v15, v17, s[4:5]
	v_fma_f32 v15, -v22, v15, v13
	v_cmp_lt_f32_e64 s[4:5], 0, v15
	v_cndmask_b32_e64 v15, v17, v22, s[4:5]
	v_mul_f32_e32 v17, 0x37800000, v15
	v_cndmask_b32_e32 v15, v15, v17, vcc
	v_cmp_class_f32_e32 vcc, v13, v26
	v_cndmask_b32_e32 v13, v15, v13, vcc
	v_add_f32_e32 v48, v49, v13
	v_add_f32_e32 v51, 1.0, v48
	v_add_f32_e32 v49, -1.0, v51
	v_mov_b32_e32 v50, v49
	v_pk_add_f32 v[52:53], v[48:49], v[50:51] neg_lo:[0,1] neg_hi:[0,1]
	v_add_f32_e32 v13, 1.0, v53
	v_add_f32_e32 v13, v52, v13
	v_frexp_mant_f32_e32 v15, v51
	v_cvt_f64_f32_e32 v[52:53], v51
	v_frexp_exp_i32_f64_e32 v17, v[52:53]
	v_cmp_gt_f32_e32 vcc, s55, v15
	v_subbrev_co_u32_e32 v15, vcc, 0, v17, vcc
	v_sub_u32_e32 v17, 0, v15
	v_ldexp_f32 v22, v51, v17
	v_ldexp_f32 v13, v13, v17
	v_add_f32_e32 v17, -1.0, v22
	v_add_f32_e32 v50, 1.0, v22
	v_add_f32_e32 v49, 1.0, v17
	v_add_f32_e32 v51, -1.0, v50
	v_sub_f32_e32 v49, v22, v49
	v_sub_f32_e32 v22, v22, v51
	v_add_f32_e32 v49, v13, v49
	v_add_f32_e32 v13, v13, v22
	;; [unrolled: 1-line block ×3, first 2 shown]
	v_rcp_f32_e32 v58, v22
	v_add_f32_e32 v51, v17, v49
	v_sub_f32_e32 v17, v51, v17
	v_sub_f32_e32 v17, v49, v17
	v_mul_f32_e32 v49, v51, v58
	v_sub_f32_e32 v50, v22, v50
	v_mul_f32_e32 v52, v22, v49
	v_sub_f32_e32 v13, v13, v50
	v_fma_f32 v54, v49, v22, -v52
	v_fmac_f32_e32 v54, v49, v13
	v_add_f32_e32 v50, v52, v54
	v_sub_f32_e32 v53, v51, v50
	v_pk_add_f32 v[56:57], v[50:51], v[52:53] neg_lo:[0,1] neg_hi:[0,1]
	v_mov_b32_e32 v55, v50
	v_pk_add_f32 v[50:51], v[56:57], v[54:55] neg_lo:[0,1] neg_hi:[0,1]
	v_add_f32_e32 v17, v17, v51
	v_add_f32_e32 v17, v50, v17
	;; [unrolled: 1-line block ×3, first 2 shown]
	v_mul_f32_e32 v59, v58, v51
	v_mul_f32_e32 v52, v22, v59
	v_fma_f32 v54, v59, v22, -v52
	v_fmac_f32_e32 v54, v59, v13
	v_add_f32_e32 v50, v52, v54
	v_sub_f32_e32 v13, v53, v51
	v_sub_f32_e32 v53, v51, v50
	v_pk_add_f32 v[56:57], v[50:51], v[52:53] neg_lo:[0,1] neg_hi:[0,1]
	v_mov_b32_e32 v55, v50
	v_add_f32_e32 v13, v17, v13
	v_pk_add_f32 v[50:51], v[56:57], v[54:55] neg_lo:[0,1] neg_hi:[0,1]
	v_add_f32_e32 v13, v13, v51
	v_add_f32_e32 v13, v50, v13
	;; [unrolled: 1-line block ×4, first 2 shown]
	v_sub_f32_e32 v17, v22, v49
	v_mul_f32_e32 v13, v58, v13
	v_sub_f32_e32 v17, v59, v17
	v_add_f32_e32 v13, v17, v13
	v_add_f32_e32 v49, v22, v13
	v_cvt_f32_i32_e32 v50, v15
	v_mul_f32_e32 v51, v49, v49
	v_mov_b32_e32 v17, 0x3ecc95a3
	v_fmac_f32_e32 v17, 0x3e9b6dac, v51
	v_fma_f32 v17, v51, v17, v27
	v_mul_f32_e32 v51, v49, v51
	v_pk_mul_f32 v[54:55], v[50:51], v[16:17]
	v_fma_f32 v52, v50, s56, -v54
	v_ldexp_f32 v53, v49, 1
	v_fmac_f32_e32 v52, 0xb102e308, v50
	v_sub_f32_e32 v15, v49, v22
	v_pk_add_f32 v[50:51], v[54:55], v[52:53]
	v_sub_f32_e32 v13, v13, v15
	v_sub_f32_e32 v15, v51, v53
	v_ldexp_f32 v13, v13, 1
	v_sub_f32_e32 v15, v55, v15
	v_add_f32_e32 v57, v13, v15
	v_mov_b32_e32 v56, v54
	v_pk_add_f32 v[54:55], v[50:51], v[54:55] neg_lo:[0,1] neg_hi:[0,1]
	v_pk_add_f32 v[58:59], v[50:51], v[56:57]
	v_mov_b32_e32 v55, v59
	v_mov_b32_e32 v53, v50
	v_pk_add_f32 v[60:61], v[52:53], v[54:55] neg_lo:[0,1] neg_hi:[0,1]
	v_pk_add_f32 v[52:53], v[52:53], v[54:55]
	v_mov_b32_e32 v22, v53
	v_pk_add_f32 v[54:55], v[22:23], v[50:51] neg_lo:[0,1] neg_hi:[0,1]
	v_mov_b32_e32 v13, v54
	v_pk_add_f32 v[62:63], v[58:59], v[12:13] neg_lo:[0,1] neg_hi:[0,1]
	v_mov_b32_e32 v52, v59
	v_mov_b32_e32 v58, v51
	;; [unrolled: 1-line block ×4, first 2 shown]
	v_pk_add_f32 v[52:53], v[52:53], v[58:59] neg_lo:[0,1] neg_hi:[0,1]
	v_mov_b32_e32 v54, v57
	v_mov_b32_e32 v55, v50
	v_pk_add_f32 v[50:51], v[54:55], v[52:53] neg_lo:[0,1] neg_hi:[0,1]
	v_mov_b32_e32 v62, v60
	v_pk_add_f32 v[52:53], v[62:63], v[50:51]
	v_mov_b32_e32 v54, v53
	v_pk_add_f32 v[54:55], v[52:53], v[54:55]
	v_pk_add_f32 v[56:57], v[22:23], v[54:55]
	v_mov_b32_e32 v53, v56
	v_pk_add_f32 v[58:59], v[52:53], v[60:61] neg_lo:[0,1] neg_hi:[0,1]
	v_mov_b32_e32 v51, v54
	v_sub_f32_e32 v13, v52, v58
	v_pk_add_f32 v[50:51], v[50:51], v[58:59] neg_lo:[0,1] neg_hi:[0,1]
	v_sub_f32_e32 v13, v60, v13
	v_add_f32_e32 v13, v50, v13
	v_add_f32_e32 v13, v13, v51
	;; [unrolled: 1-line block ×3, first 2 shown]
	v_cmp_eq_f32_e32 vcc, s48, v48
	v_cndmask_b32_e32 v13, v13, v48, vcc
	v_cmp_ngt_f32_e32 vcc, -1.0, v48
	v_cndmask_b32_e32 v13, v41, v13, vcc
	v_cmp_neq_f32_e32 vcc, -1.0, v48
	v_cndmask_b32_e32 v13, v42, v13, vcc
	v_cmp_lt_f32_e64 vcc, |v48|, s57
	v_cndmask_b32_e32 v15, v13, v48, vcc
.LBB63_632:                             ;   in Loop: Header=BB63_418 Depth=1
	s_andn2_saveexec_b64 s[36:37], s[36:37]
	s_cbranch_execz .LBB63_638
; %bb.633:                              ;   in Loop: Header=BB63_418 Depth=1
	v_cmp_nlt_f32_e64 s[4:5], |v2|, 1.0
                                        ; implicit-def: $vgpr15
	s_and_saveexec_b64 s[38:39], s[4:5]
	s_xor_b64 s[38:39], exec, s[38:39]
	s_cbranch_execz .LBB63_635
; %bb.634:                              ;   in Loop: Header=BB63_418 Depth=1
	v_mul_f32_e32 v13, v21, v20
	v_mul_f32_e32 v15, 0x4f800000, v13
	v_cmp_gt_f32_e32 vcc, s50, v13
	v_cndmask_b32_e32 v13, v13, v15, vcc
	v_sqrt_f32_e32 v15, v13
	v_add_u32_e32 v17, -1, v15
	v_fma_f32 v48, -v17, v15, v13
	v_add_u32_e32 v22, 1, v15
	v_cmp_ge_f32_e64 s[4:5], 0, v48
	v_cndmask_b32_e64 v17, v15, v17, s[4:5]
	v_fma_f32 v15, -v22, v15, v13
	v_cmp_lt_f32_e64 s[4:5], 0, v15
	v_cndmask_b32_e64 v15, v17, v22, s[4:5]
	v_mul_f32_e32 v17, 0x37800000, v15
	v_cndmask_b32_e32 v15, v15, v17, vcc
	v_cmp_class_f32_e32 vcc, v13, v26
	v_cndmask_b32_e32 v13, v15, v13, vcc
	v_add_f32_e32 v48, v21, v13
	v_add_f32_e32 v51, 1.0, v48
	v_add_f32_e32 v49, -1.0, v51
	v_mov_b32_e32 v50, v49
	v_pk_add_f32 v[52:53], v[48:49], v[50:51] neg_lo:[0,1] neg_hi:[0,1]
	v_add_f32_e32 v13, 1.0, v53
	v_add_f32_e32 v13, v52, v13
	v_frexp_mant_f32_e32 v15, v51
	v_cvt_f64_f32_e32 v[52:53], v51
	v_frexp_exp_i32_f64_e32 v17, v[52:53]
	v_cmp_gt_f32_e32 vcc, s55, v15
	v_subbrev_co_u32_e32 v15, vcc, 0, v17, vcc
	v_sub_u32_e32 v17, 0, v15
	v_ldexp_f32 v22, v51, v17
	v_ldexp_f32 v13, v13, v17
	v_add_f32_e32 v17, -1.0, v22
	v_add_f32_e32 v50, 1.0, v22
	v_add_f32_e32 v49, 1.0, v17
	v_add_f32_e32 v51, -1.0, v50
	v_sub_f32_e32 v49, v22, v49
	v_sub_f32_e32 v22, v22, v51
	v_add_f32_e32 v49, v13, v49
	v_add_f32_e32 v13, v13, v22
	;; [unrolled: 1-line block ×3, first 2 shown]
	v_rcp_f32_e32 v58, v22
	v_add_f32_e32 v51, v17, v49
	v_sub_f32_e32 v17, v51, v17
	v_sub_f32_e32 v17, v49, v17
	v_mul_f32_e32 v49, v51, v58
	v_sub_f32_e32 v50, v22, v50
	v_mul_f32_e32 v52, v22, v49
	v_sub_f32_e32 v13, v13, v50
	v_fma_f32 v54, v49, v22, -v52
	v_fmac_f32_e32 v54, v49, v13
	v_add_f32_e32 v50, v52, v54
	v_sub_f32_e32 v53, v51, v50
	v_pk_add_f32 v[56:57], v[50:51], v[52:53] neg_lo:[0,1] neg_hi:[0,1]
	v_mov_b32_e32 v55, v50
	v_pk_add_f32 v[50:51], v[56:57], v[54:55] neg_lo:[0,1] neg_hi:[0,1]
	v_add_f32_e32 v17, v17, v51
	v_add_f32_e32 v17, v50, v17
	;; [unrolled: 1-line block ×3, first 2 shown]
	v_mul_f32_e32 v59, v58, v51
	v_mul_f32_e32 v52, v22, v59
	v_fma_f32 v54, v59, v22, -v52
	v_fmac_f32_e32 v54, v59, v13
	v_add_f32_e32 v50, v52, v54
	v_sub_f32_e32 v13, v53, v51
	v_sub_f32_e32 v53, v51, v50
	v_pk_add_f32 v[56:57], v[50:51], v[52:53] neg_lo:[0,1] neg_hi:[0,1]
	v_mov_b32_e32 v55, v50
	v_add_f32_e32 v13, v17, v13
	v_pk_add_f32 v[50:51], v[56:57], v[54:55] neg_lo:[0,1] neg_hi:[0,1]
	v_add_f32_e32 v13, v13, v51
	v_add_f32_e32 v13, v50, v13
	;; [unrolled: 1-line block ×4, first 2 shown]
	v_sub_f32_e32 v17, v22, v49
	v_mul_f32_e32 v13, v58, v13
	v_sub_f32_e32 v17, v59, v17
	v_add_f32_e32 v13, v17, v13
	v_add_f32_e32 v49, v22, v13
	v_cvt_f32_i32_e32 v50, v15
	v_mul_f32_e32 v51, v49, v49
	v_mov_b32_e32 v17, 0x3ecc95a3
	v_fmac_f32_e32 v17, 0x3e9b6dac, v51
	v_fma_f32 v17, v51, v17, v27
	v_mul_f32_e32 v51, v49, v51
	v_pk_mul_f32 v[54:55], v[50:51], v[16:17]
	v_fma_f32 v52, v50, s56, -v54
	v_ldexp_f32 v53, v49, 1
	v_fmac_f32_e32 v52, 0xb102e308, v50
	v_sub_f32_e32 v15, v49, v22
	v_pk_add_f32 v[50:51], v[54:55], v[52:53]
	v_sub_f32_e32 v13, v13, v15
	v_sub_f32_e32 v15, v51, v53
	v_ldexp_f32 v13, v13, 1
	v_sub_f32_e32 v15, v55, v15
	v_add_f32_e32 v57, v13, v15
	v_mov_b32_e32 v56, v54
	v_pk_add_f32 v[54:55], v[50:51], v[54:55] neg_lo:[0,1] neg_hi:[0,1]
	v_pk_add_f32 v[58:59], v[50:51], v[56:57]
	v_mov_b32_e32 v55, v59
	v_mov_b32_e32 v53, v50
	v_pk_add_f32 v[60:61], v[52:53], v[54:55] neg_lo:[0,1] neg_hi:[0,1]
	v_pk_add_f32 v[52:53], v[52:53], v[54:55]
	v_mov_b32_e32 v22, v53
	v_pk_add_f32 v[54:55], v[22:23], v[50:51] neg_lo:[0,1] neg_hi:[0,1]
	v_mov_b32_e32 v13, v54
	v_pk_add_f32 v[62:63], v[58:59], v[12:13] neg_lo:[0,1] neg_hi:[0,1]
	v_mov_b32_e32 v52, v59
	v_mov_b32_e32 v58, v51
	;; [unrolled: 1-line block ×4, first 2 shown]
	v_pk_add_f32 v[52:53], v[52:53], v[58:59] neg_lo:[0,1] neg_hi:[0,1]
	v_mov_b32_e32 v54, v57
	v_mov_b32_e32 v55, v50
	v_pk_add_f32 v[50:51], v[54:55], v[52:53] neg_lo:[0,1] neg_hi:[0,1]
	v_mov_b32_e32 v62, v60
	v_pk_add_f32 v[52:53], v[62:63], v[50:51]
	v_mov_b32_e32 v54, v53
	v_pk_add_f32 v[54:55], v[52:53], v[54:55]
	v_pk_add_f32 v[56:57], v[22:23], v[54:55]
	v_mov_b32_e32 v53, v56
	v_pk_add_f32 v[58:59], v[52:53], v[60:61] neg_lo:[0,1] neg_hi:[0,1]
	v_mov_b32_e32 v51, v54
	v_sub_f32_e32 v13, v52, v58
	v_pk_add_f32 v[50:51], v[50:51], v[58:59] neg_lo:[0,1] neg_hi:[0,1]
	v_sub_f32_e32 v13, v60, v13
	v_add_f32_e32 v13, v50, v13
	v_add_f32_e32 v13, v13, v51
	;; [unrolled: 1-line block ×3, first 2 shown]
	v_cmp_eq_f32_e32 vcc, s48, v48
	v_cndmask_b32_e32 v13, v13, v48, vcc
	v_cmp_ngt_f32_e32 vcc, -1.0, v48
	v_cndmask_b32_e32 v13, v41, v13, vcc
	v_cmp_neq_f32_e32 vcc, -1.0, v48
	v_cndmask_b32_e32 v13, v42, v13, vcc
	v_cmp_lt_f32_e64 vcc, |v48|, s57
	v_cndmask_b32_e32 v15, v13, v48, vcc
.LBB63_635:                             ;   in Loop: Header=BB63_418 Depth=1
	s_andn2_saveexec_b64 s[38:39], s[38:39]
	s_cbranch_execz .LBB63_637
; %bb.636:                              ;   in Loop: Header=BB63_418 Depth=1
	v_sub_f32_e64 v13, 1.0, |v2|
	v_mul_f32_e32 v13, v13, v20
	v_mul_f32_e32 v15, 0x4f800000, v13
	v_cmp_gt_f32_e32 vcc, s50, v13
	v_cndmask_b32_e32 v13, v13, v15, vcc
	v_sqrt_f32_e32 v15, v13
	v_add_u32_e32 v17, -1, v15
	v_fma_f32 v48, -v17, v15, v13
	v_add_u32_e32 v22, 1, v15
	v_cmp_ge_f32_e64 s[4:5], 0, v48
	v_cndmask_b32_e64 v17, v15, v17, s[4:5]
	v_fma_f32 v15, -v22, v15, v13
	v_cmp_lt_f32_e64 s[4:5], 0, v15
	v_cndmask_b32_e64 v15, v17, v22, s[4:5]
	v_mul_f32_e32 v17, 0x37800000, v15
	v_cndmask_b32_e32 v15, v15, v17, vcc
	v_cmp_class_f32_e32 vcc, v13, v26
	v_cndmask_b32_e32 v13, v15, v13, vcc
	v_and_b32_e32 v15, 0x7fffffff, v3
	v_div_scale_f32 v17, s[4:5], v13, v13, v15
	v_rcp_f32_e32 v22, v17
	v_div_scale_f32 v15, vcc, v15, v13, v15
	v_fma_f32 v48, -v17, v22, 1.0
	v_fmac_f32_e32 v22, v48, v22
	v_mul_f32_e32 v48, v15, v22
	v_fma_f32 v49, -v17, v48, v15
	v_fmac_f32_e32 v48, v49, v22
	v_fma_f32 v15, -v17, v48, v15
	v_div_fmas_f32 v15, v15, v22, v48
	v_div_fixup_f32 v15, v15, v13, |v3|
.LBB63_637:                             ;   in Loop: Header=BB63_418 Depth=1
	s_or_b64 exec, exec, s[38:39]
.LBB63_638:                             ;   in Loop: Header=BB63_418 Depth=1
	s_or_b64 exec, exec, s[36:37]
.LBB63_639:                             ;   in Loop: Header=BB63_418 Depth=1
	s_andn2_saveexec_b64 s[34:35], s[34:35]
	s_cbranch_execz .LBB63_641
; %bb.640:                              ;   in Loop: Header=BB63_418 Depth=1
	v_mul_f32_e64 v13, |v3|, s51
	v_cmp_lt_f32_e64 vcc, |v3|, s50
	v_cndmask_b32_e64 v13, |v3|, v13, vcc
	v_sqrt_f32_e32 v15, v13
	v_add_u32_e32 v17, -1, v15
	v_fma_f32 v48, -v17, v15, v13
	v_add_u32_e32 v22, 1, v15
	v_cmp_ge_f32_e64 s[4:5], 0, v48
	v_cndmask_b32_e64 v17, v15, v17, s[4:5]
	v_fma_f32 v15, -v22, v15, v13
	v_cmp_lt_f32_e64 s[4:5], 0, v15
	v_cndmask_b32_e64 v15, v17, v22, s[4:5]
	v_mul_f32_e32 v17, 0x37800000, v15
	v_cndmask_b32_e32 v15, v15, v17, vcc
	v_cmp_class_f32_e32 vcc, v13, v26
	v_cndmask_b32_e32 v15, v15, v13, vcc
.LBB63_641:                             ;   in Loop: Header=BB63_418 Depth=1
	s_or_b64 exec, exec, s[34:35]
.LBB63_642:                             ;   in Loop: Header=BB63_418 Depth=1
	s_or_b64 exec, exec, s[30:31]
	v_cmp_nlt_f32_e64 s[30:31], |v2|, s58
                                        ; implicit-def: $sgpr4_sgpr5
                                        ; implicit-def: $vgpr22
                                        ; implicit-def: $vgpr17
	s_and_saveexec_b64 s[34:35], s[30:31]
	s_xor_b64 s[30:31], exec, s[34:35]
	s_cbranch_execz .LBB63_666
; %bb.643:                              ;   in Loop: Header=BB63_418 Depth=1
	v_div_scale_f32 v13, s[4:5], v12, v12, v10
	v_rcp_f32_e32 v17, v13
	v_div_scale_f32 v22, vcc, v10, v12, v10
	s_mov_b64 s[4:5], 0
	v_fma_f32 v48, -v13, v17, 1.0
	v_fmac_f32_e32 v17, v48, v17
	v_mul_f32_e32 v48, v22, v17
	v_fma_f32 v49, -v13, v48, v22
	v_fmac_f32_e32 v48, v49, v17
	v_fma_f32 v13, -v13, v48, v22
	v_div_fmas_f32 v13, v13, v17, v48
	v_div_fixup_f32 v17, v13, v12, |v2|
	v_cmp_lt_f32_e32 vcc, s59, v17
                                        ; implicit-def: $vgpr22
	s_and_saveexec_b64 s[34:35], vcc
	s_cbranch_execz .LBB63_665
; %bb.644:                              ;   in Loop: Header=BB63_418 Depth=1
	v_cmp_neq_f32_e64 s[4:5], |v2|, 1.0
	v_cmp_nlt_f32_e64 s[36:37], |v3|, s60
	s_or_b64 s[4:5], s[4:5], s[36:37]
                                        ; implicit-def: $sgpr38_sgpr39
                                        ; implicit-def: $vgpr22
	s_and_saveexec_b64 s[36:37], s[4:5]
	s_xor_b64 s[36:37], exec, s[36:37]
	s_cbranch_execz .LBB63_662
; %bb.645:                              ;   in Loop: Header=BB63_418 Depth=1
	v_mul_f32_e32 v13, 0x34000000, v47
	v_cmp_le_f32_e64 s[4:5], v13, |v3|
                                        ; implicit-def: $vgpr22
                                        ; implicit-def: $sgpr38_sgpr39
	s_and_saveexec_b64 s[40:41], s[4:5]
	s_xor_b64 s[40:41], exec, s[40:41]
	s_cbranch_execz .LBB63_655
; %bb.646:                              ;   in Loop: Header=BB63_418 Depth=1
	v_cmp_neq_f32_e32 vcc, 0, v20
	v_mov_b32_e32 v13, v23
	s_and_saveexec_b64 s[4:5], vcc
	s_cbranch_execz .LBB63_648
; %bb.647:                              ;   in Loop: Header=BB63_418 Depth=1
	v_mul_f32_e32 v13, v3, v3
	v_add_f32_e32 v20, v20, v46
	v_div_scale_f32 v22, s[38:39], v20, v20, v13
	v_rcp_f32_e32 v46, v22
	v_fma_f32 v47, -v22, v46, 1.0
	v_fmac_f32_e32 v46, v47, v46
	v_div_scale_f32 v47, vcc, v13, v20, v13
	v_mul_f32_e32 v48, v47, v46
	v_fma_f32 v49, -v22, v48, v47
	v_fmac_f32_e32 v48, v49, v46
	v_fma_f32 v22, -v22, v48, v47
	v_div_fmas_f32 v22, v22, v46, v48
	v_div_fixup_f32 v13, v22, v20, v13
.LBB63_648:                             ;   in Loop: Header=BB63_418 Depth=1
	s_or_b64 exec, exec, s[4:5]
	v_cmp_ngt_f32_e32 vcc, 0, v21
	s_and_saveexec_b64 s[4:5], vcc
	s_xor_b64 s[4:5], exec, s[4:5]
	s_cbranch_execz .LBB63_652
; %bb.649:                              ;   in Loop: Header=BB63_418 Depth=1
	v_cmp_neq_f32_e32 vcc, 0, v21
	s_and_saveexec_b64 s[38:39], vcc
	s_cbranch_execz .LBB63_651
; %bb.650:                              ;   in Loop: Header=BB63_418 Depth=1
	v_mul_f32_e32 v20, v3, v3
	v_add_f32_e32 v11, v21, v11
	v_div_scale_f32 v21, s[42:43], v11, v11, v20
	v_rcp_f32_e32 v22, v21
	v_fma_f32 v23, -v21, v22, 1.0
	v_fmac_f32_e32 v22, v23, v22
	v_div_scale_f32 v23, vcc, v20, v11, v20
	v_mul_f32_e32 v46, v23, v22
	v_fma_f32 v47, -v21, v46, v23
	v_fmac_f32_e32 v46, v47, v22
	v_fma_f32 v21, -v21, v46, v23
	v_div_fmas_f32 v21, v21, v22, v46
	v_div_fixup_f32 v23, v21, v11, v20
.LBB63_651:                             ;   in Loop: Header=BB63_418 Depth=1
	s_or_b64 exec, exec, s[38:39]
                                        ; implicit-def: $vgpr11
                                        ; implicit-def: $vgpr20_vgpr21
.LBB63_652:                             ;   in Loop: Header=BB63_418 Depth=1
	s_andn2_saveexec_b64 s[4:5], s[4:5]
; %bb.653:                              ;   in Loop: Header=BB63_418 Depth=1
	v_sub_f32_e32 v23, v11, v21
; %bb.654:                              ;   in Loop: Header=BB63_418 Depth=1
	s_or_b64 exec, exec, s[4:5]
	v_mul_f32_e32 v11, 0.5, v13
	v_mul_f32_e32 v13, 0.5, v23
	v_pk_add_f32 v[12:13], v[10:11], v[12:13]
	v_mul_f32_e32 v11, v12, v13
	v_mul_f32_e32 v12, 0x4f800000, v11
	v_cmp_gt_f32_e32 vcc, s50, v11
	v_cndmask_b32_e32 v11, v11, v12, vcc
	v_sqrt_f32_e32 v12, v11
	s_mov_b64 s[38:39], -1
	v_add_u32_e32 v13, -1, v12
	v_fma_f32 v20, -v13, v12, v11
	v_cmp_ge_f32_e64 s[4:5], 0, v20
	v_add_u32_e32 v20, 1, v12
	v_cndmask_b32_e64 v13, v12, v13, s[4:5]
	v_fma_f32 v12, -v20, v12, v11
	v_cmp_lt_f32_e64 s[4:5], 0, v12
	v_cndmask_b32_e64 v12, v13, v20, s[4:5]
	v_mul_f32_e32 v13, 0x37800000, v12
	v_cndmask_b32_e32 v12, v12, v13, vcc
	v_cmp_class_f32_e32 vcc, v11, v26
	v_cndmask_b32_e32 v22, v12, v11, vcc
                                        ; implicit-def: $vgpr20_vgpr21
.LBB63_655:                             ;   in Loop: Header=BB63_418 Depth=1
	s_andn2_saveexec_b64 s[40:41], s[40:41]
	s_cbranch_execz .LBB63_661
; %bb.656:                              ;   in Loop: Header=BB63_418 Depth=1
	v_cmp_ngt_f32_e64 s[4:5], |v2|, 1.0
                                        ; implicit-def: $vgpr22
                                        ; implicit-def: $sgpr42_sgpr43
	s_and_saveexec_b64 s[44:45], s[4:5]
	s_xor_b64 s[44:45], exec, s[44:45]
	s_cbranch_execz .LBB63_658
; %bb.657:                              ;   in Loop: Header=BB63_418 Depth=1
	v_sub_f32_e64 v11, 1.0, |v2|
	v_mul_f32_e32 v11, v11, v20
	v_mul_f32_e32 v12, 0x4f800000, v11
	v_cmp_gt_f32_e32 vcc, s50, v11
	v_cndmask_b32_e32 v11, v11, v12, vcc
	v_sqrt_f32_e32 v12, v11
	s_mov_b64 s[42:43], -1
	v_add_u32_e32 v13, -1, v12
	v_fma_f32 v21, -v13, v12, v11
	v_add_u32_e32 v20, 1, v12
	v_cmp_ge_f32_e64 s[4:5], 0, v21
	v_cndmask_b32_e64 v13, v12, v13, s[4:5]
	v_fma_f32 v12, -v20, v12, v11
	v_cmp_lt_f32_e64 s[4:5], 0, v12
	v_cndmask_b32_e64 v12, v13, v20, s[4:5]
	v_mul_f32_e32 v13, 0x37800000, v12
	v_cndmask_b32_e32 v12, v12, v13, vcc
	v_cmp_class_f32_e32 vcc, v11, v26
	v_cndmask_b32_e32 v22, v12, v11, vcc
                                        ; implicit-def: $vgpr20_vgpr21
.LBB63_658:                             ;   in Loop: Header=BB63_418 Depth=1
	s_andn2_saveexec_b64 s[44:45], s[44:45]
	s_cbranch_execz .LBB63_660
; %bb.659:                              ;   in Loop: Header=BB63_418 Depth=1
	v_mul_f32_e32 v10, v20, v21
	v_mul_f32_e32 v11, 0x4f800000, v10
	v_cmp_gt_f32_e32 vcc, s50, v10
	v_cndmask_b32_e32 v10, v10, v11, vcc
	v_sqrt_f32_e32 v11, v10
	v_mul_f32_e64 v12, |v3|, s61
	v_mul_f32_e64 v12, |v2|, v12
	s_or_b64 s[42:43], s[42:43], exec
	v_add_u32_e32 v13, -1, v11
	v_fma_f32 v20, -v13, v11, v10
	v_cmp_ge_f32_e64 s[4:5], 0, v20
	v_add_u32_e32 v20, 1, v11
	v_cndmask_b32_e64 v13, v11, v13, s[4:5]
	v_fma_f32 v11, -v20, v11, v10
	v_cmp_lt_f32_e64 s[4:5], 0, v11
	v_cndmask_b32_e64 v11, v13, v20, s[4:5]
	v_mul_f32_e32 v13, 0x37800000, v11
	v_cndmask_b32_e32 v11, v11, v13, vcc
	v_cmp_class_f32_e32 vcc, v10, v26
	v_cndmask_b32_e32 v10, v11, v10, vcc
	v_div_scale_f32 v11, s[4:5], v10, v10, v12
	v_rcp_f32_e32 v13, v11
	v_fma_f32 v20, -v11, v13, 1.0
	v_fmac_f32_e32 v13, v20, v13
	v_div_scale_f32 v20, vcc, v12, v10, v12
	v_mul_f32_e32 v21, v20, v13
	v_fma_f32 v22, -v11, v21, v20
	v_fmac_f32_e32 v21, v22, v13
	v_fma_f32 v11, -v11, v21, v20
	v_div_fmas_f32 v11, v11, v13, v21
	v_div_fixup_f32 v22, v11, v10, v12
	v_mul_f32_e64 v10, |v2|, s61
.LBB63_660:                             ;   in Loop: Header=BB63_418 Depth=1
	s_or_b64 exec, exec, s[44:45]
	s_andn2_b64 s[4:5], s[38:39], exec
	s_and_b64 s[38:39], s[42:43], exec
	s_or_b64 s[38:39], s[4:5], s[38:39]
.LBB63_661:                             ;   in Loop: Header=BB63_418 Depth=1
	s_or_b64 exec, exec, s[40:41]
	s_and_b64 s[38:39], s[38:39], exec
                                        ; implicit-def: $vgpr12
.LBB63_662:                             ;   in Loop: Header=BB63_418 Depth=1
	s_andn2_saveexec_b64 s[36:37], s[36:37]
	s_cbranch_execz .LBB63_664
; %bb.663:                              ;   in Loop: Header=BB63_418 Depth=1
	v_mul_f32_e64 v10, |v3|, s51
	v_cmp_lt_f32_e64 vcc, |v3|, s50
	v_cndmask_b32_e64 v10, |v3|, v10, vcc
	v_sqrt_f32_e32 v11, v10
	v_add_f32_e32 v12, 1.0, v12
	v_mul_f32_e32 v12, 0.5, v12
	s_or_b64 s[38:39], s[38:39], exec
	v_add_u32_e32 v13, -1, v11
	v_fma_f32 v21, -v13, v11, v10
	v_add_u32_e32 v20, 1, v11
	v_cmp_ge_f32_e64 s[4:5], 0, v21
	v_cndmask_b32_e64 v13, v11, v13, s[4:5]
	v_fma_f32 v11, -v20, v11, v10
	v_cmp_lt_f32_e64 s[4:5], 0, v11
	v_cndmask_b32_e64 v11, v13, v20, s[4:5]
	v_mul_f32_e32 v20, 0x4f800000, v12
	v_cmp_gt_f32_e64 s[4:5], s50, v12
	v_cndmask_b32_e64 v12, v12, v20, s[4:5]
	v_sqrt_f32_e32 v20, v12
	v_mul_f32_e32 v13, 0x37800000, v11
	v_cndmask_b32_e32 v11, v11, v13, vcc
	v_cmp_class_f32_e32 vcc, v10, v26
	v_cndmask_b32_e32 v10, v11, v10, vcc
	v_add_u32_e32 v11, -1, v20
	v_fma_f32 v13, -v11, v20, v12
	v_cmp_ge_f32_e32 vcc, 0, v13
	v_add_u32_e32 v13, 1, v20
	v_cndmask_b32_e32 v11, v20, v11, vcc
	v_fma_f32 v20, -v13, v20, v12
	v_cmp_lt_f32_e32 vcc, 0, v20
	v_cndmask_b32_e32 v11, v11, v13, vcc
	v_mul_f32_e32 v13, 0x37800000, v11
	v_cndmask_b32_e64 v11, v11, v13, s[4:5]
	v_cmp_class_f32_e32 vcc, v12, v26
	v_cndmask_b32_e32 v11, v11, v12, vcc
	v_mul_f32_e32 v22, v10, v11
	v_mov_b32_e32 v10, 1.0
.LBB63_664:                             ;   in Loop: Header=BB63_418 Depth=1
	s_or_b64 exec, exec, s[36:37]
	s_and_b64 s[4:5], s[38:39], exec
.LBB63_665:                             ;   in Loop: Header=BB63_418 Depth=1
	s_or_b64 exec, exec, s[34:35]
	s_and_b64 s[4:5], s[4:5], exec
                                        ; implicit-def: $vgpr12
.LBB63_666:                             ;   in Loop: Header=BB63_418 Depth=1
	s_andn2_saveexec_b64 s[30:31], s[30:31]
; %bb.667:                              ;   in Loop: Header=BB63_418 Depth=1
	v_mov_b32_e32 v13, v10
	v_pk_mul_f32 v[22:23], v[12:13], s[20:21] op_sel_hi:[1,0]
	s_or_b64 s[4:5], s[4:5], exec
	v_mov_b32_e32 v10, v23
                                        ; implicit-def: $vgpr17
; %bb.668:                              ;   in Loop: Header=BB63_418 Depth=1
	s_or_b64 exec, exec, s[30:31]
	s_xor_b64 s[4:5], s[4:5], -1
                                        ; implicit-def: $vgpr11
	s_and_saveexec_b64 s[30:31], s[4:5]
	s_xor_b64 s[4:5], exec, s[30:31]
	s_cbranch_execz .LBB63_670
; %bb.669:                              ;   in Loop: Header=BB63_418 Depth=1
	v_fma_f32 v10, |v17|, -0.5, 0.5
	v_mul_f32_e32 v11, v17, v17
	v_cmp_ge_f32_e64 vcc, |v17|, 0.5
	v_cndmask_b32_e32 v10, v11, v10, vcc
	v_mov_b32_e32 v11, 0x3c5fc5da
	v_fmac_f32_e32 v11, 0x3d1c21a7, v10
	v_fma_f32 v11, v10, v11, v28
	v_fma_f32 v11, v10, v11, v29
	v_sqrt_f32_e32 v12, v10
	v_fma_f32 v11, v10, v11, v30
	v_fma_f32 v11, v10, v11, v31
	v_mul_f32_e32 v10, v10, v11
	v_fmac_f32_e32 v12, v12, v10
	v_add_f32_e32 v11, v12, v12
	v_sub_f32_e32 v11, 0x3fc90fdb, v11
	v_fma_f32 v10, |v17|, v10, |v17|
	v_cmp_lt_f32_e64 vcc, |v17|, 0.5
	v_cndmask_b32_e32 v10, v11, v10, vcc
	v_bfi_b32 v11, s47, v10, v17
                                        ; implicit-def: $vgpr10
                                        ; implicit-def: $vgpr22
.LBB63_670:                             ;   in Loop: Header=BB63_418 Depth=1
	s_andn2_saveexec_b64 s[30:31], s[4:5]
	s_cbranch_execz .LBB63_672
; %bb.671:                              ;   in Loop: Header=BB63_418 Depth=1
	v_max_f32_e32 v11, v10, v10
	v_max_f32_e64 v12, |v22|, |v22|
	v_min_f32_e32 v13, v12, v11
	v_max_f32_e32 v11, v12, v11
	v_frexp_mant_f32_e32 v12, v11
	v_rcp_f32_e32 v12, v12
	v_frexp_exp_i32_f32_e32 v11, v11
	v_frexp_exp_i32_f32_e32 v17, v13
	v_frexp_mant_f32_e32 v13, v13
	v_mul_f32_e32 v12, v13, v12
	v_sub_u32_e32 v11, v17, v11
	v_ldexp_f32 v11, v12, v11
	v_mul_f32_e32 v12, v11, v11
	v_mov_b32_e32 v13, 0xbc7a590c
	v_fmac_f32_e32 v13, 0x3b2d2a58, v12
	v_fma_f32 v13, v12, v13, v32
	v_fma_f32 v13, v12, v13, v33
	;; [unrolled: 1-line block ×6, first 2 shown]
	v_mul_f32_e32 v12, v12, v13
	v_fmac_f32_e32 v11, v11, v12
	v_sub_f32_e32 v12, 0x3fc90fdb, v11
	v_cmp_gt_f32_e64 vcc, v10, |v22|
	v_cndmask_b32_e32 v11, v11, v12, vcc
	v_sub_f32_e32 v12, 0x40490fdb, v11
	v_cmp_gt_f32_e32 vcc, 0, v22
	v_cmp_gt_i32_e64 s[4:5], 0, v22
	v_cndmask_b32_e32 v11, v11, v12, vcc
	v_cndmask_b32_e64 v12, 0, v43, s[4:5]
	v_cmp_eq_f32_e64 s[4:5], 0, v10
	v_cndmask_b32_e64 v11, v11, v12, s[4:5]
	v_cndmask_b32_e32 v12, v44, v45, vcc
	v_cmp_class_f32_e64 s[4:5], v22, s62
	v_cmp_eq_f32_e32 vcc, s48, v10
	s_and_b64 vcc, vcc, s[4:5]
	v_cndmask_b32_e32 v11, v11, v12, vcc
	v_cmp_o_f32_e32 vcc, v22, v10
	v_cndmask_b32_e64 v11, v41, |v11|, vcc
.LBB63_672:                             ;   in Loop: Header=BB63_418 Depth=1
	s_or_b64 exec, exec, s[30:31]
	v_bfi_b32 v10, s47, v11, v2
	v_bfi_b32 v11, s47, v15, v3
.LBB63_673:                             ;   in Loop: Header=BB63_418 Depth=1
	s_or_b64 exec, exec, s[28:29]
.LBB63_674:                             ;   in Loop: Header=BB63_418 Depth=1
	s_or_b64 exec, exec, s[26:27]
                                        ; implicit-def: $vgpr12
                                        ; implicit-def: $vgpr15
                                        ; implicit-def: $vgpr13
.LBB63_675:                             ;   in Loop: Header=BB63_418 Depth=1
	s_andn2_saveexec_b64 s[26:27], s[6:7]
	s_cbranch_execz .LBB63_697
; %bb.676:                              ;   in Loop: Header=BB63_418 Depth=1
	v_cmp_lt_i32_e32 vcc, -1, v3
                                        ; implicit-def: $vgpr10
                                        ; implicit-def: $vgpr11
	s_and_saveexec_b64 s[4:5], vcc
	s_xor_b64 s[28:29], exec, s[4:5]
	s_cbranch_execz .LBB63_686
; %bb.677:                              ;   in Loop: Header=BB63_418 Depth=1
	v_cmp_lt_f32_e64 s[4:5], |v3|, |v2|
	v_cndmask_b32_e64 v17, |v3|, |v2|, s[4:5]
	v_cmp_nlt_f32_e32 vcc, s63, v17
                                        ; implicit-def: $vgpr10
                                        ; implicit-def: $vgpr11
	s_and_saveexec_b64 s[6:7], vcc
	s_xor_b64 s[30:31], exec, s[6:7]
	s_cbranch_execz .LBB63_683
; %bb.678:                              ;   in Loop: Header=BB63_418 Depth=1
	v_cndmask_b32_e64 v20, |v2|, |v3|, s[4:5]
	v_cmp_nlt_f32_e32 vcc, s64, v17
	v_cmp_ngt_f32_e64 s[6:7], s65, v20
	s_and_b64 s[6:7], vcc, s[6:7]
                                        ; implicit-def: $vgpr10
                                        ; implicit-def: $vgpr11
	s_and_saveexec_b64 s[34:35], s[6:7]
	s_xor_b64 s[6:7], exec, s[34:35]
	s_cbranch_execz .LBB63_680
; %bb.679:                              ;   in Loop: Header=BB63_418 Depth=1
	v_mul_f32_e32 v10, v20, v20
	v_fmac_f32_e32 v10, v17, v17
	v_cmp_gt_f32_e32 vcc, s52, v10
	v_cndmask_b32_e32 v11, 1.0, v39, vcc
	v_mul_f32_e32 v10, v10, v11
	v_log_f32_e32 v10, v10
	v_cndmask_b32_e32 v11, 0, v40, vcc
	v_mul_f32_e32 v17, 0x3f317217, v10
	v_fma_f32 v20, v10, s53, -v17
	v_fmac_f32_e32 v20, 0x3377d1cf, v10
	v_add_f32_e32 v17, v17, v20
	v_cmp_lt_f32_e64 vcc, |v10|, s48
	v_cndmask_b32_e32 v10, v10, v17, vcc
	v_sub_f32_e32 v10, v10, v11
	v_min_f32_e32 v11, v12, v15
	v_frexp_mant_f32_e32 v12, v13
	v_rcp_f32_e32 v12, v12
	v_frexp_exp_i32_f32_e32 v13, v13
	v_frexp_exp_i32_f32_e32 v15, v11
	v_frexp_mant_f32_e32 v11, v11
	v_mul_f32_e32 v11, v11, v12
	v_sub_u32_e32 v12, v15, v13
	v_ldexp_f32 v11, v11, v12
	v_mul_f32_e32 v12, v11, v11
	v_mov_b32_e32 v13, 0xbc7a590c
	v_fmac_f32_e32 v13, 0x3b2d2a58, v12
	v_fma_f32 v13, v12, v13, v32
	v_fma_f32 v13, v12, v13, v33
	;; [unrolled: 1-line block ×6, first 2 shown]
	v_mul_f32_e32 v12, v12, v13
	v_mul_f32_e32 v10, 0.5, v10
	v_fmac_f32_e32 v11, v11, v12
                                        ; implicit-def: $vgpr13
                                        ; implicit-def: $vgpr12
                                        ; implicit-def: $vgpr15
.LBB63_680:                             ;   in Loop: Header=BB63_418 Depth=1
	s_andn2_saveexec_b64 s[6:7], s[6:7]
	s_cbranch_execz .LBB63_682
; %bb.681:                              ;   in Loop: Header=BB63_418 Depth=1
	v_cvt_f64_f32_e32 v[10:11], v13
	v_frexp_exp_i32_f64_e32 v10, v[10:11]
	v_sub_u32_e32 v11, 0, v10
	v_ldexp_f32 v17, |v3|, v11
	v_ldexp_f32 v11, |v2|, v11
	v_mul_f32_e32 v11, v11, v11
	v_fmac_f32_e32 v11, v17, v17
	v_sqrt_f32_e32 v11, v11
	v_cmp_neq_f32_e32 vcc, s48, v13
	v_ldexp_f32 v10, v11, v10
	v_cndmask_b32_e32 v10, v38, v10, vcc
	v_cmp_gt_f32_e32 vcc, s52, v10
	v_cndmask_b32_e32 v11, 1.0, v39, vcc
	v_mul_f32_e32 v10, v10, v11
	v_log_f32_e32 v10, v10
	v_min_f32_e32 v11, v12, v15
	v_cndmask_b32_e32 v12, 0, v40, vcc
	v_mul_f32_e32 v15, 0x3f317217, v10
	v_fma_f32 v17, v10, s53, -v15
	v_fmac_f32_e32 v17, 0x3377d1cf, v10
	v_add_f32_e32 v15, v15, v17
	v_cmp_lt_f32_e64 vcc, |v10|, s48
	v_cndmask_b32_e32 v10, v10, v15, vcc
	v_sub_f32_e32 v10, v10, v12
	v_frexp_mant_f32_e32 v12, v13
	v_rcp_f32_e32 v12, v12
	v_frexp_exp_i32_f32_e32 v13, v13
	v_frexp_exp_i32_f32_e32 v15, v11
	v_frexp_mant_f32_e32 v11, v11
	v_mul_f32_e32 v11, v11, v12
	v_sub_u32_e32 v12, v15, v13
	v_ldexp_f32 v11, v11, v12
	v_mul_f32_e32 v12, v11, v11
	v_mov_b32_e32 v13, 0xbc7a590c
	v_fmac_f32_e32 v13, 0x3b2d2a58, v12
	v_fma_f32 v13, v12, v13, v32
	v_fma_f32 v13, v12, v13, v33
	;; [unrolled: 1-line block ×6, first 2 shown]
	v_mul_f32_e32 v12, v12, v13
	v_fmac_f32_e32 v11, v11, v12
.LBB63_682:                             ;   in Loop: Header=BB63_418 Depth=1
	s_or_b64 exec, exec, s[6:7]
                                        ; implicit-def: $vgpr12
                                        ; implicit-def: $vgpr15
                                        ; implicit-def: $vgpr13
.LBB63_683:                             ;   in Loop: Header=BB63_418 Depth=1
	s_andn2_saveexec_b64 s[30:31], s[30:31]
	s_cbranch_execz .LBB63_685
; %bb.684:                              ;   in Loop: Header=BB63_418 Depth=1
	v_div_scale_f32 v10, s[6:7], s66, s66, v3
	v_rcp_f32_e32 v11, v10
	v_div_scale_f32 v17, vcc, v3, s66, v3
	v_fma_f32 v20, -v10, v11, 1.0
	v_fmac_f32_e32 v11, v20, v11
	v_mul_f32_e32 v20, v17, v11
	v_fma_f32 v21, -v10, v20, v17
	v_fmac_f32_e32 v20, v21, v11
	v_fma_f32 v10, -v10, v20, v17
	v_div_scale_f32 v17, s[6:7], s66, s66, v2
	v_rcp_f32_e32 v21, v17
	v_div_fmas_f32 v10, v10, v11, v20
	v_div_fixup_f32 v20, v10, s66, v3
	v_fma_f32 v10, -v17, v21, 1.0
	v_fmac_f32_e32 v21, v10, v21
	v_div_scale_f32 v10, vcc, v2, s66, v2
	v_mul_f32_e32 v11, v10, v21
	v_fma_f32 v22, -v17, v11, v10
	v_fmac_f32_e32 v11, v22, v21
	v_fma_f32 v10, -v17, v11, v10
	v_div_fmas_f32 v10, v10, v21, v11
	v_div_fixup_f32 v17, v10, s66, v2
	v_max_f32_e64 v21, |v20|, |v17|
	v_cvt_f64_f32_e32 v[10:11], v21
	v_frexp_exp_i32_f64_e32 v10, v[10:11]
	v_sub_u32_e32 v11, 0, v10
	v_ldexp_f32 v20, |v20|, v11
	v_ldexp_f32 v11, |v17|, v11
	v_mul_f32_e32 v11, v11, v11
	v_fmac_f32_e32 v11, v20, v20
	v_sqrt_f32_e32 v11, v11
	v_cmp_neq_f32_e32 vcc, s48, v21
	v_ldexp_f32 v10, v11, v10
	v_cndmask_b32_e32 v10, v38, v10, vcc
	v_cmp_gt_f32_e32 vcc, s52, v10
	v_cndmask_b32_e32 v11, 1.0, v39, vcc
	v_mul_f32_e32 v10, v10, v11
	v_log_f32_e32 v10, v10
	v_mul_f32_e32 v11, 0x3f317217, v10
	v_fma_f32 v17, v10, s53, -v11
	v_fmac_f32_e32 v17, 0x3377d1cf, v10
	v_add_f32_e32 v11, v11, v17
	v_cmp_lt_f32_e64 s[6:7], |v10|, s48
	v_cndmask_b32_e64 v10, v10, v11, s[6:7]
	v_cndmask_b32_e32 v11, 0, v40, vcc
	v_sub_f32_e32 v10, v10, v11
	v_min_f32_e32 v11, v12, v15
	v_frexp_mant_f32_e32 v12, v13
	v_rcp_f32_e32 v12, v12
	v_frexp_exp_i32_f32_e32 v13, v13
	v_frexp_exp_i32_f32_e32 v15, v11
	v_frexp_mant_f32_e32 v11, v11
	v_mul_f32_e32 v11, v11, v12
	v_sub_u32_e32 v12, v15, v13
	v_ldexp_f32 v11, v11, v12
	v_mul_f32_e32 v12, v11, v11
	v_mov_b32_e32 v13, 0xbc7a590c
	v_fmac_f32_e32 v13, 0x3b2d2a58, v12
	v_fma_f32 v13, v12, v13, v32
	v_fma_f32 v13, v12, v13, v33
	;; [unrolled: 1-line block ×6, first 2 shown]
	v_mul_f32_e32 v12, v12, v13
	v_add_f32_e32 v10, 1.0, v10
	v_fmac_f32_e32 v11, v11, v12
.LBB63_685:                             ;   in Loop: Header=BB63_418 Depth=1
	s_or_b64 exec, exec, s[30:31]
	v_sub_f32_e32 v12, 0x3fc90fdb, v11
	v_cndmask_b32_e64 v11, v11, v12, s[4:5]
                                        ; implicit-def: $vgpr12
                                        ; implicit-def: $vgpr15
                                        ; implicit-def: $vgpr13
.LBB63_686:                             ;   in Loop: Header=BB63_418 Depth=1
	s_andn2_saveexec_b64 s[28:29], s[28:29]
	s_cbranch_execz .LBB63_696
; %bb.687:                              ;   in Loop: Header=BB63_418 Depth=1
	v_cmp_lt_f32_e64 s[4:5], |v3|, |v2|
	v_cndmask_b32_e64 v17, |v3|, |v2|, s[4:5]
	v_cmp_nlt_f32_e32 vcc, s63, v17
                                        ; implicit-def: $vgpr10
                                        ; implicit-def: $vgpr11
	s_and_saveexec_b64 s[6:7], vcc
	s_xor_b64 s[30:31], exec, s[6:7]
	s_cbranch_execz .LBB63_693
; %bb.688:                              ;   in Loop: Header=BB63_418 Depth=1
	v_cndmask_b32_e64 v20, |v2|, |v3|, s[4:5]
	v_cmp_nlt_f32_e32 vcc, s64, v17
	v_cmp_ngt_f32_e64 s[6:7], s65, v20
	s_and_b64 s[6:7], vcc, s[6:7]
                                        ; implicit-def: $vgpr10
                                        ; implicit-def: $vgpr11
	s_and_saveexec_b64 s[34:35], s[6:7]
	s_xor_b64 s[6:7], exec, s[34:35]
	s_cbranch_execz .LBB63_690
; %bb.689:                              ;   in Loop: Header=BB63_418 Depth=1
	v_mul_f32_e32 v10, v20, v20
	v_fmac_f32_e32 v10, v17, v17
	v_cmp_gt_f32_e32 vcc, s52, v10
	v_cndmask_b32_e32 v11, 1.0, v39, vcc
	v_mul_f32_e32 v10, v10, v11
	v_log_f32_e32 v10, v10
	v_cndmask_b32_e32 v11, 0, v40, vcc
	v_mul_f32_e32 v17, 0x3f317217, v10
	v_fma_f32 v20, v10, s53, -v17
	v_fmac_f32_e32 v20, 0x3377d1cf, v10
	v_add_f32_e32 v17, v17, v20
	v_cmp_lt_f32_e64 vcc, |v10|, s48
	v_cndmask_b32_e32 v10, v10, v17, vcc
	v_sub_f32_e32 v10, v10, v11
	v_min_f32_e32 v11, v12, v15
	v_frexp_mant_f32_e32 v12, v13
	v_rcp_f32_e32 v12, v12
	v_frexp_exp_i32_f32_e32 v13, v13
	v_frexp_exp_i32_f32_e32 v15, v11
	v_frexp_mant_f32_e32 v11, v11
	v_mul_f32_e32 v11, v11, v12
	v_sub_u32_e32 v12, v15, v13
	v_ldexp_f32 v11, v11, v12
	v_mul_f32_e32 v12, v11, v11
	v_mov_b32_e32 v13, 0xbc7a590c
	v_fmac_f32_e32 v13, 0x3b2d2a58, v12
	v_fma_f32 v13, v12, v13, v32
	v_fma_f32 v13, v12, v13, v33
	;; [unrolled: 1-line block ×6, first 2 shown]
	v_mul_f32_e32 v12, v12, v13
	v_mul_f32_e32 v10, 0.5, v10
	v_fmac_f32_e32 v11, v11, v12
                                        ; implicit-def: $vgpr13
                                        ; implicit-def: $vgpr12
                                        ; implicit-def: $vgpr15
.LBB63_690:                             ;   in Loop: Header=BB63_418 Depth=1
	s_andn2_saveexec_b64 s[6:7], s[6:7]
	s_cbranch_execz .LBB63_692
; %bb.691:                              ;   in Loop: Header=BB63_418 Depth=1
	v_cvt_f64_f32_e32 v[10:11], v13
	v_frexp_exp_i32_f64_e32 v10, v[10:11]
	v_sub_u32_e32 v11, 0, v10
	v_ldexp_f32 v17, |v3|, v11
	v_ldexp_f32 v11, |v2|, v11
	v_mul_f32_e32 v11, v11, v11
	v_fmac_f32_e32 v11, v17, v17
	v_sqrt_f32_e32 v11, v11
	v_cmp_neq_f32_e32 vcc, s48, v13
	v_ldexp_f32 v10, v11, v10
	v_cndmask_b32_e32 v10, v38, v10, vcc
	v_cmp_gt_f32_e32 vcc, s52, v10
	v_cndmask_b32_e32 v11, 1.0, v39, vcc
	v_mul_f32_e32 v10, v10, v11
	v_log_f32_e32 v10, v10
	v_min_f32_e32 v11, v12, v15
	v_cndmask_b32_e32 v12, 0, v40, vcc
	v_mul_f32_e32 v15, 0x3f317217, v10
	v_fma_f32 v17, v10, s53, -v15
	v_fmac_f32_e32 v17, 0x3377d1cf, v10
	v_add_f32_e32 v15, v15, v17
	v_cmp_lt_f32_e64 vcc, |v10|, s48
	v_cndmask_b32_e32 v10, v10, v15, vcc
	v_sub_f32_e32 v10, v10, v12
	v_frexp_mant_f32_e32 v12, v13
	v_rcp_f32_e32 v12, v12
	v_frexp_exp_i32_f32_e32 v13, v13
	v_frexp_exp_i32_f32_e32 v15, v11
	v_frexp_mant_f32_e32 v11, v11
	v_mul_f32_e32 v11, v11, v12
	v_sub_u32_e32 v12, v15, v13
	v_ldexp_f32 v11, v11, v12
	v_mul_f32_e32 v12, v11, v11
	v_mov_b32_e32 v13, 0xbc7a590c
	v_fmac_f32_e32 v13, 0x3b2d2a58, v12
	v_fma_f32 v13, v12, v13, v32
	v_fma_f32 v13, v12, v13, v33
	;; [unrolled: 1-line block ×6, first 2 shown]
	v_mul_f32_e32 v12, v12, v13
	v_fmac_f32_e32 v11, v11, v12
.LBB63_692:                             ;   in Loop: Header=BB63_418 Depth=1
	s_or_b64 exec, exec, s[6:7]
                                        ; implicit-def: $vgpr12
                                        ; implicit-def: $vgpr15
                                        ; implicit-def: $vgpr13
.LBB63_693:                             ;   in Loop: Header=BB63_418 Depth=1
	s_andn2_saveexec_b64 s[30:31], s[30:31]
	s_cbranch_execz .LBB63_695
; %bb.694:                              ;   in Loop: Header=BB63_418 Depth=1
	v_div_scale_f32 v10, s[6:7], s67, s67, v3
	v_rcp_f32_e32 v11, v10
	v_div_scale_f32 v17, vcc, v3, s67, v3
	v_fma_f32 v20, -v10, v11, 1.0
	v_fmac_f32_e32 v11, v20, v11
	v_mul_f32_e32 v20, v17, v11
	v_fma_f32 v21, -v10, v20, v17
	v_fmac_f32_e32 v20, v21, v11
	v_fma_f32 v10, -v10, v20, v17
	v_div_scale_f32 v17, s[6:7], s67, s67, v2
	v_rcp_f32_e32 v21, v17
	v_div_fmas_f32 v10, v10, v11, v20
	v_div_fixup_f32 v20, v10, s67, v3
	v_fma_f32 v10, -v17, v21, 1.0
	v_fmac_f32_e32 v21, v10, v21
	v_div_scale_f32 v10, vcc, v2, s67, v2
	v_mul_f32_e32 v11, v10, v21
	v_fma_f32 v22, -v17, v11, v10
	v_fmac_f32_e32 v11, v22, v21
	v_fma_f32 v10, -v17, v11, v10
	v_div_fmas_f32 v10, v10, v21, v11
	v_div_fixup_f32 v17, v10, s67, v2
	v_max_f32_e64 v21, |v20|, |v17|
	v_cvt_f64_f32_e32 v[10:11], v21
	v_frexp_exp_i32_f64_e32 v10, v[10:11]
	v_sub_u32_e32 v11, 0, v10
	v_ldexp_f32 v20, |v20|, v11
	v_ldexp_f32 v11, |v17|, v11
	v_mul_f32_e32 v11, v11, v11
	v_fmac_f32_e32 v11, v20, v20
	v_sqrt_f32_e32 v11, v11
	v_cmp_neq_f32_e32 vcc, s48, v21
	v_ldexp_f32 v10, v11, v10
	v_cndmask_b32_e32 v10, v38, v10, vcc
	v_cmp_gt_f32_e32 vcc, s52, v10
	v_cndmask_b32_e32 v11, 1.0, v39, vcc
	v_mul_f32_e32 v10, v10, v11
	v_log_f32_e32 v10, v10
	v_mul_f32_e32 v11, 0x3f317217, v10
	v_fma_f32 v17, v10, s53, -v11
	v_fmac_f32_e32 v17, 0x3377d1cf, v10
	v_add_f32_e32 v11, v11, v17
	v_cmp_lt_f32_e64 s[6:7], |v10|, s48
	v_cndmask_b32_e64 v10, v10, v11, s[6:7]
	v_cndmask_b32_e32 v11, 0, v40, vcc
	v_sub_f32_e32 v10, v10, v11
	v_min_f32_e32 v11, v12, v15
	v_frexp_mant_f32_e32 v12, v13
	v_rcp_f32_e32 v12, v12
	v_frexp_exp_i32_f32_e32 v13, v13
	v_frexp_exp_i32_f32_e32 v15, v11
	v_frexp_mant_f32_e32 v11, v11
	v_mul_f32_e32 v11, v11, v12
	v_sub_u32_e32 v12, v15, v13
	v_ldexp_f32 v11, v11, v12
	v_mul_f32_e32 v12, v11, v11
	v_mov_b32_e32 v13, 0xbc7a590c
	v_fmac_f32_e32 v13, 0x3b2d2a58, v12
	v_fma_f32 v13, v12, v13, v32
	v_fma_f32 v13, v12, v13, v33
	;; [unrolled: 1-line block ×6, first 2 shown]
	v_mul_f32_e32 v12, v12, v13
	v_add_f32_e32 v10, 1.0, v10
	v_fmac_f32_e32 v11, v11, v12
.LBB63_695:                             ;   in Loop: Header=BB63_418 Depth=1
	s_or_b64 exec, exec, s[30:31]
	v_sub_f32_e32 v12, 0x3fc90fdb, v11
	v_cndmask_b32_e64 v11, v11, v12, s[4:5]
.LBB63_696:                             ;   in Loop: Header=BB63_418 Depth=1
	s_or_b64 exec, exec, s[28:29]
	v_cmp_neq_f32_e32 vcc, 0, v2
	v_cmp_class_f32_e64 s[4:5], v3, s62
	v_cmp_class_f32_e64 s[6:7], v2, s62
	v_cndmask_b32_e32 v11, 0, v11, vcc
	s_and_b64 vcc, s[6:7], s[4:5]
	v_cndmask_b32_e32 v11, v11, v44, vcc
	v_cmp_o_f32_e32 vcc, v2, v3
	v_cndmask_b32_e32 v11, v41, v11, vcc
	v_add_f32_e32 v12, 0x3f317218, v10
	v_bfi_b32 v10, s47, v11, v2
	v_bfi_b32 v11, s47, v12, v3
.LBB63_697:                             ;   in Loop: Header=BB63_418 Depth=1
	s_or_b64 exec, exec, s[26:27]
.LBB63_698:                             ;   in Loop: Header=BB63_418 Depth=1
	s_andn2_saveexec_b64 s[4:5], s[24:25]
	s_cbranch_execz .LBB63_712
; %bb.699:                              ;   in Loop: Header=BB63_418 Depth=1
	v_cmp_neq_f32_e64 s[6:7], |v3|, s48
                                        ; implicit-def: $vgpr11
	s_and_saveexec_b64 s[24:25], s[6:7]
	s_xor_b64 s[6:7], exec, s[24:25]
	s_cbranch_execz .LBB63_709
; %bb.700:                              ;   in Loop: Header=BB63_418 Depth=1
	v_cmp_neq_f32_e64 s[24:25], |v2|, s48
                                        ; implicit-def: $vgpr11
	s_and_saveexec_b64 s[26:27], s[24:25]
	s_xor_b64 s[24:25], exec, s[26:27]
	s_cbranch_execz .LBB63_706
; %bb.701:                              ;   in Loop: Header=BB63_418 Depth=1
	v_cmp_neq_f32_e32 vcc, 0, v2
                                        ; implicit-def: $vgpr11
	s_and_saveexec_b64 s[26:27], vcc
	s_xor_b64 s[26:27], exec, s[26:27]
; %bb.702:                              ;   in Loop: Header=BB63_418 Depth=1
	v_add_f32_e32 v10, 0, v3
	v_add_f32_e32 v11, v2, v10
; %bb.703:                              ;   in Loop: Header=BB63_418 Depth=1
	s_or_saveexec_b64 s[26:27], s[26:27]
	v_mov_b32_e32 v10, v11
	s_xor_b64 exec, exec, s[26:27]
; %bb.704:                              ;   in Loop: Header=BB63_418 Depth=1
	v_pk_add_f32 v[10:11], v[2:3], v[2:3]
	v_mov_b32_e32 v10, v2
; %bb.705:                              ;   in Loop: Header=BB63_418 Depth=1
	s_or_b64 exec, exec, s[26:27]
.LBB63_706:                             ;   in Loop: Header=BB63_418 Depth=1
	s_andn2_saveexec_b64 s[24:25], s[24:25]
; %bb.707:                              ;   in Loop: Header=BB63_418 Depth=1
	v_add_f32_e32 v10, v3, v3
	v_mov_b32_e32 v11, v2
; %bb.708:                              ;   in Loop: Header=BB63_418 Depth=1
	s_or_b64 exec, exec, s[24:25]
.LBB63_709:                             ;   in Loop: Header=BB63_418 Depth=1
	s_andn2_saveexec_b64 s[6:7], s[6:7]
; %bb.710:                              ;   in Loop: Header=BB63_418 Depth=1
	v_add_f32_e32 v10, v2, v2
	v_mov_b32_e32 v11, v3
; %bb.711:                              ;   in Loop: Header=BB63_418 Depth=1
	s_or_b64 exec, exec, s[6:7]
.LBB63_712:                             ;   in Loop: Header=BB63_418 Depth=1
	s_or_b64 exec, exec, s[4:5]
	v_cmp_o_f32_e32 vcc, v5, v5
	v_cmp_o_f32_e64 s[4:5], v4, v4
	s_and_b64 s[4:5], vcc, s[4:5]
	s_and_saveexec_b64 s[6:7], s[4:5]
	s_xor_b64 s[24:25], exec, s[6:7]
	s_cbranch_execz .LBB63_796
; %bb.713:                              ;   in Loop: Header=BB63_418 Depth=1
	v_max_f32_e64 v3, |v5|, |v5|
	v_max_f32_e64 v15, |v4|, |v4|
	v_max_f32_e32 v2, v15, v3
	v_cmp_nlt_f32_e32 vcc, s21, v2
	s_and_saveexec_b64 s[4:5], vcc
	s_xor_b64 s[6:7], exec, s[4:5]
	s_cbranch_execz .LBB63_773
; %bb.714:                              ;   in Loop: Header=BB63_418 Depth=1
	v_cmp_neq_f32_e32 vcc, 0, v5
	v_cmp_neq_f32_e64 s[4:5], 0, v4
	s_or_b64 s[4:5], vcc, s[4:5]
	s_and_saveexec_b64 s[26:27], s[4:5]
	s_cbranch_execz .LBB63_772
; %bb.715:                              ;   in Loop: Header=BB63_418 Depth=1
	v_pk_mov_b32 v[12:13], s[10:11], s[10:11] op_sel:[0,1]
	flat_store_dword v[12:13], v25
	s_waitcnt vmcnt(0)
	flat_load_dword v2, v[12:13] glc
	s_waitcnt vmcnt(0)
	v_pk_mov_b32 v[12:13], s[12:13], s[12:13] op_sel:[0,1]
	v_cmp_nlt_f32_e64 s[4:5], |v5|, s46
	v_cmp_nlt_f32_e64 s[28:29], |v4|, s46
	s_or_b64 s[4:5], s[28:29], s[4:5]
	s_waitcnt lgkmcnt(0)
	v_add_f32_e32 v2, 1.0, v2
	flat_store_dword v[12:13], v2
	s_waitcnt vmcnt(0)
	flat_load_dword v2, v[12:13] glc
	s_waitcnt vmcnt(0)
	s_and_saveexec_b64 s[28:29], s[4:5]
	s_cbranch_execz .LBB63_771
; %bb.716:                              ;   in Loop: Header=BB63_418 Depth=1
	s_waitcnt lgkmcnt(0)
	v_and_b32_e32 v2, 0x7fffffff, v4
	v_pk_add_f32 v[20:21], v[2:3], s[16:17] op_sel_hi:[0,1]
	v_max_f32_e64 v17, v3, |v20|
	v_cvt_f64_f32_e32 v[12:13], v17
	v_max_f32_e64 v15, v3, |v21|
	v_frexp_exp_i32_f64_e32 v3, v[12:13]
	v_sub_u32_e32 v12, 0, v3
	v_ldexp_f32 v13, |v5|, v12
	v_ldexp_f32 v12, |v20|, v12
	v_mul_f32_e32 v12, v12, v12
	v_fmac_f32_e32 v12, v13, v13
	v_sqrt_f32_e32 v22, v12
	v_cvt_f64_f32_e32 v[12:13], v15
	v_frexp_exp_i32_f64_e32 v12, v[12:13]
	v_sub_u32_e32 v13, 0, v12
	v_ldexp_f32 v23, |v5|, v13
	v_ldexp_f32 v13, |v21|, v13
	v_mul_f32_e32 v13, v13, v13
	v_fmac_f32_e32 v13, v23, v23
	v_sqrt_f32_e32 v13, v13
	v_ldexp_f32 v22, v22, v3
	v_cmp_neq_f32_e32 vcc, s48, v15
                                        ; implicit-def: $vgpr15
	v_ldexp_f32 v3, v13, v12
	v_cndmask_b32_e32 v3, v38, v3, vcc
	v_cmp_neq_f32_e32 vcc, s48, v17
	v_cndmask_b32_e32 v46, v38, v22, vcc
	v_add_f32_e32 v12, v46, v3
	v_mul_f32_e32 v12, 0.5, v12
	v_cmp_ngt_f32_e32 vcc, 1.0, v12
	v_cndmask_b32_e32 v12, 1.0, v12, vcc
	v_cmp_ngt_f32_e32 vcc, s49, v12
	s_and_saveexec_b64 s[4:5], vcc
	s_xor_b64 s[30:31], exec, s[4:5]
	s_cbranch_execz .LBB63_718
; %bb.717:                              ;   in Loop: Header=BB63_418 Depth=1
	v_fma_f32 v13, v12, v12, -1.0
	v_mul_f32_e32 v15, 0x4f800000, v13
	v_cmp_gt_f32_e32 vcc, s50, v13
	v_cndmask_b32_e32 v13, v13, v15, vcc
	v_sqrt_f32_e32 v15, v13
	v_add_u32_e32 v17, -1, v15
	v_fma_f32 v23, -v17, v15, v13
	v_add_u32_e32 v22, 1, v15
	v_cmp_ge_f32_e64 s[4:5], 0, v23
	v_cndmask_b32_e64 v17, v15, v17, s[4:5]
	v_fma_f32 v15, -v22, v15, v13
	v_cmp_lt_f32_e64 s[4:5], 0, v15
	v_cndmask_b32_e64 v15, v17, v22, s[4:5]
	v_mul_f32_e32 v17, 0x37800000, v15
	v_cndmask_b32_e32 v15, v15, v17, vcc
	v_cmp_class_f32_e32 vcc, v13, v26
	v_cndmask_b32_e32 v13, v15, v13, vcc
	v_add_f32_e32 v13, v12, v13
	v_cmp_gt_f32_e32 vcc, s52, v13
	v_cndmask_b32_e32 v15, 1.0, v39, vcc
	v_mul_f32_e32 v13, v13, v15
	v_log_f32_e32 v13, v13
	v_mul_f32_e32 v15, 0x3f317217, v13
	v_fma_f32 v17, v13, s53, -v15
	v_fmac_f32_e32 v17, 0x3377d1cf, v13
	v_add_f32_e32 v15, v15, v17
	v_cmp_lt_f32_e64 s[4:5], |v13|, s48
	v_cndmask_b32_e64 v13, v13, v15, s[4:5]
	v_cndmask_b32_e32 v15, 0, v40, vcc
	v_sub_f32_e32 v15, v13, v15
.LBB63_718:                             ;   in Loop: Header=BB63_418 Depth=1
	s_or_saveexec_b64 s[30:31], s[30:31]
	v_and_b32_e32 v23, 0x7fffffff, v5
	v_and_b32_e32 v47, 0x7fffffff, v21
	s_xor_b64 exec, exec, s[30:31]
	s_cbranch_execz .LBB63_740
; %bb.719:                              ;   in Loop: Header=BB63_418 Depth=1
	v_cmp_neq_f32_e64 s[4:5], |v4|, 1.0
	v_cmp_nlt_f32_e64 s[34:35], |v5|, s54
	s_or_b64 s[4:5], s[4:5], s[34:35]
                                        ; implicit-def: $vgpr15
	s_and_saveexec_b64 s[34:35], s[4:5]
	s_xor_b64 s[34:35], exec, s[34:35]
	s_cbranch_execz .LBB63_737
; %bb.720:                              ;   in Loop: Header=BB63_418 Depth=1
	v_mul_f32_e32 v13, 0x34000000, v47
	v_cmp_le_f32_e64 s[4:5], v13, |v5|
                                        ; implicit-def: $vgpr15
	s_and_saveexec_b64 s[36:37], s[4:5]
	s_xor_b64 s[36:37], exec, s[36:37]
	s_cbranch_execz .LBB63_730
; %bb.721:                              ;   in Loop: Header=BB63_418 Depth=1
	v_cmp_neq_f32_e32 vcc, 0, v20
	v_mov_b32_e32 v13, v23
	s_and_saveexec_b64 s[4:5], vcc
	s_cbranch_execz .LBB63_723
; %bb.722:                              ;   in Loop: Header=BB63_418 Depth=1
	v_mul_f32_e32 v13, v5, v5
	v_add_f32_e32 v15, v20, v46
	v_div_scale_f32 v17, s[38:39], v15, v15, v13
	v_rcp_f32_e32 v22, v17
	v_fma_f32 v48, -v17, v22, 1.0
	v_fmac_f32_e32 v22, v48, v22
	v_div_scale_f32 v48, vcc, v13, v15, v13
	v_mul_f32_e32 v49, v48, v22
	v_fma_f32 v50, -v17, v49, v48
	v_fmac_f32_e32 v49, v50, v22
	v_fma_f32 v17, -v17, v49, v48
	v_div_fmas_f32 v17, v17, v22, v49
	v_div_fixup_f32 v13, v17, v15, v13
.LBB63_723:                             ;   in Loop: Header=BB63_418 Depth=1
	s_or_b64 exec, exec, s[4:5]
	v_sub_f32_e64 v17, 1.0, |v4|
	v_cmp_ngt_f32_e32 vcc, 0, v17
                                        ; implicit-def: $vgpr15
	s_and_saveexec_b64 s[4:5], vcc
	s_xor_b64 s[4:5], exec, s[4:5]
	s_cbranch_execz .LBB63_727
; %bb.724:                              ;   in Loop: Header=BB63_418 Depth=1
	v_cmp_neq_f32_e32 vcc, 0, v17
	v_mov_b32_e32 v15, v23
	s_and_saveexec_b64 s[38:39], vcc
	s_cbranch_execz .LBB63_726
; %bb.725:                              ;   in Loop: Header=BB63_418 Depth=1
	v_mul_f32_e32 v15, v5, v5
	v_add_f32_e32 v17, v17, v3
	v_div_scale_f32 v22, s[40:41], v17, v17, v15
	v_rcp_f32_e32 v48, v22
	v_fma_f32 v49, -v22, v48, 1.0
	v_fmac_f32_e32 v48, v49, v48
	v_div_scale_f32 v49, vcc, v15, v17, v15
	v_mul_f32_e32 v50, v49, v48
	v_fma_f32 v51, -v22, v50, v49
	v_fmac_f32_e32 v50, v51, v48
	v_fma_f32 v22, -v22, v50, v49
	v_div_fmas_f32 v22, v22, v48, v50
	v_div_fixup_f32 v15, v22, v17, v15
.LBB63_726:                             ;   in Loop: Header=BB63_418 Depth=1
	s_or_b64 exec, exec, s[38:39]
                                        ; implicit-def: $vgpr17
.LBB63_727:                             ;   in Loop: Header=BB63_418 Depth=1
	s_andn2_saveexec_b64 s[4:5], s[4:5]
; %bb.728:                              ;   in Loop: Header=BB63_418 Depth=1
	v_sub_f32_e32 v15, v3, v17
; %bb.729:                              ;   in Loop: Header=BB63_418 Depth=1
	s_or_b64 exec, exec, s[4:5]
	v_mul_f32_e32 v13, 0.5, v13
	v_mul_f32_e32 v15, 0.5, v15
	v_pk_add_f32 v[48:49], v[12:13], v[14:15]
	v_mul_f32_e32 v13, v48, v49
	v_mul_f32_e32 v15, 0x4f800000, v13
	v_cmp_gt_f32_e32 vcc, s50, v13
	v_cndmask_b32_e32 v13, v13, v15, vcc
	v_sqrt_f32_e32 v15, v13
	v_add_u32_e32 v17, -1, v15
	v_fma_f32 v22, -v17, v15, v13
	v_cmp_ge_f32_e64 s[4:5], 0, v22
	v_add_u32_e32 v22, 1, v15
	v_cndmask_b32_e64 v17, v15, v17, s[4:5]
	v_fma_f32 v15, -v22, v15, v13
	v_cmp_lt_f32_e64 s[4:5], 0, v15
	v_cndmask_b32_e64 v15, v17, v22, s[4:5]
	v_mul_f32_e32 v17, 0x37800000, v15
	v_cndmask_b32_e32 v15, v15, v17, vcc
	v_cmp_class_f32_e32 vcc, v13, v26
	v_cndmask_b32_e32 v13, v15, v13, vcc
	v_add_f32_e32 v48, v49, v13
	v_add_f32_e32 v51, 1.0, v48
	v_add_f32_e32 v49, -1.0, v51
	v_mov_b32_e32 v50, v49
	v_pk_add_f32 v[52:53], v[48:49], v[50:51] neg_lo:[0,1] neg_hi:[0,1]
	v_add_f32_e32 v13, 1.0, v53
	v_add_f32_e32 v13, v52, v13
	v_frexp_mant_f32_e32 v15, v51
	v_cvt_f64_f32_e32 v[52:53], v51
	v_frexp_exp_i32_f64_e32 v17, v[52:53]
	v_cmp_gt_f32_e32 vcc, s55, v15
	v_subbrev_co_u32_e32 v15, vcc, 0, v17, vcc
	v_sub_u32_e32 v17, 0, v15
	v_ldexp_f32 v22, v51, v17
	v_ldexp_f32 v13, v13, v17
	v_add_f32_e32 v17, -1.0, v22
	v_add_f32_e32 v50, 1.0, v22
	v_add_f32_e32 v49, 1.0, v17
	v_add_f32_e32 v51, -1.0, v50
	v_sub_f32_e32 v49, v22, v49
	v_sub_f32_e32 v22, v22, v51
	v_add_f32_e32 v49, v13, v49
	v_add_f32_e32 v13, v13, v22
	;; [unrolled: 1-line block ×3, first 2 shown]
	v_rcp_f32_e32 v58, v22
	v_add_f32_e32 v51, v17, v49
	v_sub_f32_e32 v17, v51, v17
	v_sub_f32_e32 v17, v49, v17
	v_mul_f32_e32 v49, v51, v58
	v_sub_f32_e32 v50, v22, v50
	v_mul_f32_e32 v52, v22, v49
	v_sub_f32_e32 v13, v13, v50
	v_fma_f32 v54, v49, v22, -v52
	v_fmac_f32_e32 v54, v49, v13
	v_add_f32_e32 v50, v52, v54
	v_sub_f32_e32 v53, v51, v50
	v_pk_add_f32 v[56:57], v[50:51], v[52:53] neg_lo:[0,1] neg_hi:[0,1]
	v_mov_b32_e32 v55, v50
	v_pk_add_f32 v[50:51], v[56:57], v[54:55] neg_lo:[0,1] neg_hi:[0,1]
	v_add_f32_e32 v17, v17, v51
	v_add_f32_e32 v17, v50, v17
	;; [unrolled: 1-line block ×3, first 2 shown]
	v_mul_f32_e32 v59, v58, v51
	v_mul_f32_e32 v52, v22, v59
	v_fma_f32 v54, v59, v22, -v52
	v_fmac_f32_e32 v54, v59, v13
	v_add_f32_e32 v50, v52, v54
	v_sub_f32_e32 v13, v53, v51
	v_sub_f32_e32 v53, v51, v50
	v_pk_add_f32 v[56:57], v[50:51], v[52:53] neg_lo:[0,1] neg_hi:[0,1]
	v_mov_b32_e32 v55, v50
	v_add_f32_e32 v13, v17, v13
	v_pk_add_f32 v[50:51], v[56:57], v[54:55] neg_lo:[0,1] neg_hi:[0,1]
	v_add_f32_e32 v13, v13, v51
	v_add_f32_e32 v13, v50, v13
	;; [unrolled: 1-line block ×4, first 2 shown]
	v_sub_f32_e32 v17, v22, v49
	v_mul_f32_e32 v13, v58, v13
	v_sub_f32_e32 v17, v59, v17
	v_add_f32_e32 v13, v17, v13
	v_add_f32_e32 v49, v22, v13
	v_cvt_f32_i32_e32 v50, v15
	v_mul_f32_e32 v51, v49, v49
	v_mov_b32_e32 v17, 0x3ecc95a3
	v_fmac_f32_e32 v17, 0x3e9b6dac, v51
	v_fma_f32 v17, v51, v17, v27
	v_mul_f32_e32 v51, v49, v51
	v_pk_mul_f32 v[54:55], v[50:51], v[16:17]
	v_fma_f32 v52, v50, s56, -v54
	v_ldexp_f32 v53, v49, 1
	v_fmac_f32_e32 v52, 0xb102e308, v50
	v_sub_f32_e32 v15, v49, v22
	v_pk_add_f32 v[50:51], v[54:55], v[52:53]
	v_sub_f32_e32 v13, v13, v15
	v_sub_f32_e32 v15, v51, v53
	v_ldexp_f32 v13, v13, 1
	v_sub_f32_e32 v15, v55, v15
	v_add_f32_e32 v57, v13, v15
	v_mov_b32_e32 v56, v54
	v_pk_add_f32 v[54:55], v[50:51], v[54:55] neg_lo:[0,1] neg_hi:[0,1]
	v_pk_add_f32 v[58:59], v[50:51], v[56:57]
	v_mov_b32_e32 v55, v59
	v_mov_b32_e32 v53, v50
	v_pk_add_f32 v[60:61], v[52:53], v[54:55] neg_lo:[0,1] neg_hi:[0,1]
	v_pk_add_f32 v[52:53], v[52:53], v[54:55]
	v_mov_b32_e32 v22, v53
	v_pk_add_f32 v[54:55], v[22:23], v[50:51] neg_lo:[0,1] neg_hi:[0,1]
	v_mov_b32_e32 v13, v54
	v_pk_add_f32 v[62:63], v[58:59], v[12:13] neg_lo:[0,1] neg_hi:[0,1]
	v_mov_b32_e32 v52, v59
	v_mov_b32_e32 v58, v51
	v_mov_b32_e32 v59, v54
	v_mov_b32_e32 v61, v53
	v_pk_add_f32 v[52:53], v[52:53], v[58:59] neg_lo:[0,1] neg_hi:[0,1]
	v_mov_b32_e32 v54, v57
	v_mov_b32_e32 v55, v50
	v_pk_add_f32 v[50:51], v[54:55], v[52:53] neg_lo:[0,1] neg_hi:[0,1]
	v_mov_b32_e32 v62, v60
	v_pk_add_f32 v[52:53], v[62:63], v[50:51]
	v_mov_b32_e32 v54, v53
	v_pk_add_f32 v[54:55], v[52:53], v[54:55]
	v_pk_add_f32 v[56:57], v[22:23], v[54:55]
	v_mov_b32_e32 v53, v56
	v_pk_add_f32 v[58:59], v[52:53], v[60:61] neg_lo:[0,1] neg_hi:[0,1]
	v_mov_b32_e32 v51, v54
	v_sub_f32_e32 v13, v52, v58
	v_pk_add_f32 v[50:51], v[50:51], v[58:59] neg_lo:[0,1] neg_hi:[0,1]
	v_sub_f32_e32 v13, v60, v13
	v_add_f32_e32 v13, v50, v13
	v_add_f32_e32 v13, v13, v51
	;; [unrolled: 1-line block ×3, first 2 shown]
	v_cmp_eq_f32_e32 vcc, s48, v48
	v_cndmask_b32_e32 v13, v13, v48, vcc
	v_cmp_ngt_f32_e32 vcc, -1.0, v48
	v_cndmask_b32_e32 v13, v41, v13, vcc
	v_cmp_neq_f32_e32 vcc, -1.0, v48
	v_cndmask_b32_e32 v13, v42, v13, vcc
	v_cmp_lt_f32_e64 vcc, |v48|, s57
	v_cndmask_b32_e32 v15, v13, v48, vcc
.LBB63_730:                             ;   in Loop: Header=BB63_418 Depth=1
	s_andn2_saveexec_b64 s[36:37], s[36:37]
	s_cbranch_execz .LBB63_736
; %bb.731:                              ;   in Loop: Header=BB63_418 Depth=1
	v_cmp_nlt_f32_e64 s[4:5], |v4|, 1.0
                                        ; implicit-def: $vgpr15
	s_and_saveexec_b64 s[38:39], s[4:5]
	s_xor_b64 s[38:39], exec, s[38:39]
	s_cbranch_execz .LBB63_733
; %bb.732:                              ;   in Loop: Header=BB63_418 Depth=1
	v_mul_f32_e32 v13, v21, v20
	v_mul_f32_e32 v15, 0x4f800000, v13
	v_cmp_gt_f32_e32 vcc, s50, v13
	v_cndmask_b32_e32 v13, v13, v15, vcc
	v_sqrt_f32_e32 v15, v13
	v_add_u32_e32 v17, -1, v15
	v_fma_f32 v48, -v17, v15, v13
	v_add_u32_e32 v22, 1, v15
	v_cmp_ge_f32_e64 s[4:5], 0, v48
	v_cndmask_b32_e64 v17, v15, v17, s[4:5]
	v_fma_f32 v15, -v22, v15, v13
	v_cmp_lt_f32_e64 s[4:5], 0, v15
	v_cndmask_b32_e64 v15, v17, v22, s[4:5]
	v_mul_f32_e32 v17, 0x37800000, v15
	v_cndmask_b32_e32 v15, v15, v17, vcc
	v_cmp_class_f32_e32 vcc, v13, v26
	v_cndmask_b32_e32 v13, v15, v13, vcc
	v_add_f32_e32 v48, v21, v13
	v_add_f32_e32 v51, 1.0, v48
	v_add_f32_e32 v49, -1.0, v51
	v_mov_b32_e32 v50, v49
	v_pk_add_f32 v[52:53], v[48:49], v[50:51] neg_lo:[0,1] neg_hi:[0,1]
	v_add_f32_e32 v13, 1.0, v53
	v_add_f32_e32 v13, v52, v13
	v_frexp_mant_f32_e32 v15, v51
	v_cvt_f64_f32_e32 v[52:53], v51
	v_frexp_exp_i32_f64_e32 v17, v[52:53]
	v_cmp_gt_f32_e32 vcc, s55, v15
	v_subbrev_co_u32_e32 v15, vcc, 0, v17, vcc
	v_sub_u32_e32 v17, 0, v15
	v_ldexp_f32 v22, v51, v17
	v_ldexp_f32 v13, v13, v17
	v_add_f32_e32 v17, -1.0, v22
	v_add_f32_e32 v50, 1.0, v22
	v_add_f32_e32 v49, 1.0, v17
	v_add_f32_e32 v51, -1.0, v50
	v_sub_f32_e32 v49, v22, v49
	v_sub_f32_e32 v22, v22, v51
	v_add_f32_e32 v49, v13, v49
	v_add_f32_e32 v13, v13, v22
	;; [unrolled: 1-line block ×3, first 2 shown]
	v_rcp_f32_e32 v58, v22
	v_add_f32_e32 v51, v17, v49
	v_sub_f32_e32 v17, v51, v17
	v_sub_f32_e32 v17, v49, v17
	v_mul_f32_e32 v49, v51, v58
	v_sub_f32_e32 v50, v22, v50
	v_mul_f32_e32 v52, v22, v49
	v_sub_f32_e32 v13, v13, v50
	v_fma_f32 v54, v49, v22, -v52
	v_fmac_f32_e32 v54, v49, v13
	v_add_f32_e32 v50, v52, v54
	v_sub_f32_e32 v53, v51, v50
	v_pk_add_f32 v[56:57], v[50:51], v[52:53] neg_lo:[0,1] neg_hi:[0,1]
	v_mov_b32_e32 v55, v50
	v_pk_add_f32 v[50:51], v[56:57], v[54:55] neg_lo:[0,1] neg_hi:[0,1]
	v_add_f32_e32 v17, v17, v51
	v_add_f32_e32 v17, v50, v17
	;; [unrolled: 1-line block ×3, first 2 shown]
	v_mul_f32_e32 v59, v58, v51
	v_mul_f32_e32 v52, v22, v59
	v_fma_f32 v54, v59, v22, -v52
	v_fmac_f32_e32 v54, v59, v13
	v_add_f32_e32 v50, v52, v54
	v_sub_f32_e32 v13, v53, v51
	v_sub_f32_e32 v53, v51, v50
	v_pk_add_f32 v[56:57], v[50:51], v[52:53] neg_lo:[0,1] neg_hi:[0,1]
	v_mov_b32_e32 v55, v50
	v_add_f32_e32 v13, v17, v13
	v_pk_add_f32 v[50:51], v[56:57], v[54:55] neg_lo:[0,1] neg_hi:[0,1]
	v_add_f32_e32 v13, v13, v51
	v_add_f32_e32 v13, v50, v13
	;; [unrolled: 1-line block ×4, first 2 shown]
	v_sub_f32_e32 v17, v22, v49
	v_mul_f32_e32 v13, v58, v13
	v_sub_f32_e32 v17, v59, v17
	v_add_f32_e32 v13, v17, v13
	v_add_f32_e32 v49, v22, v13
	v_cvt_f32_i32_e32 v50, v15
	v_mul_f32_e32 v51, v49, v49
	v_mov_b32_e32 v17, 0x3ecc95a3
	v_fmac_f32_e32 v17, 0x3e9b6dac, v51
	v_fma_f32 v17, v51, v17, v27
	v_mul_f32_e32 v51, v49, v51
	v_pk_mul_f32 v[54:55], v[50:51], v[16:17]
	v_fma_f32 v52, v50, s56, -v54
	v_ldexp_f32 v53, v49, 1
	v_fmac_f32_e32 v52, 0xb102e308, v50
	v_sub_f32_e32 v15, v49, v22
	v_pk_add_f32 v[50:51], v[54:55], v[52:53]
	v_sub_f32_e32 v13, v13, v15
	v_sub_f32_e32 v15, v51, v53
	v_ldexp_f32 v13, v13, 1
	v_sub_f32_e32 v15, v55, v15
	v_add_f32_e32 v57, v13, v15
	v_mov_b32_e32 v56, v54
	v_pk_add_f32 v[54:55], v[50:51], v[54:55] neg_lo:[0,1] neg_hi:[0,1]
	v_pk_add_f32 v[58:59], v[50:51], v[56:57]
	v_mov_b32_e32 v55, v59
	v_mov_b32_e32 v53, v50
	v_pk_add_f32 v[60:61], v[52:53], v[54:55] neg_lo:[0,1] neg_hi:[0,1]
	v_pk_add_f32 v[52:53], v[52:53], v[54:55]
	v_mov_b32_e32 v22, v53
	v_pk_add_f32 v[54:55], v[22:23], v[50:51] neg_lo:[0,1] neg_hi:[0,1]
	v_mov_b32_e32 v13, v54
	v_pk_add_f32 v[62:63], v[58:59], v[12:13] neg_lo:[0,1] neg_hi:[0,1]
	v_mov_b32_e32 v52, v59
	v_mov_b32_e32 v58, v51
	;; [unrolled: 1-line block ×4, first 2 shown]
	v_pk_add_f32 v[52:53], v[52:53], v[58:59] neg_lo:[0,1] neg_hi:[0,1]
	v_mov_b32_e32 v54, v57
	v_mov_b32_e32 v55, v50
	v_pk_add_f32 v[50:51], v[54:55], v[52:53] neg_lo:[0,1] neg_hi:[0,1]
	v_mov_b32_e32 v62, v60
	v_pk_add_f32 v[52:53], v[62:63], v[50:51]
	v_mov_b32_e32 v54, v53
	v_pk_add_f32 v[54:55], v[52:53], v[54:55]
	v_pk_add_f32 v[56:57], v[22:23], v[54:55]
	v_mov_b32_e32 v53, v56
	v_pk_add_f32 v[58:59], v[52:53], v[60:61] neg_lo:[0,1] neg_hi:[0,1]
	v_mov_b32_e32 v51, v54
	v_sub_f32_e32 v13, v52, v58
	v_pk_add_f32 v[50:51], v[50:51], v[58:59] neg_lo:[0,1] neg_hi:[0,1]
	v_sub_f32_e32 v13, v60, v13
	v_add_f32_e32 v13, v50, v13
	v_add_f32_e32 v13, v13, v51
	;; [unrolled: 1-line block ×3, first 2 shown]
	v_cmp_eq_f32_e32 vcc, s48, v48
	v_cndmask_b32_e32 v13, v13, v48, vcc
	v_cmp_ngt_f32_e32 vcc, -1.0, v48
	v_cndmask_b32_e32 v13, v41, v13, vcc
	v_cmp_neq_f32_e32 vcc, -1.0, v48
	v_cndmask_b32_e32 v13, v42, v13, vcc
	v_cmp_lt_f32_e64 vcc, |v48|, s57
	v_cndmask_b32_e32 v15, v13, v48, vcc
.LBB63_733:                             ;   in Loop: Header=BB63_418 Depth=1
	s_andn2_saveexec_b64 s[38:39], s[38:39]
	s_cbranch_execz .LBB63_735
; %bb.734:                              ;   in Loop: Header=BB63_418 Depth=1
	v_sub_f32_e64 v13, 1.0, |v4|
	v_mul_f32_e32 v13, v13, v20
	v_mul_f32_e32 v15, 0x4f800000, v13
	v_cmp_gt_f32_e32 vcc, s50, v13
	v_cndmask_b32_e32 v13, v13, v15, vcc
	v_sqrt_f32_e32 v15, v13
	v_add_u32_e32 v17, -1, v15
	v_fma_f32 v48, -v17, v15, v13
	v_add_u32_e32 v22, 1, v15
	v_cmp_ge_f32_e64 s[4:5], 0, v48
	v_cndmask_b32_e64 v17, v15, v17, s[4:5]
	v_fma_f32 v15, -v22, v15, v13
	v_cmp_lt_f32_e64 s[4:5], 0, v15
	v_cndmask_b32_e64 v15, v17, v22, s[4:5]
	v_mul_f32_e32 v17, 0x37800000, v15
	v_cndmask_b32_e32 v15, v15, v17, vcc
	v_cmp_class_f32_e32 vcc, v13, v26
	v_cndmask_b32_e32 v13, v15, v13, vcc
	v_and_b32_e32 v15, 0x7fffffff, v5
	v_div_scale_f32 v17, s[4:5], v13, v13, v15
	v_rcp_f32_e32 v22, v17
	v_div_scale_f32 v15, vcc, v15, v13, v15
	v_fma_f32 v48, -v17, v22, 1.0
	v_fmac_f32_e32 v22, v48, v22
	v_mul_f32_e32 v48, v15, v22
	v_fma_f32 v49, -v17, v48, v15
	v_fmac_f32_e32 v48, v49, v22
	v_fma_f32 v15, -v17, v48, v15
	v_div_fmas_f32 v15, v15, v22, v48
	v_div_fixup_f32 v15, v15, v13, |v5|
.LBB63_735:                             ;   in Loop: Header=BB63_418 Depth=1
	s_or_b64 exec, exec, s[38:39]
.LBB63_736:                             ;   in Loop: Header=BB63_418 Depth=1
	s_or_b64 exec, exec, s[36:37]
.LBB63_737:                             ;   in Loop: Header=BB63_418 Depth=1
	s_andn2_saveexec_b64 s[34:35], s[34:35]
	s_cbranch_execz .LBB63_739
; %bb.738:                              ;   in Loop: Header=BB63_418 Depth=1
	v_mul_f32_e64 v13, |v5|, s51
	v_cmp_lt_f32_e64 vcc, |v5|, s50
	v_cndmask_b32_e64 v13, |v5|, v13, vcc
	v_sqrt_f32_e32 v15, v13
	v_add_u32_e32 v17, -1, v15
	v_fma_f32 v48, -v17, v15, v13
	v_add_u32_e32 v22, 1, v15
	v_cmp_ge_f32_e64 s[4:5], 0, v48
	v_cndmask_b32_e64 v17, v15, v17, s[4:5]
	v_fma_f32 v15, -v22, v15, v13
	v_cmp_lt_f32_e64 s[4:5], 0, v15
	v_cndmask_b32_e64 v15, v17, v22, s[4:5]
	v_mul_f32_e32 v17, 0x37800000, v15
	v_cndmask_b32_e32 v15, v15, v17, vcc
	v_cmp_class_f32_e32 vcc, v13, v26
	v_cndmask_b32_e32 v15, v15, v13, vcc
.LBB63_739:                             ;   in Loop: Header=BB63_418 Depth=1
	s_or_b64 exec, exec, s[34:35]
.LBB63_740:                             ;   in Loop: Header=BB63_418 Depth=1
	s_or_b64 exec, exec, s[30:31]
	v_cmp_nlt_f32_e64 s[30:31], |v4|, s58
                                        ; implicit-def: $sgpr4_sgpr5
                                        ; implicit-def: $vgpr22
                                        ; implicit-def: $vgpr17
	s_and_saveexec_b64 s[34:35], s[30:31]
	s_xor_b64 s[30:31], exec, s[34:35]
	s_cbranch_execz .LBB63_764
; %bb.741:                              ;   in Loop: Header=BB63_418 Depth=1
	v_div_scale_f32 v13, s[4:5], v12, v12, v2
	v_rcp_f32_e32 v17, v13
	v_div_scale_f32 v22, vcc, v2, v12, v2
	s_mov_b64 s[4:5], 0
	v_fma_f32 v48, -v13, v17, 1.0
	v_fmac_f32_e32 v17, v48, v17
	v_mul_f32_e32 v48, v22, v17
	v_fma_f32 v49, -v13, v48, v22
	v_fmac_f32_e32 v48, v49, v17
	v_fma_f32 v13, -v13, v48, v22
	v_div_fmas_f32 v13, v13, v17, v48
	v_div_fixup_f32 v17, v13, v12, |v4|
	v_cmp_lt_f32_e32 vcc, s59, v17
                                        ; implicit-def: $vgpr22
	s_and_saveexec_b64 s[34:35], vcc
	s_cbranch_execz .LBB63_763
; %bb.742:                              ;   in Loop: Header=BB63_418 Depth=1
	v_cmp_neq_f32_e64 s[4:5], |v4|, 1.0
	v_cmp_nlt_f32_e64 s[36:37], |v5|, s60
	s_or_b64 s[4:5], s[4:5], s[36:37]
                                        ; implicit-def: $sgpr38_sgpr39
                                        ; implicit-def: $vgpr22
	s_and_saveexec_b64 s[36:37], s[4:5]
	s_xor_b64 s[36:37], exec, s[36:37]
	s_cbranch_execz .LBB63_760
; %bb.743:                              ;   in Loop: Header=BB63_418 Depth=1
	v_mul_f32_e32 v13, 0x34000000, v47
	v_cmp_le_f32_e64 s[4:5], v13, |v5|
                                        ; implicit-def: $vgpr22
                                        ; implicit-def: $sgpr38_sgpr39
	s_and_saveexec_b64 s[40:41], s[4:5]
	s_xor_b64 s[40:41], exec, s[40:41]
	s_cbranch_execz .LBB63_753
; %bb.744:                              ;   in Loop: Header=BB63_418 Depth=1
	v_cmp_neq_f32_e32 vcc, 0, v20
	v_mov_b32_e32 v13, v23
	s_and_saveexec_b64 s[4:5], vcc
	s_cbranch_execz .LBB63_746
; %bb.745:                              ;   in Loop: Header=BB63_418 Depth=1
	v_mul_f32_e32 v13, v5, v5
	v_add_f32_e32 v20, v20, v46
	v_div_scale_f32 v22, s[38:39], v20, v20, v13
	v_rcp_f32_e32 v46, v22
	v_fma_f32 v47, -v22, v46, 1.0
	v_fmac_f32_e32 v46, v47, v46
	v_div_scale_f32 v47, vcc, v13, v20, v13
	v_mul_f32_e32 v48, v47, v46
	v_fma_f32 v49, -v22, v48, v47
	v_fmac_f32_e32 v48, v49, v46
	v_fma_f32 v22, -v22, v48, v47
	v_div_fmas_f32 v22, v22, v46, v48
	v_div_fixup_f32 v13, v22, v20, v13
.LBB63_746:                             ;   in Loop: Header=BB63_418 Depth=1
	s_or_b64 exec, exec, s[4:5]
	v_cmp_ngt_f32_e32 vcc, 0, v21
	s_and_saveexec_b64 s[4:5], vcc
	s_xor_b64 s[4:5], exec, s[4:5]
	s_cbranch_execz .LBB63_750
; %bb.747:                              ;   in Loop: Header=BB63_418 Depth=1
	v_cmp_neq_f32_e32 vcc, 0, v21
	s_and_saveexec_b64 s[38:39], vcc
	s_cbranch_execz .LBB63_749
; %bb.748:                              ;   in Loop: Header=BB63_418 Depth=1
	v_mul_f32_e32 v20, v5, v5
	v_add_f32_e32 v3, v21, v3
	v_div_scale_f32 v21, s[42:43], v3, v3, v20
	v_rcp_f32_e32 v22, v21
	v_fma_f32 v23, -v21, v22, 1.0
	v_fmac_f32_e32 v22, v23, v22
	v_div_scale_f32 v23, vcc, v20, v3, v20
	v_mul_f32_e32 v46, v23, v22
	v_fma_f32 v47, -v21, v46, v23
	v_fmac_f32_e32 v46, v47, v22
	v_fma_f32 v21, -v21, v46, v23
	v_div_fmas_f32 v21, v21, v22, v46
	v_div_fixup_f32 v23, v21, v3, v20
.LBB63_749:                             ;   in Loop: Header=BB63_418 Depth=1
	s_or_b64 exec, exec, s[38:39]
                                        ; implicit-def: $vgpr3
                                        ; implicit-def: $vgpr20_vgpr21
.LBB63_750:                             ;   in Loop: Header=BB63_418 Depth=1
	s_andn2_saveexec_b64 s[4:5], s[4:5]
; %bb.751:                              ;   in Loop: Header=BB63_418 Depth=1
	v_sub_f32_e32 v23, v3, v21
; %bb.752:                              ;   in Loop: Header=BB63_418 Depth=1
	s_or_b64 exec, exec, s[4:5]
	v_mul_f32_e32 v3, 0.5, v13
	v_mul_f32_e32 v13, 0.5, v23
	v_pk_add_f32 v[12:13], v[2:3], v[12:13]
	v_mul_f32_e32 v3, v12, v13
	v_mul_f32_e32 v12, 0x4f800000, v3
	v_cmp_gt_f32_e32 vcc, s50, v3
	v_cndmask_b32_e32 v3, v3, v12, vcc
	v_sqrt_f32_e32 v12, v3
	s_mov_b64 s[38:39], -1
	v_add_u32_e32 v13, -1, v12
	v_fma_f32 v20, -v13, v12, v3
	v_cmp_ge_f32_e64 s[4:5], 0, v20
	v_add_u32_e32 v20, 1, v12
	v_cndmask_b32_e64 v13, v12, v13, s[4:5]
	v_fma_f32 v12, -v20, v12, v3
	v_cmp_lt_f32_e64 s[4:5], 0, v12
	v_cndmask_b32_e64 v12, v13, v20, s[4:5]
	v_mul_f32_e32 v13, 0x37800000, v12
	v_cndmask_b32_e32 v12, v12, v13, vcc
	v_cmp_class_f32_e32 vcc, v3, v26
	v_cndmask_b32_e32 v22, v12, v3, vcc
                                        ; implicit-def: $vgpr20_vgpr21
.LBB63_753:                             ;   in Loop: Header=BB63_418 Depth=1
	s_andn2_saveexec_b64 s[40:41], s[40:41]
	s_cbranch_execz .LBB63_759
; %bb.754:                              ;   in Loop: Header=BB63_418 Depth=1
	v_cmp_ngt_f32_e64 s[4:5], |v4|, 1.0
                                        ; implicit-def: $vgpr22
                                        ; implicit-def: $sgpr42_sgpr43
	s_and_saveexec_b64 s[44:45], s[4:5]
	s_xor_b64 s[44:45], exec, s[44:45]
	s_cbranch_execz .LBB63_756
; %bb.755:                              ;   in Loop: Header=BB63_418 Depth=1
	v_sub_f32_e64 v3, 1.0, |v4|
	v_mul_f32_e32 v3, v3, v20
	v_mul_f32_e32 v12, 0x4f800000, v3
	v_cmp_gt_f32_e32 vcc, s50, v3
	v_cndmask_b32_e32 v3, v3, v12, vcc
	v_sqrt_f32_e32 v12, v3
	s_mov_b64 s[42:43], -1
	v_add_u32_e32 v13, -1, v12
	v_fma_f32 v21, -v13, v12, v3
	v_add_u32_e32 v20, 1, v12
	v_cmp_ge_f32_e64 s[4:5], 0, v21
	v_cndmask_b32_e64 v13, v12, v13, s[4:5]
	v_fma_f32 v12, -v20, v12, v3
	v_cmp_lt_f32_e64 s[4:5], 0, v12
	v_cndmask_b32_e64 v12, v13, v20, s[4:5]
	v_mul_f32_e32 v13, 0x37800000, v12
	v_cndmask_b32_e32 v12, v12, v13, vcc
	v_cmp_class_f32_e32 vcc, v3, v26
	v_cndmask_b32_e32 v22, v12, v3, vcc
                                        ; implicit-def: $vgpr20_vgpr21
.LBB63_756:                             ;   in Loop: Header=BB63_418 Depth=1
	s_andn2_saveexec_b64 s[44:45], s[44:45]
	s_cbranch_execz .LBB63_758
; %bb.757:                              ;   in Loop: Header=BB63_418 Depth=1
	v_mul_f32_e32 v2, v20, v21
	v_mul_f32_e32 v3, 0x4f800000, v2
	v_cmp_gt_f32_e32 vcc, s50, v2
	v_cndmask_b32_e32 v2, v2, v3, vcc
	v_sqrt_f32_e32 v3, v2
	v_mul_f32_e64 v12, |v5|, s61
	v_mul_f32_e64 v12, |v4|, v12
	s_or_b64 s[42:43], s[42:43], exec
	v_add_u32_e32 v13, -1, v3
	v_fma_f32 v20, -v13, v3, v2
	v_cmp_ge_f32_e64 s[4:5], 0, v20
	v_add_u32_e32 v20, 1, v3
	v_cndmask_b32_e64 v13, v3, v13, s[4:5]
	v_fma_f32 v3, -v20, v3, v2
	v_cmp_lt_f32_e64 s[4:5], 0, v3
	v_cndmask_b32_e64 v3, v13, v20, s[4:5]
	v_mul_f32_e32 v13, 0x37800000, v3
	v_cndmask_b32_e32 v3, v3, v13, vcc
	v_cmp_class_f32_e32 vcc, v2, v26
	v_cndmask_b32_e32 v2, v3, v2, vcc
	v_div_scale_f32 v3, s[4:5], v2, v2, v12
	v_rcp_f32_e32 v13, v3
	v_fma_f32 v20, -v3, v13, 1.0
	v_fmac_f32_e32 v13, v20, v13
	v_div_scale_f32 v20, vcc, v12, v2, v12
	v_mul_f32_e32 v21, v20, v13
	v_fma_f32 v22, -v3, v21, v20
	v_fmac_f32_e32 v21, v22, v13
	v_fma_f32 v3, -v3, v21, v20
	v_div_fmas_f32 v3, v3, v13, v21
	v_div_fixup_f32 v22, v3, v2, v12
	v_mul_f32_e64 v2, |v4|, s61
.LBB63_758:                             ;   in Loop: Header=BB63_418 Depth=1
	s_or_b64 exec, exec, s[44:45]
	s_andn2_b64 s[4:5], s[38:39], exec
	s_and_b64 s[38:39], s[42:43], exec
	s_or_b64 s[38:39], s[4:5], s[38:39]
.LBB63_759:                             ;   in Loop: Header=BB63_418 Depth=1
	s_or_b64 exec, exec, s[40:41]
	s_and_b64 s[38:39], s[38:39], exec
                                        ; implicit-def: $vgpr12
.LBB63_760:                             ;   in Loop: Header=BB63_418 Depth=1
	s_andn2_saveexec_b64 s[36:37], s[36:37]
	s_cbranch_execz .LBB63_762
; %bb.761:                              ;   in Loop: Header=BB63_418 Depth=1
	v_mul_f32_e64 v2, |v5|, s51
	v_cmp_lt_f32_e64 vcc, |v5|, s50
	v_cndmask_b32_e64 v2, |v5|, v2, vcc
	v_sqrt_f32_e32 v3, v2
	v_add_f32_e32 v12, 1.0, v12
	v_mul_f32_e32 v12, 0.5, v12
	s_or_b64 s[38:39], s[38:39], exec
	v_add_u32_e32 v13, -1, v3
	v_fma_f32 v21, -v13, v3, v2
	v_add_u32_e32 v20, 1, v3
	v_cmp_ge_f32_e64 s[4:5], 0, v21
	v_cndmask_b32_e64 v13, v3, v13, s[4:5]
	v_fma_f32 v3, -v20, v3, v2
	v_cmp_lt_f32_e64 s[4:5], 0, v3
	v_cndmask_b32_e64 v3, v13, v20, s[4:5]
	v_mul_f32_e32 v20, 0x4f800000, v12
	v_cmp_gt_f32_e64 s[4:5], s50, v12
	v_cndmask_b32_e64 v12, v12, v20, s[4:5]
	v_sqrt_f32_e32 v20, v12
	v_mul_f32_e32 v13, 0x37800000, v3
	v_cndmask_b32_e32 v3, v3, v13, vcc
	v_cmp_class_f32_e32 vcc, v2, v26
	v_cndmask_b32_e32 v2, v3, v2, vcc
	v_add_u32_e32 v3, -1, v20
	v_fma_f32 v13, -v3, v20, v12
	v_cmp_ge_f32_e32 vcc, 0, v13
	v_add_u32_e32 v13, 1, v20
	v_cndmask_b32_e32 v3, v20, v3, vcc
	v_fma_f32 v20, -v13, v20, v12
	v_cmp_lt_f32_e32 vcc, 0, v20
	v_cndmask_b32_e32 v3, v3, v13, vcc
	v_mul_f32_e32 v13, 0x37800000, v3
	v_cndmask_b32_e64 v3, v3, v13, s[4:5]
	v_cmp_class_f32_e32 vcc, v12, v26
	v_cndmask_b32_e32 v3, v3, v12, vcc
	v_mul_f32_e32 v22, v2, v3
	v_mov_b32_e32 v2, 1.0
.LBB63_762:                             ;   in Loop: Header=BB63_418 Depth=1
	s_or_b64 exec, exec, s[36:37]
	s_and_b64 s[4:5], s[38:39], exec
.LBB63_763:                             ;   in Loop: Header=BB63_418 Depth=1
	s_or_b64 exec, exec, s[34:35]
	s_and_b64 s[4:5], s[4:5], exec
                                        ; implicit-def: $vgpr12
.LBB63_764:                             ;   in Loop: Header=BB63_418 Depth=1
	s_andn2_saveexec_b64 s[30:31], s[30:31]
; %bb.765:                              ;   in Loop: Header=BB63_418 Depth=1
	v_mov_b32_e32 v13, v2
	v_pk_mul_f32 v[22:23], v[12:13], s[20:21] op_sel_hi:[1,0]
	s_or_b64 s[4:5], s[4:5], exec
	v_mov_b32_e32 v2, v23
                                        ; implicit-def: $vgpr17
; %bb.766:                              ;   in Loop: Header=BB63_418 Depth=1
	s_or_b64 exec, exec, s[30:31]
	s_xor_b64 s[4:5], s[4:5], -1
                                        ; implicit-def: $vgpr3
	s_and_saveexec_b64 s[30:31], s[4:5]
	s_xor_b64 s[4:5], exec, s[30:31]
	s_cbranch_execz .LBB63_768
; %bb.767:                              ;   in Loop: Header=BB63_418 Depth=1
	v_fma_f32 v2, |v17|, -0.5, 0.5
	v_mul_f32_e32 v3, v17, v17
	v_cmp_ge_f32_e64 vcc, |v17|, 0.5
	v_cndmask_b32_e32 v2, v3, v2, vcc
	v_mov_b32_e32 v3, 0x3c5fc5da
	v_fmac_f32_e32 v3, 0x3d1c21a7, v2
	v_fma_f32 v3, v2, v3, v28
	v_fma_f32 v3, v2, v3, v29
	v_sqrt_f32_e32 v12, v2
	v_fma_f32 v3, v2, v3, v30
	v_fma_f32 v3, v2, v3, v31
	v_mul_f32_e32 v2, v2, v3
	v_fmac_f32_e32 v12, v12, v2
	v_add_f32_e32 v3, v12, v12
	v_sub_f32_e32 v3, 0x3fc90fdb, v3
	v_fma_f32 v2, |v17|, v2, |v17|
	v_cmp_lt_f32_e64 vcc, |v17|, 0.5
	v_cndmask_b32_e32 v2, v3, v2, vcc
	v_bfi_b32 v3, s47, v2, v17
                                        ; implicit-def: $vgpr2
                                        ; implicit-def: $vgpr22
.LBB63_768:                             ;   in Loop: Header=BB63_418 Depth=1
	s_andn2_saveexec_b64 s[30:31], s[4:5]
	s_cbranch_execz .LBB63_770
; %bb.769:                              ;   in Loop: Header=BB63_418 Depth=1
	v_max_f32_e32 v3, v2, v2
	v_max_f32_e64 v12, |v22|, |v22|
	v_min_f32_e32 v13, v12, v3
	v_max_f32_e32 v3, v12, v3
	v_frexp_mant_f32_e32 v12, v3
	v_rcp_f32_e32 v12, v12
	v_frexp_exp_i32_f32_e32 v3, v3
	v_frexp_exp_i32_f32_e32 v17, v13
	v_frexp_mant_f32_e32 v13, v13
	v_mul_f32_e32 v12, v13, v12
	v_sub_u32_e32 v3, v17, v3
	v_ldexp_f32 v3, v12, v3
	v_mul_f32_e32 v12, v3, v3
	v_mov_b32_e32 v13, 0xbc7a590c
	v_fmac_f32_e32 v13, 0x3b2d2a58, v12
	v_fma_f32 v13, v12, v13, v32
	v_fma_f32 v13, v12, v13, v33
	;; [unrolled: 1-line block ×6, first 2 shown]
	v_mul_f32_e32 v12, v12, v13
	v_fmac_f32_e32 v3, v3, v12
	v_sub_f32_e32 v12, 0x3fc90fdb, v3
	v_cmp_gt_f32_e64 vcc, v2, |v22|
	v_cndmask_b32_e32 v3, v3, v12, vcc
	v_sub_f32_e32 v12, 0x40490fdb, v3
	v_cmp_gt_f32_e32 vcc, 0, v22
	v_cmp_gt_i32_e64 s[4:5], 0, v22
	v_cndmask_b32_e32 v3, v3, v12, vcc
	v_cndmask_b32_e64 v12, 0, v43, s[4:5]
	v_cmp_eq_f32_e64 s[4:5], 0, v2
	v_cndmask_b32_e64 v3, v3, v12, s[4:5]
	v_cndmask_b32_e32 v12, v44, v45, vcc
	v_cmp_class_f32_e64 s[4:5], v22, s62
	v_cmp_eq_f32_e32 vcc, s48, v2
	s_and_b64 vcc, vcc, s[4:5]
	v_cndmask_b32_e32 v3, v3, v12, vcc
	v_cmp_o_f32_e32 vcc, v22, v2
	v_cndmask_b32_e64 v3, v41, |v3|, vcc
.LBB63_770:                             ;   in Loop: Header=BB63_418 Depth=1
	s_or_b64 exec, exec, s[30:31]
	v_bfi_b32 v4, s47, v3, v4
	v_bfi_b32 v5, s47, v15, v5
.LBB63_771:                             ;   in Loop: Header=BB63_418 Depth=1
	s_or_b64 exec, exec, s[28:29]
.LBB63_772:                             ;   in Loop: Header=BB63_418 Depth=1
	s_or_b64 exec, exec, s[26:27]
	v_mov_b32_e32 v13, v5
	v_mov_b32_e32 v12, v4
                                        ; implicit-def: $vgpr2_vgpr3_vgpr4_vgpr5
                                        ; implicit-def: $vgpr3
                                        ; implicit-def: $vgpr15
                                        ; implicit-def: $vgpr2
.LBB63_773:                             ;   in Loop: Header=BB63_418 Depth=1
	s_andn2_saveexec_b64 s[26:27], s[6:7]
	s_cbranch_execz .LBB63_795
; %bb.774:                              ;   in Loop: Header=BB63_418 Depth=1
	v_cmp_lt_i32_e32 vcc, -1, v5
                                        ; implicit-def: $vgpr12
                                        ; implicit-def: $vgpr13
	s_and_saveexec_b64 s[4:5], vcc
	s_xor_b64 s[28:29], exec, s[4:5]
	s_cbranch_execz .LBB63_784
; %bb.775:                              ;   in Loop: Header=BB63_418 Depth=1
	v_cmp_lt_f32_e64 s[4:5], |v5|, |v4|
	v_cndmask_b32_e64 v17, |v5|, |v4|, s[4:5]
	v_cmp_nlt_f32_e32 vcc, s63, v17
                                        ; implicit-def: $vgpr12
                                        ; implicit-def: $vgpr13
	s_and_saveexec_b64 s[6:7], vcc
	s_xor_b64 s[30:31], exec, s[6:7]
	s_cbranch_execz .LBB63_781
; %bb.776:                              ;   in Loop: Header=BB63_418 Depth=1
	v_cndmask_b32_e64 v20, |v4|, |v5|, s[4:5]
	v_cmp_nlt_f32_e32 vcc, s64, v17
	v_cmp_ngt_f32_e64 s[6:7], s65, v20
	s_and_b64 s[6:7], vcc, s[6:7]
                                        ; implicit-def: $vgpr12
                                        ; implicit-def: $vgpr13
	s_and_saveexec_b64 s[34:35], s[6:7]
	s_xor_b64 s[6:7], exec, s[34:35]
	s_cbranch_execz .LBB63_778
; %bb.777:                              ;   in Loop: Header=BB63_418 Depth=1
	v_mul_f32_e32 v12, v20, v20
	v_fmac_f32_e32 v12, v17, v17
	v_cmp_gt_f32_e32 vcc, s52, v12
	v_cndmask_b32_e32 v13, 1.0, v39, vcc
	v_mul_f32_e32 v12, v12, v13
	v_log_f32_e32 v12, v12
	v_cndmask_b32_e32 v13, 0, v40, vcc
	v_min_f32_e32 v3, v3, v15
	v_frexp_exp_i32_f32_e32 v15, v3
	v_mul_f32_e32 v17, 0x3f317217, v12
	v_fma_f32 v20, v12, s53, -v17
	v_fmac_f32_e32 v20, 0x3377d1cf, v12
	v_add_f32_e32 v17, v17, v20
	v_cmp_lt_f32_e64 vcc, |v12|, s48
	v_cndmask_b32_e32 v12, v12, v17, vcc
	v_sub_f32_e32 v12, v12, v13
	s_waitcnt lgkmcnt(0)
	v_frexp_mant_f32_e32 v13, v2
	v_rcp_f32_e32 v13, v13
	v_frexp_exp_i32_f32_e32 v2, v2
	v_frexp_mant_f32_e32 v3, v3
	v_sub_u32_e32 v2, v15, v2
	v_mul_f32_e32 v3, v3, v13
	v_ldexp_f32 v13, v3, v2
	v_mul_f32_e32 v2, v13, v13
	v_mov_b32_e32 v3, 0xbc7a590c
	v_fmac_f32_e32 v3, 0x3b2d2a58, v2
	v_fma_f32 v3, v2, v3, v32
	v_fma_f32 v3, v2, v3, v33
	;; [unrolled: 1-line block ×6, first 2 shown]
	v_mul_f32_e32 v2, v2, v3
	v_mul_f32_e32 v12, 0.5, v12
	v_fmac_f32_e32 v13, v13, v2
                                        ; implicit-def: $vgpr2
                                        ; implicit-def: $vgpr3
                                        ; implicit-def: $vgpr15
.LBB63_778:                             ;   in Loop: Header=BB63_418 Depth=1
	s_andn2_saveexec_b64 s[6:7], s[6:7]
	s_cbranch_execz .LBB63_780
; %bb.779:                              ;   in Loop: Header=BB63_418 Depth=1
	s_waitcnt lgkmcnt(0)
	v_cvt_f64_f32_e32 v[12:13], v2
	v_frexp_exp_i32_f64_e32 v12, v[12:13]
	v_sub_u32_e32 v13, 0, v12
	v_ldexp_f32 v17, |v5|, v13
	v_ldexp_f32 v13, |v4|, v13
	v_mul_f32_e32 v13, v13, v13
	v_fmac_f32_e32 v13, v17, v17
	v_sqrt_f32_e32 v13, v13
	v_cmp_neq_f32_e32 vcc, s48, v2
	v_min_f32_e32 v3, v3, v15
	v_ldexp_f32 v12, v13, v12
	v_cndmask_b32_e32 v12, v38, v12, vcc
	v_cmp_gt_f32_e32 vcc, s52, v12
	v_cndmask_b32_e32 v13, 1.0, v39, vcc
	v_mul_f32_e32 v12, v12, v13
	v_log_f32_e32 v12, v12
	v_cndmask_b32_e32 v13, 0, v40, vcc
	v_mul_f32_e32 v15, 0x3f317217, v12
	v_fma_f32 v17, v12, s53, -v15
	v_fmac_f32_e32 v17, 0x3377d1cf, v12
	v_add_f32_e32 v15, v15, v17
	v_cmp_lt_f32_e64 vcc, |v12|, s48
	v_cndmask_b32_e32 v12, v12, v15, vcc
	v_sub_f32_e32 v12, v12, v13
	v_frexp_mant_f32_e32 v13, v2
	v_rcp_f32_e32 v13, v13
	v_frexp_exp_i32_f32_e32 v2, v2
	v_frexp_exp_i32_f32_e32 v15, v3
	v_frexp_mant_f32_e32 v3, v3
	v_mul_f32_e32 v3, v3, v13
	v_sub_u32_e32 v2, v15, v2
	v_ldexp_f32 v13, v3, v2
	v_mul_f32_e32 v2, v13, v13
	v_mov_b32_e32 v3, 0xbc7a590c
	v_fmac_f32_e32 v3, 0x3b2d2a58, v2
	v_fma_f32 v3, v2, v3, v32
	v_fma_f32 v3, v2, v3, v33
	;; [unrolled: 1-line block ×6, first 2 shown]
	v_mul_f32_e32 v2, v2, v3
	v_fmac_f32_e32 v13, v13, v2
.LBB63_780:                             ;   in Loop: Header=BB63_418 Depth=1
	s_or_b64 exec, exec, s[6:7]
                                        ; implicit-def: $vgpr3
                                        ; implicit-def: $vgpr15
                                        ; implicit-def: $vgpr2
.LBB63_781:                             ;   in Loop: Header=BB63_418 Depth=1
	s_andn2_saveexec_b64 s[30:31], s[30:31]
	s_cbranch_execz .LBB63_783
; %bb.782:                              ;   in Loop: Header=BB63_418 Depth=1
	v_div_scale_f32 v12, s[6:7], s66, s66, v5
	v_rcp_f32_e32 v13, v12
	v_div_scale_f32 v17, vcc, v5, s66, v5
	v_min_f32_e32 v3, v3, v15
	v_fma_f32 v20, -v12, v13, 1.0
	v_fmac_f32_e32 v13, v20, v13
	v_mul_f32_e32 v20, v17, v13
	v_fma_f32 v21, -v12, v20, v17
	v_fmac_f32_e32 v20, v21, v13
	v_fma_f32 v12, -v12, v20, v17
	v_div_scale_f32 v17, s[6:7], s66, s66, v4
	v_rcp_f32_e32 v21, v17
	v_div_fmas_f32 v12, v12, v13, v20
	v_div_fixup_f32 v20, v12, s66, v5
	v_frexp_exp_i32_f32_e32 v15, v3
	v_fma_f32 v12, -v17, v21, 1.0
	v_fmac_f32_e32 v21, v12, v21
	v_div_scale_f32 v12, vcc, v4, s66, v4
	v_mul_f32_e32 v13, v12, v21
	v_fma_f32 v22, -v17, v13, v12
	v_fmac_f32_e32 v13, v22, v21
	v_fma_f32 v12, -v17, v13, v12
	v_div_fmas_f32 v12, v12, v21, v13
	v_div_fixup_f32 v17, v12, s66, v4
	v_max_f32_e64 v21, |v20|, |v17|
	v_cvt_f64_f32_e32 v[12:13], v21
	v_frexp_exp_i32_f64_e32 v12, v[12:13]
	v_sub_u32_e32 v13, 0, v12
	v_ldexp_f32 v20, |v20|, v13
	v_ldexp_f32 v13, |v17|, v13
	v_mul_f32_e32 v13, v13, v13
	v_fmac_f32_e32 v13, v20, v20
	v_sqrt_f32_e32 v13, v13
	v_cmp_neq_f32_e32 vcc, s48, v21
	v_frexp_mant_f32_e32 v3, v3
	v_ldexp_f32 v12, v13, v12
	v_cndmask_b32_e32 v12, v38, v12, vcc
	v_cmp_gt_f32_e32 vcc, s52, v12
	v_cndmask_b32_e32 v13, 1.0, v39, vcc
	v_mul_f32_e32 v12, v12, v13
	v_log_f32_e32 v12, v12
	v_mul_f32_e32 v13, 0x3f317217, v12
	v_fma_f32 v17, v12, s53, -v13
	v_fmac_f32_e32 v17, 0x3377d1cf, v12
	v_add_f32_e32 v13, v13, v17
	v_cmp_lt_f32_e64 s[6:7], |v12|, s48
	v_cndmask_b32_e64 v12, v12, v13, s[6:7]
	v_cndmask_b32_e32 v13, 0, v40, vcc
	v_sub_f32_e32 v12, v12, v13
	s_waitcnt lgkmcnt(0)
	v_frexp_mant_f32_e32 v13, v2
	v_rcp_f32_e32 v13, v13
	v_frexp_exp_i32_f32_e32 v2, v2
	v_sub_u32_e32 v2, v15, v2
	v_add_f32_e32 v12, 1.0, v12
	v_mul_f32_e32 v3, v3, v13
	v_ldexp_f32 v13, v3, v2
	v_mul_f32_e32 v2, v13, v13
	v_mov_b32_e32 v3, 0xbc7a590c
	v_fmac_f32_e32 v3, 0x3b2d2a58, v2
	v_fma_f32 v3, v2, v3, v32
	v_fma_f32 v3, v2, v3, v33
	;; [unrolled: 1-line block ×6, first 2 shown]
	v_mul_f32_e32 v2, v2, v3
	v_fmac_f32_e32 v13, v13, v2
.LBB63_783:                             ;   in Loop: Header=BB63_418 Depth=1
	s_or_b64 exec, exec, s[30:31]
	s_waitcnt lgkmcnt(0)
	v_sub_f32_e32 v2, 0x3fc90fdb, v13
	v_cndmask_b32_e64 v13, v13, v2, s[4:5]
                                        ; implicit-def: $vgpr3
                                        ; implicit-def: $vgpr15
                                        ; implicit-def: $vgpr2
.LBB63_784:                             ;   in Loop: Header=BB63_418 Depth=1
	s_andn2_saveexec_b64 s[28:29], s[28:29]
	s_cbranch_execz .LBB63_794
; %bb.785:                              ;   in Loop: Header=BB63_418 Depth=1
	v_cmp_lt_f32_e64 s[4:5], |v5|, |v4|
	v_cndmask_b32_e64 v17, |v5|, |v4|, s[4:5]
	v_cmp_nlt_f32_e32 vcc, s63, v17
                                        ; implicit-def: $vgpr12
                                        ; implicit-def: $vgpr13
	s_and_saveexec_b64 s[6:7], vcc
	s_xor_b64 s[30:31], exec, s[6:7]
	s_cbranch_execz .LBB63_791
; %bb.786:                              ;   in Loop: Header=BB63_418 Depth=1
	v_cndmask_b32_e64 v20, |v4|, |v5|, s[4:5]
	v_cmp_nlt_f32_e32 vcc, s64, v17
	v_cmp_ngt_f32_e64 s[6:7], s65, v20
	s_and_b64 s[6:7], vcc, s[6:7]
                                        ; implicit-def: $vgpr12
                                        ; implicit-def: $vgpr13
	s_and_saveexec_b64 s[34:35], s[6:7]
	s_xor_b64 s[6:7], exec, s[34:35]
	s_cbranch_execz .LBB63_788
; %bb.787:                              ;   in Loop: Header=BB63_418 Depth=1
	v_mul_f32_e32 v12, v20, v20
	v_fmac_f32_e32 v12, v17, v17
	v_cmp_gt_f32_e32 vcc, s52, v12
	v_cndmask_b32_e32 v13, 1.0, v39, vcc
	v_mul_f32_e32 v12, v12, v13
	v_log_f32_e32 v12, v12
	v_cndmask_b32_e32 v13, 0, v40, vcc
	v_min_f32_e32 v3, v3, v15
	v_frexp_exp_i32_f32_e32 v15, v3
	v_mul_f32_e32 v17, 0x3f317217, v12
	v_fma_f32 v20, v12, s53, -v17
	v_fmac_f32_e32 v20, 0x3377d1cf, v12
	v_add_f32_e32 v17, v17, v20
	v_cmp_lt_f32_e64 vcc, |v12|, s48
	v_cndmask_b32_e32 v12, v12, v17, vcc
	v_sub_f32_e32 v12, v12, v13
	s_waitcnt lgkmcnt(0)
	v_frexp_mant_f32_e32 v13, v2
	v_rcp_f32_e32 v13, v13
	v_frexp_exp_i32_f32_e32 v2, v2
	v_frexp_mant_f32_e32 v3, v3
	v_sub_u32_e32 v2, v15, v2
	v_mul_f32_e32 v3, v3, v13
	v_ldexp_f32 v13, v3, v2
	v_mul_f32_e32 v2, v13, v13
	v_mov_b32_e32 v3, 0xbc7a590c
	v_fmac_f32_e32 v3, 0x3b2d2a58, v2
	v_fma_f32 v3, v2, v3, v32
	v_fma_f32 v3, v2, v3, v33
	;; [unrolled: 1-line block ×6, first 2 shown]
	v_mul_f32_e32 v2, v2, v3
	v_mul_f32_e32 v12, 0.5, v12
	v_fmac_f32_e32 v13, v13, v2
                                        ; implicit-def: $vgpr2
                                        ; implicit-def: $vgpr3
                                        ; implicit-def: $vgpr15
.LBB63_788:                             ;   in Loop: Header=BB63_418 Depth=1
	s_andn2_saveexec_b64 s[6:7], s[6:7]
	s_cbranch_execz .LBB63_790
; %bb.789:                              ;   in Loop: Header=BB63_418 Depth=1
	s_waitcnt lgkmcnt(0)
	v_cvt_f64_f32_e32 v[12:13], v2
	v_frexp_exp_i32_f64_e32 v12, v[12:13]
	v_sub_u32_e32 v13, 0, v12
	v_ldexp_f32 v17, |v5|, v13
	v_ldexp_f32 v13, |v4|, v13
	v_mul_f32_e32 v13, v13, v13
	v_fmac_f32_e32 v13, v17, v17
	v_sqrt_f32_e32 v13, v13
	v_cmp_neq_f32_e32 vcc, s48, v2
	v_min_f32_e32 v3, v3, v15
	v_ldexp_f32 v12, v13, v12
	v_cndmask_b32_e32 v12, v38, v12, vcc
	v_cmp_gt_f32_e32 vcc, s52, v12
	v_cndmask_b32_e32 v13, 1.0, v39, vcc
	v_mul_f32_e32 v12, v12, v13
	v_log_f32_e32 v12, v12
	v_cndmask_b32_e32 v13, 0, v40, vcc
	v_mul_f32_e32 v15, 0x3f317217, v12
	v_fma_f32 v17, v12, s53, -v15
	v_fmac_f32_e32 v17, 0x3377d1cf, v12
	v_add_f32_e32 v15, v15, v17
	v_cmp_lt_f32_e64 vcc, |v12|, s48
	v_cndmask_b32_e32 v12, v12, v15, vcc
	v_sub_f32_e32 v12, v12, v13
	v_frexp_mant_f32_e32 v13, v2
	v_rcp_f32_e32 v13, v13
	v_frexp_exp_i32_f32_e32 v2, v2
	v_frexp_exp_i32_f32_e32 v15, v3
	v_frexp_mant_f32_e32 v3, v3
	v_mul_f32_e32 v3, v3, v13
	v_sub_u32_e32 v2, v15, v2
	v_ldexp_f32 v13, v3, v2
	v_mul_f32_e32 v2, v13, v13
	v_mov_b32_e32 v3, 0xbc7a590c
	v_fmac_f32_e32 v3, 0x3b2d2a58, v2
	v_fma_f32 v3, v2, v3, v32
	v_fma_f32 v3, v2, v3, v33
	;; [unrolled: 1-line block ×6, first 2 shown]
	v_mul_f32_e32 v2, v2, v3
	v_fmac_f32_e32 v13, v13, v2
.LBB63_790:                             ;   in Loop: Header=BB63_418 Depth=1
	s_or_b64 exec, exec, s[6:7]
                                        ; implicit-def: $vgpr3
                                        ; implicit-def: $vgpr15
                                        ; implicit-def: $vgpr2
.LBB63_791:                             ;   in Loop: Header=BB63_418 Depth=1
	s_andn2_saveexec_b64 s[30:31], s[30:31]
	s_cbranch_execz .LBB63_793
; %bb.792:                              ;   in Loop: Header=BB63_418 Depth=1
	v_div_scale_f32 v12, s[6:7], s67, s67, v5
	v_rcp_f32_e32 v13, v12
	v_div_scale_f32 v17, vcc, v5, s67, v5
	v_min_f32_e32 v3, v3, v15
	v_fma_f32 v20, -v12, v13, 1.0
	v_fmac_f32_e32 v13, v20, v13
	v_mul_f32_e32 v20, v17, v13
	v_fma_f32 v21, -v12, v20, v17
	v_fmac_f32_e32 v20, v21, v13
	v_fma_f32 v12, -v12, v20, v17
	v_div_scale_f32 v17, s[6:7], s67, s67, v4
	v_rcp_f32_e32 v21, v17
	v_div_fmas_f32 v12, v12, v13, v20
	v_div_fixup_f32 v20, v12, s67, v5
	v_frexp_exp_i32_f32_e32 v15, v3
	v_fma_f32 v12, -v17, v21, 1.0
	v_fmac_f32_e32 v21, v12, v21
	v_div_scale_f32 v12, vcc, v4, s67, v4
	v_mul_f32_e32 v13, v12, v21
	v_fma_f32 v22, -v17, v13, v12
	v_fmac_f32_e32 v13, v22, v21
	v_fma_f32 v12, -v17, v13, v12
	v_div_fmas_f32 v12, v12, v21, v13
	v_div_fixup_f32 v17, v12, s67, v4
	v_max_f32_e64 v21, |v20|, |v17|
	v_cvt_f64_f32_e32 v[12:13], v21
	v_frexp_exp_i32_f64_e32 v12, v[12:13]
	v_sub_u32_e32 v13, 0, v12
	v_ldexp_f32 v20, |v20|, v13
	v_ldexp_f32 v13, |v17|, v13
	v_mul_f32_e32 v13, v13, v13
	v_fmac_f32_e32 v13, v20, v20
	v_sqrt_f32_e32 v13, v13
	v_cmp_neq_f32_e32 vcc, s48, v21
	v_frexp_mant_f32_e32 v3, v3
	v_ldexp_f32 v12, v13, v12
	v_cndmask_b32_e32 v12, v38, v12, vcc
	v_cmp_gt_f32_e32 vcc, s52, v12
	v_cndmask_b32_e32 v13, 1.0, v39, vcc
	v_mul_f32_e32 v12, v12, v13
	v_log_f32_e32 v12, v12
	v_mul_f32_e32 v13, 0x3f317217, v12
	v_fma_f32 v17, v12, s53, -v13
	v_fmac_f32_e32 v17, 0x3377d1cf, v12
	v_add_f32_e32 v13, v13, v17
	v_cmp_lt_f32_e64 s[6:7], |v12|, s48
	v_cndmask_b32_e64 v12, v12, v13, s[6:7]
	v_cndmask_b32_e32 v13, 0, v40, vcc
	v_sub_f32_e32 v12, v12, v13
	s_waitcnt lgkmcnt(0)
	v_frexp_mant_f32_e32 v13, v2
	v_rcp_f32_e32 v13, v13
	v_frexp_exp_i32_f32_e32 v2, v2
	v_sub_u32_e32 v2, v15, v2
	v_add_f32_e32 v12, 1.0, v12
	v_mul_f32_e32 v3, v3, v13
	v_ldexp_f32 v13, v3, v2
	v_mul_f32_e32 v2, v13, v13
	v_mov_b32_e32 v3, 0xbc7a590c
	v_fmac_f32_e32 v3, 0x3b2d2a58, v2
	v_fma_f32 v3, v2, v3, v32
	v_fma_f32 v3, v2, v3, v33
	;; [unrolled: 1-line block ×6, first 2 shown]
	v_mul_f32_e32 v2, v2, v3
	v_fmac_f32_e32 v13, v13, v2
.LBB63_793:                             ;   in Loop: Header=BB63_418 Depth=1
	s_or_b64 exec, exec, s[30:31]
	s_waitcnt lgkmcnt(0)
	v_sub_f32_e32 v2, 0x3fc90fdb, v13
	v_cndmask_b32_e64 v13, v13, v2, s[4:5]
.LBB63_794:                             ;   in Loop: Header=BB63_418 Depth=1
	s_or_b64 exec, exec, s[28:29]
	v_cmp_neq_f32_e32 vcc, 0, v4
	v_cmp_class_f32_e64 s[4:5], v5, s62
	v_cmp_class_f32_e64 s[6:7], v4, s62
	s_waitcnt lgkmcnt(0)
	v_cndmask_b32_e32 v2, 0, v13, vcc
	s_and_b64 vcc, s[6:7], s[4:5]
	v_cndmask_b32_e32 v2, v2, v44, vcc
	v_cmp_o_f32_e32 vcc, v4, v5
	v_cndmask_b32_e32 v2, v41, v2, vcc
	v_add_f32_e32 v3, 0x3f317218, v12
	v_bfi_b32 v12, s47, v2, v4
	v_bfi_b32 v13, s47, v3, v5
.LBB63_795:                             ;   in Loop: Header=BB63_418 Depth=1
	s_or_b64 exec, exec, s[26:27]
                                        ; implicit-def: $vgpr4_vgpr5
.LBB63_796:                             ;   in Loop: Header=BB63_418 Depth=1
	s_andn2_saveexec_b64 s[4:5], s[24:25]
	s_cbranch_execz .LBB63_417
; %bb.797:                              ;   in Loop: Header=BB63_418 Depth=1
	v_cmp_neq_f32_e64 s[6:7], |v5|, s48
	s_and_saveexec_b64 s[24:25], s[6:7]
	s_xor_b64 s[6:7], exec, s[24:25]
	s_cbranch_execz .LBB63_807
; %bb.798:                              ;   in Loop: Header=BB63_418 Depth=1
	v_cmp_neq_f32_e64 s[24:25], |v4|, s48
	s_and_saveexec_b64 s[26:27], s[24:25]
	s_xor_b64 s[24:25], exec, s[26:27]
	s_cbranch_execz .LBB63_804
; %bb.799:                              ;   in Loop: Header=BB63_418 Depth=1
	v_cmp_neq_f32_e32 vcc, 0, v4
	s_and_saveexec_b64 s[26:27], vcc
	s_xor_b64 s[26:27], exec, s[26:27]
	s_cbranch_execz .LBB63_801
; %bb.800:                              ;   in Loop: Header=BB63_418 Depth=1
	s_waitcnt lgkmcnt(0)
	v_add_f32_e32 v2, 0, v5
	v_add_f32_e32 v13, v4, v2
                                        ; implicit-def: $vgpr4_vgpr5
.LBB63_801:                             ;   in Loop: Header=BB63_418 Depth=1
	s_or_saveexec_b64 s[26:27], s[26:27]
	v_mov_b32_e32 v12, v13
	s_xor_b64 exec, exec, s[26:27]
; %bb.802:                              ;   in Loop: Header=BB63_418 Depth=1
	v_pk_add_f32 v[12:13], v[4:5], v[4:5]
	v_mov_b32_e32 v12, v4
; %bb.803:                              ;   in Loop: Header=BB63_418 Depth=1
	s_or_b64 exec, exec, s[26:27]
                                        ; implicit-def: $vgpr4_vgpr5
.LBB63_804:                             ;   in Loop: Header=BB63_418 Depth=1
	s_andn2_saveexec_b64 s[24:25], s[24:25]
; %bb.805:                              ;   in Loop: Header=BB63_418 Depth=1
	v_add_f32_e32 v12, v5, v5
	v_mov_b32_e32 v13, v4
; %bb.806:                              ;   in Loop: Header=BB63_418 Depth=1
	s_or_b64 exec, exec, s[24:25]
                                        ; implicit-def: $vgpr4_vgpr5
.LBB63_807:                             ;   in Loop: Header=BB63_418 Depth=1
	s_andn2_saveexec_b64 s[6:7], s[6:7]
	s_cbranch_execz .LBB63_416
; %bb.808:                              ;   in Loop: Header=BB63_418 Depth=1
	v_add_f32_e32 v12, v4, v4
	v_mov_b32_e32 v13, v5
	s_branch .LBB63_416
.LBB63_809:
	s_endpgm
	.section	.rodata,"a",@progbits
	.p2align	6, 0x0
	.amdhsa_kernel _ZN2at6native12_GLOBAL__N_125multi_tensor_apply_kernelINS1_18TensorListMetadataILi1EEENS1_14UnaryOpFunctorIN3c107complexIfEELi1ELi1ELi0EEEJNS0_4AsinIS8_EEEEEvT_T0_DpT1_
		.amdhsa_group_segment_fixed_size 0
		.amdhsa_private_segment_fixed_size 12
		.amdhsa_kernarg_size 3632
		.amdhsa_user_sgpr_count 8
		.amdhsa_user_sgpr_private_segment_buffer 1
		.amdhsa_user_sgpr_dispatch_ptr 0
		.amdhsa_user_sgpr_queue_ptr 0
		.amdhsa_user_sgpr_kernarg_segment_ptr 1
		.amdhsa_user_sgpr_dispatch_id 0
		.amdhsa_user_sgpr_flat_scratch_init 1
		.amdhsa_user_sgpr_kernarg_preload_length 0
		.amdhsa_user_sgpr_kernarg_preload_offset 0
		.amdhsa_user_sgpr_private_segment_size 0
		.amdhsa_uses_dynamic_stack 0
		.amdhsa_system_sgpr_private_segment_wavefront_offset 1
		.amdhsa_system_sgpr_workgroup_id_x 1
		.amdhsa_system_sgpr_workgroup_id_y 0
		.amdhsa_system_sgpr_workgroup_id_z 0
		.amdhsa_system_sgpr_workgroup_info 0
		.amdhsa_system_vgpr_workitem_id 0
		.amdhsa_next_free_vgpr 70
		.amdhsa_next_free_sgpr 84
		.amdhsa_accum_offset 72
		.amdhsa_reserve_vcc 1
		.amdhsa_reserve_flat_scratch 1
		.amdhsa_float_round_mode_32 0
		.amdhsa_float_round_mode_16_64 0
		.amdhsa_float_denorm_mode_32 3
		.amdhsa_float_denorm_mode_16_64 3
		.amdhsa_dx10_clamp 1
		.amdhsa_ieee_mode 1
		.amdhsa_fp16_overflow 0
		.amdhsa_tg_split 0
		.amdhsa_exception_fp_ieee_invalid_op 0
		.amdhsa_exception_fp_denorm_src 0
		.amdhsa_exception_fp_ieee_div_zero 0
		.amdhsa_exception_fp_ieee_overflow 0
		.amdhsa_exception_fp_ieee_underflow 0
		.amdhsa_exception_fp_ieee_inexact 0
		.amdhsa_exception_int_div_zero 0
	.end_amdhsa_kernel
	.section	.text._ZN2at6native12_GLOBAL__N_125multi_tensor_apply_kernelINS1_18TensorListMetadataILi1EEENS1_14UnaryOpFunctorIN3c107complexIfEELi1ELi1ELi0EEEJNS0_4AsinIS8_EEEEEvT_T0_DpT1_,"axG",@progbits,_ZN2at6native12_GLOBAL__N_125multi_tensor_apply_kernelINS1_18TensorListMetadataILi1EEENS1_14UnaryOpFunctorIN3c107complexIfEELi1ELi1ELi0EEEJNS0_4AsinIS8_EEEEEvT_T0_DpT1_,comdat
.Lfunc_end63:
	.size	_ZN2at6native12_GLOBAL__N_125multi_tensor_apply_kernelINS1_18TensorListMetadataILi1EEENS1_14UnaryOpFunctorIN3c107complexIfEELi1ELi1ELi0EEEJNS0_4AsinIS8_EEEEEvT_T0_DpT1_, .Lfunc_end63-_ZN2at6native12_GLOBAL__N_125multi_tensor_apply_kernelINS1_18TensorListMetadataILi1EEENS1_14UnaryOpFunctorIN3c107complexIfEELi1ELi1ELi0EEEJNS0_4AsinIS8_EEEEEvT_T0_DpT1_
                                        ; -- End function
	.section	.AMDGPU.csdata,"",@progbits
; Kernel info:
; codeLenInByte = 52584
; NumSgprs: 90
; NumVgprs: 70
; NumAgprs: 0
; TotalNumVgprs: 70
; ScratchSize: 12
; MemoryBound: 1
; FloatMode: 240
; IeeeMode: 1
; LDSByteSize: 0 bytes/workgroup (compile time only)
; SGPRBlocks: 11
; VGPRBlocks: 8
; NumSGPRsForWavesPerEU: 90
; NumVGPRsForWavesPerEU: 70
; AccumOffset: 72
; Occupancy: 7
; WaveLimiterHint : 0
; COMPUTE_PGM_RSRC2:SCRATCH_EN: 1
; COMPUTE_PGM_RSRC2:USER_SGPR: 8
; COMPUTE_PGM_RSRC2:TRAP_HANDLER: 0
; COMPUTE_PGM_RSRC2:TGID_X_EN: 1
; COMPUTE_PGM_RSRC2:TGID_Y_EN: 0
; COMPUTE_PGM_RSRC2:TGID_Z_EN: 0
; COMPUTE_PGM_RSRC2:TIDIG_COMP_CNT: 0
; COMPUTE_PGM_RSRC3_GFX90A:ACCUM_OFFSET: 17
; COMPUTE_PGM_RSRC3_GFX90A:TG_SPLIT: 0
	.section	.text._ZN2at6native12_GLOBAL__N_125multi_tensor_apply_kernelINS1_18TensorListMetadataILi1EEENS1_14UnaryOpFunctorIN3c104HalfELi1ELi1ELi0EEEJNS0_4AsinIfEEEEEvT_T0_DpT1_,"axG",@progbits,_ZN2at6native12_GLOBAL__N_125multi_tensor_apply_kernelINS1_18TensorListMetadataILi1EEENS1_14UnaryOpFunctorIN3c104HalfELi1ELi1ELi0EEEJNS0_4AsinIfEEEEEvT_T0_DpT1_,comdat
	.globl	_ZN2at6native12_GLOBAL__N_125multi_tensor_apply_kernelINS1_18TensorListMetadataILi1EEENS1_14UnaryOpFunctorIN3c104HalfELi1ELi1ELi0EEEJNS0_4AsinIfEEEEEvT_T0_DpT1_ ; -- Begin function _ZN2at6native12_GLOBAL__N_125multi_tensor_apply_kernelINS1_18TensorListMetadataILi1EEENS1_14UnaryOpFunctorIN3c104HalfELi1ELi1ELi0EEEJNS0_4AsinIfEEEEEvT_T0_DpT1_
	.p2align	8
	.type	_ZN2at6native12_GLOBAL__N_125multi_tensor_apply_kernelINS1_18TensorListMetadataILi1EEENS1_14UnaryOpFunctorIN3c104HalfELi1ELi1ELi0EEEJNS0_4AsinIfEEEEEvT_T0_DpT1_,@function
_ZN2at6native12_GLOBAL__N_125multi_tensor_apply_kernelINS1_18TensorListMetadataILi1EEENS1_14UnaryOpFunctorIN3c104HalfELi1ELi1ELi0EEEJNS0_4AsinIfEEEEEvT_T0_DpT1_: ; @_ZN2at6native12_GLOBAL__N_125multi_tensor_apply_kernelINS1_18TensorListMetadataILi1EEENS1_14UnaryOpFunctorIN3c104HalfELi1ELi1ELi0EEEJNS0_4AsinIfEEEEEvT_T0_DpT1_
; %bb.0:
	v_mov_b32_e32 v1, s6
	global_load_ubyte v1, v1, s[4:5] offset:1760
	s_add_u32 s0, s4, s6
	s_mul_hi_u32 s1, s6, 3
	s_mul_i32 s6, s6, 3
	s_addc_u32 s2, s5, 0
	s_add_u32 s0, s0, s6
	s_addc_u32 s1, s2, s1
	s_load_dword s0, s[0:1], 0x820
	s_mov_b32 s7, 0
	s_waitcnt vmcnt(0)
	v_readfirstlane_b32 s2, v1
	s_lshl_b32 s1, s2, 3
	s_load_dwordx2 s[2:3], s[4:5], s1 offset:0x370
	s_load_dwordx2 s[12:13], s[4:5], s1 offset:0x0
	s_waitcnt lgkmcnt(0)
	s_ashr_i32 s1, s0, 31
	s_lshl_b64 s[14:15], s[0:1], 17
	s_lshl_b64 s[0:1], s[0:1], 16
	s_and_b32 s6, s12, 7
	s_sub_u32 s10, s2, s0
	s_subb_u32 s11, s3, s1
	s_and_b32 s0, s2, 3
	s_mov_b32 s1, s7
	s_or_b64 s[0:1], s[6:7], s[0:1]
	s_cmp_eq_u64 s[0:1], 0
	s_cbranch_scc1 .LBB64_21
; %bb.1:
	v_cmp_lt_i64_e64 s[0:1], s[10:11], 1
	s_and_b64 vcc, exec, s[0:1]
	s_cbranch_vccnz .LBB64_20
; %bb.2:
	s_load_dword s0, s[4:5], 0xd3c
	v_mov_b32_e32 v2, 0x10000
	v_mov_b32_e32 v3, 0
	v_cmp_lt_u64_e32 vcc, s[10:11], v[2:3]
	v_lshlrev_b32_e32 v1, 1, v0
	s_waitcnt lgkmcnt(0)
	s_and_b32 s2, s0, 0xffff
	s_and_b64 s[0:1], vcc, exec
	s_cselect_b32 s17, s11, 0
	s_cselect_b32 s16, s10, 0x10000
	s_lshl_b32 s3, s2, 1
	s_lshl_b32 s23, s2, 2
	s_add_u32 s6, s12, s14
	s_addc_u32 s7, s13, s15
	v_mov_b32_e32 v3, s7
	v_add_co_u32_e32 v2, vcc, s6, v1
	s_mul_i32 s0, s2, 3
	v_addc_co_u32_e32 v3, vcc, 0, v3, vcc
	v_add_co_u32_e32 v1, vcc, s0, v0
	v_addc_co_u32_e64 v8, s[0:1], 0, 0, vcc
	v_add_co_u32_e32 v9, vcc, s3, v0
	v_addc_co_u32_e64 v10, s[0:1], 0, 0, vcc
	v_add_co_u32_e32 v11, vcc, s2, v0
	v_lshlrev_b32_e32 v4, 1, v11
	s_mov_b32 s22, 0
	v_addc_co_u32_e64 v12, s[0:1], 0, 0, vcc
	v_mov_b32_e32 v5, s7
	v_add_co_u32_e32 v4, vcc, s6, v4
	s_lshl_b32 s24, s2, 3
	s_mul_i32 s25, s2, 6
	s_mov_b32 s26, s22
	v_addc_co_u32_e32 v5, vcc, 0, v5, vcc
	s_mov_b64 s[18:19], 0
	s_mov_b32 s27, -0.5
	v_mov_b32_e32 v13, 0x3d034c3c
	v_mov_b32_e32 v14, 0x3d3641b1
	v_mov_b32_e32 v15, 0x3d999bc8
	v_mov_b32_e32 v16, 0x3e2aaaac
	s_movk_i32 s28, 0x7fff
	v_mov_b32_e32 v17, 0.5
	v_pk_mov_b32 v[6:7], s[10:11], s[10:11] op_sel:[0,1]
	v_mov_b32_e32 v18, s22
	s_branch .LBB64_4
.LBB64_3:                               ;   in Loop: Header=BB64_4 Depth=1
	s_or_b64 exec, exec, s[0:1]
	s_add_u32 s18, s18, s23
	s_waitcnt vmcnt(0)
	v_mov_b32_e32 v20, 0x10000
	s_addc_u32 s19, s19, 0
	v_mov_b32_e32 v21, 0
	v_cmp_lt_i64_e32 vcc, s[18:19], v[6:7]
	v_cmp_lt_u64_e64 s[0:1], s[18:19], v[20:21]
	s_and_b64 s[0:1], vcc, s[0:1]
	v_add_co_u32_e32 v2, vcc, s24, v2
	v_addc_co_u32_e32 v3, vcc, v3, v18, vcc
	v_add_co_u32_e32 v4, vcc, s24, v4
	v_addc_co_u32_e32 v5, vcc, v5, v18, vcc
	s_and_b64 vcc, exec, s[0:1]
	s_cbranch_vccz .LBB64_20
.LBB64_4:                               ; =>This Inner Loop Header: Depth=1
	v_mov_b32_e32 v19, s19
	v_add_co_u32_e32 v20, vcc, s18, v0
	v_addc_co_u32_e32 v21, vcc, 0, v19, vcc
	v_cmp_gt_u64_e64 s[6:7], s[16:17], v[20:21]
	v_mov_b32_e32 v22, 0
	s_and_saveexec_b64 s[0:1], s[6:7]
	s_cbranch_execz .LBB64_6
; %bb.5:                                ;   in Loop: Header=BB64_4 Depth=1
	global_load_ushort v22, v[2:3], off
.LBB64_6:                               ;   in Loop: Header=BB64_4 Depth=1
	s_or_b64 exec, exec, s[0:1]
	v_mov_b32_e32 v19, s19
	v_add_co_u32_e32 v20, vcc, s18, v11
	v_addc_co_u32_e32 v21, vcc, v12, v19, vcc
	v_cmp_gt_u64_e64 s[2:3], s[16:17], v[20:21]
	v_mov_b32_e32 v21, 0
	s_and_saveexec_b64 s[0:1], s[2:3]
	s_cbranch_execz .LBB64_8
; %bb.7:                                ;   in Loop: Header=BB64_4 Depth=1
	global_load_ushort v21, v[4:5], off
.LBB64_8:                               ;   in Loop: Header=BB64_4 Depth=1
	s_or_b64 exec, exec, s[0:1]
	v_mov_b32_e32 v19, s19
	v_add_co_u32_e32 v24, vcc, s18, v9
	v_addc_co_u32_e32 v25, vcc, v10, v19, vcc
	v_cmp_gt_u64_e64 s[0:1], s[16:17], v[24:25]
	v_mov_b32_e32 v19, 0
	v_mov_b32_e32 v20, 0
	s_and_saveexec_b64 s[8:9], s[0:1]
	s_cbranch_execz .LBB64_10
; %bb.9:                                ;   in Loop: Header=BB64_4 Depth=1
	v_mov_b32_e32 v20, s22
	v_add_co_u32_e32 v24, vcc, s23, v2
	v_addc_co_u32_e32 v25, vcc, v3, v20, vcc
	global_load_ushort v20, v[24:25], off
.LBB64_10:                              ;   in Loop: Header=BB64_4 Depth=1
	s_or_b64 exec, exec, s[8:9]
	v_mov_b32_e32 v23, s19
	v_add_co_u32_e32 v24, vcc, s18, v1
	v_addc_co_u32_e32 v25, vcc, v8, v23, vcc
	v_cmp_gt_u64_e32 vcc, s[16:17], v[24:25]
	s_and_saveexec_b64 s[20:21], vcc
	s_cbranch_execnz .LBB64_15
; %bb.11:                               ;   in Loop: Header=BB64_4 Depth=1
	s_or_b64 exec, exec, s[20:21]
	s_and_saveexec_b64 s[8:9], s[6:7]
	s_cbranch_execnz .LBB64_16
.LBB64_12:                              ;   in Loop: Header=BB64_4 Depth=1
	s_or_b64 exec, exec, s[8:9]
	s_and_saveexec_b64 s[6:7], s[2:3]
	s_cbranch_execnz .LBB64_17
.LBB64_13:                              ;   in Loop: Header=BB64_4 Depth=1
	s_or_b64 exec, exec, s[6:7]
	s_and_saveexec_b64 s[2:3], s[0:1]
	s_cbranch_execnz .LBB64_18
.LBB64_14:                              ;   in Loop: Header=BB64_4 Depth=1
	s_or_b64 exec, exec, s[2:3]
	s_and_saveexec_b64 s[0:1], vcc
	s_cbranch_execz .LBB64_3
	s_branch .LBB64_19
.LBB64_15:                              ;   in Loop: Header=BB64_4 Depth=1
	v_mov_b32_e32 v19, s26
	v_add_co_u32_e64 v24, s[8:9], s25, v2
	v_addc_co_u32_e64 v25, s[8:9], v3, v19, s[8:9]
	global_load_ushort v19, v[24:25], off
	s_or_b64 exec, exec, s[20:21]
	s_and_saveexec_b64 s[8:9], s[6:7]
	s_cbranch_execz .LBB64_12
.LBB64_16:                              ;   in Loop: Header=BB64_4 Depth=1
	s_waitcnt vmcnt(0)
	v_cvt_f32_f16_e32 v23, v22
	v_fma_mix_f32 v24, |v22|, s27, v17 op_sel_hi:[1,0,0]
	v_mov_b32_e32 v25, 0x3c5fc5da
	v_mul_f32_e32 v26, v23, v23
	v_cmp_ge_f32_e64 s[6:7], |v23|, 0.5
	v_cndmask_b32_e64 v24, v26, v24, s[6:7]
	v_fmac_f32_e32 v25, 0x3d1c21a7, v24
	v_fma_f32 v25, v24, v25, v13
	v_fma_f32 v25, v24, v25, v14
	v_sqrt_f32_e32 v26, v24
	v_fma_f32 v25, v24, v25, v15
	v_fma_f32 v25, v24, v25, v16
	v_mul_f32_e32 v24, v24, v25
	v_fmac_f32_e32 v26, v26, v24
	v_fma_mix_f32 v25, |v22|, v24, |v22| op_sel_hi:[1,0,1]
	v_add_f32_e32 v24, v26, v26
	v_sub_f32_e32 v24, 0x3fc90fdb, v24
	v_cmp_lt_f32_e64 s[6:7], |v23|, 0.5
	v_cndmask_b32_e64 v23, v24, v25, s[6:7]
	v_cvt_f16_f32_e32 v23, v23
	v_bfi_b32 v22, s28, v23, v22
	global_store_short v[2:3], v22, off
	s_or_b64 exec, exec, s[8:9]
	s_and_saveexec_b64 s[6:7], s[2:3]
	s_cbranch_execz .LBB64_13
.LBB64_17:                              ;   in Loop: Header=BB64_4 Depth=1
	s_waitcnt vmcnt(0)
	v_cvt_f32_f16_e32 v22, v21
	v_fma_mix_f32 v23, |v21|, s27, v17 op_sel_hi:[1,0,0]
	v_mov_b32_e32 v24, 0x3c5fc5da
	v_mul_f32_e32 v25, v22, v22
	v_cmp_ge_f32_e64 s[2:3], |v22|, 0.5
	v_cndmask_b32_e64 v23, v25, v23, s[2:3]
	v_fmac_f32_e32 v24, 0x3d1c21a7, v23
	v_fma_f32 v24, v23, v24, v13
	v_fma_f32 v24, v23, v24, v14
	v_sqrt_f32_e32 v25, v23
	v_fma_f32 v24, v23, v24, v15
	v_fma_f32 v24, v23, v24, v16
	v_mul_f32_e32 v23, v23, v24
	v_fmac_f32_e32 v25, v25, v23
	v_add_f32_e32 v24, v25, v25
	v_sub_f32_e32 v24, 0x3fc90fdb, v24
	v_fma_mix_f32 v23, |v21|, v23, |v21| op_sel_hi:[1,0,1]
	v_cmp_lt_f32_e64 s[2:3], |v22|, 0.5
	v_cndmask_b32_e64 v22, v24, v23, s[2:3]
	v_cvt_f16_f32_e32 v22, v22
	v_bfi_b32 v21, s28, v22, v21
	global_store_short v[4:5], v21, off
	s_or_b64 exec, exec, s[6:7]
	s_and_saveexec_b64 s[2:3], s[0:1]
	s_cbranch_execz .LBB64_14
.LBB64_18:                              ;   in Loop: Header=BB64_4 Depth=1
	s_waitcnt vmcnt(0)
	v_cvt_f32_f16_e32 v21, v20
	v_fma_mix_f32 v22, |v20|, s27, v17 op_sel_hi:[1,0,0]
	v_mov_b32_e32 v23, 0x3c5fc5da
	v_mul_f32_e32 v24, v21, v21
	v_cmp_ge_f32_e64 s[0:1], |v21|, 0.5
	v_cndmask_b32_e64 v22, v24, v22, s[0:1]
	v_fmac_f32_e32 v23, 0x3d1c21a7, v22
	v_fma_f32 v23, v22, v23, v13
	v_fma_f32 v23, v22, v23, v14
	v_sqrt_f32_e32 v24, v22
	v_fma_f32 v23, v22, v23, v15
	v_fma_f32 v23, v22, v23, v16
	v_mul_f32_e32 v22, v22, v23
	v_fmac_f32_e32 v24, v24, v22
	v_add_f32_e32 v23, v24, v24
	v_sub_f32_e32 v23, 0x3fc90fdb, v23
	v_fma_mix_f32 v22, |v20|, v22, |v20| op_sel_hi:[1,0,1]
	v_cmp_lt_f32_e64 s[0:1], |v21|, 0.5
	v_cndmask_b32_e64 v21, v23, v22, s[0:1]
	v_cvt_f16_f32_e32 v21, v21
	v_bfi_b32 v22, s28, v21, v20
	v_mov_b32_e32 v21, s22
	v_add_co_u32_e64 v20, s[0:1], s23, v2
	v_addc_co_u32_e64 v21, s[0:1], v3, v21, s[0:1]
	global_store_short v[20:21], v22, off
	s_or_b64 exec, exec, s[2:3]
	s_and_saveexec_b64 s[0:1], vcc
	s_cbranch_execz .LBB64_3
.LBB64_19:                              ;   in Loop: Header=BB64_4 Depth=1
	s_waitcnt vmcnt(0)
	v_cvt_f32_f16_e32 v20, v19
	v_fma_mix_f32 v21, |v19|, s27, v17 op_sel_hi:[1,0,0]
	v_mov_b32_e32 v22, 0x3c5fc5da
	v_mul_f32_e32 v23, v20, v20
	v_cmp_ge_f32_e64 vcc, |v20|, 0.5
	v_cndmask_b32_e32 v21, v23, v21, vcc
	v_fmac_f32_e32 v22, 0x3d1c21a7, v21
	v_fma_f32 v22, v21, v22, v13
	v_fma_f32 v22, v21, v22, v14
	v_sqrt_f32_e32 v23, v21
	v_fma_f32 v22, v21, v22, v15
	v_fma_f32 v22, v21, v22, v16
	v_mul_f32_e32 v21, v21, v22
	v_fmac_f32_e32 v23, v23, v21
	v_add_f32_e32 v22, v23, v23
	v_sub_f32_e32 v22, 0x3fc90fdb, v22
	v_fma_mix_f32 v21, |v19|, v21, |v19| op_sel_hi:[1,0,1]
	v_cmp_lt_f32_e64 vcc, |v20|, 0.5
	v_cndmask_b32_e32 v20, v22, v21, vcc
	v_cvt_f16_f32_e32 v20, v20
	v_mov_b32_e32 v21, s26
	v_bfi_b32 v19, s28, v20, v19
	v_add_co_u32_e32 v20, vcc, s25, v2
	v_addc_co_u32_e32 v21, vcc, v3, v21, vcc
	global_store_short v[20:21], v19, off
	s_branch .LBB64_3
.LBB64_20:
	s_cbranch_execz .LBB64_22
	s_branch .LBB64_25
.LBB64_21:
.LBB64_22:
	v_mov_b32_e32 v3, 0
	v_lshlrev_b32_e32 v2, 2, v0
	s_mov_b32 s0, 0
	v_cmp_gt_i64_e32 vcc, s[10:11], v[2:3]
	s_and_saveexec_b64 s[2:3], vcc
	s_cbranch_execz .LBB64_25
; %bb.23:
	s_load_dword s1, s[4:5], 0xd3c
	v_lshlrev_b32_e32 v1, 3, v0
	s_mov_b32 s6, 0x3c5fc5da
	s_mov_b32 s4, 0x3d1c21a7
	;; [unrolled: 1-line block ×3, first 2 shown]
	s_waitcnt lgkmcnt(0)
	s_and_b32 s1, s1, 0xffff
	s_add_u32 s2, s12, s14
	s_addc_u32 s3, s13, s15
	v_mov_b32_e32 v2, s3
	v_add_co_u32_e32 v4, vcc, s2, v1
	s_lshl_b32 s7, s1, 2
	v_addc_co_u32_e32 v5, vcc, 0, v2, vcc
	s_lshl_b32 s5, s1, 3
	v_add_lshl_u32 v2, v0, s1, 2
	s_mov_b64 s[2:3], 0
	v_pk_mov_b32 v[0:1], s[6:7], s[6:7] op_sel:[0,1]
	s_mov_b32 s6, 0x3d034c3c
	s_mov_b32 s12, 0x3d999bc8
	;; [unrolled: 1-line block ×3, first 2 shown]
	s_movk_i32 s9, 0x7fff
	s_mov_b64 s[16:17], 0xffff
	v_mov_b32_e32 v6, s0
	v_mov_b32_e32 v7, s0
.LBB64_24:                              ; =>This Inner Loop Header: Depth=1
	global_load_dwordx2 v[8:9], v[4:5], off
	v_cmp_le_i64_e32 vcc, s[10:11], v[2:3]
	v_cmp_lt_u64_e64 s[0:1], s[16:17], v[2:3]
	s_or_b64 s[0:1], vcc, s[0:1]
	s_and_b64 s[0:1], exec, s[0:1]
	s_or_b64 s[2:3], s[0:1], s[2:3]
	s_waitcnt vmcnt(0)
	v_lshrrev_b32_e32 v31, 16, v9
	v_cvt_f32_f16_e32 v10, v9
	v_cvt_f32_f16_e32 v11, v31
	v_lshrrev_b32_e32 v30, 16, v8
	v_cvt_f32_f16_e32 v12, v8
	v_cvt_f32_f16_e32 v13, v30
	v_and_b32_e32 v14, 0x7fffffff, v10
	v_and_b32_e32 v15, 0x7fffffff, v11
	v_pk_mul_f32 v[20:21], v[10:11], v[10:11]
	v_pk_fma_f32 v[24:25], -0.5, v[14:15], 0.5 op_sel_hi:[0,1,0]
	v_cmp_ge_f32_e64 vcc, |v11|, 0.5
	v_and_b32_e32 v16, 0x7fffffff, v12
	v_and_b32_e32 v17, 0x7fffffff, v13
	v_cndmask_b32_e32 v21, v21, v25, vcc
	v_cmp_ge_f32_e64 vcc, |v10|, 0.5
	v_pk_mul_f32 v[18:19], v[12:13], v[12:13]
	v_pk_fma_f32 v[22:23], -0.5, v[16:17], 0.5 op_sel_hi:[0,1,0]
	v_cndmask_b32_e32 v20, v20, v24, vcc
	v_cmp_ge_f32_e64 vcc, |v13|, 0.5
	v_cndmask_b32_e32 v19, v19, v23, vcc
	v_cmp_ge_f32_e64 vcc, |v12|, 0.5
	v_cndmask_b32_e32 v18, v18, v22, vcc
	v_pk_fma_f32 v[28:29], v[20:21], s[4:5], v[0:1] op_sel_hi:[1,0,0]
	v_pk_fma_f32 v[26:27], v[18:19], s[4:5], v[0:1] op_sel_hi:[1,0,0]
	;; [unrolled: 1-line block ×3, first 2 shown]
	v_sqrt_f32_e32 v24, v20
	v_sqrt_f32_e32 v25, v21
	v_pk_fma_f32 v[26:27], v[18:19], v[26:27], s[6:7] op_sel_hi:[1,1,0]
	v_pk_fma_f32 v[28:29], v[20:21], v[28:29], s[8:9] op_sel_hi:[1,1,0]
	v_sqrt_f32_e32 v22, v18
	v_sqrt_f32_e32 v23, v19
	v_pk_fma_f32 v[26:27], v[18:19], v[26:27], s[8:9] op_sel_hi:[1,1,0]
	v_pk_fma_f32 v[28:29], v[20:21], v[28:29], s[12:13] op_sel_hi:[1,1,0]
	;; [unrolled: 1-line block ×5, first 2 shown]
	v_pk_mul_f32 v[20:21], v[20:21], v[28:29]
	v_pk_mul_f32 v[18:19], v[18:19], v[26:27]
	v_pk_fma_f32 v[24:25], v[24:25], v[20:21], v[24:25]
	v_pk_fma_f32 v[22:23], v[22:23], v[18:19], v[22:23]
	;; [unrolled: 1-line block ×3, first 2 shown]
	v_pk_add_f32 v[18:19], v[24:25], v[24:25]
	v_pk_fma_f32 v[14:15], v[14:15], v[20:21], v[14:15]
	v_sub_f32_e32 v19, 0x3fc90fdb, v19
	v_cmp_lt_f32_e64 vcc, |v11|, 0.5
	v_pk_add_f32 v[20:21], v[22:23], v[22:23]
	v_sub_f32_e32 v18, 0x3fc90fdb, v18
	v_cndmask_b32_e32 v11, v19, v15, vcc
	v_cmp_lt_f32_e64 vcc, |v10|, 0.5
	v_sub_f32_e32 v21, 0x3fc90fdb, v21
	v_cndmask_b32_e32 v10, v18, v14, vcc
	v_cmp_lt_f32_e64 vcc, |v13|, 0.5
	v_sub_f32_e32 v20, 0x3fc90fdb, v20
	v_cndmask_b32_e32 v13, v21, v17, vcc
	v_cmp_lt_f32_e64 vcc, |v12|, 0.5
	v_cndmask_b32_e32 v12, v20, v16, vcc
	v_cvt_f16_f32_e32 v11, v11
	v_cvt_f16_f32_e32 v10, v10
	v_cvt_f16_f32_e32 v13, v13
	v_cvt_f16_f32_e32 v12, v12
	v_bfi_b32 v11, s9, v11, v31
	v_bfi_b32 v9, s9, v10, v9
	v_bfi_b32 v10, s9, v13, v30
	v_bfi_b32 v8, s9, v12, v8
	v_pack_b32_f16 v9, v9, v11
	v_pack_b32_f16 v8, v8, v10
	global_store_dwordx2 v[4:5], v[8:9], off
	v_add_co_u32_e32 v4, vcc, s5, v4
	v_addc_co_u32_e32 v5, vcc, v5, v6, vcc
	v_add_co_u32_e32 v2, vcc, s7, v2
	v_addc_co_u32_e32 v3, vcc, v3, v7, vcc
	s_andn2_b64 exec, exec, s[2:3]
	s_cbranch_execnz .LBB64_24
.LBB64_25:
	s_endpgm
	.section	.rodata,"a",@progbits
	.p2align	6, 0x0
	.amdhsa_kernel _ZN2at6native12_GLOBAL__N_125multi_tensor_apply_kernelINS1_18TensorListMetadataILi1EEENS1_14UnaryOpFunctorIN3c104HalfELi1ELi1ELi0EEEJNS0_4AsinIfEEEEEvT_T0_DpT1_
		.amdhsa_group_segment_fixed_size 0
		.amdhsa_private_segment_fixed_size 0
		.amdhsa_kernarg_size 3632
		.amdhsa_user_sgpr_count 6
		.amdhsa_user_sgpr_private_segment_buffer 1
		.amdhsa_user_sgpr_dispatch_ptr 0
		.amdhsa_user_sgpr_queue_ptr 0
		.amdhsa_user_sgpr_kernarg_segment_ptr 1
		.amdhsa_user_sgpr_dispatch_id 0
		.amdhsa_user_sgpr_flat_scratch_init 0
		.amdhsa_user_sgpr_kernarg_preload_length 0
		.amdhsa_user_sgpr_kernarg_preload_offset 0
		.amdhsa_user_sgpr_private_segment_size 0
		.amdhsa_uses_dynamic_stack 0
		.amdhsa_system_sgpr_private_segment_wavefront_offset 0
		.amdhsa_system_sgpr_workgroup_id_x 1
		.amdhsa_system_sgpr_workgroup_id_y 0
		.amdhsa_system_sgpr_workgroup_id_z 0
		.amdhsa_system_sgpr_workgroup_info 0
		.amdhsa_system_vgpr_workitem_id 0
		.amdhsa_next_free_vgpr 32
		.amdhsa_next_free_sgpr 29
		.amdhsa_accum_offset 32
		.amdhsa_reserve_vcc 1
		.amdhsa_reserve_flat_scratch 0
		.amdhsa_float_round_mode_32 0
		.amdhsa_float_round_mode_16_64 0
		.amdhsa_float_denorm_mode_32 3
		.amdhsa_float_denorm_mode_16_64 3
		.amdhsa_dx10_clamp 1
		.amdhsa_ieee_mode 1
		.amdhsa_fp16_overflow 0
		.amdhsa_tg_split 0
		.amdhsa_exception_fp_ieee_invalid_op 0
		.amdhsa_exception_fp_denorm_src 0
		.amdhsa_exception_fp_ieee_div_zero 0
		.amdhsa_exception_fp_ieee_overflow 0
		.amdhsa_exception_fp_ieee_underflow 0
		.amdhsa_exception_fp_ieee_inexact 0
		.amdhsa_exception_int_div_zero 0
	.end_amdhsa_kernel
	.section	.text._ZN2at6native12_GLOBAL__N_125multi_tensor_apply_kernelINS1_18TensorListMetadataILi1EEENS1_14UnaryOpFunctorIN3c104HalfELi1ELi1ELi0EEEJNS0_4AsinIfEEEEEvT_T0_DpT1_,"axG",@progbits,_ZN2at6native12_GLOBAL__N_125multi_tensor_apply_kernelINS1_18TensorListMetadataILi1EEENS1_14UnaryOpFunctorIN3c104HalfELi1ELi1ELi0EEEJNS0_4AsinIfEEEEEvT_T0_DpT1_,comdat
.Lfunc_end64:
	.size	_ZN2at6native12_GLOBAL__N_125multi_tensor_apply_kernelINS1_18TensorListMetadataILi1EEENS1_14UnaryOpFunctorIN3c104HalfELi1ELi1ELi0EEEJNS0_4AsinIfEEEEEvT_T0_DpT1_, .Lfunc_end64-_ZN2at6native12_GLOBAL__N_125multi_tensor_apply_kernelINS1_18TensorListMetadataILi1EEENS1_14UnaryOpFunctorIN3c104HalfELi1ELi1ELi0EEEJNS0_4AsinIfEEEEEvT_T0_DpT1_
                                        ; -- End function
	.section	.AMDGPU.csdata,"",@progbits
; Kernel info:
; codeLenInByte = 2048
; NumSgprs: 33
; NumVgprs: 32
; NumAgprs: 0
; TotalNumVgprs: 32
; ScratchSize: 0
; MemoryBound: 0
; FloatMode: 240
; IeeeMode: 1
; LDSByteSize: 0 bytes/workgroup (compile time only)
; SGPRBlocks: 4
; VGPRBlocks: 3
; NumSGPRsForWavesPerEU: 33
; NumVGPRsForWavesPerEU: 32
; AccumOffset: 32
; Occupancy: 8
; WaveLimiterHint : 0
; COMPUTE_PGM_RSRC2:SCRATCH_EN: 0
; COMPUTE_PGM_RSRC2:USER_SGPR: 6
; COMPUTE_PGM_RSRC2:TRAP_HANDLER: 0
; COMPUTE_PGM_RSRC2:TGID_X_EN: 1
; COMPUTE_PGM_RSRC2:TGID_Y_EN: 0
; COMPUTE_PGM_RSRC2:TGID_Z_EN: 0
; COMPUTE_PGM_RSRC2:TIDIG_COMP_CNT: 0
; COMPUTE_PGM_RSRC3_GFX90A:ACCUM_OFFSET: 7
; COMPUTE_PGM_RSRC3_GFX90A:TG_SPLIT: 0
	.section	.text._ZN2at6native12_GLOBAL__N_125multi_tensor_apply_kernelINS1_18TensorListMetadataILi1EEENS1_14UnaryOpFunctorIN3c108BFloat16ELi1ELi1ELi0EEEJNS0_4AsinIfEEEEEvT_T0_DpT1_,"axG",@progbits,_ZN2at6native12_GLOBAL__N_125multi_tensor_apply_kernelINS1_18TensorListMetadataILi1EEENS1_14UnaryOpFunctorIN3c108BFloat16ELi1ELi1ELi0EEEJNS0_4AsinIfEEEEEvT_T0_DpT1_,comdat
	.globl	_ZN2at6native12_GLOBAL__N_125multi_tensor_apply_kernelINS1_18TensorListMetadataILi1EEENS1_14UnaryOpFunctorIN3c108BFloat16ELi1ELi1ELi0EEEJNS0_4AsinIfEEEEEvT_T0_DpT1_ ; -- Begin function _ZN2at6native12_GLOBAL__N_125multi_tensor_apply_kernelINS1_18TensorListMetadataILi1EEENS1_14UnaryOpFunctorIN3c108BFloat16ELi1ELi1ELi0EEEJNS0_4AsinIfEEEEEvT_T0_DpT1_
	.p2align	8
	.type	_ZN2at6native12_GLOBAL__N_125multi_tensor_apply_kernelINS1_18TensorListMetadataILi1EEENS1_14UnaryOpFunctorIN3c108BFloat16ELi1ELi1ELi0EEEJNS0_4AsinIfEEEEEvT_T0_DpT1_,@function
_ZN2at6native12_GLOBAL__N_125multi_tensor_apply_kernelINS1_18TensorListMetadataILi1EEENS1_14UnaryOpFunctorIN3c108BFloat16ELi1ELi1ELi0EEEJNS0_4AsinIfEEEEEvT_T0_DpT1_: ; @_ZN2at6native12_GLOBAL__N_125multi_tensor_apply_kernelINS1_18TensorListMetadataILi1EEENS1_14UnaryOpFunctorIN3c108BFloat16ELi1ELi1ELi0EEEJNS0_4AsinIfEEEEEvT_T0_DpT1_
; %bb.0:
	v_mov_b32_e32 v1, s6
	global_load_ubyte v1, v1, s[4:5] offset:1760
	s_add_u32 s0, s4, s6
	s_mul_hi_u32 s1, s6, 3
	s_mul_i32 s6, s6, 3
	s_addc_u32 s2, s5, 0
	s_add_u32 s0, s0, s6
	s_addc_u32 s1, s2, s1
	s_load_dword s0, s[0:1], 0x820
	s_mov_b32 s7, 0
	s_waitcnt vmcnt(0)
	v_readfirstlane_b32 s2, v1
	s_lshl_b32 s1, s2, 3
	s_load_dwordx2 s[2:3], s[4:5], s1 offset:0x370
	s_load_dwordx2 s[12:13], s[4:5], s1 offset:0x0
	s_waitcnt lgkmcnt(0)
	s_ashr_i32 s1, s0, 31
	s_lshl_b64 s[14:15], s[0:1], 17
	s_lshl_b64 s[0:1], s[0:1], 16
	s_and_b32 s6, s12, 7
	s_sub_u32 s10, s2, s0
	s_subb_u32 s11, s3, s1
	s_and_b32 s0, s2, 3
	s_mov_b32 s1, s7
	s_or_b64 s[0:1], s[6:7], s[0:1]
	s_cmp_eq_u64 s[0:1], 0
	s_cbranch_scc1 .LBB65_21
; %bb.1:
	v_cmp_lt_i64_e64 s[0:1], s[10:11], 1
	s_and_b64 vcc, exec, s[0:1]
	s_cbranch_vccnz .LBB65_20
; %bb.2:
	s_load_dword s0, s[4:5], 0xd3c
	v_mov_b32_e32 v2, 0x10000
	v_mov_b32_e32 v3, 0
	v_cmp_lt_u64_e32 vcc, s[10:11], v[2:3]
	v_lshlrev_b32_e32 v1, 1, v0
	s_waitcnt lgkmcnt(0)
	s_and_b32 s2, s0, 0xffff
	s_and_b64 s[0:1], vcc, exec
	s_cselect_b32 s17, s11, 0
	s_cselect_b32 s16, s10, 0x10000
	s_lshl_b32 s3, s2, 1
	s_lshl_b32 s23, s2, 2
	s_add_u32 s6, s12, s14
	s_addc_u32 s7, s13, s15
	v_mov_b32_e32 v3, s7
	v_add_co_u32_e32 v2, vcc, s6, v1
	s_mul_i32 s0, s2, 3
	v_addc_co_u32_e32 v3, vcc, 0, v3, vcc
	v_add_co_u32_e32 v1, vcc, s0, v0
	v_addc_co_u32_e64 v8, s[0:1], 0, 0, vcc
	v_add_co_u32_e32 v9, vcc, s3, v0
	v_addc_co_u32_e64 v10, s[0:1], 0, 0, vcc
	v_add_co_u32_e32 v11, vcc, s2, v0
	v_lshlrev_b32_e32 v4, 1, v11
	s_mov_b32 s22, 0
	v_addc_co_u32_e64 v12, s[0:1], 0, 0, vcc
	v_mov_b32_e32 v5, s7
	v_add_co_u32_e32 v4, vcc, s6, v4
	s_lshl_b32 s24, s2, 3
	s_mul_i32 s25, s2, 6
	s_mov_b32 s26, s22
	v_addc_co_u32_e32 v5, vcc, 0, v5, vcc
	s_mov_b64 s[18:19], 0
	v_mov_b32_e32 v13, 0x3d034c3c
	v_mov_b32_e32 v14, 0x3d3641b1
	;; [unrolled: 1-line block ×4, first 2 shown]
	s_brev_b32 s27, -2
	s_movk_i32 s28, 0x7fff
	v_mov_b32_e32 v17, 0x7fc0
	v_pk_mov_b32 v[6:7], s[10:11], s[10:11] op_sel:[0,1]
	v_mov_b32_e32 v18, s22
	s_branch .LBB65_4
.LBB65_3:                               ;   in Loop: Header=BB65_4 Depth=1
	s_or_b64 exec, exec, s[0:1]
	s_add_u32 s18, s18, s23
	s_waitcnt vmcnt(0)
	v_mov_b32_e32 v20, 0x10000
	s_addc_u32 s19, s19, 0
	v_mov_b32_e32 v21, 0
	v_cmp_lt_i64_e32 vcc, s[18:19], v[6:7]
	v_cmp_lt_u64_e64 s[0:1], s[18:19], v[20:21]
	s_and_b64 s[0:1], vcc, s[0:1]
	v_add_co_u32_e32 v2, vcc, s24, v2
	v_addc_co_u32_e32 v3, vcc, v3, v18, vcc
	v_add_co_u32_e32 v4, vcc, s24, v4
	v_addc_co_u32_e32 v5, vcc, v5, v18, vcc
	s_and_b64 vcc, exec, s[0:1]
	s_cbranch_vccz .LBB65_20
.LBB65_4:                               ; =>This Inner Loop Header: Depth=1
	v_mov_b32_e32 v19, s19
	v_add_co_u32_e32 v20, vcc, s18, v0
	v_addc_co_u32_e32 v21, vcc, 0, v19, vcc
	v_cmp_gt_u64_e64 s[6:7], s[16:17], v[20:21]
	v_mov_b32_e32 v22, 0
	s_and_saveexec_b64 s[0:1], s[6:7]
	s_cbranch_execz .LBB65_6
; %bb.5:                                ;   in Loop: Header=BB65_4 Depth=1
	global_load_ushort v22, v[2:3], off
.LBB65_6:                               ;   in Loop: Header=BB65_4 Depth=1
	s_or_b64 exec, exec, s[0:1]
	v_mov_b32_e32 v19, s19
	v_add_co_u32_e32 v20, vcc, s18, v11
	v_addc_co_u32_e32 v21, vcc, v12, v19, vcc
	v_cmp_gt_u64_e64 s[2:3], s[16:17], v[20:21]
	v_mov_b32_e32 v21, 0
	s_and_saveexec_b64 s[0:1], s[2:3]
	s_cbranch_execz .LBB65_8
; %bb.7:                                ;   in Loop: Header=BB65_4 Depth=1
	global_load_ushort v21, v[4:5], off
.LBB65_8:                               ;   in Loop: Header=BB65_4 Depth=1
	s_or_b64 exec, exec, s[0:1]
	v_mov_b32_e32 v19, s19
	v_add_co_u32_e32 v24, vcc, s18, v9
	v_addc_co_u32_e32 v25, vcc, v10, v19, vcc
	v_cmp_gt_u64_e64 s[0:1], s[16:17], v[24:25]
	v_mov_b32_e32 v19, 0
	v_mov_b32_e32 v20, 0
	s_and_saveexec_b64 s[8:9], s[0:1]
	s_cbranch_execz .LBB65_10
; %bb.9:                                ;   in Loop: Header=BB65_4 Depth=1
	v_mov_b32_e32 v20, s22
	v_add_co_u32_e32 v24, vcc, s23, v2
	v_addc_co_u32_e32 v25, vcc, v3, v20, vcc
	global_load_ushort v20, v[24:25], off
.LBB65_10:                              ;   in Loop: Header=BB65_4 Depth=1
	s_or_b64 exec, exec, s[8:9]
	v_mov_b32_e32 v23, s19
	v_add_co_u32_e32 v24, vcc, s18, v1
	v_addc_co_u32_e32 v25, vcc, v8, v23, vcc
	v_cmp_gt_u64_e32 vcc, s[16:17], v[24:25]
	s_and_saveexec_b64 s[20:21], vcc
	s_cbranch_execnz .LBB65_15
; %bb.11:                               ;   in Loop: Header=BB65_4 Depth=1
	s_or_b64 exec, exec, s[20:21]
	s_and_saveexec_b64 s[8:9], s[6:7]
	s_cbranch_execnz .LBB65_16
.LBB65_12:                              ;   in Loop: Header=BB65_4 Depth=1
	s_or_b64 exec, exec, s[8:9]
	s_and_saveexec_b64 s[6:7], s[2:3]
	s_cbranch_execnz .LBB65_17
.LBB65_13:                              ;   in Loop: Header=BB65_4 Depth=1
	s_or_b64 exec, exec, s[6:7]
	s_and_saveexec_b64 s[2:3], s[0:1]
	s_cbranch_execnz .LBB65_18
.LBB65_14:                              ;   in Loop: Header=BB65_4 Depth=1
	s_or_b64 exec, exec, s[2:3]
	s_and_saveexec_b64 s[0:1], vcc
	s_cbranch_execz .LBB65_3
	s_branch .LBB65_19
.LBB65_15:                              ;   in Loop: Header=BB65_4 Depth=1
	v_mov_b32_e32 v19, s26
	v_add_co_u32_e64 v24, s[8:9], s25, v2
	v_addc_co_u32_e64 v25, s[8:9], v3, v19, s[8:9]
	global_load_ushort v19, v[24:25], off
	s_or_b64 exec, exec, s[20:21]
	s_and_saveexec_b64 s[8:9], s[6:7]
	s_cbranch_execz .LBB65_12
.LBB65_16:                              ;   in Loop: Header=BB65_4 Depth=1
	s_waitcnt vmcnt(0)
	v_lshlrev_b32_e32 v22, 16, v22
	v_fma_f32 v23, |v22|, -0.5, 0.5
	v_mul_f32_e32 v24, v22, v22
	v_cmp_ge_f32_e64 s[6:7], |v22|, 0.5
	v_cndmask_b32_e64 v23, v24, v23, s[6:7]
	v_mov_b32_e32 v24, 0x3c5fc5da
	v_fmac_f32_e32 v24, 0x3d1c21a7, v23
	v_fma_f32 v24, v23, v24, v13
	v_fma_f32 v24, v23, v24, v14
	v_sqrt_f32_e32 v25, v23
	v_fma_f32 v24, v23, v24, v15
	v_fma_f32 v24, v23, v24, v16
	v_mul_f32_e32 v23, v23, v24
	v_fmac_f32_e32 v25, v25, v23
	v_fma_f32 v24, |v22|, v23, |v22|
	v_add_f32_e32 v23, v25, v25
	v_sub_f32_e32 v23, 0x3fc90fdb, v23
	v_cmp_lt_f32_e64 s[6:7], |v22|, 0.5
	v_cndmask_b32_e64 v23, v23, v24, s[6:7]
	v_bfi_b32 v22, s27, v23, v22
	v_bfe_u32 v23, v22, 16, 1
	v_add3_u32 v23, v22, v23, s28
	v_lshrrev_b32_e32 v23, 16, v23
	v_cmp_o_f32_e64 s[6:7], v22, v22
	v_cndmask_b32_e64 v22, v17, v23, s[6:7]
	global_store_short v[2:3], v22, off
	s_or_b64 exec, exec, s[8:9]
	s_and_saveexec_b64 s[6:7], s[2:3]
	s_cbranch_execz .LBB65_13
.LBB65_17:                              ;   in Loop: Header=BB65_4 Depth=1
	s_waitcnt vmcnt(0)
	v_lshlrev_b32_e32 v21, 16, v21
	v_fma_f32 v22, |v21|, -0.5, 0.5
	v_mul_f32_e32 v23, v21, v21
	v_cmp_ge_f32_e64 s[2:3], |v21|, 0.5
	v_cndmask_b32_e64 v22, v23, v22, s[2:3]
	v_mov_b32_e32 v23, 0x3c5fc5da
	v_fmac_f32_e32 v23, 0x3d1c21a7, v22
	v_fma_f32 v23, v22, v23, v13
	v_fma_f32 v23, v22, v23, v14
	v_sqrt_f32_e32 v24, v22
	v_fma_f32 v23, v22, v23, v15
	v_fma_f32 v23, v22, v23, v16
	v_mul_f32_e32 v22, v22, v23
	v_fmac_f32_e32 v24, v24, v22
	v_add_f32_e32 v23, v24, v24
	v_sub_f32_e32 v23, 0x3fc90fdb, v23
	v_fma_f32 v22, |v21|, v22, |v21|
	v_cmp_lt_f32_e64 s[2:3], |v21|, 0.5
	v_cndmask_b32_e64 v22, v23, v22, s[2:3]
	v_bfi_b32 v21, s27, v22, v21
	v_bfe_u32 v22, v21, 16, 1
	v_add3_u32 v22, v21, v22, s28
	v_lshrrev_b32_e32 v22, 16, v22
	v_cmp_o_f32_e64 s[2:3], v21, v21
	v_cndmask_b32_e64 v21, v17, v22, s[2:3]
	global_store_short v[4:5], v21, off
	s_or_b64 exec, exec, s[6:7]
	s_and_saveexec_b64 s[2:3], s[0:1]
	s_cbranch_execz .LBB65_14
.LBB65_18:                              ;   in Loop: Header=BB65_4 Depth=1
	s_waitcnt vmcnt(0)
	v_lshlrev_b32_e32 v20, 16, v20
	v_fma_f32 v21, |v20|, -0.5, 0.5
	v_mul_f32_e32 v22, v20, v20
	v_cmp_ge_f32_e64 s[0:1], |v20|, 0.5
	v_cndmask_b32_e64 v21, v22, v21, s[0:1]
	v_mov_b32_e32 v22, 0x3c5fc5da
	v_fmac_f32_e32 v22, 0x3d1c21a7, v21
	v_fma_f32 v22, v21, v22, v13
	v_fma_f32 v22, v21, v22, v14
	v_sqrt_f32_e32 v23, v21
	v_fma_f32 v22, v21, v22, v15
	v_fma_f32 v22, v21, v22, v16
	v_mul_f32_e32 v21, v21, v22
	v_fmac_f32_e32 v23, v23, v21
	v_add_f32_e32 v22, v23, v23
	v_sub_f32_e32 v22, 0x3fc90fdb, v22
	v_fma_f32 v21, |v20|, v21, |v20|
	v_cmp_lt_f32_e64 s[0:1], |v20|, 0.5
	v_cndmask_b32_e64 v21, v22, v21, s[0:1]
	v_bfi_b32 v20, s27, v21, v20
	v_bfe_u32 v21, v20, 16, 1
	v_add3_u32 v21, v20, v21, s28
	v_lshrrev_b32_e32 v21, 16, v21
	v_cmp_o_f32_e64 s[0:1], v20, v20
	v_cndmask_b32_e64 v22, v17, v21, s[0:1]
	v_mov_b32_e32 v21, s22
	v_add_co_u32_e64 v20, s[0:1], s23, v2
	v_addc_co_u32_e64 v21, s[0:1], v3, v21, s[0:1]
	global_store_short v[20:21], v22, off
	s_or_b64 exec, exec, s[2:3]
	s_and_saveexec_b64 s[0:1], vcc
	s_cbranch_execz .LBB65_3
.LBB65_19:                              ;   in Loop: Header=BB65_4 Depth=1
	s_waitcnt vmcnt(0)
	v_lshlrev_b32_e32 v19, 16, v19
	v_fma_f32 v20, |v19|, -0.5, 0.5
	v_mul_f32_e32 v21, v19, v19
	v_cmp_ge_f32_e64 vcc, |v19|, 0.5
	v_cndmask_b32_e32 v20, v21, v20, vcc
	v_mov_b32_e32 v21, 0x3c5fc5da
	v_fmac_f32_e32 v21, 0x3d1c21a7, v20
	v_fma_f32 v21, v20, v21, v13
	v_fma_f32 v21, v20, v21, v14
	v_sqrt_f32_e32 v22, v20
	v_fma_f32 v21, v20, v21, v15
	v_fma_f32 v21, v20, v21, v16
	v_mul_f32_e32 v20, v20, v21
	v_fmac_f32_e32 v22, v22, v20
	v_add_f32_e32 v21, v22, v22
	v_sub_f32_e32 v21, 0x3fc90fdb, v21
	v_fma_f32 v20, |v19|, v20, |v19|
	v_cmp_lt_f32_e64 vcc, |v19|, 0.5
	v_cndmask_b32_e32 v20, v21, v20, vcc
	v_bfi_b32 v19, s27, v20, v19
	v_bfe_u32 v20, v19, 16, 1
	v_add3_u32 v20, v19, v20, s28
	v_lshrrev_b32_e32 v20, 16, v20
	v_cmp_o_f32_e32 vcc, v19, v19
	v_cndmask_b32_e32 v19, v17, v20, vcc
	v_mov_b32_e32 v21, s26
	v_add_co_u32_e32 v20, vcc, s25, v2
	v_addc_co_u32_e32 v21, vcc, v3, v21, vcc
	global_store_short v[20:21], v19, off
	s_branch .LBB65_3
.LBB65_20:
	s_cbranch_execz .LBB65_22
	s_branch .LBB65_25
.LBB65_21:
.LBB65_22:
	v_mov_b32_e32 v3, 0
	v_lshlrev_b32_e32 v2, 2, v0
	s_mov_b32 s0, 0
	v_cmp_gt_i64_e32 vcc, s[10:11], v[2:3]
	s_and_saveexec_b64 s[2:3], vcc
	s_cbranch_execz .LBB65_25
; %bb.23:
	s_load_dword s1, s[4:5], 0xd3c
	v_lshlrev_b32_e32 v1, 3, v0
	s_mov_b32 s6, 0x3c5fc5da
	s_brev_b32 s9, -2
	s_mov_b32 s4, 0x3d1c21a7
	s_waitcnt lgkmcnt(0)
	s_and_b32 s1, s1, 0xffff
	s_add_u32 s2, s12, s14
	s_addc_u32 s3, s13, s15
	v_mov_b32_e32 v2, s3
	v_add_co_u32_e32 v4, vcc, s2, v1
	s_lshl_b32 s7, s1, 2
	v_addc_co_u32_e32 v5, vcc, 0, v2, vcc
	s_lshl_b32 s5, s1, 3
	v_add_lshl_u32 v2, v0, s1, 2
	s_mov_b64 s[2:3], 0
	v_pk_mov_b32 v[0:1], s[6:7], s[6:7] op_sel:[0,1]
	s_mov_b32 s6, 0x3d034c3c
	s_mov_b32 s8, 0x3d3641b1
	;; [unrolled: 1-line block ×4, first 2 shown]
	s_movk_i32 s13, 0x7fff
	v_mov_b32_e32 v6, 0x7fc0
	v_mov_b32_e32 v7, 0x7fc00000
	s_mov_b64 s[16:17], 0xffff
	v_mov_b32_e32 v8, s0
	v_mov_b32_e32 v9, s0
.LBB65_24:                              ; =>This Inner Loop Header: Depth=1
	global_load_dwordx2 v[10:11], v[4:5], off
	v_cmp_le_i64_e32 vcc, s[10:11], v[2:3]
	v_cmp_lt_u64_e64 s[0:1], s[16:17], v[2:3]
	s_or_b64 s[0:1], vcc, s[0:1]
	s_and_b64 s[0:1], exec, s[0:1]
	s_or_b64 s[2:3], s[0:1], s[2:3]
	s_waitcnt vmcnt(0)
	v_lshlrev_b32_e32 v12, 16, v10
	v_and_b32_e32 v13, 0xffff0000, v10
	v_alignbit_b32 v14, v11, v10, 16
	v_and_b32_e32 v17, 0x7fffffff, v13
	v_and_b32_e32 v16, 0x7fffffff, v12
	;; [unrolled: 1-line block ×4, first 2 shown]
	v_pk_mul_f32 v[18:19], v[12:13], v[12:13]
	v_pk_fma_f32 v[20:21], -0.5, v[16:17], 0.5 op_sel_hi:[0,1,0]
	v_cmp_ge_f32_e64 vcc, |v13|, 0.5
	v_and_b32_e32 v15, 0x7fffffff, v11
	v_and_b32_e32 v14, 0x7fffffff, v10
	v_cndmask_b32_e32 v19, v19, v21, vcc
	v_cmp_ge_f32_e64 vcc, |v12|, 0.5
	v_pk_mul_f32 v[22:23], v[10:11], v[10:11]
	v_pk_fma_f32 v[24:25], -0.5, v[14:15], 0.5 op_sel_hi:[0,1,0]
	v_cndmask_b32_e32 v18, v18, v20, vcc
	v_cmp_ge_f32_e64 vcc, |v10|, 0.5
	v_cndmask_b32_e32 v20, v22, v24, vcc
	v_cmp_ge_f32_e64 vcc, |v11|, 0.5
	v_cndmask_b32_e32 v21, v23, v25, vcc
	v_pk_fma_f32 v[24:25], v[18:19], s[4:5], v[0:1] op_sel_hi:[1,0,0]
	v_pk_fma_f32 v[24:25], v[18:19], v[24:25], s[6:7] op_sel_hi:[1,1,0]
	v_sqrt_f32_e32 v22, v18
	v_sqrt_f32_e32 v23, v19
	v_pk_fma_f32 v[28:29], v[20:21], s[4:5], v[0:1] op_sel_hi:[1,0,0]
	v_pk_fma_f32 v[24:25], v[18:19], v[24:25], s[8:9] op_sel_hi:[1,1,0]
	;; [unrolled: 1-line block ×4, first 2 shown]
	v_sqrt_f32_e32 v26, v20
	v_sqrt_f32_e32 v27, v21
	v_pk_fma_f32 v[28:29], v[20:21], v[28:29], s[8:9] op_sel_hi:[1,1,0]
	v_pk_fma_f32 v[24:25], v[18:19], v[24:25], s[14:15] op_sel_hi:[1,1,0]
	;; [unrolled: 1-line block ×3, first 2 shown]
	v_pk_mul_f32 v[18:19], v[18:19], v[24:25]
	v_pk_fma_f32 v[28:29], v[20:21], v[28:29], s[14:15] op_sel_hi:[1,1,0]
	v_pk_fma_f32 v[22:23], v[22:23], v[18:19], v[22:23]
	v_pk_mul_f32 v[20:21], v[20:21], v[28:29]
	v_pk_add_f32 v[22:23], v[22:23], v[22:23]
	v_pk_fma_f32 v[16:17], v[16:17], v[18:19], v[16:17]
	v_pk_fma_f32 v[18:19], v[26:27], v[20:21], v[26:27]
	;; [unrolled: 1-line block ×3, first 2 shown]
	v_sub_f32_e32 v21, 0x3fc90fdb, v22
	v_cmp_lt_f32_e64 vcc, |v12|, 0.5
	v_pk_add_f32 v[18:19], v[18:19], v[18:19]
	v_sub_f32_e32 v20, 0x3fc90fdb, v23
	v_cndmask_b32_e32 v16, v21, v16, vcc
	v_cmp_lt_f32_e64 vcc, |v13|, 0.5
	v_sub_f32_e32 v18, 0x3fc90fdb, v18
	v_cndmask_b32_e32 v17, v20, v17, vcc
	v_cmp_lt_f32_e64 vcc, |v10|, 0.5
	;; [unrolled: 3-line block ×3, first 2 shown]
	v_bfi_b32 v12, s9, v16, v12
	v_cndmask_b32_e32 v15, v19, v15, vcc
	v_bfi_b32 v13, s9, v17, v13
	v_bfi_b32 v10, s9, v14, v10
	v_bfe_u32 v14, v12, 16, 1
	v_bfi_b32 v11, s9, v15, v11
	v_bfe_u32 v15, v13, 16, 1
	v_add3_u32 v14, v12, v14, s13
	v_add3_u32 v15, v13, v15, s13
	v_bfe_u32 v16, v10, 16, 1
	v_lshrrev_b32_e32 v14, 16, v14
	v_cmp_o_f32_e32 vcc, v12, v12
	v_bfe_u32 v17, v11, 16, 1
	v_and_b32_e32 v15, 0xffff0000, v15
	v_add3_u32 v16, v10, v16, s13
	v_cndmask_b32_e32 v12, v6, v14, vcc
	v_cmp_o_f32_e32 vcc, v13, v13
	v_add3_u32 v17, v11, v17, s13
	v_lshrrev_b32_e32 v16, 16, v16
	v_cndmask_b32_e32 v13, v7, v15, vcc
	v_cmp_o_f32_e32 vcc, v10, v10
	v_and_b32_e32 v17, 0xffff0000, v17
	v_cndmask_b32_e32 v14, v6, v16, vcc
	v_cmp_o_f32_e32 vcc, v11, v11
	v_cndmask_b32_e32 v11, v7, v17, vcc
	v_or3_b32 v10, v12, 0, v13
	v_or3_b32 v11, 0, v14, v11
	global_store_dwordx2 v[4:5], v[10:11], off
	v_add_co_u32_e32 v4, vcc, s5, v4
	v_addc_co_u32_e32 v5, vcc, v5, v8, vcc
	v_add_co_u32_e32 v2, vcc, s7, v2
	v_addc_co_u32_e32 v3, vcc, v3, v9, vcc
	s_andn2_b64 exec, exec, s[2:3]
	s_cbranch_execnz .LBB65_24
.LBB65_25:
	s_endpgm
	.section	.rodata,"a",@progbits
	.p2align	6, 0x0
	.amdhsa_kernel _ZN2at6native12_GLOBAL__N_125multi_tensor_apply_kernelINS1_18TensorListMetadataILi1EEENS1_14UnaryOpFunctorIN3c108BFloat16ELi1ELi1ELi0EEEJNS0_4AsinIfEEEEEvT_T0_DpT1_
		.amdhsa_group_segment_fixed_size 0
		.amdhsa_private_segment_fixed_size 0
		.amdhsa_kernarg_size 3632
		.amdhsa_user_sgpr_count 6
		.amdhsa_user_sgpr_private_segment_buffer 1
		.amdhsa_user_sgpr_dispatch_ptr 0
		.amdhsa_user_sgpr_queue_ptr 0
		.amdhsa_user_sgpr_kernarg_segment_ptr 1
		.amdhsa_user_sgpr_dispatch_id 0
		.amdhsa_user_sgpr_flat_scratch_init 0
		.amdhsa_user_sgpr_kernarg_preload_length 0
		.amdhsa_user_sgpr_kernarg_preload_offset 0
		.amdhsa_user_sgpr_private_segment_size 0
		.amdhsa_uses_dynamic_stack 0
		.amdhsa_system_sgpr_private_segment_wavefront_offset 0
		.amdhsa_system_sgpr_workgroup_id_x 1
		.amdhsa_system_sgpr_workgroup_id_y 0
		.amdhsa_system_sgpr_workgroup_id_z 0
		.amdhsa_system_sgpr_workgroup_info 0
		.amdhsa_system_vgpr_workitem_id 0
		.amdhsa_next_free_vgpr 30
		.amdhsa_next_free_sgpr 29
		.amdhsa_accum_offset 32
		.amdhsa_reserve_vcc 1
		.amdhsa_reserve_flat_scratch 0
		.amdhsa_float_round_mode_32 0
		.amdhsa_float_round_mode_16_64 0
		.amdhsa_float_denorm_mode_32 3
		.amdhsa_float_denorm_mode_16_64 3
		.amdhsa_dx10_clamp 1
		.amdhsa_ieee_mode 1
		.amdhsa_fp16_overflow 0
		.amdhsa_tg_split 0
		.amdhsa_exception_fp_ieee_invalid_op 0
		.amdhsa_exception_fp_denorm_src 0
		.amdhsa_exception_fp_ieee_div_zero 0
		.amdhsa_exception_fp_ieee_overflow 0
		.amdhsa_exception_fp_ieee_underflow 0
		.amdhsa_exception_fp_ieee_inexact 0
		.amdhsa_exception_int_div_zero 0
	.end_amdhsa_kernel
	.section	.text._ZN2at6native12_GLOBAL__N_125multi_tensor_apply_kernelINS1_18TensorListMetadataILi1EEENS1_14UnaryOpFunctorIN3c108BFloat16ELi1ELi1ELi0EEEJNS0_4AsinIfEEEEEvT_T0_DpT1_,"axG",@progbits,_ZN2at6native12_GLOBAL__N_125multi_tensor_apply_kernelINS1_18TensorListMetadataILi1EEENS1_14UnaryOpFunctorIN3c108BFloat16ELi1ELi1ELi0EEEJNS0_4AsinIfEEEEEvT_T0_DpT1_,comdat
.Lfunc_end65:
	.size	_ZN2at6native12_GLOBAL__N_125multi_tensor_apply_kernelINS1_18TensorListMetadataILi1EEENS1_14UnaryOpFunctorIN3c108BFloat16ELi1ELi1ELi0EEEJNS0_4AsinIfEEEEEvT_T0_DpT1_, .Lfunc_end65-_ZN2at6native12_GLOBAL__N_125multi_tensor_apply_kernelINS1_18TensorListMetadataILi1EEENS1_14UnaryOpFunctorIN3c108BFloat16ELi1ELi1ELi0EEEJNS0_4AsinIfEEEEEvT_T0_DpT1_
                                        ; -- End function
	.section	.AMDGPU.csdata,"",@progbits
; Kernel info:
; codeLenInByte = 2308
; NumSgprs: 33
; NumVgprs: 30
; NumAgprs: 0
; TotalNumVgprs: 30
; ScratchSize: 0
; MemoryBound: 0
; FloatMode: 240
; IeeeMode: 1
; LDSByteSize: 0 bytes/workgroup (compile time only)
; SGPRBlocks: 4
; VGPRBlocks: 3
; NumSGPRsForWavesPerEU: 33
; NumVGPRsForWavesPerEU: 30
; AccumOffset: 32
; Occupancy: 8
; WaveLimiterHint : 0
; COMPUTE_PGM_RSRC2:SCRATCH_EN: 0
; COMPUTE_PGM_RSRC2:USER_SGPR: 6
; COMPUTE_PGM_RSRC2:TRAP_HANDLER: 0
; COMPUTE_PGM_RSRC2:TGID_X_EN: 1
; COMPUTE_PGM_RSRC2:TGID_Y_EN: 0
; COMPUTE_PGM_RSRC2:TGID_Z_EN: 0
; COMPUTE_PGM_RSRC2:TIDIG_COMP_CNT: 0
; COMPUTE_PGM_RSRC3_GFX90A:ACCUM_OFFSET: 7
; COMPUTE_PGM_RSRC3_GFX90A:TG_SPLIT: 0
	.section	.text._ZN2at6native12_GLOBAL__N_125multi_tensor_apply_kernelINS1_18TensorListMetadataILi2EEENS1_14UnaryOpFunctorIdLi2ELi1ELi1EEEJNS0_4AtanIdEEEEEvT_T0_DpT1_,"axG",@progbits,_ZN2at6native12_GLOBAL__N_125multi_tensor_apply_kernelINS1_18TensorListMetadataILi2EEENS1_14UnaryOpFunctorIdLi2ELi1ELi1EEEJNS0_4AtanIdEEEEEvT_T0_DpT1_,comdat
	.globl	_ZN2at6native12_GLOBAL__N_125multi_tensor_apply_kernelINS1_18TensorListMetadataILi2EEENS1_14UnaryOpFunctorIdLi2ELi1ELi1EEEJNS0_4AtanIdEEEEEvT_T0_DpT1_ ; -- Begin function _ZN2at6native12_GLOBAL__N_125multi_tensor_apply_kernelINS1_18TensorListMetadataILi2EEENS1_14UnaryOpFunctorIdLi2ELi1ELi1EEEJNS0_4AtanIdEEEEEvT_T0_DpT1_
	.p2align	8
	.type	_ZN2at6native12_GLOBAL__N_125multi_tensor_apply_kernelINS1_18TensorListMetadataILi2EEENS1_14UnaryOpFunctorIdLi2ELi1ELi1EEEJNS0_4AtanIdEEEEEvT_T0_DpT1_,@function
_ZN2at6native12_GLOBAL__N_125multi_tensor_apply_kernelINS1_18TensorListMetadataILi2EEENS1_14UnaryOpFunctorIdLi2ELi1ELi1EEEJNS0_4AtanIdEEEEEvT_T0_DpT1_: ; @_ZN2at6native12_GLOBAL__N_125multi_tensor_apply_kernelINS1_18TensorListMetadataILi2EEENS1_14UnaryOpFunctorIdLi2ELi1ELi1EEEJNS0_4AtanIdEEEEEvT_T0_DpT1_
; %bb.0:
	v_mov_b32_e32 v1, s6
	global_load_ubyte v1, v1, s[4:5] offset:1536
	s_add_u32 s0, s4, s6
	s_mul_hi_u32 s2, s6, 3
	s_mul_i32 s6, s6, 3
	s_addc_u32 s9, s5, 0
	s_add_u32 s8, s0, s6
	s_addc_u32 s9, s9, s2
	s_load_dword s10, s[8:9], 0x740
	s_mov_b32 s1, 0
	s_mov_b32 s7, s1
	;; [unrolled: 1-line block ×3, first 2 shown]
	s_waitcnt lgkmcnt(0)
	s_ashr_i32 s11, s10, 31
	s_lshl_b64 s[8:9], s[10:11], 19
	s_waitcnt vmcnt(0)
	v_readfirstlane_b32 s0, v1
	s_lshl_b32 s0, s0, 3
	s_load_dwordx2 s[16:17], s[4:5], s0 offset:0x0
	s_load_dwordx2 s[12:13], s[4:5], s0 offset:0x400
	;; [unrolled: 1-line block ×3, first 2 shown]
	s_waitcnt lgkmcnt(0)
	s_add_u32 s33, s16, s8
	s_addc_u32 s64, s17, s9
	s_and_b32 s0, s33, 31
	s_add_u32 s65, s14, s8
	s_addc_u32 s66, s15, s9
	s_and_b32 s6, s12, 3
	s_and_b32 s2, s65, 31
	s_or_b64 s[6:7], s[0:1], s[6:7]
	s_or_b64 s[2:3], s[2:3], s[6:7]
	s_lshl_b64 s[6:7], s[10:11], 16
	s_sub_u32 s10, s12, s6
	s_subb_u32 s11, s13, s7
	s_cmp_eq_u64 s[2:3], 0
	s_mov_b64 s[2:3], -1
	s_cbranch_scc0 .LBB66_5
; %bb.1:
	v_mov_b32_e32 v3, 0
	v_lshlrev_b32_e32 v2, 2, v0
	v_cmp_gt_i64_e32 vcc, s[10:11], v[2:3]
	s_and_saveexec_b64 s[12:13], vcc
	s_cbranch_execz .LBB66_4
; %bb.2:
	s_load_dword s0, s[4:5], 0xc5c
	s_mov_b32 s2, 0xbd3237f4
	s_mov_b32 s3, 0xbf23e260
	v_pk_mov_b32 v[6:7], s[2:3], s[2:3] op_sel:[0,1]
	s_mov_b32 s2, 0xeeb562d6
	s_waitcnt lgkmcnt(0)
	s_and_b32 s0, s0, 0xffff
	s_mov_b32 s20, 0xb5e68a13
	s_mov_b32 s22, 0x69efb384
	;; [unrolled: 1-line block ×21, first 2 shown]
	v_lshlrev_b32_e32 v4, 5, v0
	s_mov_b64 s[18:19], 0
	v_add_lshl_u32 v2, v0, s0, 2
	s_lshl_b32 s67, s0, 2
	s_lshl_b32 s68, s0, 5
	s_brev_b32 s69, -2
	s_mov_b32 s21, 0x3eeba404
	s_mov_b32 s23, 0x3f4b2bb0
	;; [unrolled: 1-line block ×20, first 2 shown]
	v_pk_mov_b32 v[8:9], s[2:3], s[2:3] op_sel:[0,1]
	s_mov_b64 s[62:63], 0xffff
	v_mov_b32_e32 v1, s1
.LBB66_3:                               ; =>This Inner Loop Header: Depth=1
	v_cmp_le_i64_e64 s[0:1], s[10:11], v[2:3]
	v_cmp_lt_u64_e64 s[2:3], s[62:63], v[2:3]
	v_add_co_u32_e64 v2, s[6:7], s67, v2
	v_addc_co_u32_e64 v3, s[6:7], v3, v1, s[6:7]
	v_mov_b32_e32 v5, s64
	v_add_co_u32_e64 v14, s[6:7], s33, v4
	v_mov_b32_e32 v10, s66
	v_add_co_u32_e32 v18, vcc, s65, v4
	v_addc_co_u32_e64 v15, s[6:7], 0, v5, s[6:7]
	v_addc_co_u32_e32 v19, vcc, 0, v10, vcc
	global_load_dwordx4 v[10:13], v[14:15], off
	s_nop 0
	global_load_dwordx4 v[14:17], v[14:15], off offset:16
	s_or_b64 s[0:1], s[0:1], s[2:3]
	s_add_u32 s33, s33, s68
	s_addc_u32 s64, s64, 0
	s_add_u32 s65, s65, s68
	s_addc_u32 s66, s66, 0
	s_and_b64 s[0:1], exec, s[0:1]
	s_or_b64 s[18:19], s[0:1], s[18:19]
	s_waitcnt vmcnt(1)
	v_and_b32_e32 v21, 0x7fffffff, v11
	v_mov_b32_e32 v20, v10
	v_and_b32_e32 v23, 0x7fffffff, v13
	v_mov_b32_e32 v22, v12
	v_div_scale_f64 v[28:29], s[0:1], v[20:21], v[20:21], 1.0
	s_waitcnt vmcnt(0)
	v_and_b32_e32 v25, 0x7fffffff, v15
	v_mov_b32_e32 v24, v14
	v_div_scale_f64 v[32:33], s[0:1], v[22:23], v[22:23], 1.0
	v_rcp_f64_e32 v[44:45], v[28:29]
	v_and_b32_e32 v27, 0x7fffffff, v17
	v_mov_b32_e32 v26, v16
	v_div_scale_f64 v[36:37], s[2:3], v[24:25], v[24:25], 1.0
	v_rcp_f64_e32 v[46:47], v[32:33]
	v_div_scale_f64 v[40:41], s[6:7], v[26:27], v[26:27], 1.0
	v_rcp_f64_e32 v[48:49], v[36:37]
	v_rcp_f64_e32 v[50:51], v[40:41]
	v_fma_f64 v[52:53], -v[28:29], v[44:45], 1.0
	v_fma_f64 v[54:55], -v[32:33], v[46:47], 1.0
	v_fmac_f64_e32 v[44:45], v[44:45], v[52:53]
	v_fma_f64 v[56:57], -v[36:37], v[48:49], 1.0
	v_fmac_f64_e32 v[46:47], v[46:47], v[54:55]
	v_fma_f64 v[52:53], -v[28:29], v[44:45], 1.0
	v_div_scale_f64 v[30:31], vcc, 1.0, v[20:21], 1.0
	v_fma_f64 v[58:59], -v[40:41], v[50:51], 1.0
	v_fmac_f64_e32 v[48:49], v[48:49], v[56:57]
	v_fma_f64 v[54:55], -v[32:33], v[46:47], 1.0
	v_fmac_f64_e32 v[44:45], v[44:45], v[52:53]
	v_div_scale_f64 v[34:35], s[0:1], 1.0, v[22:23], 1.0
	v_fmac_f64_e32 v[50:51], v[50:51], v[58:59]
	v_fma_f64 v[56:57], -v[36:37], v[48:49], 1.0
	v_fmac_f64_e32 v[46:47], v[46:47], v[54:55]
	v_mul_f64 v[52:53], v[30:31], v[44:45]
	v_div_scale_f64 v[38:39], s[2:3], 1.0, v[24:25], 1.0
	v_fma_f64 v[58:59], -v[40:41], v[50:51], 1.0
	v_fmac_f64_e32 v[48:49], v[48:49], v[56:57]
	v_mul_f64 v[54:55], v[34:35], v[46:47]
	v_fma_f64 v[28:29], -v[28:29], v[52:53], v[30:31]
	v_div_scale_f64 v[42:43], s[6:7], 1.0, v[26:27], 1.0
	v_fmac_f64_e32 v[50:51], v[50:51], v[58:59]
	v_mul_f64 v[56:57], v[38:39], v[48:49]
	v_fma_f64 v[30:31], -v[32:33], v[54:55], v[34:35]
	v_div_fmas_f64 v[28:29], v[28:29], v[44:45], v[52:53]
	s_mov_b64 vcc, s[0:1]
	v_mul_f64 v[58:59], v[42:43], v[50:51]
	v_fma_f64 v[32:33], -v[36:37], v[56:57], v[38:39]
	v_div_fixup_f64 v[28:29], v[28:29], |v[10:11]|, 1.0
	v_div_fmas_f64 v[30:31], v[30:31], v[46:47], v[54:55]
	v_cmp_gt_f64_e64 s[0:1], |v[10:11]|, 1.0
	s_mov_b64 vcc, s[2:3]
	v_fma_f64 v[34:35], -v[40:41], v[58:59], v[42:43]
	v_cndmask_b32_e64 v21, v21, v29, s[0:1]
	v_cndmask_b32_e64 v20, v10, v28, s[0:1]
	v_div_fixup_f64 v[28:29], v[30:31], |v[12:13]|, 1.0
	v_div_fmas_f64 v[30:31], v[32:33], v[48:49], v[56:57]
	v_cmp_gt_f64_e64 s[2:3], |v[12:13]|, 1.0
	s_mov_b64 vcc, s[6:7]
	v_mul_f64 v[32:33], v[20:21], v[20:21]
	v_cndmask_b32_e64 v23, v23, v29, s[2:3]
	v_cndmask_b32_e64 v22, v12, v28, s[2:3]
	v_div_fixup_f64 v[28:29], v[30:31], |v[14:15]|, 1.0
	v_div_fmas_f64 v[30:31], v[34:35], v[50:51], v[58:59]
	v_cmp_gt_f64_e64 vcc, |v[14:15]|, 1.0
	v_fma_f64 v[34:35], s[20:21], v[32:33], v[6:7]
	v_mul_f64 v[36:37], v[22:23], v[22:23]
	v_cndmask_b32_e32 v25, v25, v29, vcc
	v_cndmask_b32_e32 v24, v14, v28, vcc
	v_div_fixup_f64 v[28:29], v[30:31], |v[16:17]|, 1.0
	v_cmp_gt_f64_e64 s[6:7], |v[16:17]|, 1.0
	v_fma_f64 v[30:31], v[32:33], v[34:35], s[22:23]
	v_fma_f64 v[34:35], s[20:21], v[36:37], v[6:7]
	v_mul_f64 v[38:39], v[24:25], v[24:25]
	v_cndmask_b32_e64 v27, v27, v29, s[6:7]
	v_cndmask_b32_e64 v26, v16, v28, s[6:7]
	v_fma_f64 v[28:29], v[32:33], v[30:31], s[24:25]
	v_fma_f64 v[30:31], v[36:37], v[34:35], s[22:23]
	v_fma_f64 v[34:35], s[20:21], v[38:39], v[6:7]
	v_mul_f64 v[40:41], v[26:27], v[26:27]
	v_fma_f64 v[28:29], v[32:33], v[28:29], s[26:27]
	v_fma_f64 v[30:31], v[36:37], v[30:31], s[24:25]
	;; [unrolled: 1-line block ×64, first 2 shown]
	v_mul_f64 v[28:29], v[32:33], v[28:29]
	v_fma_f64 v[30:31], v[36:37], v[30:31], s[58:59]
	v_fma_f64 v[32:33], v[38:39], v[34:35], s[56:57]
	;; [unrolled: 1-line block ×3, first 2 shown]
	v_fmac_f64_e32 v[20:21], v[20:21], v[28:29]
	v_mul_f64 v[28:29], v[36:37], v[30:31]
	v_fma_f64 v[30:31], v[38:39], v[32:33], s[58:59]
	v_fma_f64 v[32:33], v[40:41], v[34:35], s[56:57]
	v_fma_f64 v[34:35], s[60:61], v[8:9], -v[20:21]
	v_fmac_f64_e32 v[22:23], v[22:23], v[28:29]
	v_mul_f64 v[28:29], v[38:39], v[30:31]
	v_fma_f64 v[30:31], v[40:41], v[32:33], s[58:59]
	v_cndmask_b32_e64 v10, v20, v34, s[0:1]
	v_cndmask_b32_e64 v5, v21, v35, s[0:1]
	v_fma_f64 v[20:21], s[60:61], v[8:9], -v[22:23]
	v_fmac_f64_e32 v[24:25], v[24:25], v[28:29]
	v_mul_f64 v[28:29], v[40:41], v[30:31]
	v_bfi_b32 v11, s69, v5, v11
	v_cndmask_b32_e64 v12, v22, v20, s[2:3]
	v_cndmask_b32_e64 v5, v23, v21, s[2:3]
	v_fma_f64 v[20:21], s[60:61], v[8:9], -v[24:25]
	v_fmac_f64_e32 v[26:27], v[26:27], v[28:29]
	v_bfi_b32 v13, s69, v5, v13
	v_cndmask_b32_e32 v14, v24, v20, vcc
	v_cndmask_b32_e32 v5, v25, v21, vcc
	v_fma_f64 v[20:21], s[60:61], v[8:9], -v[26:27]
	v_bfi_b32 v15, s69, v5, v15
	v_cndmask_b32_e64 v5, v27, v21, s[6:7]
	v_cndmask_b32_e64 v16, v26, v20, s[6:7]
	v_bfi_b32 v17, s69, v5, v17
	global_store_dwordx4 v[18:19], v[10:13], off
	global_store_dwordx4 v[18:19], v[14:17], off offset:16
	s_andn2_b64 exec, exec, s[18:19]
	s_cbranch_execnz .LBB66_3
.LBB66_4:
	s_or_b64 exec, exec, s[12:13]
	s_mov_b64 s[2:3], 0
.LBB66_5:
	s_andn2_b64 vcc, exec, s[2:3]
	s_cbranch_vccnz .LBB66_25
; %bb.6:
	v_cmp_lt_i64_e64 s[0:1], s[10:11], 1
	s_and_b64 vcc, exec, s[0:1]
	s_cbranch_vccnz .LBB66_25
; %bb.7:
	s_load_dword s0, s[4:5], 0xc5c
	v_mov_b32_e32 v2, 0x10000
	v_mov_b32_e32 v55, 0
	;; [unrolled: 1-line block ×3, first 2 shown]
	v_lshlrev_b32_e32 v54, 3, v0
	s_waitcnt lgkmcnt(0)
	s_and_b32 s2, s0, 0xffff
	v_cmp_lt_u64_e32 vcc, s[10:11], v[2:3]
	v_mad_u64_u32 v[4:5], s[0:1], s2, 24, v[54:55]
	s_and_b64 s[0:1], vcc, exec
	v_mov_b32_e32 v51, s17
	v_add_co_u32_e32 v2, vcc, s16, v4
	v_addc_co_u32_e32 v1, vcc, v51, v5, vcc
	v_mov_b32_e32 v58, s15
	v_add_co_u32_e32 v4, vcc, s14, v4
	s_mul_i32 s4, s2, 3
	v_addc_co_u32_e32 v3, vcc, v58, v5, vcc
	v_add_co_u32_e32 v57, vcc, s4, v0
	v_addc_co_u32_e64 v66, s[0:1], 0, 0, vcc
	s_cselect_b32 s13, s11, 0
	s_cselect_b32 s12, s10, 0x10000
	s_lshl_b32 s0, s2, 4
	v_add_co_u32_e32 v47, vcc, s0, v54
	v_addc_co_u32_e64 v49, s[0:1], 0, 0, vcc
	v_add_co_u32_e32 v46, vcc, s16, v47
	v_addc_co_u32_e32 v5, vcc, v51, v49, vcc
	v_add_co_u32_e32 v48, vcc, s14, v47
	s_lshl_b32 s3, s2, 1
	v_addc_co_u32_e32 v47, vcc, v58, v49, vcc
	v_add_co_u32_e32 v67, vcc, s3, v0
	v_addc_co_u32_e64 v68, s[0:1], 0, 0, vcc
	v_add_co_u32_e32 v69, vcc, s2, v0
	v_addc_co_u32_e64 v70, s[0:1], 0, 0, vcc
	v_add_co_u32_e32 v50, vcc, s16, v54
	v_lshlrev_b32_e32 v55, 3, v69
	v_addc_co_u32_e32 v49, vcc, 0, v51, vcc
	v_add_co_u32_e32 v52, vcc, s16, v55
	v_addc_co_u32_e32 v51, vcc, 0, v51, vcc
	v_add_co_u32_e32 v54, vcc, s14, v54
	v_addc_co_u32_e32 v53, vcc, 0, v58, vcc
	s_mov_b32 s20, 0xb5e68a13
	s_mov_b32 s22, 0x336a0500
	v_add_co_u32_e32 v56, vcc, s14, v55
	s_mov_b32 s24, 0
	s_lshl_b32 s25, s2, 2
	s_lshl_b32 s17, s2, 5
	s_mov_b64 s[18:19], 0
	s_brev_b32 s26, -2
	s_mov_b32 s21, 0x3eeba404
	s_mov_b32 s23, 0x3fedd9ad
	v_mov_b32_e32 v6, 0xbd3237f4
	v_mov_b32_e32 v7, 0xbf23e260
	;; [unrolled: 1-line block ×40, first 2 shown]
	v_addc_co_u32_e32 v55, vcc, 0, v58, vcc
	s_branch .LBB66_9
.LBB66_8:                               ;   in Loop: Header=BB66_9 Depth=1
	s_or_b64 exec, exec, s[2:3]
	s_add_u32 s18, s18, s25
	s_addc_u32 s19, s19, 0
	s_waitcnt vmcnt(0)
	v_pk_mov_b32 v[58:59], s[10:11], s[10:11] op_sel:[0,1]
	v_cmp_ge_i64_e32 vcc, s[18:19], v[58:59]
	v_mov_b32_e32 v58, 0xffff
	v_mov_b32_e32 v59, 0
	v_cmp_gt_u64_e64 s[0:1], s[18:19], v[58:59]
	s_or_b64 s[0:1], vcc, s[0:1]
	v_mov_b32_e32 v58, s24
	v_add_co_u32_e32 v50, vcc, s17, v50
	v_addc_co_u32_e32 v49, vcc, v49, v58, vcc
	v_add_co_u32_e32 v54, vcc, s17, v54
	v_addc_co_u32_e32 v53, vcc, v53, v58, vcc
	;; [unrolled: 2-line block ×8, first 2 shown]
	s_and_b64 vcc, exec, s[0:1]
	s_cbranch_vccnz .LBB66_25
.LBB66_9:                               ; =>This Inner Loop Header: Depth=1
	v_mov_b32_e32 v59, s19
	v_add_co_u32_e32 v58, vcc, s18, v0
	v_addc_co_u32_e32 v59, vcc, 0, v59, vcc
	v_pk_mov_b32 v[62:63], 0, 0
	v_cmp_gt_u64_e32 vcc, s[12:13], v[58:59]
	v_pk_mov_b32 v[64:65], v[62:63], v[62:63] op_sel:[0,1]
	s_and_saveexec_b64 s[2:3], vcc
	s_cbranch_execz .LBB66_11
; %bb.10:                               ;   in Loop: Header=BB66_9 Depth=1
	v_mov_b32_e32 v59, s9
	v_add_co_u32_e64 v58, s[0:1], s8, v50
	v_addc_co_u32_e64 v59, s[0:1], v49, v59, s[0:1]
	global_load_dwordx2 v[64:65], v[58:59], off
.LBB66_11:                              ;   in Loop: Header=BB66_9 Depth=1
	s_or_b64 exec, exec, s[2:3]
	v_mov_b32_e32 v59, s19
	v_add_co_u32_e64 v58, s[0:1], s18, v69
	v_addc_co_u32_e64 v59, s[0:1], v70, v59, s[0:1]
	v_cmp_gt_u64_e64 s[4:5], s[12:13], v[58:59]
	s_and_saveexec_b64 s[2:3], s[4:5]
	s_cbranch_execz .LBB66_13
; %bb.12:                               ;   in Loop: Header=BB66_9 Depth=1
	v_mov_b32_e32 v59, s9
	v_add_co_u32_e64 v58, s[0:1], s8, v52
	v_addc_co_u32_e64 v59, s[0:1], v51, v59, s[0:1]
	global_load_dwordx2 v[62:63], v[58:59], off
.LBB66_13:                              ;   in Loop: Header=BB66_9 Depth=1
	s_or_b64 exec, exec, s[2:3]
	v_mov_b32_e32 v59, s19
	v_add_co_u32_e64 v58, s[0:1], s18, v67
	v_addc_co_u32_e64 v59, s[0:1], v68, v59, s[0:1]
	v_cmp_gt_u64_e64 s[2:3], s[12:13], v[58:59]
	v_pk_mov_b32 v[58:59], 0, 0
	v_pk_mov_b32 v[60:61], v[58:59], v[58:59] op_sel:[0,1]
	s_and_saveexec_b64 s[6:7], s[2:3]
	s_cbranch_execz .LBB66_15
; %bb.14:                               ;   in Loop: Header=BB66_9 Depth=1
	v_mov_b32_e32 v61, s9
	v_add_co_u32_e64 v60, s[0:1], s8, v46
	v_addc_co_u32_e64 v61, s[0:1], v5, v61, s[0:1]
	global_load_dwordx2 v[60:61], v[60:61], off
.LBB66_15:                              ;   in Loop: Header=BB66_9 Depth=1
	s_or_b64 exec, exec, s[6:7]
	v_mov_b32_e32 v71, s19
	v_add_co_u32_e64 v72, s[0:1], s18, v57
	v_addc_co_u32_e64 v73, s[0:1], v66, v71, s[0:1]
	v_cmp_gt_u64_e64 s[0:1], s[12:13], v[72:73]
	s_and_saveexec_b64 s[14:15], s[0:1]
	s_cbranch_execnz .LBB66_20
; %bb.16:                               ;   in Loop: Header=BB66_9 Depth=1
	s_or_b64 exec, exec, s[14:15]
	s_and_saveexec_b64 s[6:7], vcc
	s_cbranch_execnz .LBB66_21
.LBB66_17:                              ;   in Loop: Header=BB66_9 Depth=1
	s_or_b64 exec, exec, s[6:7]
	s_and_saveexec_b64 s[6:7], s[4:5]
	s_cbranch_execnz .LBB66_22
.LBB66_18:                              ;   in Loop: Header=BB66_9 Depth=1
	s_or_b64 exec, exec, s[6:7]
	s_and_saveexec_b64 s[4:5], s[2:3]
	s_cbranch_execnz .LBB66_23
.LBB66_19:                              ;   in Loop: Header=BB66_9 Depth=1
	s_or_b64 exec, exec, s[4:5]
	s_and_saveexec_b64 s[2:3], s[0:1]
	s_cbranch_execz .LBB66_8
	s_branch .LBB66_24
.LBB66_20:                              ;   in Loop: Header=BB66_9 Depth=1
	v_mov_b32_e32 v59, s9
	v_add_co_u32_e64 v58, s[6:7], s8, v2
	v_addc_co_u32_e64 v59, s[6:7], v1, v59, s[6:7]
	global_load_dwordx2 v[58:59], v[58:59], off
	s_or_b64 exec, exec, s[14:15]
	s_and_saveexec_b64 s[6:7], vcc
	s_cbranch_execz .LBB66_17
.LBB66_21:                              ;   in Loop: Header=BB66_9 Depth=1
	s_waitcnt vmcnt(0)
	v_and_b32_e32 v73, 0x7fffffff, v65
	v_mov_b32_e32 v72, v64
	v_div_scale_f64 v[74:75], s[14:15], v[72:73], v[72:73], 1.0
	v_rcp_f64_e32 v[76:77], v[74:75]
	v_fma_f64 v[78:79], -v[74:75], v[76:77], 1.0
	v_fmac_f64_e32 v[76:77], v[76:77], v[78:79]
	v_fma_f64 v[78:79], -v[74:75], v[76:77], 1.0
	v_fmac_f64_e32 v[76:77], v[76:77], v[78:79]
	v_div_scale_f64 v[78:79], vcc, 1.0, v[72:73], 1.0
	v_mul_f64 v[80:81], v[78:79], v[76:77]
	v_fma_f64 v[74:75], -v[74:75], v[80:81], v[78:79]
	v_pk_mov_b32 v[78:79], v[8:9], v[8:9] op_sel:[0,1]
	s_nop 0
	v_div_fmas_f64 v[74:75], v[74:75], v[76:77], v[80:81]
	v_div_fixup_f64 v[74:75], v[74:75], |v[64:65]|, 1.0
	v_cmp_gt_f64_e64 vcc, |v[64:65]|, 1.0
	v_cndmask_b32_e32 v73, v73, v75, vcc
	v_cndmask_b32_e32 v72, v72, v74, vcc
	v_mul_f64 v[74:75], v[72:73], v[72:73]
	v_pk_mov_b32 v[76:77], v[6:7], v[6:7] op_sel:[0,1]
	v_fmac_f64_e32 v[76:77], s[20:21], v[74:75]
	v_fmac_f64_e32 v[78:79], v[74:75], v[76:77]
	v_pk_mov_b32 v[76:77], v[10:11], v[10:11] op_sel:[0,1]
	v_fmac_f64_e32 v[76:77], v[74:75], v[78:79]
	v_pk_mov_b32 v[78:79], v[12:13], v[12:13] op_sel:[0,1]
	v_fmac_f64_e32 v[78:79], v[74:75], v[76:77]
	v_pk_mov_b32 v[76:77], v[14:15], v[14:15] op_sel:[0,1]
	v_fmac_f64_e32 v[76:77], v[74:75], v[78:79]
	v_pk_mov_b32 v[78:79], v[16:17], v[16:17] op_sel:[0,1]
	v_fmac_f64_e32 v[78:79], v[74:75], v[76:77]
	v_pk_mov_b32 v[76:77], v[18:19], v[18:19] op_sel:[0,1]
	v_fmac_f64_e32 v[76:77], v[74:75], v[78:79]
	v_pk_mov_b32 v[78:79], v[20:21], v[20:21] op_sel:[0,1]
	v_fmac_f64_e32 v[78:79], v[74:75], v[76:77]
	v_pk_mov_b32 v[76:77], v[22:23], v[22:23] op_sel:[0,1]
	v_fmac_f64_e32 v[76:77], v[74:75], v[78:79]
	v_pk_mov_b32 v[78:79], v[24:25], v[24:25] op_sel:[0,1]
	v_fmac_f64_e32 v[78:79], v[74:75], v[76:77]
	v_pk_mov_b32 v[76:77], v[26:27], v[26:27] op_sel:[0,1]
	v_fmac_f64_e32 v[76:77], v[74:75], v[78:79]
	v_pk_mov_b32 v[78:79], v[28:29], v[28:29] op_sel:[0,1]
	v_fmac_f64_e32 v[78:79], v[74:75], v[76:77]
	v_pk_mov_b32 v[76:77], v[30:31], v[30:31] op_sel:[0,1]
	v_fmac_f64_e32 v[76:77], v[74:75], v[78:79]
	v_pk_mov_b32 v[78:79], v[32:33], v[32:33] op_sel:[0,1]
	v_fmac_f64_e32 v[78:79], v[74:75], v[76:77]
	v_pk_mov_b32 v[76:77], v[34:35], v[34:35] op_sel:[0,1]
	v_fmac_f64_e32 v[76:77], v[74:75], v[78:79]
	v_pk_mov_b32 v[78:79], v[36:37], v[36:37] op_sel:[0,1]
	v_fmac_f64_e32 v[78:79], v[74:75], v[76:77]
	v_pk_mov_b32 v[76:77], v[38:39], v[38:39] op_sel:[0,1]
	v_fmac_f64_e32 v[76:77], v[74:75], v[78:79]
	v_pk_mov_b32 v[78:79], v[40:41], v[40:41] op_sel:[0,1]
	v_fmac_f64_e32 v[78:79], v[74:75], v[76:77]
	v_pk_mov_b32 v[76:77], v[42:43], v[42:43] op_sel:[0,1]
	v_fmac_f64_e32 v[76:77], v[74:75], v[78:79]
	v_mul_f64 v[74:75], v[74:75], v[76:77]
	v_fmac_f64_e32 v[72:73], v[72:73], v[74:75]
	v_fma_f64 v[74:75], s[22:23], v[44:45], -v[72:73]
	v_cndmask_b32_e32 v71, v73, v75, vcc
	v_cndmask_b32_e32 v64, v72, v74, vcc
	v_bfi_b32 v65, s26, v71, v65
	v_mov_b32_e32 v71, s9
	v_add_co_u32_e32 v72, vcc, s8, v54
	v_addc_co_u32_e32 v73, vcc, v53, v71, vcc
	global_store_dwordx2 v[72:73], v[64:65], off
	s_or_b64 exec, exec, s[6:7]
	s_and_saveexec_b64 s[6:7], s[4:5]
	s_cbranch_execz .LBB66_18
.LBB66_22:                              ;   in Loop: Header=BB66_9 Depth=1
	s_waitcnt vmcnt(0)
	v_and_b32_e32 v65, 0x7fffffff, v63
	v_mov_b32_e32 v64, v62
	v_div_scale_f64 v[72:73], s[4:5], v[64:65], v[64:65], 1.0
	v_rcp_f64_e32 v[74:75], v[72:73]
	v_fma_f64 v[76:77], -v[72:73], v[74:75], 1.0
	v_fmac_f64_e32 v[74:75], v[74:75], v[76:77]
	v_fma_f64 v[76:77], -v[72:73], v[74:75], 1.0
	v_fmac_f64_e32 v[74:75], v[74:75], v[76:77]
	v_div_scale_f64 v[76:77], vcc, 1.0, v[64:65], 1.0
	v_mul_f64 v[78:79], v[76:77], v[74:75]
	v_fma_f64 v[72:73], -v[72:73], v[78:79], v[76:77]
	v_pk_mov_b32 v[76:77], v[8:9], v[8:9] op_sel:[0,1]
	s_nop 0
	v_div_fmas_f64 v[72:73], v[72:73], v[74:75], v[78:79]
	v_div_fixup_f64 v[72:73], v[72:73], |v[62:63]|, 1.0
	v_cmp_gt_f64_e64 vcc, |v[62:63]|, 1.0
	v_cndmask_b32_e32 v65, v65, v73, vcc
	v_cndmask_b32_e32 v64, v64, v72, vcc
	v_mul_f64 v[72:73], v[64:65], v[64:65]
	v_pk_mov_b32 v[74:75], v[6:7], v[6:7] op_sel:[0,1]
	v_fmac_f64_e32 v[74:75], s[20:21], v[72:73]
	v_fmac_f64_e32 v[76:77], v[72:73], v[74:75]
	v_pk_mov_b32 v[74:75], v[10:11], v[10:11] op_sel:[0,1]
	v_fmac_f64_e32 v[74:75], v[72:73], v[76:77]
	v_pk_mov_b32 v[76:77], v[12:13], v[12:13] op_sel:[0,1]
	;; [unrolled: 2-line block ×17, first 2 shown]
	v_fmac_f64_e32 v[74:75], v[72:73], v[76:77]
	v_mul_f64 v[72:73], v[72:73], v[74:75]
	v_fmac_f64_e32 v[64:65], v[64:65], v[72:73]
	v_fma_f64 v[72:73], s[22:23], v[44:45], -v[64:65]
	v_cndmask_b32_e32 v62, v64, v72, vcc
	v_cndmask_b32_e32 v64, v65, v73, vcc
	v_bfi_b32 v63, s26, v64, v63
	v_mov_b32_e32 v65, s9
	v_add_co_u32_e32 v64, vcc, s8, v56
	v_addc_co_u32_e32 v65, vcc, v55, v65, vcc
	global_store_dwordx2 v[64:65], v[62:63], off
	s_or_b64 exec, exec, s[6:7]
	s_and_saveexec_b64 s[4:5], s[2:3]
	s_cbranch_execz .LBB66_19
.LBB66_23:                              ;   in Loop: Header=BB66_9 Depth=1
	s_waitcnt vmcnt(0)
	v_and_b32_e32 v63, 0x7fffffff, v61
	v_mov_b32_e32 v62, v60
	v_div_scale_f64 v[64:65], s[2:3], v[62:63], v[62:63], 1.0
	v_rcp_f64_e32 v[72:73], v[64:65]
	v_fma_f64 v[74:75], -v[64:65], v[72:73], 1.0
	v_fmac_f64_e32 v[72:73], v[72:73], v[74:75]
	v_fma_f64 v[74:75], -v[64:65], v[72:73], 1.0
	v_fmac_f64_e32 v[72:73], v[72:73], v[74:75]
	v_div_scale_f64 v[74:75], vcc, 1.0, v[62:63], 1.0
	v_mul_f64 v[76:77], v[74:75], v[72:73]
	v_fma_f64 v[64:65], -v[64:65], v[76:77], v[74:75]
	v_pk_mov_b32 v[74:75], v[8:9], v[8:9] op_sel:[0,1]
	s_nop 0
	v_div_fmas_f64 v[64:65], v[64:65], v[72:73], v[76:77]
	v_div_fixup_f64 v[64:65], v[64:65], |v[60:61]|, 1.0
	v_cmp_gt_f64_e64 vcc, |v[60:61]|, 1.0
	v_cndmask_b32_e32 v63, v63, v65, vcc
	v_cndmask_b32_e32 v62, v62, v64, vcc
	v_mul_f64 v[64:65], v[62:63], v[62:63]
	v_pk_mov_b32 v[72:73], v[6:7], v[6:7] op_sel:[0,1]
	v_fmac_f64_e32 v[72:73], s[20:21], v[64:65]
	v_fmac_f64_e32 v[74:75], v[64:65], v[72:73]
	v_pk_mov_b32 v[72:73], v[10:11], v[10:11] op_sel:[0,1]
	v_fmac_f64_e32 v[72:73], v[64:65], v[74:75]
	v_pk_mov_b32 v[74:75], v[12:13], v[12:13] op_sel:[0,1]
	;; [unrolled: 2-line block ×17, first 2 shown]
	v_fmac_f64_e32 v[72:73], v[64:65], v[74:75]
	v_mul_f64 v[64:65], v[64:65], v[72:73]
	v_fmac_f64_e32 v[62:63], v[62:63], v[64:65]
	v_fma_f64 v[64:65], s[22:23], v[44:45], -v[62:63]
	v_cndmask_b32_e32 v60, v62, v64, vcc
	v_cndmask_b32_e32 v62, v63, v65, vcc
	v_bfi_b32 v61, s26, v62, v61
	v_mov_b32_e32 v63, s9
	v_add_co_u32_e32 v62, vcc, s8, v48
	v_addc_co_u32_e32 v63, vcc, v47, v63, vcc
	global_store_dwordx2 v[62:63], v[60:61], off
	s_or_b64 exec, exec, s[4:5]
	s_and_saveexec_b64 s[2:3], s[0:1]
	s_cbranch_execz .LBB66_8
.LBB66_24:                              ;   in Loop: Header=BB66_9 Depth=1
	s_waitcnt vmcnt(0)
	v_and_b32_e32 v61, 0x7fffffff, v59
	v_mov_b32_e32 v60, v58
	v_div_scale_f64 v[62:63], s[0:1], v[60:61], v[60:61], 1.0
	v_rcp_f64_e32 v[64:65], v[62:63]
	v_fma_f64 v[72:73], -v[62:63], v[64:65], 1.0
	v_fmac_f64_e32 v[64:65], v[64:65], v[72:73]
	v_fma_f64 v[72:73], -v[62:63], v[64:65], 1.0
	v_fmac_f64_e32 v[64:65], v[64:65], v[72:73]
	v_div_scale_f64 v[72:73], vcc, 1.0, v[60:61], 1.0
	v_mul_f64 v[74:75], v[72:73], v[64:65]
	v_fma_f64 v[62:63], -v[62:63], v[74:75], v[72:73]
	v_pk_mov_b32 v[72:73], v[8:9], v[8:9] op_sel:[0,1]
	s_nop 0
	v_div_fmas_f64 v[62:63], v[62:63], v[64:65], v[74:75]
	v_div_fixup_f64 v[62:63], v[62:63], |v[58:59]|, 1.0
	v_cmp_gt_f64_e64 vcc, |v[58:59]|, 1.0
	v_cndmask_b32_e32 v61, v61, v63, vcc
	v_cndmask_b32_e32 v60, v60, v62, vcc
	v_mul_f64 v[62:63], v[60:61], v[60:61]
	v_pk_mov_b32 v[64:65], v[6:7], v[6:7] op_sel:[0,1]
	v_fmac_f64_e32 v[64:65], s[20:21], v[62:63]
	v_fmac_f64_e32 v[72:73], v[62:63], v[64:65]
	v_pk_mov_b32 v[64:65], v[10:11], v[10:11] op_sel:[0,1]
	v_fmac_f64_e32 v[64:65], v[62:63], v[72:73]
	v_pk_mov_b32 v[72:73], v[12:13], v[12:13] op_sel:[0,1]
	;; [unrolled: 2-line block ×17, first 2 shown]
	v_fmac_f64_e32 v[64:65], v[62:63], v[72:73]
	v_mul_f64 v[62:63], v[62:63], v[64:65]
	v_fmac_f64_e32 v[60:61], v[60:61], v[62:63]
	v_fma_f64 v[62:63], s[22:23], v[44:45], -v[60:61]
	v_cndmask_b32_e32 v58, v60, v62, vcc
	v_cndmask_b32_e32 v60, v61, v63, vcc
	v_bfi_b32 v59, s26, v60, v59
	v_mov_b32_e32 v61, s9
	v_add_co_u32_e32 v60, vcc, s8, v4
	v_addc_co_u32_e32 v61, vcc, v3, v61, vcc
	global_store_dwordx2 v[60:61], v[58:59], off
	s_branch .LBB66_8
.LBB66_25:
	s_endpgm
	.section	.rodata,"a",@progbits
	.p2align	6, 0x0
	.amdhsa_kernel _ZN2at6native12_GLOBAL__N_125multi_tensor_apply_kernelINS1_18TensorListMetadataILi2EEENS1_14UnaryOpFunctorIdLi2ELi1ELi1EEEJNS0_4AtanIdEEEEEvT_T0_DpT1_
		.amdhsa_group_segment_fixed_size 0
		.amdhsa_private_segment_fixed_size 0
		.amdhsa_kernarg_size 3408
		.amdhsa_user_sgpr_count 6
		.amdhsa_user_sgpr_private_segment_buffer 1
		.amdhsa_user_sgpr_dispatch_ptr 0
		.amdhsa_user_sgpr_queue_ptr 0
		.amdhsa_user_sgpr_kernarg_segment_ptr 1
		.amdhsa_user_sgpr_dispatch_id 0
		.amdhsa_user_sgpr_flat_scratch_init 0
		.amdhsa_user_sgpr_kernarg_preload_length 0
		.amdhsa_user_sgpr_kernarg_preload_offset 0
		.amdhsa_user_sgpr_private_segment_size 0
		.amdhsa_uses_dynamic_stack 0
		.amdhsa_system_sgpr_private_segment_wavefront_offset 0
		.amdhsa_system_sgpr_workgroup_id_x 1
		.amdhsa_system_sgpr_workgroup_id_y 0
		.amdhsa_system_sgpr_workgroup_id_z 0
		.amdhsa_system_sgpr_workgroup_info 0
		.amdhsa_system_vgpr_workitem_id 0
		.amdhsa_next_free_vgpr 82
		.amdhsa_next_free_sgpr 70
		.amdhsa_accum_offset 84
		.amdhsa_reserve_vcc 1
		.amdhsa_reserve_flat_scratch 0
		.amdhsa_float_round_mode_32 0
		.amdhsa_float_round_mode_16_64 0
		.amdhsa_float_denorm_mode_32 3
		.amdhsa_float_denorm_mode_16_64 3
		.amdhsa_dx10_clamp 1
		.amdhsa_ieee_mode 1
		.amdhsa_fp16_overflow 0
		.amdhsa_tg_split 0
		.amdhsa_exception_fp_ieee_invalid_op 0
		.amdhsa_exception_fp_denorm_src 0
		.amdhsa_exception_fp_ieee_div_zero 0
		.amdhsa_exception_fp_ieee_overflow 0
		.amdhsa_exception_fp_ieee_underflow 0
		.amdhsa_exception_fp_ieee_inexact 0
		.amdhsa_exception_int_div_zero 0
	.end_amdhsa_kernel
	.section	.text._ZN2at6native12_GLOBAL__N_125multi_tensor_apply_kernelINS1_18TensorListMetadataILi2EEENS1_14UnaryOpFunctorIdLi2ELi1ELi1EEEJNS0_4AtanIdEEEEEvT_T0_DpT1_,"axG",@progbits,_ZN2at6native12_GLOBAL__N_125multi_tensor_apply_kernelINS1_18TensorListMetadataILi2EEENS1_14UnaryOpFunctorIdLi2ELi1ELi1EEEJNS0_4AtanIdEEEEEvT_T0_DpT1_,comdat
.Lfunc_end66:
	.size	_ZN2at6native12_GLOBAL__N_125multi_tensor_apply_kernelINS1_18TensorListMetadataILi2EEENS1_14UnaryOpFunctorIdLi2ELi1ELi1EEEJNS0_4AtanIdEEEEEvT_T0_DpT1_, .Lfunc_end66-_ZN2at6native12_GLOBAL__N_125multi_tensor_apply_kernelINS1_18TensorListMetadataILi2EEENS1_14UnaryOpFunctorIdLi2ELi1ELi1EEEJNS0_4AtanIdEEEEEvT_T0_DpT1_
                                        ; -- End function
	.section	.AMDGPU.csdata,"",@progbits
; Kernel info:
; codeLenInByte = 4772
; NumSgprs: 74
; NumVgprs: 82
; NumAgprs: 0
; TotalNumVgprs: 82
; ScratchSize: 0
; MemoryBound: 0
; FloatMode: 240
; IeeeMode: 1
; LDSByteSize: 0 bytes/workgroup (compile time only)
; SGPRBlocks: 9
; VGPRBlocks: 10
; NumSGPRsForWavesPerEU: 74
; NumVGPRsForWavesPerEU: 82
; AccumOffset: 84
; Occupancy: 5
; WaveLimiterHint : 0
; COMPUTE_PGM_RSRC2:SCRATCH_EN: 0
; COMPUTE_PGM_RSRC2:USER_SGPR: 6
; COMPUTE_PGM_RSRC2:TRAP_HANDLER: 0
; COMPUTE_PGM_RSRC2:TGID_X_EN: 1
; COMPUTE_PGM_RSRC2:TGID_Y_EN: 0
; COMPUTE_PGM_RSRC2:TGID_Z_EN: 0
; COMPUTE_PGM_RSRC2:TIDIG_COMP_CNT: 0
; COMPUTE_PGM_RSRC3_GFX90A:ACCUM_OFFSET: 20
; COMPUTE_PGM_RSRC3_GFX90A:TG_SPLIT: 0
	.section	.text._ZN2at6native12_GLOBAL__N_125multi_tensor_apply_kernelINS1_18TensorListMetadataILi2EEENS1_14UnaryOpFunctorIfLi2ELi1ELi1EEEJNS0_4AtanIfEEEEEvT_T0_DpT1_,"axG",@progbits,_ZN2at6native12_GLOBAL__N_125multi_tensor_apply_kernelINS1_18TensorListMetadataILi2EEENS1_14UnaryOpFunctorIfLi2ELi1ELi1EEEJNS0_4AtanIfEEEEEvT_T0_DpT1_,comdat
	.globl	_ZN2at6native12_GLOBAL__N_125multi_tensor_apply_kernelINS1_18TensorListMetadataILi2EEENS1_14UnaryOpFunctorIfLi2ELi1ELi1EEEJNS0_4AtanIfEEEEEvT_T0_DpT1_ ; -- Begin function _ZN2at6native12_GLOBAL__N_125multi_tensor_apply_kernelINS1_18TensorListMetadataILi2EEENS1_14UnaryOpFunctorIfLi2ELi1ELi1EEEJNS0_4AtanIfEEEEEvT_T0_DpT1_
	.p2align	8
	.type	_ZN2at6native12_GLOBAL__N_125multi_tensor_apply_kernelINS1_18TensorListMetadataILi2EEENS1_14UnaryOpFunctorIfLi2ELi1ELi1EEEJNS0_4AtanIfEEEEEvT_T0_DpT1_,@function
_ZN2at6native12_GLOBAL__N_125multi_tensor_apply_kernelINS1_18TensorListMetadataILi2EEENS1_14UnaryOpFunctorIfLi2ELi1ELi1EEEJNS0_4AtanIfEEEEEvT_T0_DpT1_: ; @_ZN2at6native12_GLOBAL__N_125multi_tensor_apply_kernelINS1_18TensorListMetadataILi2EEENS1_14UnaryOpFunctorIfLi2ELi1ELi1EEEJNS0_4AtanIfEEEEEvT_T0_DpT1_
; %bb.0:
	v_mov_b32_e32 v1, s6
	global_load_ubyte v1, v1, s[4:5] offset:1536
	s_add_u32 s0, s4, s6
	s_mul_hi_u32 s2, s6, 3
	s_mul_i32 s6, s6, 3
	s_addc_u32 s7, s5, 0
	s_add_u32 s6, s0, s6
	s_addc_u32 s7, s7, s2
	s_mov_b32 s1, 0
	s_mov_b32 s3, s1
	s_waitcnt vmcnt(0)
	v_readfirstlane_b32 s0, v1
	s_lshl_b32 s0, s0, 3
	s_load_dword s10, s[6:7], 0x740
	s_load_dwordx2 s[16:17], s[4:5], s0 offset:0x0
	s_load_dwordx2 s[12:13], s[4:5], s0 offset:0x400
	;; [unrolled: 1-line block ×3, first 2 shown]
	s_mov_b32 s7, s1
	s_waitcnt lgkmcnt(0)
	s_ashr_i32 s11, s10, 31
	s_and_b32 s0, s16, 15
	s_and_b32 s6, s12, 3
	;; [unrolled: 1-line block ×3, first 2 shown]
	s_or_b64 s[6:7], s[0:1], s[6:7]
	s_lshl_b64 s[8:9], s[10:11], 18
	s_or_b64 s[2:3], s[2:3], s[6:7]
	s_lshl_b64 s[6:7], s[10:11], 16
	s_sub_u32 s10, s12, s6
	s_subb_u32 s11, s13, s7
	s_cmp_eq_u64 s[2:3], 0
	s_mov_b64 s[2:3], -1
	s_cbranch_scc0 .LBB67_5
; %bb.1:
	v_mov_b32_e32 v3, 0
	v_lshlrev_b32_e32 v2, 2, v0
	v_cmp_gt_i64_e32 vcc, s[10:11], v[2:3]
	s_and_saveexec_b64 s[12:13], vcc
	s_cbranch_execz .LBB67_4
; %bb.2:
	s_load_dword s0, s[4:5], 0xc5c
	v_lshlrev_b32_e32 v1, 4, v0
	v_mov_b32_e32 v4, s9
	v_add_co_u32_e32 v1, vcc, s8, v1
	s_waitcnt lgkmcnt(0)
	s_and_b32 s0, s0, 0xffff
	v_addc_co_u32_e32 v5, vcc, 0, v4, vcc
	v_add_lshl_u32 v2, v0, s0, 2
	s_lshl_b32 s21, s0, 2
	v_add_co_u32_e32 v4, vcc, 8, v1
	s_lshl_b32 s23, s0, 4
	s_mov_b32 s0, 0xbc7a590c
	v_addc_co_u32_e32 v1, vcc, 0, v5, vcc
	s_mov_b64 s[18:19], 0
	v_mov_b32_e32 v5, s17
	v_mov_b32_e32 v8, s15
	s_mov_b32 s20, 0x3b2d2a58
	v_pk_mov_b32 v[6:7], s[0:1], s[0:1] op_sel:[0,1]
	s_mov_b32 s22, 0x3d29fb3f
	s_mov_b32 s24, 0xbd97d4d7
	s_mov_b32 s26, 0x3dd931b2
	s_mov_b32 s28, 0xbe1160e6
	s_mov_b32 s30, 0x3e4cb8bf
	s_mov_b32 s34, 0xbeaaaa62
	s_mov_b32 s36, 0x3fc90fdb
	s_brev_b32 s25, -2
	s_mov_b64 s[38:39], 0xffff
	v_mov_b32_e32 v9, s1
	v_mov_b32_e32 v10, s1
.LBB67_3:                               ; =>This Inner Loop Header: Depth=1
	v_add_co_u32_e32 v12, vcc, s16, v4
	v_addc_co_u32_e32 v13, vcc, v5, v1, vcc
	global_load_dwordx4 v[12:15], v[12:13], off offset:-8
	v_add_co_u32_e32 v16, vcc, s14, v4
	v_addc_co_u32_e32 v17, vcc, v8, v1, vcc
	v_cmp_le_i64_e32 vcc, s[10:11], v[2:3]
	v_cmp_lt_u64_e64 s[0:1], s[38:39], v[2:3]
	v_add_co_u32_e64 v2, s[2:3], s21, v2
	v_addc_co_u32_e64 v3, s[2:3], v3, v9, s[2:3]
	v_add_co_u32_e64 v4, s[2:3], s23, v4
	s_or_b64 s[0:1], vcc, s[0:1]
	v_addc_co_u32_e64 v1, s[2:3], v1, v10, s[2:3]
	s_and_b64 s[0:1], exec, s[0:1]
	s_or_b64 s[18:19], s[0:1], s[18:19]
	s_waitcnt vmcnt(0)
	v_rcp_f32_e64 v11, |v12|
	v_rcp_f32_e64 v18, |v13|
	;; [unrolled: 1-line block ×4, first 2 shown]
	v_cmp_gt_f32_e64 vcc, |v12|, 1.0
	v_cmp_gt_f32_e64 s[0:1], |v14|, 1.0
	v_cmp_gt_f32_e64 s[2:3], |v15|, 1.0
	;; [unrolled: 1-line block ×3, first 2 shown]
	v_cndmask_b32_e64 v19, |v13|, v18, s[6:7]
	v_cndmask_b32_e64 v18, |v12|, v11, vcc
	v_cndmask_b32_e64 v21, |v15|, v21, s[2:3]
	v_cndmask_b32_e64 v20, |v14|, v20, s[0:1]
	v_pk_mul_f32 v[22:23], v[18:19], v[18:19]
	v_pk_mul_f32 v[24:25], v[20:21], v[20:21]
	v_pk_fma_f32 v[26:27], v[22:23], s[20:21], v[6:7] op_sel_hi:[1,0,0]
	v_pk_fma_f32 v[28:29], v[24:25], s[20:21], v[6:7] op_sel_hi:[1,0,0]
	;; [unrolled: 1-line block ×14, first 2 shown]
	v_pk_mul_f32 v[22:23], v[22:23], v[26:27]
	v_pk_mul_f32 v[24:25], v[24:25], v[28:29]
	v_pk_fma_f32 v[18:19], v[18:19], v[22:23], v[18:19]
	v_pk_fma_f32 v[20:21], v[20:21], v[24:25], v[20:21]
	v_pk_add_f32 v[22:23], v[18:19], s[36:37] op_sel_hi:[1,0] neg_lo:[1,0] neg_hi:[1,0]
	v_pk_add_f32 v[24:25], v[20:21], s[36:37] op_sel_hi:[1,0] neg_lo:[1,0] neg_hi:[1,0]
	v_cndmask_b32_e32 v11, v18, v22, vcc
	v_cndmask_b32_e64 v18, v19, v23, s[6:7]
	v_cndmask_b32_e64 v19, v20, v24, s[0:1]
	;; [unrolled: 1-line block ×3, first 2 shown]
	v_bfi_b32 v13, s25, v18, v13
	v_bfi_b32 v12, s25, v11, v12
	;; [unrolled: 1-line block ×4, first 2 shown]
	global_store_dwordx4 v[16:17], v[12:15], off offset:-8
	s_andn2_b64 exec, exec, s[18:19]
	s_cbranch_execnz .LBB67_3
.LBB67_4:
	s_or_b64 exec, exec, s[12:13]
	s_mov_b64 s[2:3], 0
.LBB67_5:
	s_andn2_b64 vcc, exec, s[2:3]
	s_cbranch_vccnz .LBB67_25
; %bb.6:
	v_cmp_lt_i64_e64 s[0:1], s[10:11], 1
	s_and_b64 vcc, exec, s[0:1]
	s_cbranch_vccnz .LBB67_25
; %bb.7:
	s_load_dword s0, s[4:5], 0xc5c
	v_mov_b32_e32 v2, 0x10000
	v_mov_b32_e32 v3, 0
	v_cmp_lt_u64_e32 vcc, s[10:11], v[2:3]
	v_lshlrev_b32_e32 v10, 2, v0
	s_waitcnt lgkmcnt(0)
	s_and_b32 s2, s0, 0xffff
	s_and_b64 s[0:1], vcc, exec
	v_mov_b32_e32 v13, s17
	v_add_co_u32_e32 v2, vcc, s16, v10
	v_addc_co_u32_e32 v1, vcc, 0, v13, vcc
	v_mov_b32_e32 v11, 0
	v_mov_b32_e32 v15, s15
	v_add_co_u32_e32 v4, vcc, s14, v10
	v_addc_co_u32_e32 v3, vcc, 0, v15, vcc
	v_mad_u64_u32 v[8:9], s[0:1], s2, 12, v[10:11]
	v_add_co_u32_e32 v6, vcc, s16, v8
	v_addc_co_u32_e32 v5, vcc, v13, v9, vcc
	v_add_co_u32_e32 v8, vcc, s14, v8
	s_mul_i32 s4, s2, 3
	v_addc_co_u32_e32 v7, vcc, v15, v9, vcc
	v_add_co_u32_e32 v17, vcc, s4, v0
	v_addc_co_u32_e64 v18, s[0:1], 0, 0, vcc
	s_cselect_b32 s13, s11, 0
	s_cselect_b32 s12, s10, 0x10000
	s_lshl_b32 s0, s2, 3
	v_add_co_u32_e32 v11, vcc, s0, v10
	v_addc_co_u32_e64 v14, s[0:1], 0, 0, vcc
	v_add_co_u32_e32 v10, vcc, s16, v11
	v_addc_co_u32_e32 v9, vcc, v13, v14, vcc
	v_add_co_u32_e32 v12, vcc, s14, v11
	s_lshl_b32 s3, s2, 1
	v_addc_co_u32_e32 v11, vcc, v15, v14, vcc
	v_add_co_u32_e32 v19, vcc, s3, v0
	v_addc_co_u32_e64 v20, s[0:1], 0, 0, vcc
	v_add_co_u32_e32 v21, vcc, s2, v0
	v_lshlrev_b32_e32 v16, 2, v21
	v_addc_co_u32_e64 v22, s[0:1], 0, 0, vcc
	v_add_co_u32_e32 v14, vcc, s16, v16
	v_addc_co_u32_e32 v13, vcc, 0, v13, vcc
	v_add_co_u32_e32 v16, vcc, s14, v16
	s_mov_b32 s18, 0
	s_lshl_b32 s19, s2, 2
	s_lshl_b32 s20, s2, 4
	v_addc_co_u32_e32 v15, vcc, 0, v15, vcc
	s_mov_b64 s[14:15], 0
	v_mov_b32_e32 v23, 0x3d29fb3f
	v_mov_b32_e32 v24, 0xbd97d4d7
	;; [unrolled: 1-line block ×6, first 2 shown]
	s_brev_b32 s21, -2
	s_branch .LBB67_9
.LBB67_8:                               ;   in Loop: Header=BB67_9 Depth=1
	s_or_b64 exec, exec, s[0:1]
	s_add_u32 s14, s14, s19
	s_addc_u32 s15, s15, 0
	s_waitcnt vmcnt(0)
	v_pk_mov_b32 v[30:31], s[10:11], s[10:11] op_sel:[0,1]
	v_cmp_ge_i64_e32 vcc, s[14:15], v[30:31]
	v_mov_b32_e32 v30, 0xffff
	v_mov_b32_e32 v31, 0
	v_cmp_gt_u64_e64 s[0:1], s[14:15], v[30:31]
	s_or_b64 s[0:1], vcc, s[0:1]
	v_mov_b32_e32 v29, s18
	v_add_co_u32_e32 v2, vcc, s20, v2
	v_addc_co_u32_e32 v1, vcc, v1, v29, vcc
	v_add_co_u32_e32 v4, vcc, s20, v4
	v_addc_co_u32_e32 v3, vcc, v3, v29, vcc
	;; [unrolled: 2-line block ×8, first 2 shown]
	s_and_b64 vcc, exec, s[0:1]
	s_cbranch_vccnz .LBB67_25
.LBB67_9:                               ; =>This Inner Loop Header: Depth=1
	v_mov_b32_e32 v29, s15
	v_add_co_u32_e32 v30, vcc, s14, v0
	v_addc_co_u32_e32 v31, vcc, 0, v29, vcc
	v_cmp_gt_u64_e64 s[4:5], s[12:13], v[30:31]
	v_mov_b32_e32 v32, 0
	s_and_saveexec_b64 s[0:1], s[4:5]
	s_cbranch_execz .LBB67_11
; %bb.10:                               ;   in Loop: Header=BB67_9 Depth=1
	v_mov_b32_e32 v29, s9
	v_add_co_u32_e32 v30, vcc, s8, v2
	v_addc_co_u32_e32 v31, vcc, v1, v29, vcc
	global_load_dword v32, v[30:31], off
.LBB67_11:                              ;   in Loop: Header=BB67_9 Depth=1
	s_or_b64 exec, exec, s[0:1]
	v_mov_b32_e32 v29, s15
	v_add_co_u32_e32 v30, vcc, s14, v21
	v_addc_co_u32_e32 v31, vcc, v22, v29, vcc
	v_cmp_gt_u64_e64 s[2:3], s[12:13], v[30:31]
	v_mov_b32_e32 v31, 0
	s_and_saveexec_b64 s[0:1], s[2:3]
	s_cbranch_execz .LBB67_13
; %bb.12:                               ;   in Loop: Header=BB67_9 Depth=1
	v_mov_b32_e32 v29, s9
	v_add_co_u32_e32 v30, vcc, s8, v14
	v_addc_co_u32_e32 v31, vcc, v13, v29, vcc
	global_load_dword v31, v[30:31], off
.LBB67_13:                              ;   in Loop: Header=BB67_9 Depth=1
	s_or_b64 exec, exec, s[0:1]
	v_mov_b32_e32 v29, s15
	v_add_co_u32_e32 v34, vcc, s14, v19
	v_addc_co_u32_e32 v35, vcc, v20, v29, vcc
	v_cmp_gt_u64_e64 s[0:1], s[12:13], v[34:35]
	v_mov_b32_e32 v29, 0
	v_mov_b32_e32 v30, 0
	s_and_saveexec_b64 s[6:7], s[0:1]
	s_cbranch_execz .LBB67_15
; %bb.14:                               ;   in Loop: Header=BB67_9 Depth=1
	v_mov_b32_e32 v30, s9
	v_add_co_u32_e32 v34, vcc, s8, v10
	v_addc_co_u32_e32 v35, vcc, v9, v30, vcc
	global_load_dword v30, v[34:35], off
.LBB67_15:                              ;   in Loop: Header=BB67_9 Depth=1
	s_or_b64 exec, exec, s[6:7]
	v_mov_b32_e32 v33, s15
	v_add_co_u32_e32 v34, vcc, s14, v17
	v_addc_co_u32_e32 v35, vcc, v18, v33, vcc
	v_cmp_gt_u64_e32 vcc, s[12:13], v[34:35]
	s_and_saveexec_b64 s[16:17], vcc
	s_cbranch_execnz .LBB67_20
; %bb.16:                               ;   in Loop: Header=BB67_9 Depth=1
	s_or_b64 exec, exec, s[16:17]
	s_and_saveexec_b64 s[6:7], s[4:5]
	s_cbranch_execnz .LBB67_21
.LBB67_17:                              ;   in Loop: Header=BB67_9 Depth=1
	s_or_b64 exec, exec, s[6:7]
	s_and_saveexec_b64 s[4:5], s[2:3]
	s_cbranch_execnz .LBB67_22
.LBB67_18:                              ;   in Loop: Header=BB67_9 Depth=1
	s_or_b64 exec, exec, s[4:5]
	s_and_saveexec_b64 s[2:3], s[0:1]
	s_cbranch_execnz .LBB67_23
.LBB67_19:                              ;   in Loop: Header=BB67_9 Depth=1
	s_or_b64 exec, exec, s[2:3]
	s_and_saveexec_b64 s[0:1], vcc
	s_cbranch_execz .LBB67_8
	s_branch .LBB67_24
.LBB67_20:                              ;   in Loop: Header=BB67_9 Depth=1
	v_mov_b32_e32 v29, s9
	v_add_co_u32_e64 v34, s[6:7], s8, v6
	v_addc_co_u32_e64 v35, s[6:7], v5, v29, s[6:7]
	global_load_dword v29, v[34:35], off
	s_or_b64 exec, exec, s[16:17]
	s_and_saveexec_b64 s[6:7], s[4:5]
	s_cbranch_execz .LBB67_17
.LBB67_21:                              ;   in Loop: Header=BB67_9 Depth=1
	s_waitcnt vmcnt(0)
	v_rcp_f32_e64 v33, |v32|
	v_cmp_gt_f32_e64 s[4:5], |v32|, 1.0
	v_mov_b32_e32 v34, 0xbc7a590c
	v_mov_b32_e32 v35, s9
	v_cndmask_b32_e64 v33, |v32|, v33, s[4:5]
	v_mul_f32_e32 v36, v33, v33
	v_fmac_f32_e32 v34, 0x3b2d2a58, v36
	v_fma_f32 v34, v36, v34, v23
	v_fma_f32 v34, v36, v34, v24
	;; [unrolled: 1-line block ×6, first 2 shown]
	v_mul_f32_e32 v34, v36, v34
	v_fmac_f32_e32 v33, v33, v34
	v_sub_f32_e32 v34, 0x3fc90fdb, v33
	v_cndmask_b32_e64 v33, v33, v34, s[4:5]
	v_bfi_b32 v34, s21, v33, v32
	v_add_co_u32_e64 v32, s[4:5], s8, v4
	v_addc_co_u32_e64 v33, s[4:5], v3, v35, s[4:5]
	global_store_dword v[32:33], v34, off
	s_or_b64 exec, exec, s[6:7]
	s_and_saveexec_b64 s[4:5], s[2:3]
	s_cbranch_execz .LBB67_18
.LBB67_22:                              ;   in Loop: Header=BB67_9 Depth=1
	s_waitcnt vmcnt(0)
	v_rcp_f32_e64 v32, |v31|
	v_cmp_gt_f32_e64 s[2:3], |v31|, 1.0
	v_mov_b32_e32 v33, 0xbc7a590c
	v_mov_b32_e32 v34, s9
	v_cndmask_b32_e64 v32, |v31|, v32, s[2:3]
	v_mul_f32_e32 v35, v32, v32
	v_fmac_f32_e32 v33, 0x3b2d2a58, v35
	v_fma_f32 v33, v35, v33, v23
	v_fma_f32 v33, v35, v33, v24
	v_fma_f32 v33, v35, v33, v25
	v_fma_f32 v33, v35, v33, v26
	v_fma_f32 v33, v35, v33, v27
	v_fma_f32 v33, v35, v33, v28
	v_mul_f32_e32 v33, v35, v33
	v_fmac_f32_e32 v32, v32, v33
	v_sub_f32_e32 v33, 0x3fc90fdb, v32
	v_cndmask_b32_e64 v32, v32, v33, s[2:3]
	v_bfi_b32 v31, s21, v32, v31
	v_add_co_u32_e64 v32, s[2:3], s8, v16
	v_addc_co_u32_e64 v33, s[2:3], v15, v34, s[2:3]
	global_store_dword v[32:33], v31, off
	s_or_b64 exec, exec, s[4:5]
	s_and_saveexec_b64 s[2:3], s[0:1]
	s_cbranch_execz .LBB67_19
.LBB67_23:                              ;   in Loop: Header=BB67_9 Depth=1
	s_waitcnt vmcnt(0)
	v_rcp_f32_e64 v31, |v30|
	v_cmp_gt_f32_e64 s[0:1], |v30|, 1.0
	v_mov_b32_e32 v32, 0xbc7a590c
	v_mov_b32_e32 v33, s9
	v_cndmask_b32_e64 v31, |v30|, v31, s[0:1]
	v_mul_f32_e32 v34, v31, v31
	v_fmac_f32_e32 v32, 0x3b2d2a58, v34
	v_fma_f32 v32, v34, v32, v23
	v_fma_f32 v32, v34, v32, v24
	;; [unrolled: 1-line block ×6, first 2 shown]
	v_mul_f32_e32 v32, v34, v32
	v_fmac_f32_e32 v31, v31, v32
	v_sub_f32_e32 v32, 0x3fc90fdb, v31
	v_cndmask_b32_e64 v31, v31, v32, s[0:1]
	v_bfi_b32 v32, s21, v31, v30
	v_add_co_u32_e64 v30, s[0:1], s8, v12
	v_addc_co_u32_e64 v31, s[0:1], v11, v33, s[0:1]
	global_store_dword v[30:31], v32, off
	s_or_b64 exec, exec, s[2:3]
	s_and_saveexec_b64 s[0:1], vcc
	s_cbranch_execz .LBB67_8
.LBB67_24:                              ;   in Loop: Header=BB67_9 Depth=1
	s_waitcnt vmcnt(0)
	v_rcp_f32_e64 v30, |v29|
	v_cmp_gt_f32_e64 vcc, |v29|, 1.0
	v_mov_b32_e32 v31, 0xbc7a590c
	v_mov_b32_e32 v32, s9
	v_cndmask_b32_e64 v30, |v29|, v30, vcc
	v_mul_f32_e32 v33, v30, v30
	v_fmac_f32_e32 v31, 0x3b2d2a58, v33
	v_fma_f32 v31, v33, v31, v23
	v_fma_f32 v31, v33, v31, v24
	v_fma_f32 v31, v33, v31, v25
	v_fma_f32 v31, v33, v31, v26
	v_fma_f32 v31, v33, v31, v27
	v_fma_f32 v31, v33, v31, v28
	v_mul_f32_e32 v31, v33, v31
	v_fmac_f32_e32 v30, v30, v31
	v_sub_f32_e32 v31, 0x3fc90fdb, v30
	v_cndmask_b32_e32 v30, v30, v31, vcc
	v_bfi_b32 v29, s21, v30, v29
	v_add_co_u32_e32 v30, vcc, s8, v8
	v_addc_co_u32_e32 v31, vcc, v7, v32, vcc
	global_store_dword v[30:31], v29, off
	s_branch .LBB67_8
.LBB67_25:
	s_endpgm
	.section	.rodata,"a",@progbits
	.p2align	6, 0x0
	.amdhsa_kernel _ZN2at6native12_GLOBAL__N_125multi_tensor_apply_kernelINS1_18TensorListMetadataILi2EEENS1_14UnaryOpFunctorIfLi2ELi1ELi1EEEJNS0_4AtanIfEEEEEvT_T0_DpT1_
		.amdhsa_group_segment_fixed_size 0
		.amdhsa_private_segment_fixed_size 0
		.amdhsa_kernarg_size 3408
		.amdhsa_user_sgpr_count 6
		.amdhsa_user_sgpr_private_segment_buffer 1
		.amdhsa_user_sgpr_dispatch_ptr 0
		.amdhsa_user_sgpr_queue_ptr 0
		.amdhsa_user_sgpr_kernarg_segment_ptr 1
		.amdhsa_user_sgpr_dispatch_id 0
		.amdhsa_user_sgpr_flat_scratch_init 0
		.amdhsa_user_sgpr_kernarg_preload_length 0
		.amdhsa_user_sgpr_kernarg_preload_offset 0
		.amdhsa_user_sgpr_private_segment_size 0
		.amdhsa_uses_dynamic_stack 0
		.amdhsa_system_sgpr_private_segment_wavefront_offset 0
		.amdhsa_system_sgpr_workgroup_id_x 1
		.amdhsa_system_sgpr_workgroup_id_y 0
		.amdhsa_system_sgpr_workgroup_id_z 0
		.amdhsa_system_sgpr_workgroup_info 0
		.amdhsa_system_vgpr_workitem_id 0
		.amdhsa_next_free_vgpr 37
		.amdhsa_next_free_sgpr 40
		.amdhsa_accum_offset 40
		.amdhsa_reserve_vcc 1
		.amdhsa_reserve_flat_scratch 0
		.amdhsa_float_round_mode_32 0
		.amdhsa_float_round_mode_16_64 0
		.amdhsa_float_denorm_mode_32 3
		.amdhsa_float_denorm_mode_16_64 3
		.amdhsa_dx10_clamp 1
		.amdhsa_ieee_mode 1
		.amdhsa_fp16_overflow 0
		.amdhsa_tg_split 0
		.amdhsa_exception_fp_ieee_invalid_op 0
		.amdhsa_exception_fp_denorm_src 0
		.amdhsa_exception_fp_ieee_div_zero 0
		.amdhsa_exception_fp_ieee_overflow 0
		.amdhsa_exception_fp_ieee_underflow 0
		.amdhsa_exception_fp_ieee_inexact 0
		.amdhsa_exception_int_div_zero 0
	.end_amdhsa_kernel
	.section	.text._ZN2at6native12_GLOBAL__N_125multi_tensor_apply_kernelINS1_18TensorListMetadataILi2EEENS1_14UnaryOpFunctorIfLi2ELi1ELi1EEEJNS0_4AtanIfEEEEEvT_T0_DpT1_,"axG",@progbits,_ZN2at6native12_GLOBAL__N_125multi_tensor_apply_kernelINS1_18TensorListMetadataILi2EEENS1_14UnaryOpFunctorIfLi2ELi1ELi1EEEJNS0_4AtanIfEEEEEvT_T0_DpT1_,comdat
.Lfunc_end67:
	.size	_ZN2at6native12_GLOBAL__N_125multi_tensor_apply_kernelINS1_18TensorListMetadataILi2EEENS1_14UnaryOpFunctorIfLi2ELi1ELi1EEEJNS0_4AtanIfEEEEEvT_T0_DpT1_, .Lfunc_end67-_ZN2at6native12_GLOBAL__N_125multi_tensor_apply_kernelINS1_18TensorListMetadataILi2EEENS1_14UnaryOpFunctorIfLi2ELi1ELi1EEEJNS0_4AtanIfEEEEEvT_T0_DpT1_
                                        ; -- End function
	.section	.AMDGPU.csdata,"",@progbits
; Kernel info:
; codeLenInByte = 2152
; NumSgprs: 44
; NumVgprs: 37
; NumAgprs: 0
; TotalNumVgprs: 37
; ScratchSize: 0
; MemoryBound: 0
; FloatMode: 240
; IeeeMode: 1
; LDSByteSize: 0 bytes/workgroup (compile time only)
; SGPRBlocks: 5
; VGPRBlocks: 4
; NumSGPRsForWavesPerEU: 44
; NumVGPRsForWavesPerEU: 37
; AccumOffset: 40
; Occupancy: 8
; WaveLimiterHint : 0
; COMPUTE_PGM_RSRC2:SCRATCH_EN: 0
; COMPUTE_PGM_RSRC2:USER_SGPR: 6
; COMPUTE_PGM_RSRC2:TRAP_HANDLER: 0
; COMPUTE_PGM_RSRC2:TGID_X_EN: 1
; COMPUTE_PGM_RSRC2:TGID_Y_EN: 0
; COMPUTE_PGM_RSRC2:TGID_Z_EN: 0
; COMPUTE_PGM_RSRC2:TIDIG_COMP_CNT: 0
; COMPUTE_PGM_RSRC3_GFX90A:ACCUM_OFFSET: 9
; COMPUTE_PGM_RSRC3_GFX90A:TG_SPLIT: 0
	.section	.text._ZN2at6native12_GLOBAL__N_125multi_tensor_apply_kernelINS1_18TensorListMetadataILi2EEENS1_14UnaryOpFunctorIN3c107complexIdEELi2ELi1ELi1EEEJNS0_4AtanIS8_EEEEEvT_T0_DpT1_,"axG",@progbits,_ZN2at6native12_GLOBAL__N_125multi_tensor_apply_kernelINS1_18TensorListMetadataILi2EEENS1_14UnaryOpFunctorIN3c107complexIdEELi2ELi1ELi1EEEJNS0_4AtanIS8_EEEEEvT_T0_DpT1_,comdat
	.globl	_ZN2at6native12_GLOBAL__N_125multi_tensor_apply_kernelINS1_18TensorListMetadataILi2EEENS1_14UnaryOpFunctorIN3c107complexIdEELi2ELi1ELi1EEEJNS0_4AtanIS8_EEEEEvT_T0_DpT1_ ; -- Begin function _ZN2at6native12_GLOBAL__N_125multi_tensor_apply_kernelINS1_18TensorListMetadataILi2EEENS1_14UnaryOpFunctorIN3c107complexIdEELi2ELi1ELi1EEEJNS0_4AtanIS8_EEEEEvT_T0_DpT1_
	.p2align	8
	.type	_ZN2at6native12_GLOBAL__N_125multi_tensor_apply_kernelINS1_18TensorListMetadataILi2EEENS1_14UnaryOpFunctorIN3c107complexIdEELi2ELi1ELi1EEEJNS0_4AtanIS8_EEEEEvT_T0_DpT1_,@function
_ZN2at6native12_GLOBAL__N_125multi_tensor_apply_kernelINS1_18TensorListMetadataILi2EEENS1_14UnaryOpFunctorIN3c107complexIdEELi2ELi1ELi1EEEJNS0_4AtanIS8_EEEEEvT_T0_DpT1_: ; @_ZN2at6native12_GLOBAL__N_125multi_tensor_apply_kernelINS1_18TensorListMetadataILi2EEENS1_14UnaryOpFunctorIN3c107complexIdEELi2ELi1ELi1EEEJNS0_4AtanIS8_EEEEEvT_T0_DpT1_
; %bb.0:
	v_mov_b32_e32 v1, s6
	global_load_ubyte v1, v1, s[4:5] offset:1536
	s_add_u32 s0, s4, s6
	s_mul_hi_u32 s2, s6, 3
	s_mul_i32 s6, s6, 3
	s_addc_u32 s7, s5, 0
	s_add_u32 s6, s0, s6
	s_addc_u32 s7, s7, s2
	s_load_dword s6, s[6:7], 0x740
	s_mov_b32 s1, 0
	s_mov_b32 s3, s1
	;; [unrolled: 1-line block ×3, first 2 shown]
	s_waitcnt lgkmcnt(0)
	s_ashr_i32 s7, s6, 31
	s_lshl_b64 s[8:9], s[6:7], 20
	s_waitcnt vmcnt(0)
	v_readfirstlane_b32 s0, v1
	s_lshl_b32 s0, s0, 3
	s_load_dwordx2 s[12:13], s[4:5], s0 offset:0x0
	s_load_dwordx2 s[10:11], s[4:5], s0 offset:0x400
	;; [unrolled: 1-line block ×3, first 2 shown]
	s_waitcnt lgkmcnt(0)
	s_add_u32 s33, s12, s8
	s_addc_u32 s86, s13, s9
	s_add_u32 s87, s14, s8
	s_addc_u32 s88, s15, s9
	s_and_b32 s2, s33, 63
	s_and_b32 s16, s10, 3
	;; [unrolled: 1-line block ×3, first 2 shown]
	s_or_b64 s[2:3], s[2:3], s[16:17]
	s_lshl_b64 s[6:7], s[6:7], 16
	s_or_b64 s[2:3], s[0:1], s[2:3]
	s_sub_u32 s10, s10, s6
	s_subb_u32 s11, s11, s7
	s_cmp_eq_u64 s[2:3], 0
	s_mov_b64 s[2:3], -1
	s_cbranch_scc0 .LBB68_5
; %bb.1:
	v_mov_b32_e32 v18, 0
	v_lshlrev_b32_e32 v2, 2, v0
	v_mov_b32_e32 v3, v18
	v_cmp_gt_i64_e32 vcc, s[10:11], v[2:3]
	s_and_saveexec_b64 s[16:17], vcc
	s_cbranch_execz .LBB68_4
; %bb.2:
	s_load_dword s0, s[4:5], 0xc5c
	s_mov_b32 s2, 0x6b47b09a
	s_mov_b32 s3, 0x3fc38538
	;; [unrolled: 1-line block ×3, first 2 shown]
	v_pk_mov_b32 v[24:25], s[2:3], s[2:3] op_sel:[0,1]
	s_mov_b32 s2, 0xbd3237f4
	s_waitcnt lgkmcnt(0)
	s_and_b32 s0, s0, 0xffff
	s_mov_b32 s21, 0x3fe55555
	s_mov_b32 s22, 0xbf559e2b
	;; [unrolled: 1-line block ×30, first 2 shown]
	v_mov_b32_e32 v21, v18
	v_lshlrev_b32_e32 v22, 6, v0
	v_add_lshl_u32 v20, v0, s0, 2
	s_lshl_b32 s89, s0, 2
	s_lshl_b32 s90, s0, 6
	s_mov_b64 s[18:19], 0
	v_mov_b32_e32 v1, 0x3ff00000
	s_mov_b32 s23, 0x3fc3ab76
	s_mov_b32 s25, 0x3fc7474d
	;; [unrolled: 1-line block ×9, first 2 shown]
	s_movk_i32 s91, 0x204
	v_mov_b32_e32 v23, 0xfff00000
	s_mov_b32 s41, 0x3eeba404
	v_pk_mov_b32 v[26:27], s[2:3], s[2:3] op_sel:[0,1]
	s_mov_b32 s43, 0x3f4b2bb0
	s_mov_b32 s45, 0xbf67952d
	;; [unrolled: 1-line block ×19, first 2 shown]
	v_mov_b32_e32 v32, 0x54442d18
	s_brev_b32 s92, -2
	s_mov_b32 s81, 0x400921fb
	s_mov_b32 s80, s78
	s_brev_b32 s83, 1
	s_mov_b64 s[84:85], 0xffff
	v_mov_b32_e32 v33, 0x7f3321d2
	v_mov_b32_e32 v34, 0x3fe921fb
	v_mov_b32_e32 v35, 0x4002d97c
	v_mov_b32_e32 v36, 0x7ff80000
	v_mov_b32_e32 v37, s1
.LBB68_3:                               ; =>This Inner Loop Header: Depth=1
	v_add_co_u32_e32 v2, vcc, s33, v22
	v_mov_b32_e32 v3, s86
	v_addc_co_u32_e32 v3, vcc, 0, v3, vcc
	global_load_dwordx4 v[10:13], v[2:3], off offset:48
	global_load_dwordx4 v[14:17], v[2:3], off offset:32
	;; [unrolled: 1-line block ×3, first 2 shown]
	s_nop 0
	global_load_dwordx4 v[2:5], v[2:3], off
	s_waitcnt vmcnt(0)
	v_fma_f64 v[28:29], v[2:3], 0, -v[4:5]
	v_fmac_f64_e32 v[2:3], 0, v[4:5]
	v_mul_f64 v[4:5], v[2:3], v[2:3]
	v_add_f64 v[30:31], v[28:29], 1.0
	v_fma_f64 v[30:31], v[30:31], v[30:31], v[4:5]
	v_add_f64 v[38:39], -v[28:29], 1.0
	v_fmac_f64_e32 v[4:5], v[38:39], v[38:39]
	v_frexp_mant_f64_e32 v[38:39], v[30:31]
	v_cmp_gt_f64_e32 vcc, s[20:21], v[38:39]
	v_cndmask_b32_e64 v19, v1, 2.0, vcc
	v_mul_f64 v[38:39], v[38:39], v[18:19]
	v_add_f64 v[42:43], v[38:39], 1.0
	v_frexp_exp_i32_f64_e32 v40, v[30:31]
	v_add_f64 v[44:45], v[42:43], -1.0
	v_subbrev_co_u32_e32 v19, vcc, 0, v40, vcc
	v_add_f64 v[40:41], v[38:39], -1.0
	v_add_f64 v[38:39], v[38:39], -v[44:45]
	v_rcp_f64_e32 v[44:45], v[42:43]
	v_cmp_class_f64_e64 vcc, v[30:31], s91
	v_fma_f64 v[28:29], -v[28:29], v[28:29], 1.0
	v_fma_f64 v[28:29], -v[2:3], v[2:3], v[28:29]
	v_fma_f64 v[46:47], -v[42:43], v[44:45], 1.0
	v_fmac_f64_e32 v[44:45], v[46:47], v[44:45]
	v_fma_f64 v[46:47], -v[42:43], v[44:45], 1.0
	v_fmac_f64_e32 v[44:45], v[46:47], v[44:45]
	v_mul_f64 v[46:47], v[40:41], v[44:45]
	v_mul_f64 v[48:49], v[42:43], v[46:47]
	v_fma_f64 v[42:43], v[46:47], v[42:43], -v[48:49]
	v_fmac_f64_e32 v[42:43], v[46:47], v[38:39]
	v_add_f64 v[38:39], v[48:49], v[42:43]
	v_add_f64 v[50:51], v[40:41], -v[38:39]
	v_add_f64 v[48:49], v[38:39], -v[48:49]
	;; [unrolled: 1-line block ×5, first 2 shown]
	v_add_f64 v[38:39], v[40:41], v[38:39]
	v_add_f64 v[38:39], v[50:51], v[38:39]
	v_mul_f64 v[38:39], v[44:45], v[38:39]
	v_add_f64 v[40:41], v[46:47], v[38:39]
	v_add_f64 v[42:43], v[40:41], -v[46:47]
	v_add_f64 v[38:39], v[38:39], -v[42:43]
	v_mul_f64 v[42:43], v[40:41], v[40:41]
	v_fma_f64 v[44:45], s[22:23], v[42:43], v[24:25]
	v_fma_f64 v[44:45], v[42:43], v[44:45], s[24:25]
	;; [unrolled: 1-line block ×6, first 2 shown]
	v_ldexp_f64 v[46:47], v[40:41], 1
	v_mul_f64 v[40:41], v[40:41], v[42:43]
	v_mul_f64 v[40:41], v[40:41], v[44:45]
	v_add_f64 v[42:43], v[46:47], v[40:41]
	v_add_f64 v[44:45], v[42:43], -v[46:47]
	v_ldexp_f64 v[38:39], v[38:39], 1
	v_add_f64 v[40:41], v[40:41], -v[44:45]
	v_add_f64 v[38:39], v[38:39], v[40:41]
	v_add_f64 v[40:41], v[42:43], v[38:39]
	v_add_f64 v[42:43], v[40:41], -v[42:43]
	v_add_f64 v[38:39], v[38:39], -v[42:43]
	v_cvt_f64_i32_e32 v[42:43], v19
	v_mul_f64 v[44:45], v[42:43], s[36:37]
	v_fma_f64 v[46:47], v[42:43], s[36:37], -v[44:45]
	v_fmac_f64_e32 v[46:47], s[38:39], v[42:43]
	v_add_f64 v[42:43], v[44:45], v[46:47]
	v_add_f64 v[44:45], v[42:43], -v[44:45]
	v_add_f64 v[44:45], v[46:47], -v[44:45]
	v_add_f64 v[46:47], v[42:43], v[40:41]
	v_add_f64 v[48:49], v[46:47], -v[42:43]
	v_add_f64 v[50:51], v[46:47], -v[48:49]
	;; [unrolled: 1-line block ×4, first 2 shown]
	v_add_f64 v[40:41], v[40:41], v[42:43]
	v_add_f64 v[42:43], v[44:45], v[38:39]
	v_add_f64 v[48:49], v[42:43], -v[44:45]
	v_add_f64 v[50:51], v[42:43], -v[48:49]
	v_add_f64 v[40:41], v[42:43], v[40:41]
	v_add_f64 v[44:45], v[44:45], -v[50:51]
	v_add_f64 v[38:39], v[38:39], -v[48:49]
	v_add_f64 v[42:43], v[46:47], v[40:41]
	v_add_f64 v[38:39], v[38:39], v[44:45]
	v_add_f64 v[44:45], v[42:43], -v[46:47]
	v_add_f64 v[40:41], v[40:41], -v[44:45]
	v_add_f64 v[38:39], v[38:39], v[40:41]
	v_add_f64 v[38:39], v[42:43], v[38:39]
	v_cndmask_b32_e32 v19, v38, v30, vcc
	v_cndmask_b32_e32 v38, v39, v31, vcc
	v_cmp_neq_f64_e32 vcc, 0, v[30:31]
	v_cndmask_b32_e32 v31, v23, v38, vcc
	v_frexp_mant_f64_e32 v[38:39], v[4:5]
	v_cndmask_b32_e32 v30, 0, v19, vcc
	v_cmp_gt_f64_e32 vcc, s[20:21], v[38:39]
	v_cndmask_b32_e64 v19, v1, 2.0, vcc
	v_mul_f64 v[38:39], v[38:39], v[18:19]
	v_add_f64 v[42:43], v[38:39], 1.0
	v_frexp_exp_i32_f64_e32 v40, v[4:5]
	v_add_f64 v[44:45], v[42:43], -1.0
	v_subbrev_co_u32_e32 v19, vcc, 0, v40, vcc
	v_add_f64 v[40:41], v[38:39], -1.0
	v_add_f64 v[38:39], v[38:39], -v[44:45]
	v_rcp_f64_e32 v[44:45], v[42:43]
	v_cmp_class_f64_e64 vcc, v[4:5], s91
	v_add_f64 v[2:3], v[2:3], v[2:3]
	v_cmp_class_f64_e64 s[2:3], v[28:29], s91
	v_fma_f64 v[46:47], -v[42:43], v[44:45], 1.0
	v_fmac_f64_e32 v[44:45], v[46:47], v[44:45]
	v_fma_f64 v[46:47], -v[42:43], v[44:45], 1.0
	v_fmac_f64_e32 v[44:45], v[46:47], v[44:45]
	v_mul_f64 v[46:47], v[40:41], v[44:45]
	v_mul_f64 v[48:49], v[42:43], v[46:47]
	v_fma_f64 v[42:43], v[46:47], v[42:43], -v[48:49]
	v_fmac_f64_e32 v[42:43], v[46:47], v[38:39]
	v_add_f64 v[38:39], v[48:49], v[42:43]
	v_add_f64 v[50:51], v[40:41], -v[38:39]
	v_add_f64 v[48:49], v[38:39], -v[48:49]
	;; [unrolled: 1-line block ×5, first 2 shown]
	v_add_f64 v[38:39], v[40:41], v[38:39]
	v_add_f64 v[38:39], v[50:51], v[38:39]
	v_mul_f64 v[38:39], v[44:45], v[38:39]
	v_add_f64 v[40:41], v[46:47], v[38:39]
	v_add_f64 v[42:43], v[40:41], -v[46:47]
	v_add_f64 v[38:39], v[38:39], -v[42:43]
	v_mul_f64 v[42:43], v[40:41], v[40:41]
	v_fma_f64 v[44:45], s[22:23], v[42:43], v[24:25]
	v_fma_f64 v[44:45], v[42:43], v[44:45], s[24:25]
	;; [unrolled: 1-line block ×6, first 2 shown]
	v_ldexp_f64 v[46:47], v[40:41], 1
	v_mul_f64 v[40:41], v[40:41], v[42:43]
	v_mul_f64 v[40:41], v[40:41], v[44:45]
	v_add_f64 v[42:43], v[46:47], v[40:41]
	v_add_f64 v[44:45], v[42:43], -v[46:47]
	v_ldexp_f64 v[38:39], v[38:39], 1
	v_add_f64 v[40:41], v[40:41], -v[44:45]
	v_add_f64 v[38:39], v[38:39], v[40:41]
	v_add_f64 v[40:41], v[42:43], v[38:39]
	v_add_f64 v[42:43], v[40:41], -v[42:43]
	v_add_f64 v[38:39], v[38:39], -v[42:43]
	v_cvt_f64_i32_e32 v[42:43], v19
	v_mul_f64 v[44:45], v[42:43], s[36:37]
	v_fma_f64 v[46:47], v[42:43], s[36:37], -v[44:45]
	v_fmac_f64_e32 v[46:47], s[38:39], v[42:43]
	v_add_f64 v[42:43], v[44:45], v[46:47]
	v_add_f64 v[44:45], v[42:43], -v[44:45]
	v_add_f64 v[44:45], v[46:47], -v[44:45]
	v_add_f64 v[46:47], v[42:43], v[40:41]
	v_add_f64 v[48:49], v[46:47], -v[42:43]
	v_add_f64 v[50:51], v[46:47], -v[48:49]
	;; [unrolled: 1-line block ×4, first 2 shown]
	v_add_f64 v[40:41], v[40:41], v[42:43]
	v_add_f64 v[42:43], v[44:45], v[38:39]
	v_add_f64 v[48:49], v[42:43], -v[44:45]
	v_add_f64 v[50:51], v[42:43], -v[48:49]
	v_add_f64 v[40:41], v[42:43], v[40:41]
	v_add_f64 v[44:45], v[44:45], -v[50:51]
	v_add_f64 v[38:39], v[38:39], -v[48:49]
	v_add_f64 v[42:43], v[46:47], v[40:41]
	v_add_f64 v[38:39], v[38:39], v[44:45]
	v_add_f64 v[44:45], v[42:43], -v[46:47]
	v_add_f64 v[40:41], v[40:41], -v[44:45]
	v_add_f64 v[38:39], v[38:39], v[40:41]
	v_add_f64 v[38:39], v[42:43], v[38:39]
	v_cndmask_b32_e32 v19, v38, v4, vcc
	v_cndmask_b32_e32 v38, v39, v5, vcc
	v_cmp_neq_f64_e32 vcc, 0, v[4:5]
	v_cndmask_b32_e32 v5, v23, v38, vcc
	v_cndmask_b32_e32 v4, 0, v19, vcc
	v_add_f64 v[4:5], v[30:31], -v[4:5]
	v_max_f64 v[30:31], |v[28:29]|, |v[2:3]|
	v_min_f64 v[38:39], |v[28:29]|, |v[2:3]|
	v_div_scale_f64 v[40:41], s[0:1], v[30:31], v[30:31], v[38:39]
	v_rcp_f64_e32 v[42:43], v[40:41]
	v_cmp_class_f64_e64 s[0:1], v[2:3], s91
	v_cmp_lt_f64_e64 s[6:7], |v[28:29]|, |v[2:3]|
	v_ldexp_f64 v[4:5], v[4:5], -2
	v_fma_f64 v[44:45], -v[40:41], v[42:43], 1.0
	v_fmac_f64_e32 v[42:43], v[42:43], v[44:45]
	v_fma_f64 v[44:45], -v[40:41], v[42:43], 1.0
	v_fmac_f64_e32 v[42:43], v[42:43], v[44:45]
	v_div_scale_f64 v[44:45], vcc, v[38:39], v[30:31], v[38:39]
	v_mul_f64 v[46:47], v[44:45], v[42:43]
	v_fma_f64 v[40:41], -v[40:41], v[46:47], v[44:45]
	s_nop 1
	v_div_fmas_f64 v[40:41], v[40:41], v[42:43], v[46:47]
	v_div_fixup_f64 v[30:31], v[40:41], v[30:31], v[38:39]
	v_mul_f64 v[38:39], v[30:31], v[30:31]
	v_fma_f64 v[40:41], s[40:41], v[38:39], v[26:27]
	v_fma_f64 v[40:41], v[38:39], v[40:41], s[42:43]
	v_fma_f64 v[40:41], v[38:39], v[40:41], s[44:45]
	v_fma_f64 v[40:41], v[38:39], v[40:41], s[46:47]
	v_fma_f64 v[40:41], v[38:39], v[40:41], s[48:49]
	v_fma_f64 v[40:41], v[38:39], v[40:41], s[50:51]
	v_fma_f64 v[40:41], v[38:39], v[40:41], s[52:53]
	v_fma_f64 v[40:41], v[38:39], v[40:41], s[54:55]
	v_fma_f64 v[40:41], v[38:39], v[40:41], s[56:57]
	v_fma_f64 v[40:41], v[38:39], v[40:41], s[58:59]
	v_fma_f64 v[40:41], v[38:39], v[40:41], s[60:61]
	v_fma_f64 v[40:41], v[38:39], v[40:41], s[62:63]
	v_fma_f64 v[40:41], v[38:39], v[40:41], s[64:65]
	v_fma_f64 v[40:41], v[38:39], v[40:41], s[66:67]
	v_fma_f64 v[40:41], v[38:39], v[40:41], s[68:69]
	v_fma_f64 v[40:41], v[38:39], v[40:41], s[70:71]
	v_fma_f64 v[40:41], v[38:39], v[40:41], s[72:73]
	v_fma_f64 v[40:41], v[38:39], v[40:41], s[74:75]
	v_fma_f64 v[40:41], v[38:39], v[40:41], s[76:77]
	v_mul_f64 v[38:39], v[38:39], v[40:41]
	s_and_b64 vcc, s[0:1], s[2:3]
	v_cmp_gt_i32_e64 s[0:1], 0, v29
	v_fmac_f64_e32 v[30:31], v[30:31], v[38:39]
	v_cndmask_b32_e64 v38, v34, v35, s[0:1]
	v_bfi_b32 v40, s92, v38, v3
	v_ashrrev_i32_e32 v38, 31, v29
	v_and_b32_e32 v41, 0x400921fb, v38
	v_and_b32_e32 v42, 0x54442d18, v38
	v_add_f64 v[38:39], -v[30:31], s[78:79]
	v_cndmask_b32_e64 v31, v31, v39, s[6:7]
	v_cndmask_b32_e64 v30, v30, v38, s[6:7]
	v_add_f64 v[38:39], -v[30:31], s[80:81]
	v_cmp_eq_f64_e64 s[2:3], 0, v[2:3]
	v_cndmask_b32_e64 v31, v31, v39, s[0:1]
	v_cndmask_b32_e64 v30, v30, v38, s[0:1]
	;; [unrolled: 1-line block ×5, first 2 shown]
	v_cndmask_b32_e32 v31, v31, v40, vcc
	v_cndmask_b32_e32 v19, v30, v19, vcc
	v_cmp_o_f64_e32 vcc, v[28:29], v[2:3]
	v_cndmask_b32_e32 v2, 0, v19, vcc
	v_cndmask_b32_e32 v19, v36, v31, vcc
	v_bfi_b32 v3, s92, v19, v3
	v_mul_f64 v[28:29], v[2:3], 0.5
	v_pk_mov_b32 v[2:3], v[28:29], v[28:29] op_sel:[0,1]
	v_fmac_f64_e32 v[2:3], 0x80000000, v[4:5]
	v_fma_f64 v[4:5], v[28:29], s[82:83], -v[4:5]
	v_fma_f64 v[28:29], v[6:7], 0, -v[8:9]
	v_fmac_f64_e32 v[6:7], 0, v[8:9]
	v_mul_f64 v[8:9], v[6:7], v[6:7]
	v_add_f64 v[30:31], v[28:29], 1.0
	v_fma_f64 v[30:31], v[30:31], v[30:31], v[8:9]
	v_add_f64 v[38:39], -v[28:29], 1.0
	v_fmac_f64_e32 v[8:9], v[38:39], v[38:39]
	v_frexp_mant_f64_e32 v[38:39], v[30:31]
	v_cmp_gt_f64_e32 vcc, s[20:21], v[38:39]
	v_cndmask_b32_e64 v19, v1, 2.0, vcc
	v_mul_f64 v[38:39], v[38:39], v[18:19]
	v_add_f64 v[42:43], v[38:39], 1.0
	v_frexp_exp_i32_f64_e32 v40, v[30:31]
	v_add_f64 v[44:45], v[42:43], -1.0
	v_subbrev_co_u32_e32 v19, vcc, 0, v40, vcc
	v_add_f64 v[40:41], v[38:39], -1.0
	v_add_f64 v[38:39], v[38:39], -v[44:45]
	v_rcp_f64_e32 v[44:45], v[42:43]
	v_cmp_class_f64_e64 vcc, v[30:31], s91
	v_fma_f64 v[28:29], -v[28:29], v[28:29], 1.0
	v_fma_f64 v[28:29], -v[6:7], v[6:7], v[28:29]
	v_fma_f64 v[46:47], -v[42:43], v[44:45], 1.0
	v_fmac_f64_e32 v[44:45], v[46:47], v[44:45]
	v_fma_f64 v[46:47], -v[42:43], v[44:45], 1.0
	v_fmac_f64_e32 v[44:45], v[46:47], v[44:45]
	v_mul_f64 v[46:47], v[40:41], v[44:45]
	v_mul_f64 v[48:49], v[42:43], v[46:47]
	v_fma_f64 v[42:43], v[46:47], v[42:43], -v[48:49]
	v_fmac_f64_e32 v[42:43], v[46:47], v[38:39]
	v_add_f64 v[38:39], v[48:49], v[42:43]
	v_add_f64 v[50:51], v[40:41], -v[38:39]
	v_add_f64 v[48:49], v[38:39], -v[48:49]
	;; [unrolled: 1-line block ×5, first 2 shown]
	v_add_f64 v[38:39], v[40:41], v[38:39]
	v_add_f64 v[38:39], v[50:51], v[38:39]
	v_mul_f64 v[38:39], v[44:45], v[38:39]
	v_add_f64 v[40:41], v[46:47], v[38:39]
	v_add_f64 v[42:43], v[40:41], -v[46:47]
	v_add_f64 v[38:39], v[38:39], -v[42:43]
	v_mul_f64 v[42:43], v[40:41], v[40:41]
	v_fma_f64 v[44:45], s[22:23], v[42:43], v[24:25]
	v_fma_f64 v[44:45], v[42:43], v[44:45], s[24:25]
	;; [unrolled: 1-line block ×6, first 2 shown]
	v_ldexp_f64 v[46:47], v[40:41], 1
	v_mul_f64 v[40:41], v[40:41], v[42:43]
	v_mul_f64 v[40:41], v[40:41], v[44:45]
	v_add_f64 v[42:43], v[46:47], v[40:41]
	v_add_f64 v[44:45], v[42:43], -v[46:47]
	v_ldexp_f64 v[38:39], v[38:39], 1
	v_add_f64 v[40:41], v[40:41], -v[44:45]
	v_add_f64 v[38:39], v[38:39], v[40:41]
	v_add_f64 v[40:41], v[42:43], v[38:39]
	v_add_f64 v[42:43], v[40:41], -v[42:43]
	v_add_f64 v[38:39], v[38:39], -v[42:43]
	v_cvt_f64_i32_e32 v[42:43], v19
	v_mul_f64 v[44:45], v[42:43], s[36:37]
	v_fma_f64 v[46:47], v[42:43], s[36:37], -v[44:45]
	v_fmac_f64_e32 v[46:47], s[38:39], v[42:43]
	v_add_f64 v[42:43], v[44:45], v[46:47]
	v_add_f64 v[44:45], v[42:43], -v[44:45]
	v_add_f64 v[44:45], v[46:47], -v[44:45]
	v_add_f64 v[46:47], v[42:43], v[40:41]
	v_add_f64 v[48:49], v[46:47], -v[42:43]
	v_add_f64 v[50:51], v[46:47], -v[48:49]
	;; [unrolled: 1-line block ×4, first 2 shown]
	v_add_f64 v[40:41], v[40:41], v[42:43]
	v_add_f64 v[42:43], v[44:45], v[38:39]
	v_add_f64 v[48:49], v[42:43], -v[44:45]
	v_add_f64 v[50:51], v[42:43], -v[48:49]
	v_add_f64 v[40:41], v[42:43], v[40:41]
	v_add_f64 v[44:45], v[44:45], -v[50:51]
	v_add_f64 v[38:39], v[38:39], -v[48:49]
	v_add_f64 v[42:43], v[46:47], v[40:41]
	v_add_f64 v[38:39], v[38:39], v[44:45]
	v_add_f64 v[44:45], v[42:43], -v[46:47]
	v_add_f64 v[40:41], v[40:41], -v[44:45]
	v_add_f64 v[38:39], v[38:39], v[40:41]
	v_add_f64 v[38:39], v[42:43], v[38:39]
	v_cndmask_b32_e32 v19, v38, v30, vcc
	v_cndmask_b32_e32 v38, v39, v31, vcc
	v_cmp_neq_f64_e32 vcc, 0, v[30:31]
	v_cndmask_b32_e32 v31, v23, v38, vcc
	v_frexp_mant_f64_e32 v[38:39], v[8:9]
	v_cndmask_b32_e32 v30, 0, v19, vcc
	v_cmp_gt_f64_e32 vcc, s[20:21], v[38:39]
	v_cndmask_b32_e64 v19, v1, 2.0, vcc
	v_mul_f64 v[38:39], v[38:39], v[18:19]
	v_add_f64 v[42:43], v[38:39], 1.0
	v_frexp_exp_i32_f64_e32 v40, v[8:9]
	v_add_f64 v[44:45], v[42:43], -1.0
	v_subbrev_co_u32_e32 v19, vcc, 0, v40, vcc
	v_add_f64 v[40:41], v[38:39], -1.0
	v_add_f64 v[38:39], v[38:39], -v[44:45]
	v_rcp_f64_e32 v[44:45], v[42:43]
	v_cmp_class_f64_e64 vcc, v[8:9], s91
	v_add_f64 v[6:7], v[6:7], v[6:7]
	v_cmp_class_f64_e64 s[2:3], v[28:29], s91
	v_fma_f64 v[46:47], -v[42:43], v[44:45], 1.0
	v_fmac_f64_e32 v[44:45], v[46:47], v[44:45]
	v_fma_f64 v[46:47], -v[42:43], v[44:45], 1.0
	v_fmac_f64_e32 v[44:45], v[46:47], v[44:45]
	v_mul_f64 v[46:47], v[40:41], v[44:45]
	v_mul_f64 v[48:49], v[42:43], v[46:47]
	v_fma_f64 v[42:43], v[46:47], v[42:43], -v[48:49]
	v_fmac_f64_e32 v[42:43], v[46:47], v[38:39]
	v_add_f64 v[38:39], v[48:49], v[42:43]
	v_add_f64 v[50:51], v[40:41], -v[38:39]
	v_add_f64 v[48:49], v[38:39], -v[48:49]
	;; [unrolled: 1-line block ×5, first 2 shown]
	v_add_f64 v[38:39], v[40:41], v[38:39]
	v_add_f64 v[38:39], v[50:51], v[38:39]
	v_mul_f64 v[38:39], v[44:45], v[38:39]
	v_add_f64 v[40:41], v[46:47], v[38:39]
	v_add_f64 v[42:43], v[40:41], -v[46:47]
	v_add_f64 v[38:39], v[38:39], -v[42:43]
	v_mul_f64 v[42:43], v[40:41], v[40:41]
	v_fma_f64 v[44:45], s[22:23], v[42:43], v[24:25]
	v_fma_f64 v[44:45], v[42:43], v[44:45], s[24:25]
	;; [unrolled: 1-line block ×6, first 2 shown]
	v_ldexp_f64 v[46:47], v[40:41], 1
	v_mul_f64 v[40:41], v[40:41], v[42:43]
	v_mul_f64 v[40:41], v[40:41], v[44:45]
	v_add_f64 v[42:43], v[46:47], v[40:41]
	v_add_f64 v[44:45], v[42:43], -v[46:47]
	v_ldexp_f64 v[38:39], v[38:39], 1
	v_add_f64 v[40:41], v[40:41], -v[44:45]
	v_add_f64 v[38:39], v[38:39], v[40:41]
	v_add_f64 v[40:41], v[42:43], v[38:39]
	v_add_f64 v[42:43], v[40:41], -v[42:43]
	v_add_f64 v[38:39], v[38:39], -v[42:43]
	v_cvt_f64_i32_e32 v[42:43], v19
	v_mul_f64 v[44:45], v[42:43], s[36:37]
	v_fma_f64 v[46:47], v[42:43], s[36:37], -v[44:45]
	v_fmac_f64_e32 v[46:47], s[38:39], v[42:43]
	v_add_f64 v[42:43], v[44:45], v[46:47]
	v_add_f64 v[44:45], v[42:43], -v[44:45]
	v_add_f64 v[44:45], v[46:47], -v[44:45]
	v_add_f64 v[46:47], v[42:43], v[40:41]
	v_add_f64 v[48:49], v[46:47], -v[42:43]
	v_add_f64 v[50:51], v[46:47], -v[48:49]
	;; [unrolled: 1-line block ×4, first 2 shown]
	v_add_f64 v[40:41], v[40:41], v[42:43]
	v_add_f64 v[42:43], v[44:45], v[38:39]
	v_add_f64 v[48:49], v[42:43], -v[44:45]
	v_add_f64 v[50:51], v[42:43], -v[48:49]
	v_add_f64 v[40:41], v[42:43], v[40:41]
	v_add_f64 v[44:45], v[44:45], -v[50:51]
	v_add_f64 v[38:39], v[38:39], -v[48:49]
	v_add_f64 v[42:43], v[46:47], v[40:41]
	v_add_f64 v[38:39], v[38:39], v[44:45]
	v_add_f64 v[44:45], v[42:43], -v[46:47]
	v_add_f64 v[40:41], v[40:41], -v[44:45]
	v_add_f64 v[38:39], v[38:39], v[40:41]
	v_add_f64 v[38:39], v[42:43], v[38:39]
	v_cndmask_b32_e32 v19, v38, v8, vcc
	v_cndmask_b32_e32 v38, v39, v9, vcc
	v_cmp_neq_f64_e32 vcc, 0, v[8:9]
	v_cndmask_b32_e32 v9, v23, v38, vcc
	v_cndmask_b32_e32 v8, 0, v19, vcc
	v_add_f64 v[8:9], v[30:31], -v[8:9]
	v_max_f64 v[30:31], |v[28:29]|, |v[6:7]|
	v_min_f64 v[38:39], |v[28:29]|, |v[6:7]|
	v_div_scale_f64 v[40:41], s[0:1], v[30:31], v[30:31], v[38:39]
	v_rcp_f64_e32 v[42:43], v[40:41]
	v_cmp_class_f64_e64 s[0:1], v[6:7], s91
	v_cmp_lt_f64_e64 s[6:7], |v[28:29]|, |v[6:7]|
	v_ldexp_f64 v[8:9], v[8:9], -2
	v_fma_f64 v[44:45], -v[40:41], v[42:43], 1.0
	v_fmac_f64_e32 v[42:43], v[42:43], v[44:45]
	v_fma_f64 v[44:45], -v[40:41], v[42:43], 1.0
	v_fmac_f64_e32 v[42:43], v[42:43], v[44:45]
	v_div_scale_f64 v[44:45], vcc, v[38:39], v[30:31], v[38:39]
	v_mul_f64 v[46:47], v[44:45], v[42:43]
	v_fma_f64 v[40:41], -v[40:41], v[46:47], v[44:45]
	s_nop 1
	v_div_fmas_f64 v[40:41], v[40:41], v[42:43], v[46:47]
	v_div_fixup_f64 v[30:31], v[40:41], v[30:31], v[38:39]
	v_mul_f64 v[38:39], v[30:31], v[30:31]
	v_fma_f64 v[40:41], s[40:41], v[38:39], v[26:27]
	v_fma_f64 v[40:41], v[38:39], v[40:41], s[42:43]
	;; [unrolled: 1-line block ×19, first 2 shown]
	v_mul_f64 v[38:39], v[38:39], v[40:41]
	s_and_b64 vcc, s[0:1], s[2:3]
	v_cmp_gt_i32_e64 s[0:1], 0, v29
	v_fmac_f64_e32 v[30:31], v[30:31], v[38:39]
	v_cndmask_b32_e64 v38, v34, v35, s[0:1]
	v_bfi_b32 v40, s92, v38, v7
	v_ashrrev_i32_e32 v38, 31, v29
	v_and_b32_e32 v41, 0x400921fb, v38
	v_and_b32_e32 v42, 0x54442d18, v38
	v_add_f64 v[38:39], -v[30:31], s[78:79]
	v_cndmask_b32_e64 v31, v31, v39, s[6:7]
	v_cndmask_b32_e64 v30, v30, v38, s[6:7]
	v_add_f64 v[38:39], -v[30:31], s[80:81]
	v_cmp_eq_f64_e64 s[2:3], 0, v[6:7]
	v_cndmask_b32_e64 v31, v31, v39, s[0:1]
	v_cndmask_b32_e64 v30, v30, v38, s[0:1]
	;; [unrolled: 1-line block ×5, first 2 shown]
	v_cndmask_b32_e32 v31, v31, v40, vcc
	v_cndmask_b32_e32 v19, v30, v19, vcc
	v_cmp_o_f64_e32 vcc, v[28:29], v[6:7]
	v_cndmask_b32_e32 v6, 0, v19, vcc
	v_cndmask_b32_e32 v19, v36, v31, vcc
	v_bfi_b32 v7, s92, v19, v7
	v_mul_f64 v[28:29], v[6:7], 0.5
	v_pk_mov_b32 v[6:7], v[28:29], v[28:29] op_sel:[0,1]
	v_fmac_f64_e32 v[6:7], 0x80000000, v[8:9]
	v_fma_f64 v[8:9], v[28:29], s[82:83], -v[8:9]
	v_fma_f64 v[28:29], v[14:15], 0, -v[16:17]
	v_fmac_f64_e32 v[14:15], 0, v[16:17]
	v_mul_f64 v[16:17], v[14:15], v[14:15]
	v_add_f64 v[30:31], v[28:29], 1.0
	v_fma_f64 v[30:31], v[30:31], v[30:31], v[16:17]
	v_add_f64 v[38:39], -v[28:29], 1.0
	v_fmac_f64_e32 v[16:17], v[38:39], v[38:39]
	v_frexp_mant_f64_e32 v[38:39], v[30:31]
	v_cmp_gt_f64_e32 vcc, s[20:21], v[38:39]
	v_cndmask_b32_e64 v19, v1, 2.0, vcc
	v_mul_f64 v[38:39], v[38:39], v[18:19]
	v_add_f64 v[42:43], v[38:39], 1.0
	v_frexp_exp_i32_f64_e32 v40, v[30:31]
	v_add_f64 v[44:45], v[42:43], -1.0
	v_subbrev_co_u32_e32 v19, vcc, 0, v40, vcc
	v_add_f64 v[40:41], v[38:39], -1.0
	v_add_f64 v[38:39], v[38:39], -v[44:45]
	v_rcp_f64_e32 v[44:45], v[42:43]
	v_cmp_class_f64_e64 vcc, v[30:31], s91
	v_fma_f64 v[28:29], -v[28:29], v[28:29], 1.0
	v_fma_f64 v[28:29], -v[14:15], v[14:15], v[28:29]
	v_fma_f64 v[46:47], -v[42:43], v[44:45], 1.0
	v_fmac_f64_e32 v[44:45], v[46:47], v[44:45]
	v_fma_f64 v[46:47], -v[42:43], v[44:45], 1.0
	v_fmac_f64_e32 v[44:45], v[46:47], v[44:45]
	v_mul_f64 v[46:47], v[40:41], v[44:45]
	v_mul_f64 v[48:49], v[42:43], v[46:47]
	v_fma_f64 v[42:43], v[46:47], v[42:43], -v[48:49]
	v_fmac_f64_e32 v[42:43], v[46:47], v[38:39]
	v_add_f64 v[38:39], v[48:49], v[42:43]
	v_add_f64 v[50:51], v[40:41], -v[38:39]
	v_add_f64 v[48:49], v[38:39], -v[48:49]
	;; [unrolled: 1-line block ×5, first 2 shown]
	v_add_f64 v[38:39], v[40:41], v[38:39]
	v_add_f64 v[38:39], v[50:51], v[38:39]
	v_mul_f64 v[38:39], v[44:45], v[38:39]
	v_add_f64 v[40:41], v[46:47], v[38:39]
	v_add_f64 v[42:43], v[40:41], -v[46:47]
	v_add_f64 v[38:39], v[38:39], -v[42:43]
	v_mul_f64 v[42:43], v[40:41], v[40:41]
	v_fma_f64 v[44:45], s[22:23], v[42:43], v[24:25]
	v_fma_f64 v[44:45], v[42:43], v[44:45], s[24:25]
	;; [unrolled: 1-line block ×6, first 2 shown]
	v_ldexp_f64 v[46:47], v[40:41], 1
	v_mul_f64 v[40:41], v[40:41], v[42:43]
	v_mul_f64 v[40:41], v[40:41], v[44:45]
	v_add_f64 v[42:43], v[46:47], v[40:41]
	v_add_f64 v[44:45], v[42:43], -v[46:47]
	v_ldexp_f64 v[38:39], v[38:39], 1
	v_add_f64 v[40:41], v[40:41], -v[44:45]
	v_add_f64 v[38:39], v[38:39], v[40:41]
	v_add_f64 v[40:41], v[42:43], v[38:39]
	v_add_f64 v[42:43], v[40:41], -v[42:43]
	v_add_f64 v[38:39], v[38:39], -v[42:43]
	v_cvt_f64_i32_e32 v[42:43], v19
	v_mul_f64 v[44:45], v[42:43], s[36:37]
	v_fma_f64 v[46:47], v[42:43], s[36:37], -v[44:45]
	v_fmac_f64_e32 v[46:47], s[38:39], v[42:43]
	v_add_f64 v[42:43], v[44:45], v[46:47]
	v_add_f64 v[44:45], v[42:43], -v[44:45]
	v_add_f64 v[44:45], v[46:47], -v[44:45]
	v_add_f64 v[46:47], v[42:43], v[40:41]
	v_add_f64 v[48:49], v[46:47], -v[42:43]
	v_add_f64 v[50:51], v[46:47], -v[48:49]
	;; [unrolled: 1-line block ×4, first 2 shown]
	v_add_f64 v[40:41], v[40:41], v[42:43]
	v_add_f64 v[42:43], v[44:45], v[38:39]
	v_add_f64 v[48:49], v[42:43], -v[44:45]
	v_add_f64 v[50:51], v[42:43], -v[48:49]
	v_add_f64 v[40:41], v[42:43], v[40:41]
	v_add_f64 v[44:45], v[44:45], -v[50:51]
	v_add_f64 v[38:39], v[38:39], -v[48:49]
	v_add_f64 v[42:43], v[46:47], v[40:41]
	v_add_f64 v[38:39], v[38:39], v[44:45]
	v_add_f64 v[44:45], v[42:43], -v[46:47]
	v_add_f64 v[40:41], v[40:41], -v[44:45]
	v_add_f64 v[38:39], v[38:39], v[40:41]
	v_add_f64 v[38:39], v[42:43], v[38:39]
	v_cndmask_b32_e32 v19, v38, v30, vcc
	v_cndmask_b32_e32 v38, v39, v31, vcc
	v_cmp_neq_f64_e32 vcc, 0, v[30:31]
	v_cndmask_b32_e32 v31, v23, v38, vcc
	v_frexp_mant_f64_e32 v[38:39], v[16:17]
	v_cndmask_b32_e32 v30, 0, v19, vcc
	v_cmp_gt_f64_e32 vcc, s[20:21], v[38:39]
	v_cndmask_b32_e64 v19, v1, 2.0, vcc
	v_mul_f64 v[38:39], v[38:39], v[18:19]
	v_add_f64 v[42:43], v[38:39], 1.0
	v_frexp_exp_i32_f64_e32 v40, v[16:17]
	v_add_f64 v[44:45], v[42:43], -1.0
	v_subbrev_co_u32_e32 v19, vcc, 0, v40, vcc
	v_add_f64 v[40:41], v[38:39], -1.0
	v_add_f64 v[38:39], v[38:39], -v[44:45]
	v_rcp_f64_e32 v[44:45], v[42:43]
	v_cmp_class_f64_e64 vcc, v[16:17], s91
	v_add_f64 v[14:15], v[14:15], v[14:15]
	v_cmp_class_f64_e64 s[2:3], v[28:29], s91
	v_fma_f64 v[46:47], -v[42:43], v[44:45], 1.0
	v_fmac_f64_e32 v[44:45], v[46:47], v[44:45]
	v_fma_f64 v[46:47], -v[42:43], v[44:45], 1.0
	v_fmac_f64_e32 v[44:45], v[46:47], v[44:45]
	v_mul_f64 v[46:47], v[40:41], v[44:45]
	v_mul_f64 v[48:49], v[42:43], v[46:47]
	v_fma_f64 v[42:43], v[46:47], v[42:43], -v[48:49]
	v_fmac_f64_e32 v[42:43], v[46:47], v[38:39]
	v_add_f64 v[38:39], v[48:49], v[42:43]
	v_add_f64 v[50:51], v[40:41], -v[38:39]
	v_add_f64 v[48:49], v[38:39], -v[48:49]
	;; [unrolled: 1-line block ×5, first 2 shown]
	v_add_f64 v[38:39], v[40:41], v[38:39]
	v_add_f64 v[38:39], v[50:51], v[38:39]
	v_mul_f64 v[38:39], v[44:45], v[38:39]
	v_add_f64 v[40:41], v[46:47], v[38:39]
	v_add_f64 v[42:43], v[40:41], -v[46:47]
	v_add_f64 v[38:39], v[38:39], -v[42:43]
	v_mul_f64 v[42:43], v[40:41], v[40:41]
	v_fma_f64 v[44:45], s[22:23], v[42:43], v[24:25]
	v_fma_f64 v[44:45], v[42:43], v[44:45], s[24:25]
	;; [unrolled: 1-line block ×6, first 2 shown]
	v_ldexp_f64 v[46:47], v[40:41], 1
	v_mul_f64 v[40:41], v[40:41], v[42:43]
	v_mul_f64 v[40:41], v[40:41], v[44:45]
	v_add_f64 v[42:43], v[46:47], v[40:41]
	v_add_f64 v[44:45], v[42:43], -v[46:47]
	v_ldexp_f64 v[38:39], v[38:39], 1
	v_add_f64 v[40:41], v[40:41], -v[44:45]
	v_add_f64 v[38:39], v[38:39], v[40:41]
	v_add_f64 v[40:41], v[42:43], v[38:39]
	v_add_f64 v[42:43], v[40:41], -v[42:43]
	v_add_f64 v[38:39], v[38:39], -v[42:43]
	v_cvt_f64_i32_e32 v[42:43], v19
	v_mul_f64 v[44:45], v[42:43], s[36:37]
	v_fma_f64 v[46:47], v[42:43], s[36:37], -v[44:45]
	v_fmac_f64_e32 v[46:47], s[38:39], v[42:43]
	v_add_f64 v[42:43], v[44:45], v[46:47]
	v_add_f64 v[44:45], v[42:43], -v[44:45]
	v_add_f64 v[44:45], v[46:47], -v[44:45]
	v_add_f64 v[46:47], v[42:43], v[40:41]
	v_add_f64 v[48:49], v[46:47], -v[42:43]
	v_add_f64 v[50:51], v[46:47], -v[48:49]
	v_add_f64 v[42:43], v[42:43], -v[50:51]
	v_add_f64 v[40:41], v[40:41], -v[48:49]
	v_add_f64 v[40:41], v[40:41], v[42:43]
	v_add_f64 v[42:43], v[44:45], v[38:39]
	v_add_f64 v[48:49], v[42:43], -v[44:45]
	v_add_f64 v[50:51], v[42:43], -v[48:49]
	v_add_f64 v[40:41], v[42:43], v[40:41]
	v_add_f64 v[44:45], v[44:45], -v[50:51]
	v_add_f64 v[38:39], v[38:39], -v[48:49]
	v_add_f64 v[42:43], v[46:47], v[40:41]
	v_add_f64 v[38:39], v[38:39], v[44:45]
	v_add_f64 v[44:45], v[42:43], -v[46:47]
	v_add_f64 v[40:41], v[40:41], -v[44:45]
	v_add_f64 v[38:39], v[38:39], v[40:41]
	v_add_f64 v[38:39], v[42:43], v[38:39]
	v_cndmask_b32_e32 v19, v38, v16, vcc
	v_cndmask_b32_e32 v38, v39, v17, vcc
	v_cmp_neq_f64_e32 vcc, 0, v[16:17]
	v_cndmask_b32_e32 v17, v23, v38, vcc
	v_cndmask_b32_e32 v16, 0, v19, vcc
	v_add_f64 v[16:17], v[30:31], -v[16:17]
	v_max_f64 v[30:31], |v[28:29]|, |v[14:15]|
	v_min_f64 v[38:39], |v[28:29]|, |v[14:15]|
	v_div_scale_f64 v[40:41], s[0:1], v[30:31], v[30:31], v[38:39]
	v_rcp_f64_e32 v[42:43], v[40:41]
	v_cmp_class_f64_e64 s[0:1], v[14:15], s91
	v_cmp_lt_f64_e64 s[6:7], |v[28:29]|, |v[14:15]|
	v_ldexp_f64 v[16:17], v[16:17], -2
	v_fma_f64 v[44:45], -v[40:41], v[42:43], 1.0
	v_fmac_f64_e32 v[42:43], v[42:43], v[44:45]
	v_fma_f64 v[44:45], -v[40:41], v[42:43], 1.0
	v_fmac_f64_e32 v[42:43], v[42:43], v[44:45]
	v_div_scale_f64 v[44:45], vcc, v[38:39], v[30:31], v[38:39]
	v_mul_f64 v[46:47], v[44:45], v[42:43]
	v_fma_f64 v[40:41], -v[40:41], v[46:47], v[44:45]
	s_nop 1
	v_div_fmas_f64 v[40:41], v[40:41], v[42:43], v[46:47]
	v_div_fixup_f64 v[30:31], v[40:41], v[30:31], v[38:39]
	v_mul_f64 v[38:39], v[30:31], v[30:31]
	v_fma_f64 v[40:41], s[40:41], v[38:39], v[26:27]
	v_fma_f64 v[40:41], v[38:39], v[40:41], s[42:43]
	;; [unrolled: 1-line block ×19, first 2 shown]
	v_mul_f64 v[38:39], v[38:39], v[40:41]
	s_and_b64 vcc, s[0:1], s[2:3]
	v_cmp_gt_i32_e64 s[0:1], 0, v29
	v_fmac_f64_e32 v[30:31], v[30:31], v[38:39]
	v_cndmask_b32_e64 v38, v34, v35, s[0:1]
	v_bfi_b32 v40, s92, v38, v15
	v_ashrrev_i32_e32 v38, 31, v29
	v_and_b32_e32 v41, 0x400921fb, v38
	v_and_b32_e32 v42, 0x54442d18, v38
	v_add_f64 v[38:39], -v[30:31], s[78:79]
	v_cndmask_b32_e64 v31, v31, v39, s[6:7]
	v_cndmask_b32_e64 v30, v30, v38, s[6:7]
	v_add_f64 v[38:39], -v[30:31], s[80:81]
	v_cmp_eq_f64_e64 s[2:3], 0, v[14:15]
	v_cndmask_b32_e64 v31, v31, v39, s[0:1]
	v_cndmask_b32_e64 v30, v30, v38, s[0:1]
	;; [unrolled: 1-line block ×5, first 2 shown]
	v_cndmask_b32_e32 v31, v31, v40, vcc
	v_cndmask_b32_e32 v19, v30, v19, vcc
	v_cmp_o_f64_e32 vcc, v[28:29], v[14:15]
	v_cndmask_b32_e32 v14, 0, v19, vcc
	v_cndmask_b32_e32 v19, v36, v31, vcc
	v_bfi_b32 v15, s92, v19, v15
	v_mul_f64 v[28:29], v[14:15], 0.5
	v_pk_mov_b32 v[14:15], v[28:29], v[28:29] op_sel:[0,1]
	v_fmac_f64_e32 v[14:15], 0x80000000, v[16:17]
	v_fma_f64 v[16:17], v[28:29], s[82:83], -v[16:17]
	v_fma_f64 v[28:29], v[10:11], 0, -v[12:13]
	v_fmac_f64_e32 v[10:11], 0, v[12:13]
	v_mul_f64 v[12:13], v[10:11], v[10:11]
	v_add_f64 v[30:31], v[28:29], 1.0
	v_fma_f64 v[30:31], v[30:31], v[30:31], v[12:13]
	v_add_f64 v[38:39], -v[28:29], 1.0
	v_fmac_f64_e32 v[12:13], v[38:39], v[38:39]
	v_frexp_mant_f64_e32 v[38:39], v[30:31]
	v_cmp_gt_f64_e32 vcc, s[20:21], v[38:39]
	v_cndmask_b32_e64 v19, v1, 2.0, vcc
	v_mul_f64 v[38:39], v[38:39], v[18:19]
	v_add_f64 v[42:43], v[38:39], 1.0
	v_frexp_exp_i32_f64_e32 v40, v[30:31]
	v_add_f64 v[44:45], v[42:43], -1.0
	v_subbrev_co_u32_e32 v19, vcc, 0, v40, vcc
	v_add_f64 v[40:41], v[38:39], -1.0
	v_add_f64 v[38:39], v[38:39], -v[44:45]
	v_rcp_f64_e32 v[44:45], v[42:43]
	v_cmp_class_f64_e64 vcc, v[30:31], s91
	v_fma_f64 v[28:29], -v[28:29], v[28:29], 1.0
	v_fma_f64 v[28:29], -v[10:11], v[10:11], v[28:29]
	v_fma_f64 v[46:47], -v[42:43], v[44:45], 1.0
	v_fmac_f64_e32 v[44:45], v[46:47], v[44:45]
	v_fma_f64 v[46:47], -v[42:43], v[44:45], 1.0
	v_fmac_f64_e32 v[44:45], v[46:47], v[44:45]
	v_mul_f64 v[46:47], v[40:41], v[44:45]
	v_mul_f64 v[48:49], v[42:43], v[46:47]
	v_fma_f64 v[42:43], v[46:47], v[42:43], -v[48:49]
	v_fmac_f64_e32 v[42:43], v[46:47], v[38:39]
	v_add_f64 v[38:39], v[48:49], v[42:43]
	v_add_f64 v[50:51], v[40:41], -v[38:39]
	v_add_f64 v[48:49], v[38:39], -v[48:49]
	;; [unrolled: 1-line block ×5, first 2 shown]
	v_add_f64 v[38:39], v[40:41], v[38:39]
	v_add_f64 v[38:39], v[50:51], v[38:39]
	v_mul_f64 v[38:39], v[44:45], v[38:39]
	v_add_f64 v[40:41], v[46:47], v[38:39]
	v_add_f64 v[42:43], v[40:41], -v[46:47]
	v_add_f64 v[38:39], v[38:39], -v[42:43]
	v_mul_f64 v[42:43], v[40:41], v[40:41]
	v_fma_f64 v[44:45], s[22:23], v[42:43], v[24:25]
	v_fma_f64 v[44:45], v[42:43], v[44:45], s[24:25]
	;; [unrolled: 1-line block ×6, first 2 shown]
	v_ldexp_f64 v[46:47], v[40:41], 1
	v_mul_f64 v[40:41], v[40:41], v[42:43]
	v_mul_f64 v[40:41], v[40:41], v[44:45]
	v_add_f64 v[42:43], v[46:47], v[40:41]
	v_add_f64 v[44:45], v[42:43], -v[46:47]
	v_ldexp_f64 v[38:39], v[38:39], 1
	v_add_f64 v[40:41], v[40:41], -v[44:45]
	v_add_f64 v[38:39], v[38:39], v[40:41]
	v_add_f64 v[40:41], v[42:43], v[38:39]
	v_add_f64 v[42:43], v[40:41], -v[42:43]
	v_add_f64 v[38:39], v[38:39], -v[42:43]
	v_cvt_f64_i32_e32 v[42:43], v19
	v_mul_f64 v[44:45], v[42:43], s[36:37]
	v_fma_f64 v[46:47], v[42:43], s[36:37], -v[44:45]
	v_fmac_f64_e32 v[46:47], s[38:39], v[42:43]
	v_add_f64 v[42:43], v[44:45], v[46:47]
	v_add_f64 v[44:45], v[42:43], -v[44:45]
	v_add_f64 v[44:45], v[46:47], -v[44:45]
	v_add_f64 v[46:47], v[42:43], v[40:41]
	v_add_f64 v[48:49], v[46:47], -v[42:43]
	v_add_f64 v[50:51], v[46:47], -v[48:49]
	v_add_f64 v[42:43], v[42:43], -v[50:51]
	v_add_f64 v[40:41], v[40:41], -v[48:49]
	v_add_f64 v[40:41], v[40:41], v[42:43]
	v_add_f64 v[42:43], v[44:45], v[38:39]
	v_add_f64 v[48:49], v[42:43], -v[44:45]
	v_add_f64 v[50:51], v[42:43], -v[48:49]
	v_add_f64 v[40:41], v[42:43], v[40:41]
	v_add_f64 v[44:45], v[44:45], -v[50:51]
	v_add_f64 v[38:39], v[38:39], -v[48:49]
	v_add_f64 v[42:43], v[46:47], v[40:41]
	v_add_f64 v[38:39], v[38:39], v[44:45]
	v_add_f64 v[44:45], v[42:43], -v[46:47]
	v_add_f64 v[40:41], v[40:41], -v[44:45]
	v_add_f64 v[38:39], v[38:39], v[40:41]
	v_add_f64 v[38:39], v[42:43], v[38:39]
	v_cndmask_b32_e32 v19, v38, v30, vcc
	v_cndmask_b32_e32 v38, v39, v31, vcc
	v_cmp_neq_f64_e32 vcc, 0, v[30:31]
	v_cndmask_b32_e32 v31, v23, v38, vcc
	v_frexp_mant_f64_e32 v[38:39], v[12:13]
	v_cndmask_b32_e32 v30, 0, v19, vcc
	v_cmp_gt_f64_e32 vcc, s[20:21], v[38:39]
	v_cndmask_b32_e64 v19, v1, 2.0, vcc
	v_mul_f64 v[38:39], v[38:39], v[18:19]
	v_add_f64 v[42:43], v[38:39], 1.0
	v_frexp_exp_i32_f64_e32 v40, v[12:13]
	v_add_f64 v[44:45], v[42:43], -1.0
	v_subbrev_co_u32_e32 v19, vcc, 0, v40, vcc
	v_add_f64 v[40:41], v[38:39], -1.0
	v_add_f64 v[38:39], v[38:39], -v[44:45]
	v_rcp_f64_e32 v[44:45], v[42:43]
	v_cmp_class_f64_e64 vcc, v[12:13], s91
	v_add_f64 v[10:11], v[10:11], v[10:11]
	v_cmp_class_f64_e64 s[2:3], v[28:29], s91
	v_fma_f64 v[46:47], -v[42:43], v[44:45], 1.0
	v_fmac_f64_e32 v[44:45], v[46:47], v[44:45]
	v_fma_f64 v[46:47], -v[42:43], v[44:45], 1.0
	v_fmac_f64_e32 v[44:45], v[46:47], v[44:45]
	v_mul_f64 v[46:47], v[40:41], v[44:45]
	v_mul_f64 v[48:49], v[42:43], v[46:47]
	v_fma_f64 v[42:43], v[46:47], v[42:43], -v[48:49]
	v_fmac_f64_e32 v[42:43], v[46:47], v[38:39]
	v_add_f64 v[38:39], v[48:49], v[42:43]
	v_add_f64 v[50:51], v[40:41], -v[38:39]
	v_add_f64 v[48:49], v[38:39], -v[48:49]
	;; [unrolled: 1-line block ×5, first 2 shown]
	v_add_f64 v[38:39], v[40:41], v[38:39]
	v_add_f64 v[38:39], v[50:51], v[38:39]
	v_mul_f64 v[38:39], v[44:45], v[38:39]
	v_add_f64 v[40:41], v[46:47], v[38:39]
	v_add_f64 v[42:43], v[40:41], -v[46:47]
	v_add_f64 v[38:39], v[38:39], -v[42:43]
	v_mul_f64 v[42:43], v[40:41], v[40:41]
	v_fma_f64 v[44:45], s[22:23], v[42:43], v[24:25]
	v_fma_f64 v[44:45], v[42:43], v[44:45], s[24:25]
	;; [unrolled: 1-line block ×6, first 2 shown]
	v_ldexp_f64 v[46:47], v[40:41], 1
	v_mul_f64 v[40:41], v[40:41], v[42:43]
	v_mul_f64 v[40:41], v[40:41], v[44:45]
	v_add_f64 v[42:43], v[46:47], v[40:41]
	v_add_f64 v[44:45], v[42:43], -v[46:47]
	v_ldexp_f64 v[38:39], v[38:39], 1
	v_add_f64 v[40:41], v[40:41], -v[44:45]
	v_add_f64 v[38:39], v[38:39], v[40:41]
	v_add_f64 v[40:41], v[42:43], v[38:39]
	v_add_f64 v[42:43], v[40:41], -v[42:43]
	v_add_f64 v[38:39], v[38:39], -v[42:43]
	v_cvt_f64_i32_e32 v[42:43], v19
	v_mul_f64 v[44:45], v[42:43], s[36:37]
	v_fma_f64 v[46:47], v[42:43], s[36:37], -v[44:45]
	v_fmac_f64_e32 v[46:47], s[38:39], v[42:43]
	v_add_f64 v[42:43], v[44:45], v[46:47]
	v_add_f64 v[44:45], v[42:43], -v[44:45]
	v_add_f64 v[44:45], v[46:47], -v[44:45]
	v_add_f64 v[46:47], v[42:43], v[40:41]
	v_add_f64 v[48:49], v[46:47], -v[42:43]
	v_add_f64 v[50:51], v[46:47], -v[48:49]
	;; [unrolled: 1-line block ×4, first 2 shown]
	v_add_f64 v[40:41], v[40:41], v[42:43]
	v_add_f64 v[42:43], v[44:45], v[38:39]
	v_add_f64 v[48:49], v[42:43], -v[44:45]
	v_add_f64 v[50:51], v[42:43], -v[48:49]
	v_add_f64 v[40:41], v[42:43], v[40:41]
	v_add_f64 v[44:45], v[44:45], -v[50:51]
	v_add_f64 v[38:39], v[38:39], -v[48:49]
	v_add_f64 v[42:43], v[46:47], v[40:41]
	v_add_f64 v[38:39], v[38:39], v[44:45]
	v_add_f64 v[44:45], v[42:43], -v[46:47]
	v_add_f64 v[40:41], v[40:41], -v[44:45]
	v_add_f64 v[38:39], v[38:39], v[40:41]
	v_add_f64 v[38:39], v[42:43], v[38:39]
	v_cndmask_b32_e32 v19, v38, v12, vcc
	v_cndmask_b32_e32 v38, v39, v13, vcc
	v_cmp_neq_f64_e32 vcc, 0, v[12:13]
	v_cndmask_b32_e32 v13, v23, v38, vcc
	v_cndmask_b32_e32 v12, 0, v19, vcc
	v_add_f64 v[12:13], v[30:31], -v[12:13]
	v_max_f64 v[30:31], |v[28:29]|, |v[10:11]|
	v_min_f64 v[38:39], |v[28:29]|, |v[10:11]|
	v_div_scale_f64 v[40:41], s[0:1], v[30:31], v[30:31], v[38:39]
	v_rcp_f64_e32 v[42:43], v[40:41]
	v_cmp_class_f64_e64 s[0:1], v[10:11], s91
	v_cmp_lt_f64_e64 s[6:7], |v[28:29]|, |v[10:11]|
	v_ldexp_f64 v[12:13], v[12:13], -2
	v_fma_f64 v[44:45], -v[40:41], v[42:43], 1.0
	v_fmac_f64_e32 v[42:43], v[42:43], v[44:45]
	v_fma_f64 v[44:45], -v[40:41], v[42:43], 1.0
	v_fmac_f64_e32 v[42:43], v[42:43], v[44:45]
	v_div_scale_f64 v[44:45], vcc, v[38:39], v[30:31], v[38:39]
	v_mul_f64 v[46:47], v[44:45], v[42:43]
	v_fma_f64 v[40:41], -v[40:41], v[46:47], v[44:45]
	s_nop 1
	v_div_fmas_f64 v[40:41], v[40:41], v[42:43], v[46:47]
	v_div_fixup_f64 v[30:31], v[40:41], v[30:31], v[38:39]
	v_mul_f64 v[38:39], v[30:31], v[30:31]
	v_fma_f64 v[40:41], s[40:41], v[38:39], v[26:27]
	v_fma_f64 v[40:41], v[38:39], v[40:41], s[42:43]
	;; [unrolled: 1-line block ×19, first 2 shown]
	v_mul_f64 v[38:39], v[38:39], v[40:41]
	s_and_b64 vcc, s[0:1], s[2:3]
	v_cmp_gt_i32_e64 s[0:1], 0, v29
	v_fmac_f64_e32 v[30:31], v[30:31], v[38:39]
	v_cndmask_b32_e64 v38, v34, v35, s[0:1]
	v_bfi_b32 v40, s92, v38, v11
	v_ashrrev_i32_e32 v38, 31, v29
	v_and_b32_e32 v41, 0x400921fb, v38
	v_and_b32_e32 v42, 0x54442d18, v38
	v_add_f64 v[38:39], -v[30:31], s[78:79]
	v_cndmask_b32_e64 v31, v31, v39, s[6:7]
	v_cndmask_b32_e64 v30, v30, v38, s[6:7]
	v_add_f64 v[38:39], -v[30:31], s[80:81]
	v_cmp_eq_f64_e64 s[2:3], 0, v[10:11]
	v_cndmask_b32_e64 v31, v31, v39, s[0:1]
	v_cndmask_b32_e64 v30, v30, v38, s[0:1]
	;; [unrolled: 1-line block ×5, first 2 shown]
	v_cndmask_b32_e32 v31, v31, v40, vcc
	v_cndmask_b32_e32 v19, v30, v19, vcc
	v_cmp_o_f64_e32 vcc, v[28:29], v[10:11]
	v_cndmask_b32_e32 v10, 0, v19, vcc
	v_cndmask_b32_e32 v19, v36, v31, vcc
	v_bfi_b32 v11, s92, v19, v11
	v_mul_f64 v[28:29], v[10:11], 0.5
	v_pk_mov_b32 v[10:11], v[28:29], v[28:29] op_sel:[0,1]
	v_fmac_f64_e32 v[10:11], 0x80000000, v[12:13]
	v_fma_f64 v[12:13], v[28:29], s[82:83], -v[12:13]
	v_add_co_u32_e32 v28, vcc, s87, v22
	v_mov_b32_e32 v19, s88
	v_addc_co_u32_e32 v29, vcc, 0, v19, vcc
	v_cmp_le_i64_e32 vcc, s[10:11], v[20:21]
	v_cmp_lt_u64_e64 s[0:1], s[84:85], v[20:21]
	s_or_b64 s[0:1], vcc, s[0:1]
	s_add_u32 s33, s33, s90
	s_addc_u32 s86, s86, 0
	s_add_u32 s87, s87, s90
	s_addc_u32 s88, s88, 0
	v_add_co_u32_e32 v20, vcc, s89, v20
	s_and_b64 s[0:1], exec, s[0:1]
	v_addc_co_u32_e32 v21, vcc, v21, v37, vcc
	s_or_b64 s[18:19], s[0:1], s[18:19]
	global_store_dwordx4 v[28:29], v[2:5], off
	global_store_dwordx4 v[28:29], v[6:9], off offset:16
	global_store_dwordx4 v[28:29], v[14:17], off offset:32
	;; [unrolled: 1-line block ×3, first 2 shown]
	s_andn2_b64 exec, exec, s[18:19]
	s_cbranch_execnz .LBB68_3
.LBB68_4:
	s_or_b64 exec, exec, s[16:17]
	s_mov_b64 s[2:3], 0
.LBB68_5:
	s_andn2_b64 vcc, exec, s[2:3]
	s_cbranch_vccnz .LBB68_25
; %bb.6:
	v_cmp_lt_i64_e64 s[0:1], s[10:11], 1
	s_and_b64 vcc, exec, s[0:1]
	s_cbranch_vccnz .LBB68_25
; %bb.7:
	s_load_dword s0, s[4:5], 0xc5c
	v_mov_b32_e32 v2, 0x10000
	v_mov_b32_e32 v18, 0
	;; [unrolled: 1-line block ×3, first 2 shown]
	v_cmp_lt_u64_e32 vcc, s[10:11], v[2:3]
	s_waitcnt lgkmcnt(0)
	s_and_b32 s54, s0, 0xffff
	v_lshl_or_b32 v2, v0, 4, 8
	v_mov_b32_e32 v3, v18
	v_mad_u64_u32 v[4:5], s[0:1], s54, 48, v[2:3]
	s_and_b64 s[0:1], vcc, exec
	v_mov_b32_e32 v6, s13
	v_add_co_u32_e32 v20, vcc, s12, v4
	v_addc_co_u32_e32 v21, vcc, v6, v5, vcc
	v_mov_b32_e32 v7, s15
	v_add_co_u32_e32 v22, vcc, s14, v4
	s_cselect_b32 s17, s11, 0
	s_cselect_b32 s16, s10, 0x10000
	v_addc_co_u32_e32 v23, vcc, v7, v5, vcc
	s_lshl_b32 s0, s54, 5
	v_add_co_u32_e32 v3, vcc, s0, v2
	v_addc_co_u32_e64 v4, s[0:1], 0, 0, vcc
	v_add_co_u32_e32 v62, vcc, s14, v2
	v_add_lshl_u32 v8, v0, s54, 4
	v_addc_co_u32_e32 v63, vcc, 0, v7, vcc
	v_add_co_u32_e32 v64, vcc, s14, v8
	v_addc_co_u32_e32 v65, vcc, 0, v7, vcc
	v_add_co_u32_e32 v66, vcc, s14, v3
	;; [unrolled: 2-line block ×4, first 2 shown]
	s_mov_b32 s33, 0
	v_addc_co_u32_e32 v71, vcc, 0, v6, vcc
	s_lshl_b32 s18, s54, 2
	s_mov_b32 s19, s33
	s_mov_b32 s20, 0x54442d18
	s_mov_b32 s22, 0xb5e68a13
	s_mov_b32 s24, 0x55555555
	s_mov_b32 s26, 0xfefa39ef
	s_mov_b32 s28, 0x3b39803f
	s_mov_b32 s30, 0x6b47b09a
	s_mov_b32 s34, 0xbf559e2b
	s_mov_b32 s36, 0xd7f4df2e
	s_mov_b32 s38, 0x16291751
	s_mov_b32 s40, 0x9b27acf1
	s_mov_b32 s42, 0x998ef7b6
	s_mov_b32 s46, 0
	v_add_co_u32_e32 v72, vcc, s12, v8
	v_mov_b32_e32 v1, v18
	s_lshl_b32 s55, s54, 1
	s_mov_b32 s56, s33
	s_mul_i32 s57, s54, 3
	s_mov_b32 s58, s33
	s_lshl_b32 s59, s54, 6
	s_mov_b32 s60, s33
	s_movk_i32 s61, 0x204
	s_mov_b32 s21, 0x3ff921fb
	s_brev_b32 s62, -2
	s_mov_b32 s13, 0x400921fb
	s_mov_b32 s23, 0x3eeba404
	;; [unrolled: 1-line block ×12, first 2 shown]
	s_brev_b32 s47, 1
	v_mov_b32_e32 v24, 0xbd3237f4
	v_mov_b32_e32 v25, 0xbf23e260
	;; [unrolled: 1-line block ×38, first 2 shown]
	s_mov_b64 s[48:49], s[18:19]
	v_addc_co_u32_e32 v73, vcc, 0, v6, vcc
	v_mov_b32_e32 v76, 0x54442d18
	v_mov_b32_e32 v77, 0x7f3321d2
	;; [unrolled: 1-line block ×7, first 2 shown]
	s_branch .LBB68_9
.LBB68_8:                               ;   in Loop: Header=BB68_9 Depth=1
	s_or_b64 exec, exec, s[2:3]
	s_waitcnt vmcnt(0)
	v_pk_mov_b32 v[2:3], s[10:11], s[10:11] op_sel:[0,1]
	v_cmp_ge_i64_e32 vcc, s[48:49], v[2:3]
	v_mov_b32_e32 v2, 0xffff
	v_mov_b32_e32 v3, 0
	v_cmp_gt_u64_e64 s[0:1], s[48:49], v[2:3]
	s_or_b64 s[0:1], vcc, s[0:1]
	v_mov_b32_e32 v2, s19
	v_add_co_u32_e32 v0, vcc, s18, v0
	v_addc_co_u32_e32 v1, vcc, v1, v2, vcc
	v_mov_b32_e32 v2, s60
	v_add_co_u32_e32 v70, vcc, s59, v70
	v_addc_co_u32_e32 v71, vcc, v71, v2, vcc
	v_add_co_u32_e32 v62, vcc, s59, v62
	v_addc_co_u32_e32 v63, vcc, v63, v2, vcc
	;; [unrolled: 2-line block ×7, first 2 shown]
	v_add_co_u32_e32 v66, vcc, s59, v66
	s_add_u32 s48, s48, s18
	v_addc_co_u32_e32 v67, vcc, v67, v2, vcc
	s_addc_u32 s49, s49, 0
	s_and_b64 vcc, exec, s[0:1]
	s_cbranch_vccnz .LBB68_25
.LBB68_9:                               ; =>This Inner Loop Header: Depth=1
	v_pk_mov_b32 v[12:13], 0, 0
	v_cmp_gt_u64_e32 vcc, s[16:17], v[0:1]
	v_pk_mov_b32 v[16:17], v[12:13], v[12:13] op_sel:[0,1]
	v_pk_mov_b32 v[14:15], v[12:13], v[12:13] op_sel:[0,1]
	s_and_saveexec_b64 s[2:3], vcc
	s_cbranch_execz .LBB68_11
; %bb.10:                               ;   in Loop: Header=BB68_9 Depth=1
	v_mov_b32_e32 v3, s9
	v_add_co_u32_e64 v2, s[0:1], s8, v70
	v_addc_co_u32_e64 v3, s[0:1], v71, v3, s[0:1]
	global_load_dwordx4 v[14:17], v[2:3], off offset:-8
.LBB68_11:                              ;   in Loop: Header=BB68_9 Depth=1
	s_or_b64 exec, exec, s[2:3]
	v_mov_b32_e32 v3, s33
	v_add_co_u32_e64 v2, s[0:1], s54, v0
	v_addc_co_u32_e64 v3, s[0:1], v3, v1, s[0:1]
	v_cmp_gt_u64_e64 s[4:5], s[16:17], v[2:3]
	v_pk_mov_b32 v[10:11], v[12:13], v[12:13] op_sel:[0,1]
	s_and_saveexec_b64 s[2:3], s[4:5]
	s_cbranch_execz .LBB68_13
; %bb.12:                               ;   in Loop: Header=BB68_9 Depth=1
	v_mov_b32_e32 v3, s9
	v_add_co_u32_e64 v2, s[0:1], s8, v72
	v_addc_co_u32_e64 v3, s[0:1], v73, v3, s[0:1]
	global_load_dwordx4 v[10:13], v[2:3], off
.LBB68_13:                              ;   in Loop: Header=BB68_9 Depth=1
	s_or_b64 exec, exec, s[2:3]
	v_mov_b32_e32 v3, s56
	v_add_co_u32_e64 v2, s[0:1], s55, v0
	v_addc_co_u32_e64 v3, s[0:1], v3, v1, s[0:1]
	v_pk_mov_b32 v[4:5], 0, 0
	v_cmp_gt_u64_e64 s[2:3], s[16:17], v[2:3]
	v_pk_mov_b32 v[8:9], v[4:5], v[4:5] op_sel:[0,1]
	v_pk_mov_b32 v[6:7], v[4:5], v[4:5] op_sel:[0,1]
	s_and_saveexec_b64 s[6:7], s[2:3]
	s_cbranch_execz .LBB68_15
; %bb.14:                               ;   in Loop: Header=BB68_9 Depth=1
	v_mov_b32_e32 v3, s9
	v_add_co_u32_e64 v2, s[0:1], s8, v68
	v_addc_co_u32_e64 v3, s[0:1], v69, v3, s[0:1]
	global_load_dwordx4 v[6:9], v[2:3], off offset:-8
.LBB68_15:                              ;   in Loop: Header=BB68_9 Depth=1
	s_or_b64 exec, exec, s[6:7]
	v_mov_b32_e32 v3, s58
	v_add_co_u32_e64 v2, s[0:1], s57, v0
	v_addc_co_u32_e64 v3, s[0:1], v3, v1, s[0:1]
	v_cmp_gt_u64_e64 s[0:1], s[16:17], v[2:3]
	v_pk_mov_b32 v[2:3], v[4:5], v[4:5] op_sel:[0,1]
	s_and_saveexec_b64 s[14:15], s[0:1]
	s_cbranch_execnz .LBB68_20
; %bb.16:                               ;   in Loop: Header=BB68_9 Depth=1
	s_or_b64 exec, exec, s[14:15]
	s_and_saveexec_b64 s[14:15], vcc
	s_cbranch_execnz .LBB68_21
.LBB68_17:                              ;   in Loop: Header=BB68_9 Depth=1
	s_or_b64 exec, exec, s[14:15]
	s_and_saveexec_b64 s[6:7], s[4:5]
	s_cbranch_execnz .LBB68_22
.LBB68_18:                              ;   in Loop: Header=BB68_9 Depth=1
	s_or_b64 exec, exec, s[6:7]
	s_and_saveexec_b64 s[4:5], s[2:3]
	s_cbranch_execnz .LBB68_23
.LBB68_19:                              ;   in Loop: Header=BB68_9 Depth=1
	s_or_b64 exec, exec, s[4:5]
	s_and_saveexec_b64 s[2:3], s[0:1]
	s_cbranch_execz .LBB68_8
	s_branch .LBB68_24
.LBB68_20:                              ;   in Loop: Header=BB68_9 Depth=1
	v_mov_b32_e32 v3, s9
	v_add_co_u32_e64 v2, s[6:7], s8, v20
	v_addc_co_u32_e64 v3, s[6:7], v21, v3, s[6:7]
	global_load_dwordx4 v[2:5], v[2:3], off offset:-8
	s_or_b64 exec, exec, s[14:15]
	s_and_saveexec_b64 s[14:15], vcc
	s_cbranch_execz .LBB68_17
.LBB68_21:                              ;   in Loop: Header=BB68_9 Depth=1
	s_waitcnt vmcnt(0)
	v_fma_f64 v[74:75], v[14:15], 0, -v[16:17]
	v_fma_f64 v[84:85], -v[74:75], v[74:75], 1.0
	v_fmac_f64_e32 v[14:15], 0, v[16:17]
	v_mul_f64 v[16:17], v[14:15], v[14:15]
	v_fma_f64 v[84:85], -v[14:15], v[14:15], v[84:85]
	v_add_f64 v[14:15], v[14:15], v[14:15]
	v_min_f64 v[86:87], |v[84:85]|, |v[14:15]|
	v_max_f64 v[88:89], |v[84:85]|, |v[14:15]|
	v_div_scale_f64 v[90:91], s[64:65], v[88:89], v[88:89], v[86:87]
	v_rcp_f64_e32 v[92:93], v[90:91]
	v_ashrrev_i32_e32 v94, 31, v85
	v_and_b32_e32 v98, 0x400921fb, v94
	v_and_b32_e32 v99, 0x54442d18, v94
	v_fma_f64 v[94:95], -v[90:91], v[92:93], 1.0
	v_fmac_f64_e32 v[92:93], v[92:93], v[94:95]
	v_fma_f64 v[94:95], -v[90:91], v[92:93], 1.0
	v_fmac_f64_e32 v[92:93], v[92:93], v[94:95]
	v_div_scale_f64 v[94:95], vcc, v[86:87], v[88:89], v[86:87]
	v_mul_f64 v[96:97], v[94:95], v[92:93]
	v_fma_f64 v[90:91], -v[90:91], v[96:97], v[94:95]
	s_mov_b32 s12, s20
	s_nop 0
	v_div_fmas_f64 v[90:91], v[90:91], v[92:93], v[96:97]
	v_div_fixup_f64 v[86:87], v[90:91], v[88:89], v[86:87]
	v_mul_f64 v[88:89], v[86:87], v[86:87]
	v_pk_mov_b32 v[90:91], v[24:25], v[24:25] op_sel:[0,1]
	v_fmac_f64_e32 v[90:91], s[22:23], v[88:89]
	v_pk_mov_b32 v[92:93], v[26:27], v[26:27] op_sel:[0,1]
	v_fmac_f64_e32 v[92:93], v[88:89], v[90:91]
	;; [unrolled: 2-line block ×19, first 2 shown]
	v_mul_f64 v[88:89], v[88:89], v[90:91]
	v_fmac_f64_e32 v[86:87], v[86:87], v[88:89]
	v_add_f64 v[88:89], -v[86:87], s[20:21]
	v_cmp_lt_f64_e64 vcc, |v[84:85]|, |v[14:15]|
	v_cndmask_b32_e32 v87, v87, v89, vcc
	v_cndmask_b32_e32 v86, v86, v88, vcc
	v_cmp_gt_i32_e64 s[6:7], 0, v85
	v_add_f64 v[88:89], -v[86:87], s[12:13]
	v_cmp_class_f64_e64 s[50:51], v[14:15], s61
	v_cmp_class_f64_e64 s[52:53], v[84:85], s61
	v_cndmask_b32_e64 v83, v78, v79, s[6:7]
	v_cndmask_b32_e64 v87, v87, v89, s[6:7]
	;; [unrolled: 1-line block ×3, first 2 shown]
	v_cmp_eq_f64_e32 vcc, 0, v[14:15]
	v_cndmask_b32_e64 v19, v76, v77, s[6:7]
	v_bfi_b32 v83, s62, v83, v15
	v_cndmask_b32_e32 v86, v86, v99, vcc
	v_cndmask_b32_e32 v87, v87, v98, vcc
	s_and_b64 vcc, s[50:51], s[52:53]
	v_cndmask_b32_e32 v83, v87, v83, vcc
	v_cndmask_b32_e32 v19, v86, v19, vcc
	v_cmp_o_f64_e32 vcc, v[84:85], v[14:15]
	v_add_f64 v[84:85], v[74:75], 1.0
	v_fma_f64 v[84:85], v[84:85], v[84:85], v[16:17]
	v_cndmask_b32_e32 v14, 0, v19, vcc
	v_cndmask_b32_e32 v19, v80, v83, vcc
	v_frexp_mant_f64_e32 v[86:87], v[84:85]
	v_bfi_b32 v15, s62, v19, v15
	v_frexp_exp_i32_f64_e32 v19, v[84:85]
	v_cmp_gt_f64_e32 vcc, s[24:25], v[86:87]
	v_subbrev_co_u32_e64 v19, s[6:7], 0, v19, vcc
	v_cvt_f64_i32_e32 v[88:89], v19
	v_cndmask_b32_e64 v19, v81, 2.0, vcc
	v_mul_f64 v[86:87], v[86:87], v[18:19]
	v_add_f64 v[94:95], v[86:87], 1.0
	v_rcp_f64_e32 v[96:97], v[94:95]
	v_add_f64 v[98:99], v[86:87], -1.0
	v_add_f64 v[104:105], v[94:95], -1.0
	v_add_f64 v[86:87], v[86:87], -v[104:105]
	v_fma_f64 v[100:101], -v[94:95], v[96:97], 1.0
	v_fmac_f64_e32 v[96:97], v[100:101], v[96:97]
	v_fma_f64 v[100:101], -v[94:95], v[96:97], 1.0
	v_fmac_f64_e32 v[96:97], v[100:101], v[96:97]
	v_mul_f64 v[100:101], v[98:99], v[96:97]
	v_mul_f64 v[102:103], v[94:95], v[100:101]
	v_fma_f64 v[94:95], v[100:101], v[94:95], -v[102:103]
	v_fmac_f64_e32 v[94:95], v[100:101], v[86:87]
	v_add_f64 v[86:87], v[102:103], v[94:95]
	v_add_f64 v[104:105], v[98:99], -v[86:87]
	v_add_f64 v[102:103], v[86:87], -v[102:103]
	;; [unrolled: 1-line block ×5, first 2 shown]
	v_add_f64 v[86:87], v[94:95], v[86:87]
	v_add_f64 v[86:87], v[104:105], v[86:87]
	v_mul_f64 v[86:87], v[96:97], v[86:87]
	v_add_f64 v[94:95], v[100:101], v[86:87]
	v_mul_f64 v[98:99], v[94:95], v[94:95]
	v_pk_mov_b32 v[104:105], s[30:31], s[30:31] op_sel:[0,1]
	v_fma_f64 v[106:107], s[34:35], v[98:99], v[104:105]
	v_fma_f64 v[106:107], v[98:99], v[106:107], s[36:37]
	;; [unrolled: 1-line block ×5, first 2 shown]
	s_mov_b32 s45, s25
	v_mul_f64 v[102:103], v[94:95], v[98:99]
	v_fma_f64 v[98:99], v[98:99], v[106:107], s[44:45]
	v_ldexp_f64 v[96:97], v[94:95], 1
	v_mul_f64 v[98:99], v[102:103], v[98:99]
	v_add_f64 v[102:103], v[96:97], v[98:99]
	v_add_f64 v[94:95], v[94:95], -v[100:101]
	v_mul_f64 v[90:91], v[88:89], s[26:27]
	v_add_f64 v[86:87], v[86:87], -v[94:95]
	v_add_f64 v[94:95], v[102:103], -v[96:97]
	v_fma_f64 v[92:93], v[88:89], s[26:27], -v[90:91]
	v_ldexp_f64 v[86:87], v[86:87], 1
	v_add_f64 v[94:95], v[98:99], -v[94:95]
	v_fmac_f64_e32 v[92:93], s[28:29], v[88:89]
	v_add_f64 v[86:87], v[86:87], v[94:95]
	v_add_f64 v[88:89], v[90:91], v[92:93]
	;; [unrolled: 1-line block ×4, first 2 shown]
	v_add_f64 v[90:91], v[88:89], -v[90:91]
	v_add_f64 v[90:91], v[92:93], -v[90:91]
	v_add_f64 v[92:93], v[94:95], -v[102:103]
	v_add_f64 v[98:99], v[96:97], -v[88:89]
	v_add_f64 v[86:87], v[86:87], -v[92:93]
	v_add_f64 v[94:95], v[94:95], -v[98:99]
	v_add_f64 v[98:99], v[96:97], -v[98:99]
	v_add_f64 v[92:93], v[90:91], v[86:87]
	v_add_f64 v[88:89], v[88:89], -v[98:99]
	v_add_f64 v[88:89], v[94:95], v[88:89]
	v_add_f64 v[98:99], v[92:93], -v[90:91]
	;; [unrolled: 2-line block ×4, first 2 shown]
	v_add_f64 v[90:91], v[90:91], -v[92:93]
	v_add_f64 v[86:87], v[86:87], v[90:91]
	v_add_f64 v[90:91], v[94:95], -v[96:97]
	v_add_f64 v[88:89], v[88:89], -v[90:91]
	v_add_f64 v[86:87], v[86:87], v[88:89]
	v_add_f64 v[74:75], -v[74:75], 1.0
	v_add_f64 v[86:87], v[94:95], v[86:87]
	v_cmp_class_f64_e64 vcc, v[84:85], s61
	v_fmac_f64_e32 v[16:17], v[74:75], v[74:75]
	v_cndmask_b32_e32 v19, v86, v84, vcc
	v_cndmask_b32_e32 v83, v87, v85, vcc
	v_cmp_neq_f64_e32 vcc, 0, v[84:85]
	v_frexp_mant_f64_e32 v[74:75], v[16:17]
	v_cndmask_b32_e32 v85, v82, v83, vcc
	v_cndmask_b32_e32 v84, 0, v19, vcc
	v_frexp_exp_i32_f64_e32 v19, v[16:17]
	v_cmp_gt_f64_e32 vcc, s[24:25], v[74:75]
	v_subbrev_co_u32_e64 v19, s[6:7], 0, v19, vcc
	v_cvt_f64_i32_e32 v[86:87], v19
	v_cndmask_b32_e64 v19, v81, 2.0, vcc
	v_mul_f64 v[74:75], v[74:75], v[18:19]
	v_add_f64 v[92:93], v[74:75], 1.0
	v_rcp_f64_e32 v[94:95], v[92:93]
	v_add_f64 v[96:97], v[74:75], -1.0
	v_add_f64 v[102:103], v[92:93], -1.0
	v_add_f64 v[74:75], v[74:75], -v[102:103]
	v_fma_f64 v[98:99], -v[92:93], v[94:95], 1.0
	v_fmac_f64_e32 v[94:95], v[98:99], v[94:95]
	v_fma_f64 v[98:99], -v[92:93], v[94:95], 1.0
	v_fmac_f64_e32 v[94:95], v[98:99], v[94:95]
	v_mul_f64 v[98:99], v[96:97], v[94:95]
	v_mul_f64 v[100:101], v[92:93], v[98:99]
	v_fma_f64 v[92:93], v[98:99], v[92:93], -v[100:101]
	v_fmac_f64_e32 v[92:93], v[98:99], v[74:75]
	v_add_f64 v[74:75], v[100:101], v[92:93]
	v_add_f64 v[102:103], v[96:97], -v[74:75]
	v_add_f64 v[100:101], v[74:75], -v[100:101]
	;; [unrolled: 1-line block ×5, first 2 shown]
	v_add_f64 v[74:75], v[92:93], v[74:75]
	v_add_f64 v[74:75], v[102:103], v[74:75]
	v_mul_f64 v[74:75], v[94:95], v[74:75]
	v_add_f64 v[92:93], v[98:99], v[74:75]
	v_mul_f64 v[96:97], v[92:93], v[92:93]
	v_fmac_f64_e32 v[104:105], s[34:35], v[96:97]
	v_fma_f64 v[102:103], v[96:97], v[104:105], s[36:37]
	v_fma_f64 v[102:103], v[96:97], v[102:103], s[38:39]
	;; [unrolled: 1-line block ×4, first 2 shown]
	v_mul_f64 v[100:101], v[92:93], v[96:97]
	v_fma_f64 v[96:97], v[96:97], v[102:103], s[44:45]
	v_ldexp_f64 v[94:95], v[92:93], 1
	v_mul_f64 v[96:97], v[100:101], v[96:97]
	v_add_f64 v[100:101], v[94:95], v[96:97]
	v_add_f64 v[92:93], v[92:93], -v[98:99]
	v_mul_f64 v[88:89], v[86:87], s[26:27]
	v_add_f64 v[74:75], v[74:75], -v[92:93]
	v_add_f64 v[92:93], v[100:101], -v[94:95]
	v_fma_f64 v[90:91], v[86:87], s[26:27], -v[88:89]
	v_ldexp_f64 v[74:75], v[74:75], 1
	v_add_f64 v[92:93], v[96:97], -v[92:93]
	v_fmac_f64_e32 v[90:91], s[28:29], v[86:87]
	v_add_f64 v[74:75], v[74:75], v[92:93]
	v_add_f64 v[86:87], v[88:89], v[90:91]
	;; [unrolled: 1-line block ×4, first 2 shown]
	v_add_f64 v[88:89], v[86:87], -v[88:89]
	v_add_f64 v[88:89], v[90:91], -v[88:89]
	;; [unrolled: 1-line block ×7, first 2 shown]
	v_add_f64 v[90:91], v[88:89], v[74:75]
	v_add_f64 v[86:87], v[86:87], -v[96:97]
	v_add_f64 v[86:87], v[92:93], v[86:87]
	v_add_f64 v[96:97], v[90:91], -v[88:89]
	;; [unrolled: 2-line block ×4, first 2 shown]
	v_add_f64 v[88:89], v[88:89], -v[90:91]
	v_add_f64 v[74:75], v[74:75], v[88:89]
	v_add_f64 v[88:89], v[92:93], -v[94:95]
	v_add_f64 v[86:87], v[86:87], -v[88:89]
	v_add_f64 v[74:75], v[74:75], v[86:87]
	v_add_f64 v[74:75], v[92:93], v[74:75]
	v_cmp_class_f64_e64 vcc, v[16:17], s61
	v_cndmask_b32_e32 v19, v74, v16, vcc
	v_cndmask_b32_e32 v74, v75, v17, vcc
	v_cmp_neq_f64_e32 vcc, 0, v[16:17]
	v_cndmask_b32_e32 v17, v82, v74, vcc
	v_cndmask_b32_e32 v16, 0, v19, vcc
	v_add_f64 v[16:17], v[84:85], -v[16:17]
	v_mul_f64 v[14:15], v[14:15], 0.5
	v_ldexp_f64 v[74:75], v[16:17], -2
	v_fma_f64 v[16:17], v[14:15], s[46:47], -v[74:75]
	v_fmac_f64_e32 v[14:15], 0x80000000, v[74:75]
	v_mov_b32_e32 v19, s9
	v_add_co_u32_e32 v74, vcc, s8, v62
	v_addc_co_u32_e32 v75, vcc, v63, v19, vcc
	global_store_dwordx4 v[74:75], v[14:17], off offset:-8
	s_or_b64 exec, exec, s[14:15]
	s_and_saveexec_b64 s[6:7], s[4:5]
	s_cbranch_execz .LBB68_18
.LBB68_22:                              ;   in Loop: Header=BB68_9 Depth=1
	s_waitcnt vmcnt(0)
	v_fma_f64 v[14:15], v[10:11], 0, -v[12:13]
	v_fmac_f64_e32 v[10:11], 0, v[12:13]
	v_mul_f64 v[12:13], v[10:11], v[10:11]
	v_add_f64 v[16:17], v[14:15], 1.0
	v_fma_f64 v[16:17], v[16:17], v[16:17], v[12:13]
	v_add_f64 v[74:75], -v[14:15], 1.0
	v_fmac_f64_e32 v[12:13], v[74:75], v[74:75]
	v_frexp_mant_f64_e32 v[74:75], v[16:17]
	v_cmp_gt_f64_e32 vcc, s[24:25], v[74:75]
	v_cndmask_b32_e64 v19, v81, 2.0, vcc
	v_mul_f64 v[74:75], v[74:75], v[18:19]
	v_add_f64 v[84:85], v[74:75], 1.0
	v_rcp_f64_e32 v[86:87], v[84:85]
	v_add_f64 v[90:91], v[84:85], -1.0
	v_add_f64 v[88:89], v[74:75], -1.0
	v_add_f64 v[74:75], v[74:75], -v[90:91]
	v_fma_f64 v[90:91], -v[84:85], v[86:87], 1.0
	v_fmac_f64_e32 v[86:87], v[90:91], v[86:87]
	v_fma_f64 v[90:91], -v[84:85], v[86:87], 1.0
	v_fmac_f64_e32 v[86:87], v[90:91], v[86:87]
	v_mul_f64 v[90:91], v[88:89], v[86:87]
	v_mul_f64 v[92:93], v[84:85], v[90:91]
	v_fma_f64 v[84:85], v[90:91], v[84:85], -v[92:93]
	v_fmac_f64_e32 v[84:85], v[90:91], v[74:75]
	v_add_f64 v[74:75], v[92:93], v[84:85]
	v_add_f64 v[94:95], v[88:89], -v[74:75]
	v_add_f64 v[92:93], v[74:75], -v[92:93]
	v_add_f64 v[88:89], v[88:89], -v[94:95]
	v_add_f64 v[74:75], v[88:89], -v[74:75]
	v_add_f64 v[84:85], v[92:93], -v[84:85]
	v_add_f64 v[74:75], v[84:85], v[74:75]
	v_add_f64 v[74:75], v[94:95], v[74:75]
	v_mul_f64 v[74:75], v[86:87], v[74:75]
	v_add_f64 v[84:85], v[90:91], v[74:75]
	v_add_f64 v[86:87], v[84:85], -v[90:91]
	v_add_f64 v[74:75], v[74:75], -v[86:87]
	v_mul_f64 v[86:87], v[84:85], v[84:85]
	v_pk_mov_b32 v[88:89], s[30:31], s[30:31] op_sel:[0,1]
	v_fma_f64 v[90:91], s[34:35], v[86:87], v[88:89]
	v_fma_f64 v[90:91], v[86:87], v[90:91], s[36:37]
	;; [unrolled: 1-line block ×5, first 2 shown]
	s_mov_b32 s45, s25
	v_fma_f64 v[90:91], v[86:87], v[90:91], s[44:45]
	v_ldexp_f64 v[92:93], v[84:85], 1
	v_mul_f64 v[84:85], v[84:85], v[86:87]
	v_mul_f64 v[84:85], v[84:85], v[90:91]
	v_add_f64 v[86:87], v[92:93], v[84:85]
	v_add_f64 v[90:91], v[86:87], -v[92:93]
	v_ldexp_f64 v[74:75], v[74:75], 1
	v_add_f64 v[84:85], v[84:85], -v[90:91]
	v_add_f64 v[74:75], v[74:75], v[84:85]
	v_frexp_exp_i32_f64_e32 v83, v[16:17]
	v_add_f64 v[84:85], v[86:87], v[74:75]
	v_subbrev_co_u32_e32 v19, vcc, 0, v83, vcc
	v_add_f64 v[86:87], v[84:85], -v[86:87]
	v_add_f64 v[74:75], v[74:75], -v[86:87]
	v_cvt_f64_i32_e32 v[86:87], v19
	v_mul_f64 v[90:91], v[86:87], s[26:27]
	v_fma_f64 v[92:93], v[86:87], s[26:27], -v[90:91]
	v_fmac_f64_e32 v[92:93], s[28:29], v[86:87]
	v_add_f64 v[86:87], v[90:91], v[92:93]
	v_add_f64 v[90:91], v[86:87], -v[90:91]
	v_add_f64 v[90:91], v[92:93], -v[90:91]
	v_add_f64 v[92:93], v[86:87], v[84:85]
	v_add_f64 v[94:95], v[92:93], -v[86:87]
	v_add_f64 v[96:97], v[92:93], -v[94:95]
	;; [unrolled: 1-line block ×4, first 2 shown]
	v_add_f64 v[84:85], v[84:85], v[86:87]
	v_add_f64 v[86:87], v[90:91], v[74:75]
	v_add_f64 v[94:95], v[86:87], -v[90:91]
	v_add_f64 v[96:97], v[86:87], -v[94:95]
	v_add_f64 v[84:85], v[86:87], v[84:85]
	v_add_f64 v[90:91], v[90:91], -v[96:97]
	v_add_f64 v[74:75], v[74:75], -v[94:95]
	v_add_f64 v[86:87], v[92:93], v[84:85]
	v_add_f64 v[74:75], v[74:75], v[90:91]
	v_add_f64 v[90:91], v[86:87], -v[92:93]
	v_add_f64 v[84:85], v[84:85], -v[90:91]
	v_add_f64 v[74:75], v[74:75], v[84:85]
	v_add_f64 v[74:75], v[86:87], v[74:75]
	v_cmp_class_f64_e64 vcc, v[16:17], s61
	v_cndmask_b32_e32 v19, v74, v16, vcc
	v_cndmask_b32_e32 v74, v75, v17, vcc
	v_cmp_neq_f64_e32 vcc, 0, v[16:17]
	v_cndmask_b32_e32 v17, v82, v74, vcc
	v_frexp_mant_f64_e32 v[74:75], v[12:13]
	v_cndmask_b32_e32 v16, 0, v19, vcc
	v_cmp_gt_f64_e32 vcc, s[24:25], v[74:75]
	v_cndmask_b32_e64 v19, v81, 2.0, vcc
	v_mul_f64 v[74:75], v[74:75], v[18:19]
	v_add_f64 v[84:85], v[74:75], 1.0
	v_rcp_f64_e32 v[86:87], v[84:85]
	v_add_f64 v[92:93], v[84:85], -1.0
	v_add_f64 v[90:91], v[74:75], -1.0
	v_add_f64 v[74:75], v[74:75], -v[92:93]
	v_fma_f64 v[92:93], -v[84:85], v[86:87], 1.0
	v_fmac_f64_e32 v[86:87], v[92:93], v[86:87]
	v_fma_f64 v[92:93], -v[84:85], v[86:87], 1.0
	v_fmac_f64_e32 v[86:87], v[92:93], v[86:87]
	v_mul_f64 v[92:93], v[90:91], v[86:87]
	v_mul_f64 v[94:95], v[84:85], v[92:93]
	v_fma_f64 v[84:85], v[92:93], v[84:85], -v[94:95]
	v_fmac_f64_e32 v[84:85], v[92:93], v[74:75]
	v_add_f64 v[74:75], v[94:95], v[84:85]
	v_add_f64 v[96:97], v[90:91], -v[74:75]
	v_add_f64 v[94:95], v[74:75], -v[94:95]
	v_add_f64 v[90:91], v[90:91], -v[96:97]
	v_add_f64 v[74:75], v[90:91], -v[74:75]
	v_add_f64 v[84:85], v[94:95], -v[84:85]
	v_add_f64 v[74:75], v[84:85], v[74:75]
	v_add_f64 v[74:75], v[96:97], v[74:75]
	v_mul_f64 v[74:75], v[86:87], v[74:75]
	v_add_f64 v[84:85], v[92:93], v[74:75]
	v_add_f64 v[86:87], v[84:85], -v[92:93]
	v_add_f64 v[74:75], v[74:75], -v[86:87]
	v_mul_f64 v[86:87], v[84:85], v[84:85]
	v_fmac_f64_e32 v[88:89], s[34:35], v[86:87]
	v_fma_f64 v[88:89], v[86:87], v[88:89], s[36:37]
	v_fma_f64 v[88:89], v[86:87], v[88:89], s[38:39]
	;; [unrolled: 1-line block ×5, first 2 shown]
	v_ldexp_f64 v[90:91], v[84:85], 1
	v_mul_f64 v[84:85], v[84:85], v[86:87]
	v_mul_f64 v[84:85], v[84:85], v[88:89]
	v_add_f64 v[86:87], v[90:91], v[84:85]
	v_add_f64 v[88:89], v[86:87], -v[90:91]
	v_ldexp_f64 v[74:75], v[74:75], 1
	v_add_f64 v[84:85], v[84:85], -v[88:89]
	v_add_f64 v[74:75], v[74:75], v[84:85]
	v_frexp_exp_i32_f64_e32 v83, v[12:13]
	v_add_f64 v[84:85], v[86:87], v[74:75]
	v_subbrev_co_u32_e32 v19, vcc, 0, v83, vcc
	v_add_f64 v[86:87], v[84:85], -v[86:87]
	v_add_f64 v[74:75], v[74:75], -v[86:87]
	v_cvt_f64_i32_e32 v[86:87], v19
	v_mul_f64 v[88:89], v[86:87], s[26:27]
	v_fma_f64 v[90:91], v[86:87], s[26:27], -v[88:89]
	v_fmac_f64_e32 v[90:91], s[28:29], v[86:87]
	v_add_f64 v[86:87], v[88:89], v[90:91]
	v_add_f64 v[88:89], v[86:87], -v[88:89]
	v_add_f64 v[88:89], v[90:91], -v[88:89]
	v_add_f64 v[90:91], v[86:87], v[84:85]
	v_add_f64 v[92:93], v[90:91], -v[86:87]
	v_add_f64 v[94:95], v[90:91], -v[92:93]
	;; [unrolled: 1-line block ×4, first 2 shown]
	v_add_f64 v[84:85], v[84:85], v[86:87]
	v_add_f64 v[86:87], v[88:89], v[74:75]
	v_add_f64 v[92:93], v[86:87], -v[88:89]
	v_add_f64 v[94:95], v[86:87], -v[92:93]
	v_add_f64 v[84:85], v[86:87], v[84:85]
	v_add_f64 v[88:89], v[88:89], -v[94:95]
	v_add_f64 v[74:75], v[74:75], -v[92:93]
	v_add_f64 v[86:87], v[90:91], v[84:85]
	v_add_f64 v[74:75], v[74:75], v[88:89]
	v_add_f64 v[88:89], v[86:87], -v[90:91]
	v_add_f64 v[84:85], v[84:85], -v[88:89]
	v_add_f64 v[74:75], v[74:75], v[84:85]
	v_add_f64 v[74:75], v[86:87], v[74:75]
	v_cmp_class_f64_e64 vcc, v[12:13], s61
	v_fma_f64 v[14:15], -v[14:15], v[14:15], 1.0
	v_cndmask_b32_e32 v19, v74, v12, vcc
	v_cndmask_b32_e32 v74, v75, v13, vcc
	v_cmp_neq_f64_e32 vcc, 0, v[12:13]
	v_fma_f64 v[14:15], -v[10:11], v[10:11], v[14:15]
	v_add_f64 v[10:11], v[10:11], v[10:11]
	v_cndmask_b32_e32 v13, v82, v74, vcc
	v_max_f64 v[74:75], |v[14:15]|, |v[10:11]|
	v_min_f64 v[84:85], |v[14:15]|, |v[10:11]|
	v_div_scale_f64 v[86:87], s[4:5], v[74:75], v[74:75], v[84:85]
	v_rcp_f64_e32 v[88:89], v[86:87]
	v_cndmask_b32_e32 v12, 0, v19, vcc
	v_add_f64 v[12:13], v[16:17], -v[12:13]
	v_cmp_lt_f64_e64 s[4:5], |v[14:15]|, |v[10:11]|
	v_fma_f64 v[16:17], -v[86:87], v[88:89], 1.0
	v_fmac_f64_e32 v[88:89], v[88:89], v[16:17]
	v_fma_f64 v[16:17], -v[86:87], v[88:89], 1.0
	v_fmac_f64_e32 v[88:89], v[88:89], v[16:17]
	v_div_scale_f64 v[16:17], vcc, v[84:85], v[74:75], v[84:85]
	v_mul_f64 v[90:91], v[16:17], v[88:89]
	v_fma_f64 v[16:17], -v[86:87], v[90:91], v[16:17]
	v_pk_mov_b32 v[86:87], v[26:27], v[26:27] op_sel:[0,1]
	s_nop 0
	v_div_fmas_f64 v[16:17], v[16:17], v[88:89], v[90:91]
	v_div_fixup_f64 v[16:17], v[16:17], v[74:75], v[84:85]
	v_mul_f64 v[74:75], v[16:17], v[16:17]
	v_pk_mov_b32 v[84:85], v[24:25], v[24:25] op_sel:[0,1]
	v_fmac_f64_e32 v[84:85], s[22:23], v[74:75]
	v_fmac_f64_e32 v[86:87], v[74:75], v[84:85]
	v_pk_mov_b32 v[84:85], v[28:29], v[28:29] op_sel:[0,1]
	v_fmac_f64_e32 v[84:85], v[74:75], v[86:87]
	v_pk_mov_b32 v[86:87], v[30:31], v[30:31] op_sel:[0,1]
	v_fmac_f64_e32 v[86:87], v[74:75], v[84:85]
	v_pk_mov_b32 v[84:85], v[32:33], v[32:33] op_sel:[0,1]
	v_fmac_f64_e32 v[84:85], v[74:75], v[86:87]
	v_pk_mov_b32 v[86:87], v[34:35], v[34:35] op_sel:[0,1]
	v_fmac_f64_e32 v[86:87], v[74:75], v[84:85]
	v_pk_mov_b32 v[84:85], v[36:37], v[36:37] op_sel:[0,1]
	v_fmac_f64_e32 v[84:85], v[74:75], v[86:87]
	v_pk_mov_b32 v[86:87], v[38:39], v[38:39] op_sel:[0,1]
	v_fmac_f64_e32 v[86:87], v[74:75], v[84:85]
	v_pk_mov_b32 v[84:85], v[40:41], v[40:41] op_sel:[0,1]
	v_fmac_f64_e32 v[84:85], v[74:75], v[86:87]
	v_pk_mov_b32 v[86:87], v[42:43], v[42:43] op_sel:[0,1]
	v_fmac_f64_e32 v[86:87], v[74:75], v[84:85]
	v_pk_mov_b32 v[84:85], v[44:45], v[44:45] op_sel:[0,1]
	v_fmac_f64_e32 v[84:85], v[74:75], v[86:87]
	v_pk_mov_b32 v[86:87], v[46:47], v[46:47] op_sel:[0,1]
	v_fmac_f64_e32 v[86:87], v[74:75], v[84:85]
	v_pk_mov_b32 v[84:85], v[48:49], v[48:49] op_sel:[0,1]
	v_fmac_f64_e32 v[84:85], v[74:75], v[86:87]
	v_pk_mov_b32 v[86:87], v[50:51], v[50:51] op_sel:[0,1]
	v_fmac_f64_e32 v[86:87], v[74:75], v[84:85]
	v_pk_mov_b32 v[84:85], v[52:53], v[52:53] op_sel:[0,1]
	v_fmac_f64_e32 v[84:85], v[74:75], v[86:87]
	v_pk_mov_b32 v[86:87], v[54:55], v[54:55] op_sel:[0,1]
	v_fmac_f64_e32 v[86:87], v[74:75], v[84:85]
	v_pk_mov_b32 v[84:85], v[56:57], v[56:57] op_sel:[0,1]
	v_fmac_f64_e32 v[84:85], v[74:75], v[86:87]
	v_pk_mov_b32 v[86:87], v[58:59], v[58:59] op_sel:[0,1]
	v_fmac_f64_e32 v[86:87], v[74:75], v[84:85]
	v_pk_mov_b32 v[84:85], v[60:61], v[60:61] op_sel:[0,1]
	v_fmac_f64_e32 v[84:85], v[74:75], v[86:87]
	v_mul_f64 v[74:75], v[74:75], v[84:85]
	v_cmp_gt_i32_e32 vcc, 0, v15
	v_fmac_f64_e32 v[16:17], v[16:17], v[74:75]
	v_cndmask_b32_e32 v74, v78, v79, vcc
	v_bfi_b32 v83, s62, v74, v11
	v_ashrrev_i32_e32 v74, 31, v15
	v_and_b32_e32 v84, 0x400921fb, v74
	v_and_b32_e32 v85, 0x54442d18, v74
	v_add_f64 v[74:75], -v[16:17], s[20:21]
	v_cndmask_b32_e64 v17, v17, v75, s[4:5]
	v_cndmask_b32_e64 v16, v16, v74, s[4:5]
	s_mov_b32 s12, s20
	v_add_f64 v[74:75], -v[16:17], s[12:13]
	v_cmp_class_f64_e64 s[14:15], v[10:11], s61
	v_cmp_class_f64_e64 s[50:51], v[14:15], s61
	v_cndmask_b32_e32 v19, v76, v77, vcc
	v_cndmask_b32_e32 v17, v17, v75, vcc
	;; [unrolled: 1-line block ×3, first 2 shown]
	v_cmp_eq_f64_e32 vcc, 0, v[10:11]
	v_cndmask_b32_e32 v16, v16, v85, vcc
	v_cndmask_b32_e32 v17, v17, v84, vcc
	s_and_b64 vcc, s[14:15], s[50:51]
	v_cndmask_b32_e32 v17, v17, v83, vcc
	v_cndmask_b32_e32 v16, v16, v19, vcc
	v_cmp_o_f64_e32 vcc, v[14:15], v[10:11]
	v_cndmask_b32_e32 v14, v80, v17, vcc
	v_cndmask_b32_e32 v10, 0, v16, vcc
	v_bfi_b32 v11, s62, v14, v11
	v_mul_f64 v[14:15], v[10:11], 0.5
	v_ldexp_f64 v[12:13], v[12:13], -2
	v_pk_mov_b32 v[10:11], v[14:15], v[14:15] op_sel:[0,1]
	v_fmac_f64_e32 v[10:11], 0x80000000, v[12:13]
	v_fma_f64 v[12:13], v[14:15], s[46:47], -v[12:13]
	v_mov_b32_e32 v15, s9
	v_add_co_u32_e32 v14, vcc, s8, v64
	v_addc_co_u32_e32 v15, vcc, v65, v15, vcc
	global_store_dwordx4 v[14:15], v[10:13], off
	s_or_b64 exec, exec, s[6:7]
	s_and_saveexec_b64 s[4:5], s[2:3]
	s_cbranch_execz .LBB68_19
.LBB68_23:                              ;   in Loop: Header=BB68_9 Depth=1
	s_waitcnt vmcnt(0)
	v_fma_f64 v[10:11], v[6:7], 0, -v[8:9]
	v_fmac_f64_e32 v[6:7], 0, v[8:9]
	v_mul_f64 v[8:9], v[6:7], v[6:7]
	v_add_f64 v[12:13], v[10:11], 1.0
	v_fma_f64 v[12:13], v[12:13], v[12:13], v[8:9]
	v_add_f64 v[14:15], -v[10:11], 1.0
	v_fmac_f64_e32 v[8:9], v[14:15], v[14:15]
	v_frexp_mant_f64_e32 v[14:15], v[12:13]
	v_cmp_gt_f64_e32 vcc, s[24:25], v[14:15]
	v_cndmask_b32_e64 v19, v81, 2.0, vcc
	v_frexp_exp_i32_f64_e32 v16, v[12:13]
	v_mul_f64 v[14:15], v[14:15], v[18:19]
	v_subbrev_co_u32_e32 v19, vcc, 0, v16, vcc
	v_add_f64 v[16:17], v[14:15], 1.0
	v_rcp_f64_e32 v[74:75], v[16:17]
	v_add_f64 v[86:87], v[16:17], -1.0
	v_add_f64 v[84:85], v[14:15], -1.0
	v_add_f64 v[14:15], v[14:15], -v[86:87]
	v_fma_f64 v[86:87], -v[16:17], v[74:75], 1.0
	v_fmac_f64_e32 v[74:75], v[86:87], v[74:75]
	v_fma_f64 v[86:87], -v[16:17], v[74:75], 1.0
	v_fmac_f64_e32 v[74:75], v[86:87], v[74:75]
	v_mul_f64 v[86:87], v[84:85], v[74:75]
	v_mul_f64 v[88:89], v[16:17], v[86:87]
	v_fma_f64 v[16:17], v[86:87], v[16:17], -v[88:89]
	v_fmac_f64_e32 v[16:17], v[86:87], v[14:15]
	v_add_f64 v[14:15], v[88:89], v[16:17]
	v_add_f64 v[90:91], v[84:85], -v[14:15]
	v_add_f64 v[88:89], v[14:15], -v[88:89]
	;; [unrolled: 1-line block ×5, first 2 shown]
	v_add_f64 v[14:15], v[16:17], v[14:15]
	v_add_f64 v[14:15], v[90:91], v[14:15]
	v_mul_f64 v[14:15], v[74:75], v[14:15]
	v_add_f64 v[16:17], v[86:87], v[14:15]
	v_add_f64 v[74:75], v[16:17], -v[86:87]
	v_add_f64 v[14:15], v[14:15], -v[74:75]
	v_mul_f64 v[74:75], v[16:17], v[16:17]
	v_pk_mov_b32 v[84:85], s[30:31], s[30:31] op_sel:[0,1]
	v_fma_f64 v[86:87], s[34:35], v[74:75], v[84:85]
	v_fma_f64 v[86:87], v[74:75], v[86:87], s[36:37]
	;; [unrolled: 1-line block ×5, first 2 shown]
	s_mov_b32 s45, s25
	v_fma_f64 v[86:87], v[74:75], v[86:87], s[44:45]
	v_ldexp_f64 v[88:89], v[16:17], 1
	v_mul_f64 v[16:17], v[16:17], v[74:75]
	v_mul_f64 v[16:17], v[16:17], v[86:87]
	v_add_f64 v[74:75], v[88:89], v[16:17]
	v_add_f64 v[86:87], v[74:75], -v[88:89]
	v_ldexp_f64 v[14:15], v[14:15], 1
	v_add_f64 v[16:17], v[16:17], -v[86:87]
	v_add_f64 v[14:15], v[14:15], v[16:17]
	v_add_f64 v[16:17], v[74:75], v[14:15]
	v_add_f64 v[74:75], v[16:17], -v[74:75]
	v_add_f64 v[14:15], v[14:15], -v[74:75]
	v_cvt_f64_i32_e32 v[74:75], v19
	v_mul_f64 v[86:87], v[74:75], s[26:27]
	v_fma_f64 v[88:89], v[74:75], s[26:27], -v[86:87]
	v_fmac_f64_e32 v[88:89], s[28:29], v[74:75]
	v_add_f64 v[74:75], v[86:87], v[88:89]
	v_add_f64 v[86:87], v[74:75], -v[86:87]
	v_add_f64 v[86:87], v[88:89], -v[86:87]
	v_add_f64 v[88:89], v[74:75], v[16:17]
	v_add_f64 v[90:91], v[88:89], -v[74:75]
	v_add_f64 v[92:93], v[88:89], -v[90:91]
	;; [unrolled: 1-line block ×4, first 2 shown]
	v_add_f64 v[16:17], v[16:17], v[74:75]
	v_add_f64 v[74:75], v[86:87], v[14:15]
	v_add_f64 v[90:91], v[74:75], -v[86:87]
	v_add_f64 v[92:93], v[74:75], -v[90:91]
	v_add_f64 v[16:17], v[74:75], v[16:17]
	v_add_f64 v[86:87], v[86:87], -v[92:93]
	v_add_f64 v[14:15], v[14:15], -v[90:91]
	v_add_f64 v[74:75], v[88:89], v[16:17]
	v_add_f64 v[14:15], v[14:15], v[86:87]
	v_add_f64 v[86:87], v[74:75], -v[88:89]
	v_add_f64 v[16:17], v[16:17], -v[86:87]
	v_add_f64 v[14:15], v[14:15], v[16:17]
	v_add_f64 v[14:15], v[74:75], v[14:15]
	v_cmp_class_f64_e64 vcc, v[12:13], s61
	v_cndmask_b32_e32 v14, v14, v12, vcc
	v_cndmask_b32_e32 v15, v15, v13, vcc
	v_cmp_neq_f64_e32 vcc, 0, v[12:13]
	v_cndmask_b32_e32 v13, v82, v15, vcc
	v_cndmask_b32_e32 v12, 0, v14, vcc
	v_frexp_mant_f64_e32 v[14:15], v[8:9]
	v_cmp_gt_f64_e32 vcc, s[24:25], v[14:15]
	v_cndmask_b32_e64 v19, v81, 2.0, vcc
	v_frexp_exp_i32_f64_e32 v16, v[8:9]
	v_mul_f64 v[14:15], v[14:15], v[18:19]
	v_subbrev_co_u32_e32 v19, vcc, 0, v16, vcc
	v_add_f64 v[16:17], v[14:15], 1.0
	v_rcp_f64_e32 v[74:75], v[16:17]
	v_add_f64 v[88:89], v[16:17], -1.0
	v_add_f64 v[86:87], v[14:15], -1.0
	v_add_f64 v[14:15], v[14:15], -v[88:89]
	v_fma_f64 v[88:89], -v[16:17], v[74:75], 1.0
	v_fmac_f64_e32 v[74:75], v[88:89], v[74:75]
	v_fma_f64 v[88:89], -v[16:17], v[74:75], 1.0
	v_fmac_f64_e32 v[74:75], v[88:89], v[74:75]
	v_mul_f64 v[88:89], v[86:87], v[74:75]
	v_mul_f64 v[90:91], v[16:17], v[88:89]
	v_fma_f64 v[16:17], v[88:89], v[16:17], -v[90:91]
	v_fmac_f64_e32 v[16:17], v[88:89], v[14:15]
	v_add_f64 v[14:15], v[90:91], v[16:17]
	v_add_f64 v[92:93], v[86:87], -v[14:15]
	v_add_f64 v[90:91], v[14:15], -v[90:91]
	;; [unrolled: 1-line block ×5, first 2 shown]
	v_add_f64 v[14:15], v[16:17], v[14:15]
	v_add_f64 v[14:15], v[92:93], v[14:15]
	v_mul_f64 v[14:15], v[74:75], v[14:15]
	v_add_f64 v[16:17], v[88:89], v[14:15]
	v_add_f64 v[74:75], v[16:17], -v[88:89]
	v_add_f64 v[14:15], v[14:15], -v[74:75]
	v_mul_f64 v[74:75], v[16:17], v[16:17]
	v_fmac_f64_e32 v[84:85], s[34:35], v[74:75]
	v_fma_f64 v[84:85], v[74:75], v[84:85], s[36:37]
	v_fma_f64 v[84:85], v[74:75], v[84:85], s[38:39]
	;; [unrolled: 1-line block ×5, first 2 shown]
	v_ldexp_f64 v[86:87], v[16:17], 1
	v_mul_f64 v[16:17], v[16:17], v[74:75]
	v_mul_f64 v[16:17], v[16:17], v[84:85]
	v_add_f64 v[74:75], v[86:87], v[16:17]
	v_add_f64 v[84:85], v[74:75], -v[86:87]
	v_ldexp_f64 v[14:15], v[14:15], 1
	v_add_f64 v[16:17], v[16:17], -v[84:85]
	v_add_f64 v[14:15], v[14:15], v[16:17]
	v_add_f64 v[16:17], v[74:75], v[14:15]
	v_add_f64 v[74:75], v[16:17], -v[74:75]
	v_add_f64 v[14:15], v[14:15], -v[74:75]
	v_cvt_f64_i32_e32 v[74:75], v19
	v_mul_f64 v[84:85], v[74:75], s[26:27]
	v_fma_f64 v[86:87], v[74:75], s[26:27], -v[84:85]
	v_fmac_f64_e32 v[86:87], s[28:29], v[74:75]
	v_add_f64 v[74:75], v[84:85], v[86:87]
	v_add_f64 v[84:85], v[74:75], -v[84:85]
	v_add_f64 v[84:85], v[86:87], -v[84:85]
	v_add_f64 v[86:87], v[74:75], v[16:17]
	v_add_f64 v[88:89], v[86:87], -v[74:75]
	v_add_f64 v[90:91], v[86:87], -v[88:89]
	;; [unrolled: 1-line block ×4, first 2 shown]
	v_add_f64 v[16:17], v[16:17], v[74:75]
	v_add_f64 v[74:75], v[84:85], v[14:15]
	v_add_f64 v[88:89], v[74:75], -v[84:85]
	v_add_f64 v[90:91], v[74:75], -v[88:89]
	v_add_f64 v[16:17], v[74:75], v[16:17]
	v_add_f64 v[84:85], v[84:85], -v[90:91]
	v_add_f64 v[14:15], v[14:15], -v[88:89]
	v_add_f64 v[74:75], v[86:87], v[16:17]
	v_add_f64 v[14:15], v[14:15], v[84:85]
	v_add_f64 v[84:85], v[74:75], -v[86:87]
	v_add_f64 v[16:17], v[16:17], -v[84:85]
	v_add_f64 v[14:15], v[14:15], v[16:17]
	v_add_f64 v[14:15], v[74:75], v[14:15]
	v_cmp_class_f64_e64 vcc, v[8:9], s61
	v_fma_f64 v[10:11], -v[10:11], v[10:11], 1.0
	v_cndmask_b32_e32 v19, v14, v8, vcc
	v_cndmask_b32_e32 v14, v15, v9, vcc
	v_cmp_neq_f64_e32 vcc, 0, v[8:9]
	v_fma_f64 v[10:11], -v[6:7], v[6:7], v[10:11]
	v_add_f64 v[6:7], v[6:7], v[6:7]
	v_cndmask_b32_e32 v9, v82, v14, vcc
	v_max_f64 v[14:15], |v[10:11]|, |v[6:7]|
	v_min_f64 v[16:17], |v[10:11]|, |v[6:7]|
	v_div_scale_f64 v[74:75], s[2:3], v[14:15], v[14:15], v[16:17]
	v_rcp_f64_e32 v[84:85], v[74:75]
	v_cndmask_b32_e32 v8, 0, v19, vcc
	v_add_f64 v[8:9], v[12:13], -v[8:9]
	v_cmp_lt_f64_e64 s[2:3], |v[10:11]|, |v[6:7]|
	v_fma_f64 v[12:13], -v[74:75], v[84:85], 1.0
	v_fmac_f64_e32 v[84:85], v[84:85], v[12:13]
	v_fma_f64 v[12:13], -v[74:75], v[84:85], 1.0
	v_fmac_f64_e32 v[84:85], v[84:85], v[12:13]
	v_div_scale_f64 v[12:13], vcc, v[16:17], v[14:15], v[16:17]
	v_mul_f64 v[86:87], v[12:13], v[84:85]
	v_fma_f64 v[12:13], -v[74:75], v[86:87], v[12:13]
	v_pk_mov_b32 v[74:75], v[26:27], v[26:27] op_sel:[0,1]
	s_nop 0
	v_div_fmas_f64 v[12:13], v[12:13], v[84:85], v[86:87]
	v_div_fixup_f64 v[12:13], v[12:13], v[14:15], v[16:17]
	v_mul_f64 v[14:15], v[12:13], v[12:13]
	v_pk_mov_b32 v[16:17], v[24:25], v[24:25] op_sel:[0,1]
	v_fmac_f64_e32 v[16:17], s[22:23], v[14:15]
	v_fmac_f64_e32 v[74:75], v[14:15], v[16:17]
	v_pk_mov_b32 v[16:17], v[28:29], v[28:29] op_sel:[0,1]
	v_fmac_f64_e32 v[16:17], v[14:15], v[74:75]
	v_pk_mov_b32 v[74:75], v[30:31], v[30:31] op_sel:[0,1]
	;; [unrolled: 2-line block ×17, first 2 shown]
	v_fmac_f64_e32 v[16:17], v[14:15], v[74:75]
	v_mul_f64 v[14:15], v[14:15], v[16:17]
	v_cmp_gt_i32_e32 vcc, 0, v11
	v_fmac_f64_e32 v[12:13], v[12:13], v[14:15]
	v_cndmask_b32_e32 v14, v78, v79, vcc
	v_bfi_b32 v17, s62, v14, v7
	v_ashrrev_i32_e32 v14, 31, v11
	v_and_b32_e32 v19, 0x400921fb, v14
	v_and_b32_e32 v74, 0x54442d18, v14
	v_add_f64 v[14:15], -v[12:13], s[20:21]
	v_cndmask_b32_e64 v13, v13, v15, s[2:3]
	v_cndmask_b32_e64 v12, v12, v14, s[2:3]
	s_mov_b32 s12, s20
	v_add_f64 v[14:15], -v[12:13], s[12:13]
	v_cmp_class_f64_e64 s[6:7], v[6:7], s61
	v_cmp_class_f64_e64 s[14:15], v[10:11], s61
	v_cndmask_b32_e32 v16, v76, v77, vcc
	v_cndmask_b32_e32 v13, v13, v15, vcc
	;; [unrolled: 1-line block ×3, first 2 shown]
	v_cmp_eq_f64_e32 vcc, 0, v[6:7]
	v_cndmask_b32_e32 v12, v12, v74, vcc
	v_cndmask_b32_e32 v13, v13, v19, vcc
	s_and_b64 vcc, s[6:7], s[14:15]
	v_cndmask_b32_e32 v13, v13, v17, vcc
	v_cndmask_b32_e32 v12, v12, v16, vcc
	v_cmp_o_f64_e32 vcc, v[10:11], v[6:7]
	v_cndmask_b32_e32 v10, v80, v13, vcc
	v_cndmask_b32_e32 v6, 0, v12, vcc
	v_bfi_b32 v7, s62, v10, v7
	v_mul_f64 v[10:11], v[6:7], 0.5
	v_ldexp_f64 v[8:9], v[8:9], -2
	v_pk_mov_b32 v[6:7], v[10:11], v[10:11] op_sel:[0,1]
	v_fmac_f64_e32 v[6:7], 0x80000000, v[8:9]
	v_fma_f64 v[8:9], v[10:11], s[46:47], -v[8:9]
	v_mov_b32_e32 v11, s9
	v_add_co_u32_e32 v10, vcc, s8, v66
	v_addc_co_u32_e32 v11, vcc, v67, v11, vcc
	global_store_dwordx4 v[10:11], v[6:9], off offset:-8
	s_or_b64 exec, exec, s[4:5]
	s_and_saveexec_b64 s[2:3], s[0:1]
	s_cbranch_execz .LBB68_8
.LBB68_24:                              ;   in Loop: Header=BB68_9 Depth=1
	s_waitcnt vmcnt(0)
	v_fma_f64 v[6:7], v[2:3], 0, -v[4:5]
	v_fmac_f64_e32 v[2:3], 0, v[4:5]
	v_mul_f64 v[4:5], v[2:3], v[2:3]
	v_add_f64 v[8:9], v[6:7], 1.0
	v_fma_f64 v[8:9], v[8:9], v[8:9], v[4:5]
	v_add_f64 v[10:11], -v[6:7], 1.0
	v_fmac_f64_e32 v[4:5], v[10:11], v[10:11]
	v_frexp_mant_f64_e32 v[10:11], v[8:9]
	v_cmp_gt_f64_e32 vcc, s[24:25], v[10:11]
	v_cndmask_b32_e64 v19, v81, 2.0, vcc
	v_frexp_exp_i32_f64_e32 v12, v[8:9]
	v_mul_f64 v[10:11], v[10:11], v[18:19]
	v_subbrev_co_u32_e32 v19, vcc, 0, v12, vcc
	v_add_f64 v[12:13], v[10:11], 1.0
	v_rcp_f64_e32 v[14:15], v[12:13]
	v_add_f64 v[74:75], v[12:13], -1.0
	v_add_f64 v[16:17], v[10:11], -1.0
	v_add_f64 v[10:11], v[10:11], -v[74:75]
	v_fma_f64 v[74:75], -v[12:13], v[14:15], 1.0
	v_fmac_f64_e32 v[14:15], v[74:75], v[14:15]
	v_fma_f64 v[74:75], -v[12:13], v[14:15], 1.0
	v_fmac_f64_e32 v[14:15], v[74:75], v[14:15]
	v_mul_f64 v[74:75], v[16:17], v[14:15]
	v_mul_f64 v[84:85], v[12:13], v[74:75]
	v_fma_f64 v[12:13], v[74:75], v[12:13], -v[84:85]
	v_fmac_f64_e32 v[12:13], v[74:75], v[10:11]
	v_add_f64 v[10:11], v[84:85], v[12:13]
	v_add_f64 v[86:87], v[16:17], -v[10:11]
	v_add_f64 v[84:85], v[10:11], -v[84:85]
	;; [unrolled: 1-line block ×5, first 2 shown]
	v_add_f64 v[10:11], v[12:13], v[10:11]
	v_add_f64 v[10:11], v[86:87], v[10:11]
	v_mul_f64 v[10:11], v[14:15], v[10:11]
	v_add_f64 v[12:13], v[74:75], v[10:11]
	v_add_f64 v[14:15], v[12:13], -v[74:75]
	v_add_f64 v[10:11], v[10:11], -v[14:15]
	v_mul_f64 v[14:15], v[12:13], v[12:13]
	v_pk_mov_b32 v[16:17], s[30:31], s[30:31] op_sel:[0,1]
	v_fma_f64 v[74:75], s[34:35], v[14:15], v[16:17]
	v_fma_f64 v[74:75], v[14:15], v[74:75], s[36:37]
	;; [unrolled: 1-line block ×5, first 2 shown]
	s_mov_b32 s45, s25
	v_fma_f64 v[74:75], v[14:15], v[74:75], s[44:45]
	v_ldexp_f64 v[84:85], v[12:13], 1
	v_mul_f64 v[12:13], v[12:13], v[14:15]
	v_mul_f64 v[12:13], v[12:13], v[74:75]
	v_add_f64 v[14:15], v[84:85], v[12:13]
	v_add_f64 v[74:75], v[14:15], -v[84:85]
	v_ldexp_f64 v[10:11], v[10:11], 1
	v_add_f64 v[12:13], v[12:13], -v[74:75]
	v_add_f64 v[10:11], v[10:11], v[12:13]
	v_add_f64 v[12:13], v[14:15], v[10:11]
	v_add_f64 v[14:15], v[12:13], -v[14:15]
	v_add_f64 v[10:11], v[10:11], -v[14:15]
	v_cvt_f64_i32_e32 v[14:15], v19
	v_mul_f64 v[74:75], v[14:15], s[26:27]
	v_fma_f64 v[84:85], v[14:15], s[26:27], -v[74:75]
	v_fmac_f64_e32 v[84:85], s[28:29], v[14:15]
	v_add_f64 v[14:15], v[74:75], v[84:85]
	v_add_f64 v[74:75], v[14:15], -v[74:75]
	v_add_f64 v[74:75], v[84:85], -v[74:75]
	v_add_f64 v[84:85], v[14:15], v[12:13]
	v_add_f64 v[86:87], v[84:85], -v[14:15]
	v_add_f64 v[88:89], v[84:85], -v[86:87]
	;; [unrolled: 1-line block ×4, first 2 shown]
	v_add_f64 v[12:13], v[12:13], v[14:15]
	v_add_f64 v[14:15], v[74:75], v[10:11]
	v_add_f64 v[86:87], v[14:15], -v[74:75]
	v_add_f64 v[88:89], v[14:15], -v[86:87]
	v_add_f64 v[12:13], v[14:15], v[12:13]
	v_add_f64 v[74:75], v[74:75], -v[88:89]
	v_add_f64 v[10:11], v[10:11], -v[86:87]
	v_add_f64 v[14:15], v[84:85], v[12:13]
	v_add_f64 v[10:11], v[10:11], v[74:75]
	v_add_f64 v[74:75], v[14:15], -v[84:85]
	v_add_f64 v[12:13], v[12:13], -v[74:75]
	v_add_f64 v[10:11], v[10:11], v[12:13]
	v_add_f64 v[10:11], v[14:15], v[10:11]
	v_cmp_class_f64_e64 vcc, v[8:9], s61
	v_cndmask_b32_e32 v10, v10, v8, vcc
	v_cndmask_b32_e32 v11, v11, v9, vcc
	v_cmp_neq_f64_e32 vcc, 0, v[8:9]
	v_cndmask_b32_e32 v9, v82, v11, vcc
	v_cndmask_b32_e32 v8, 0, v10, vcc
	v_frexp_mant_f64_e32 v[10:11], v[4:5]
	v_cmp_gt_f64_e32 vcc, s[24:25], v[10:11]
	v_cndmask_b32_e64 v19, v81, 2.0, vcc
	v_frexp_exp_i32_f64_e32 v12, v[4:5]
	v_mul_f64 v[10:11], v[10:11], v[18:19]
	v_subbrev_co_u32_e32 v19, vcc, 0, v12, vcc
	v_add_f64 v[12:13], v[10:11], 1.0
	v_rcp_f64_e32 v[14:15], v[12:13]
	v_add_f64 v[84:85], v[12:13], -1.0
	v_add_f64 v[74:75], v[10:11], -1.0
	v_add_f64 v[10:11], v[10:11], -v[84:85]
	v_fma_f64 v[84:85], -v[12:13], v[14:15], 1.0
	v_fmac_f64_e32 v[14:15], v[84:85], v[14:15]
	v_fma_f64 v[84:85], -v[12:13], v[14:15], 1.0
	v_fmac_f64_e32 v[14:15], v[84:85], v[14:15]
	v_mul_f64 v[84:85], v[74:75], v[14:15]
	v_mul_f64 v[86:87], v[12:13], v[84:85]
	v_fma_f64 v[12:13], v[84:85], v[12:13], -v[86:87]
	v_fmac_f64_e32 v[12:13], v[84:85], v[10:11]
	v_add_f64 v[10:11], v[86:87], v[12:13]
	v_add_f64 v[88:89], v[74:75], -v[10:11]
	v_add_f64 v[86:87], v[10:11], -v[86:87]
	;; [unrolled: 1-line block ×5, first 2 shown]
	v_add_f64 v[10:11], v[12:13], v[10:11]
	v_add_f64 v[10:11], v[88:89], v[10:11]
	v_mul_f64 v[10:11], v[14:15], v[10:11]
	v_add_f64 v[12:13], v[84:85], v[10:11]
	v_add_f64 v[14:15], v[12:13], -v[84:85]
	v_add_f64 v[10:11], v[10:11], -v[14:15]
	v_mul_f64 v[14:15], v[12:13], v[12:13]
	v_fmac_f64_e32 v[16:17], s[34:35], v[14:15]
	v_fma_f64 v[16:17], v[14:15], v[16:17], s[36:37]
	v_fma_f64 v[16:17], v[14:15], v[16:17], s[38:39]
	;; [unrolled: 1-line block ×5, first 2 shown]
	v_ldexp_f64 v[74:75], v[12:13], 1
	v_mul_f64 v[12:13], v[12:13], v[14:15]
	v_mul_f64 v[12:13], v[12:13], v[16:17]
	v_add_f64 v[14:15], v[74:75], v[12:13]
	v_add_f64 v[16:17], v[14:15], -v[74:75]
	v_ldexp_f64 v[10:11], v[10:11], 1
	v_add_f64 v[12:13], v[12:13], -v[16:17]
	v_add_f64 v[10:11], v[10:11], v[12:13]
	v_add_f64 v[12:13], v[14:15], v[10:11]
	v_add_f64 v[14:15], v[12:13], -v[14:15]
	v_add_f64 v[10:11], v[10:11], -v[14:15]
	v_cvt_f64_i32_e32 v[14:15], v19
	v_mul_f64 v[16:17], v[14:15], s[26:27]
	v_fma_f64 v[74:75], v[14:15], s[26:27], -v[16:17]
	v_fmac_f64_e32 v[74:75], s[28:29], v[14:15]
	v_add_f64 v[14:15], v[16:17], v[74:75]
	v_add_f64 v[16:17], v[14:15], -v[16:17]
	v_add_f64 v[16:17], v[74:75], -v[16:17]
	v_add_f64 v[74:75], v[14:15], v[12:13]
	v_add_f64 v[84:85], v[74:75], -v[14:15]
	v_add_f64 v[86:87], v[74:75], -v[84:85]
	;; [unrolled: 1-line block ×4, first 2 shown]
	v_add_f64 v[12:13], v[12:13], v[14:15]
	v_add_f64 v[14:15], v[16:17], v[10:11]
	v_add_f64 v[84:85], v[14:15], -v[16:17]
	v_add_f64 v[86:87], v[14:15], -v[84:85]
	v_add_f64 v[12:13], v[14:15], v[12:13]
	v_add_f64 v[16:17], v[16:17], -v[86:87]
	v_add_f64 v[10:11], v[10:11], -v[84:85]
	v_add_f64 v[14:15], v[74:75], v[12:13]
	v_add_f64 v[10:11], v[10:11], v[16:17]
	v_add_f64 v[16:17], v[14:15], -v[74:75]
	v_add_f64 v[12:13], v[12:13], -v[16:17]
	v_add_f64 v[10:11], v[10:11], v[12:13]
	v_add_f64 v[10:11], v[14:15], v[10:11]
	v_cmp_class_f64_e64 vcc, v[4:5], s61
	v_fma_f64 v[6:7], -v[6:7], v[6:7], 1.0
	v_cndmask_b32_e32 v19, v10, v4, vcc
	v_cndmask_b32_e32 v10, v11, v5, vcc
	v_cmp_neq_f64_e32 vcc, 0, v[4:5]
	v_fma_f64 v[6:7], -v[2:3], v[2:3], v[6:7]
	v_add_f64 v[2:3], v[2:3], v[2:3]
	v_cndmask_b32_e32 v5, v82, v10, vcc
	v_max_f64 v[10:11], |v[6:7]|, |v[2:3]|
	v_min_f64 v[12:13], |v[6:7]|, |v[2:3]|
	v_div_scale_f64 v[14:15], s[0:1], v[10:11], v[10:11], v[12:13]
	v_rcp_f64_e32 v[16:17], v[14:15]
	v_cndmask_b32_e32 v4, 0, v19, vcc
	v_add_f64 v[4:5], v[8:9], -v[4:5]
	v_cmp_lt_f64_e64 s[0:1], |v[6:7]|, |v[2:3]|
	v_fma_f64 v[8:9], -v[14:15], v[16:17], 1.0
	v_fmac_f64_e32 v[16:17], v[16:17], v[8:9]
	v_fma_f64 v[8:9], -v[14:15], v[16:17], 1.0
	v_fmac_f64_e32 v[16:17], v[16:17], v[8:9]
	v_div_scale_f64 v[8:9], vcc, v[12:13], v[10:11], v[12:13]
	v_mul_f64 v[74:75], v[8:9], v[16:17]
	v_fma_f64 v[8:9], -v[14:15], v[74:75], v[8:9]
	v_pk_mov_b32 v[14:15], v[26:27], v[26:27] op_sel:[0,1]
	s_nop 0
	v_div_fmas_f64 v[8:9], v[8:9], v[16:17], v[74:75]
	v_div_fixup_f64 v[8:9], v[8:9], v[10:11], v[12:13]
	v_mul_f64 v[10:11], v[8:9], v[8:9]
	v_pk_mov_b32 v[12:13], v[24:25], v[24:25] op_sel:[0,1]
	v_fmac_f64_e32 v[12:13], s[22:23], v[10:11]
	v_fmac_f64_e32 v[14:15], v[10:11], v[12:13]
	v_pk_mov_b32 v[12:13], v[28:29], v[28:29] op_sel:[0,1]
	v_fmac_f64_e32 v[12:13], v[10:11], v[14:15]
	v_pk_mov_b32 v[14:15], v[30:31], v[30:31] op_sel:[0,1]
	;; [unrolled: 2-line block ×17, first 2 shown]
	v_fmac_f64_e32 v[12:13], v[10:11], v[14:15]
	v_mul_f64 v[10:11], v[10:11], v[12:13]
	v_cmp_gt_i32_e32 vcc, 0, v7
	v_fmac_f64_e32 v[8:9], v[8:9], v[10:11]
	v_cndmask_b32_e32 v10, v78, v79, vcc
	v_bfi_b32 v13, s62, v10, v3
	v_ashrrev_i32_e32 v10, 31, v7
	v_and_b32_e32 v14, 0x400921fb, v10
	v_and_b32_e32 v15, 0x54442d18, v10
	v_add_f64 v[10:11], -v[8:9], s[20:21]
	v_cndmask_b32_e64 v9, v9, v11, s[0:1]
	v_cndmask_b32_e64 v8, v8, v10, s[0:1]
	s_mov_b32 s12, s20
	v_add_f64 v[10:11], -v[8:9], s[12:13]
	v_cmp_class_f64_e64 s[4:5], v[2:3], s61
	v_cmp_class_f64_e64 s[6:7], v[6:7], s61
	v_cndmask_b32_e32 v12, v76, v77, vcc
	v_cndmask_b32_e32 v9, v9, v11, vcc
	;; [unrolled: 1-line block ×3, first 2 shown]
	v_cmp_eq_f64_e32 vcc, 0, v[2:3]
	v_cndmask_b32_e32 v8, v8, v15, vcc
	v_cndmask_b32_e32 v9, v9, v14, vcc
	s_and_b64 vcc, s[4:5], s[6:7]
	v_cndmask_b32_e32 v9, v9, v13, vcc
	v_cndmask_b32_e32 v8, v8, v12, vcc
	v_cmp_o_f64_e32 vcc, v[6:7], v[2:3]
	v_cndmask_b32_e32 v6, v80, v9, vcc
	v_cndmask_b32_e32 v2, 0, v8, vcc
	v_bfi_b32 v3, s62, v6, v3
	v_mul_f64 v[6:7], v[2:3], 0.5
	v_ldexp_f64 v[4:5], v[4:5], -2
	v_pk_mov_b32 v[2:3], v[6:7], v[6:7] op_sel:[0,1]
	v_fmac_f64_e32 v[2:3], 0x80000000, v[4:5]
	v_fma_f64 v[4:5], v[6:7], s[46:47], -v[4:5]
	v_mov_b32_e32 v7, s9
	v_add_co_u32_e32 v6, vcc, s8, v22
	v_addc_co_u32_e32 v7, vcc, v23, v7, vcc
	global_store_dwordx4 v[6:7], v[2:5], off offset:-8
	s_branch .LBB68_8
.LBB68_25:
	s_endpgm
	.section	.rodata,"a",@progbits
	.p2align	6, 0x0
	.amdhsa_kernel _ZN2at6native12_GLOBAL__N_125multi_tensor_apply_kernelINS1_18TensorListMetadataILi2EEENS1_14UnaryOpFunctorIN3c107complexIdEELi2ELi1ELi1EEEJNS0_4AtanIS8_EEEEEvT_T0_DpT1_
		.amdhsa_group_segment_fixed_size 0
		.amdhsa_private_segment_fixed_size 0
		.amdhsa_kernarg_size 3408
		.amdhsa_user_sgpr_count 6
		.amdhsa_user_sgpr_private_segment_buffer 1
		.amdhsa_user_sgpr_dispatch_ptr 0
		.amdhsa_user_sgpr_queue_ptr 0
		.amdhsa_user_sgpr_kernarg_segment_ptr 1
		.amdhsa_user_sgpr_dispatch_id 0
		.amdhsa_user_sgpr_flat_scratch_init 0
		.amdhsa_user_sgpr_kernarg_preload_length 0
		.amdhsa_user_sgpr_kernarg_preload_offset 0
		.amdhsa_user_sgpr_private_segment_size 0
		.amdhsa_uses_dynamic_stack 0
		.amdhsa_system_sgpr_private_segment_wavefront_offset 0
		.amdhsa_system_sgpr_workgroup_id_x 1
		.amdhsa_system_sgpr_workgroup_id_y 0
		.amdhsa_system_sgpr_workgroup_id_z 0
		.amdhsa_system_sgpr_workgroup_info 0
		.amdhsa_system_vgpr_workitem_id 0
		.amdhsa_next_free_vgpr 108
		.amdhsa_next_free_sgpr 93
		.amdhsa_accum_offset 108
		.amdhsa_reserve_vcc 1
		.amdhsa_reserve_flat_scratch 0
		.amdhsa_float_round_mode_32 0
		.amdhsa_float_round_mode_16_64 0
		.amdhsa_float_denorm_mode_32 3
		.amdhsa_float_denorm_mode_16_64 3
		.amdhsa_dx10_clamp 1
		.amdhsa_ieee_mode 1
		.amdhsa_fp16_overflow 0
		.amdhsa_tg_split 0
		.amdhsa_exception_fp_ieee_invalid_op 0
		.amdhsa_exception_fp_denorm_src 0
		.amdhsa_exception_fp_ieee_div_zero 0
		.amdhsa_exception_fp_ieee_overflow 0
		.amdhsa_exception_fp_ieee_underflow 0
		.amdhsa_exception_fp_ieee_inexact 0
		.amdhsa_exception_int_div_zero 0
	.end_amdhsa_kernel
	.section	.text._ZN2at6native12_GLOBAL__N_125multi_tensor_apply_kernelINS1_18TensorListMetadataILi2EEENS1_14UnaryOpFunctorIN3c107complexIdEELi2ELi1ELi1EEEJNS0_4AtanIS8_EEEEEvT_T0_DpT1_,"axG",@progbits,_ZN2at6native12_GLOBAL__N_125multi_tensor_apply_kernelINS1_18TensorListMetadataILi2EEENS1_14UnaryOpFunctorIN3c107complexIdEELi2ELi1ELi1EEEJNS0_4AtanIS8_EEEEEvT_T0_DpT1_,comdat
.Lfunc_end68:
	.size	_ZN2at6native12_GLOBAL__N_125multi_tensor_apply_kernelINS1_18TensorListMetadataILi2EEENS1_14UnaryOpFunctorIN3c107complexIdEELi2ELi1ELi1EEEJNS0_4AtanIS8_EEEEEvT_T0_DpT1_, .Lfunc_end68-_ZN2at6native12_GLOBAL__N_125multi_tensor_apply_kernelINS1_18TensorListMetadataILi2EEENS1_14UnaryOpFunctorIN3c107complexIdEELi2ELi1ELi1EEEJNS0_4AtanIS8_EEEEEvT_T0_DpT1_
                                        ; -- End function
	.section	.AMDGPU.csdata,"",@progbits
; Kernel info:
; codeLenInByte = 16528
; NumSgprs: 97
; NumVgprs: 108
; NumAgprs: 0
; TotalNumVgprs: 108
; ScratchSize: 0
; MemoryBound: 1
; FloatMode: 240
; IeeeMode: 1
; LDSByteSize: 0 bytes/workgroup (compile time only)
; SGPRBlocks: 12
; VGPRBlocks: 13
; NumSGPRsForWavesPerEU: 97
; NumVGPRsForWavesPerEU: 108
; AccumOffset: 108
; Occupancy: 4
; WaveLimiterHint : 0
; COMPUTE_PGM_RSRC2:SCRATCH_EN: 0
; COMPUTE_PGM_RSRC2:USER_SGPR: 6
; COMPUTE_PGM_RSRC2:TRAP_HANDLER: 0
; COMPUTE_PGM_RSRC2:TGID_X_EN: 1
; COMPUTE_PGM_RSRC2:TGID_Y_EN: 0
; COMPUTE_PGM_RSRC2:TGID_Z_EN: 0
; COMPUTE_PGM_RSRC2:TIDIG_COMP_CNT: 0
; COMPUTE_PGM_RSRC3_GFX90A:ACCUM_OFFSET: 26
; COMPUTE_PGM_RSRC3_GFX90A:TG_SPLIT: 0
	.section	.text._ZN2at6native12_GLOBAL__N_125multi_tensor_apply_kernelINS1_18TensorListMetadataILi2EEENS1_14UnaryOpFunctorIN3c107complexIfEELi2ELi1ELi1EEEJNS0_4AtanIS8_EEEEEvT_T0_DpT1_,"axG",@progbits,_ZN2at6native12_GLOBAL__N_125multi_tensor_apply_kernelINS1_18TensorListMetadataILi2EEENS1_14UnaryOpFunctorIN3c107complexIfEELi2ELi1ELi1EEEJNS0_4AtanIS8_EEEEEvT_T0_DpT1_,comdat
	.globl	_ZN2at6native12_GLOBAL__N_125multi_tensor_apply_kernelINS1_18TensorListMetadataILi2EEENS1_14UnaryOpFunctorIN3c107complexIfEELi2ELi1ELi1EEEJNS0_4AtanIS8_EEEEEvT_T0_DpT1_ ; -- Begin function _ZN2at6native12_GLOBAL__N_125multi_tensor_apply_kernelINS1_18TensorListMetadataILi2EEENS1_14UnaryOpFunctorIN3c107complexIfEELi2ELi1ELi1EEEJNS0_4AtanIS8_EEEEEvT_T0_DpT1_
	.p2align	8
	.type	_ZN2at6native12_GLOBAL__N_125multi_tensor_apply_kernelINS1_18TensorListMetadataILi2EEENS1_14UnaryOpFunctorIN3c107complexIfEELi2ELi1ELi1EEEJNS0_4AtanIS8_EEEEEvT_T0_DpT1_,@function
_ZN2at6native12_GLOBAL__N_125multi_tensor_apply_kernelINS1_18TensorListMetadataILi2EEENS1_14UnaryOpFunctorIN3c107complexIfEELi2ELi1ELi1EEEJNS0_4AtanIS8_EEEEEvT_T0_DpT1_: ; @_ZN2at6native12_GLOBAL__N_125multi_tensor_apply_kernelINS1_18TensorListMetadataILi2EEENS1_14UnaryOpFunctorIN3c107complexIfEELi2ELi1ELi1EEEJNS0_4AtanIS8_EEEEEvT_T0_DpT1_
; %bb.0:
	v_mov_b32_e32 v1, s8
	global_load_ubyte v1, v1, s[4:5] offset:1536
	s_add_u32 flat_scratch_lo, s6, s9
	s_addc_u32 flat_scratch_hi, s7, 0
	s_add_u32 s0, s0, s9
	s_addc_u32 s1, s1, 0
	s_add_u32 s6, s4, s8
	s_mul_hi_u32 s9, s8, 3
	s_mul_i32 s8, s8, 3
	s_addc_u32 s10, s5, 0
	s_add_u32 s8, s6, s8
	s_addc_u32 s9, s10, s9
	s_load_dword s16, s[8:9], 0x740
	s_mov_b32 s7, 0
	s_mov_b32 s13, s7
	;; [unrolled: 1-line block ×3, first 2 shown]
	s_waitcnt lgkmcnt(0)
	s_ashr_i32 s17, s16, 31
	s_lshl_b64 s[14:15], s[16:17], 19
	s_waitcnt vmcnt(0)
	v_readfirstlane_b32 s6, v1
	s_lshl_b32 s6, s6, 3
	s_load_dwordx2 s[10:11], s[4:5], s6 offset:0x0
	s_load_dwordx2 s[18:19], s[4:5], s6 offset:0x400
	;; [unrolled: 1-line block ×3, first 2 shown]
	s_waitcnt lgkmcnt(0)
	s_add_u32 s33, s10, s14
	s_addc_u32 s28, s11, s15
	s_add_u32 s48, s8, s14
	s_addc_u32 s49, s9, s15
	s_and_b32 s12, s33, 31
	s_and_b32 s20, s18, 3
	;; [unrolled: 1-line block ×3, first 2 shown]
	s_or_b64 s[12:13], s[12:13], s[20:21]
	s_lshl_b64 s[16:17], s[16:17], 16
	s_or_b64 s[6:7], s[6:7], s[12:13]
	s_sub_u32 s16, s18, s16
	s_subb_u32 s17, s19, s17
	s_cmp_eq_u64 s[6:7], 0
	s_mov_b64 s[6:7], -1
	s_cbranch_scc0 .LBB69_213
; %bb.1:
	v_mov_b32_e32 v3, 0
	v_lshlrev_b32_e32 v2, 2, v0
	v_cmp_gt_i64_e32 vcc, s[16:17], v[2:3]
	s_and_saveexec_b64 s[12:13], vcc
	s_cbranch_execz .LBB69_212
; %bb.2:
	s_mov_b64 s[20:21], src_private_base
	v_mov_b32_e32 v1, v3
	s_add_u32 s18, s4, 0xc50
	s_mov_b32 s20, 8
	s_addc_u32 s19, s5, 0
	s_mov_b32 s22, 0
	s_mov_b32 s23, s21
	s_mov_b32 s24, 4
	s_mov_b32 s25, s21
	s_mov_b64 s[26:27], 0
	v_mov_b32_e32 v24, s28
	v_mov_b32_e32 v25, 0x248d3132
	v_pk_mov_b32 v[14:15], s[20:21], s[20:21] op_sel:[0,1]
	s_mov_b32 s50, 0x4b000000
	s_mov_b32 s51, 0x399cc471
	s_brev_b32 s52, 44
	s_brev_b32 s53, 4
	s_mov_b32 s54, 0x3f2aaaab
	v_mov_b32_e32 v26, 0x3f2aaada
	s_mov_b32 s55, 0x3f317218
	s_mov_b32 s56, 0x7f800000
	;; [unrolled: 1-line block ×5, first 2 shown]
	v_mov_b32_e32 v27, 0x3d29fb3f
	v_mov_b32_e32 v28, 0xbd97d4d7
	;; [unrolled: 1-line block ×6, first 2 shown]
	s_movk_i32 s60, 0x204
	s_brev_b32 s61, -2
	v_mov_b32_e32 v33, 0xd800000
	s_mov_b32 s62, 0x6800000
	s_mov_b32 s63, 0x59000000
	;; [unrolled: 1-line block ×3, first 2 shown]
	s_mov_b64 s[28:29], 0xffff
	v_mov_b32_e32 v16, 0x3f317218
	v_mov_b32_e32 v34, 0x7fc00000
	;; [unrolled: 1-line block ×8, first 2 shown]
	v_mov_b32_e32 v18, -1.0
	v_mov_b32_e32 v41, 0x7f800000
	v_pk_mov_b32 v[20:21], v[0:1], v[0:1] op_sel:[0,1]
	s_branch .LBB69_4
.LBB69_3:                               ;   in Loop: Header=BB69_4 Depth=1
	s_or_b64 exec, exec, s[6:7]
	s_waitcnt lgkmcnt(0)
	v_mov_b32_e32 v1, s49
	v_add_co_u32_e32 v2, vcc, s48, v22
	v_addc_co_u32_e32 v3, vcc, v1, v23, vcc
	global_store_dwordx4 v[2:3], v[6:9], off
	global_store_dwordx4 v[2:3], v[10:13], off offset:16
	s_load_dword s6, s[18:19], 0xc
	s_waitcnt lgkmcnt(0)
	s_and_b32 s6, s6, 0xffff
	v_add_co_u32_e32 v20, vcc, s6, v20
	v_addc_co_u32_e32 v21, vcc, 0, v21, vcc
	v_lshlrev_b64 v[2:3], 2, v[20:21]
	v_cmp_le_i64_e32 vcc, s[16:17], v[2:3]
	v_cmp_lt_u64_e64 s[6:7], s[28:29], v[2:3]
	s_or_b64 s[6:7], vcc, s[6:7]
	s_and_b64 s[6:7], exec, s[6:7]
	s_or_b64 s[26:27], s[6:7], s[26:27]
	s_andn2_b64 exec, exec, s[26:27]
	s_cbranch_execz .LBB69_212
.LBB69_4:                               ; =>This Inner Loop Header: Depth=1
	v_lshlrev_b64 v[22:23], 5, v[20:21]
	v_add_co_u32_e32 v6, vcc, s33, v22
	v_addc_co_u32_e32 v7, vcc, v24, v23, vcc
	global_load_dwordx4 v[10:13], v[6:7], off
	global_load_dwordx4 v[2:5], v[6:7], off offset:16
                                        ; implicit-def: $vgpr7
	s_waitcnt vmcnt(1)
	v_cmp_neq_f32_e32 vcc, 0, v10
	v_cmp_nle_f32_e64 s[6:7], |v11|, 1.0
	s_or_b64 s[6:7], vcc, s[6:7]
	flat_store_dword v[14:15], v25
	s_waitcnt vmcnt(0)
	s_and_saveexec_b64 s[30:31], s[6:7]
	s_xor_b64 s[30:31], exec, s[30:31]
	s_cbranch_execz .LBB69_54
; %bb.5:                                ;   in Loop: Header=BB69_4 Depth=1
	v_cmp_neq_f32_e32 vcc, 0, v11
                                        ; implicit-def: $vgpr7
	s_and_saveexec_b64 s[6:7], vcc
	s_xor_b64 s[34:35], exec, s[6:7]
	s_cbranch_execz .LBB69_51
; %bb.6:                                ;   in Loop: Header=BB69_4 Depth=1
	v_cmp_o_f32_e32 vcc, v11, v10
                                        ; implicit-def: $vgpr7
	s_and_saveexec_b64 s[6:7], vcc
	s_xor_b64 s[36:37], exec, s[6:7]
	s_cbranch_execz .LBB69_40
; %bb.7:                                ;   in Loop: Header=BB69_4 Depth=1
	v_max_f32_e64 v6, |v11|, |v11|
	v_max_f32_e64 v1, |v10|, |v10|
	v_max_f32_e32 v6, v1, v6
	v_cmp_nlt_f32_e32 vcc, s50, v6
                                        ; implicit-def: $vgpr7
	s_and_saveexec_b64 s[6:7], vcc
	s_xor_b64 s[38:39], exec, s[6:7]
	s_cbranch_execz .LBB69_25
; %bb.8:                                ;   in Loop: Header=BB69_4 Depth=1
	v_cmp_nlt_f32_e64 s[6:7], |v11|, s51
	v_cmp_nlt_f32_e64 s[40:41], |v10|, s51
	s_or_b64 s[6:7], s[40:41], s[6:7]
                                        ; implicit-def: $vgpr7
	s_and_saveexec_b64 s[40:41], s[6:7]
	s_xor_b64 s[40:41], exec, s[40:41]
	s_cbranch_execz .LBB69_22
; %bb.9:                                ;   in Loop: Header=BB69_4 Depth=1
	v_cmp_neq_f32_e64 s[44:45], |v11|, 1.0
	v_cmp_nlt_f32_e64 s[42:43], |v10|, s52
	s_or_b64 s[6:7], s[42:43], s[44:45]
                                        ; implicit-def: $vgpr6
	s_and_saveexec_b64 s[46:47], s[6:7]
	s_xor_b64 s[6:7], exec, s[46:47]
	s_cbranch_execz .LBB69_11
; %bb.10:                               ;   in Loop: Header=BB69_4 Depth=1
	v_add_f32_e64 v7, |v11|, -1.0
	v_mul_f32_e32 v9, v10, v10
	v_mul_f32_e32 v8, v7, v7
	v_fmac_f32_e32 v9, v7, v7
	v_cmp_lt_f32_e64 vcc, |v10|, s53
	v_mul_f32_e64 v6, |v11|, 4.0
	v_cndmask_b32_e32 v7, v9, v8, vcc
	v_div_scale_f32 v8, s[46:47], v7, v7, v6
	v_rcp_f32_e32 v9, v8
	v_fma_f32 v17, -v8, v9, 1.0
	v_fmac_f32_e32 v9, v17, v9
	v_div_scale_f32 v17, vcc, v6, v7, v6
	v_mul_f32_e32 v19, v17, v9
	v_fma_f32 v42, -v8, v19, v17
	v_fmac_f32_e32 v19, v42, v9
	v_fma_f32 v8, -v8, v19, v17
	v_div_fmas_f32 v8, v8, v9, v19
	v_div_fixup_f32 v6, v8, v7, v6
	v_add_f32_e32 v9, 1.0, v6
	v_add_f32_e32 v7, -1.0, v9
	v_mov_b32_e32 v8, v7
	v_pk_add_f32 v[42:43], v[6:7], v[8:9] neg_lo:[0,1] neg_hi:[0,1]
	v_add_f32_e32 v7, 1.0, v43
	v_add_f32_e32 v7, v42, v7
	v_frexp_mant_f32_e32 v8, v9
	v_cvt_f64_f32_e32 v[42:43], v9
	v_frexp_exp_i32_f64_e32 v17, v[42:43]
	v_cmp_gt_f32_e32 vcc, s54, v8
	v_subbrev_co_u32_e32 v19, vcc, 0, v17, vcc
	v_sub_u32_e32 v8, 0, v19
	v_ldexp_f32 v9, v9, v8
	v_ldexp_f32 v7, v7, v8
	v_add_f32_e32 v8, -1.0, v9
	v_add_f32_e32 v42, 1.0, v9
	v_add_f32_e32 v17, 1.0, v8
	v_add_f32_e32 v43, -1.0, v42
	v_sub_f32_e32 v17, v9, v17
	v_sub_f32_e32 v9, v9, v43
	v_add_f32_e32 v17, v7, v17
	v_add_f32_e32 v7, v7, v9
	;; [unrolled: 1-line block ×3, first 2 shown]
	v_rcp_f32_e32 v49, v48
	v_sub_f32_e32 v9, v48, v42
	v_sub_f32_e32 v7, v7, v9
	v_add_f32_e32 v9, v8, v17
	v_mul_f32_e32 v50, v9, v49
	v_mul_f32_e32 v42, v48, v50
	v_fma_f32 v44, v50, v48, -v42
	v_sub_f32_e32 v8, v9, v8
	v_fmac_f32_e32 v44, v50, v7
	v_sub_f32_e32 v17, v17, v8
	v_add_f32_e32 v8, v42, v44
	v_sub_f32_e32 v43, v9, v8
	v_pk_add_f32 v[46:47], v[8:9], v[42:43] neg_lo:[0,1] neg_hi:[0,1]
	v_mov_b32_e32 v45, v8
	v_pk_add_f32 v[8:9], v[46:47], v[44:45] neg_lo:[0,1] neg_hi:[0,1]
	v_add_f32_e32 v9, v17, v9
	v_add_f32_e32 v8, v8, v9
	;; [unrolled: 1-line block ×3, first 2 shown]
	v_mul_f32_e32 v17, v49, v9
	v_mul_f32_e32 v42, v48, v17
	v_fma_f32 v44, v17, v48, -v42
	v_fmac_f32_e32 v44, v17, v7
	v_sub_f32_e32 v7, v43, v9
	v_add_f32_e32 v7, v8, v7
	v_add_f32_e32 v8, v42, v44
	v_sub_f32_e32 v43, v9, v8
	v_pk_add_f32 v[46:47], v[8:9], v[42:43] neg_lo:[0,1] neg_hi:[0,1]
	v_mov_b32_e32 v45, v8
	v_pk_add_f32 v[8:9], v[46:47], v[44:45] neg_lo:[0,1] neg_hi:[0,1]
	v_add_f32_e32 v7, v7, v9
	v_add_f32_e32 v7, v8, v7
	;; [unrolled: 1-line block ×4, first 2 shown]
	v_sub_f32_e32 v8, v9, v50
	v_mul_f32_e32 v7, v49, v7
	v_sub_f32_e32 v8, v17, v8
	v_add_f32_e32 v7, v8, v7
	v_add_f32_e32 v42, v9, v7
	v_mul_f32_e32 v44, v42, v42
	v_mov_b32_e32 v8, 0x3ecc95a3
	v_fmac_f32_e32 v8, 0x3e9b6dac, v44
	v_fma_f32 v17, v44, v8, v26
	v_cvt_f32_i32_e32 v8, v19
	v_sub_f32_e32 v9, v42, v9
	v_sub_f32_e32 v7, v7, v9
	v_mul_f32_e32 v9, v42, v44
	v_pk_mul_f32 v[44:45], v[8:9], v[16:17]
	v_ldexp_f32 v43, v42, 1
	v_fma_f32 v42, v8, s55, -v44
	v_fmac_f32_e32 v42, 0xb102e308, v8
	v_pk_add_f32 v[8:9], v[44:45], v[42:43]
	v_sub_f32_e32 v17, v9, v43
	v_ldexp_f32 v7, v7, 1
	v_sub_f32_e32 v17, v45, v17
	v_add_f32_e32 v47, v7, v17
	v_mov_b32_e32 v46, v44
	v_pk_add_f32 v[44:45], v[8:9], v[44:45] neg_lo:[0,1] neg_hi:[0,1]
	v_pk_add_f32 v[48:49], v[8:9], v[46:47]
	v_mov_b32_e32 v45, v49
	v_mov_b32_e32 v43, v8
	v_pk_add_f32 v[50:51], v[42:43], v[44:45] neg_lo:[0,1] neg_hi:[0,1]
	v_pk_add_f32 v[42:43], v[42:43], v[44:45]
	v_mov_b32_e32 v44, v43
	v_pk_add_f32 v[52:53], v[44:45], v[8:9] neg_lo:[0,1] neg_hi:[0,1]
	v_mov_b32_e32 v7, v52
	v_pk_add_f32 v[54:55], v[48:49], v[6:7] neg_lo:[0,1] neg_hi:[0,1]
	v_mov_b32_e32 v42, v49
	v_mov_b32_e32 v48, v9
	;; [unrolled: 1-line block ×4, first 2 shown]
	v_pk_add_f32 v[42:43], v[42:43], v[48:49] neg_lo:[0,1] neg_hi:[0,1]
	v_mov_b32_e32 v46, v47
	v_mov_b32_e32 v47, v8
	v_pk_add_f32 v[8:9], v[46:47], v[42:43] neg_lo:[0,1] neg_hi:[0,1]
	v_mov_b32_e32 v54, v50
	v_pk_add_f32 v[42:43], v[54:55], v[8:9]
	v_mov_b32_e32 v46, v43
	v_pk_add_f32 v[46:47], v[42:43], v[46:47]
	v_pk_add_f32 v[44:45], v[44:45], v[46:47]
	v_mov_b32_e32 v43, v44
	v_pk_add_f32 v[48:49], v[42:43], v[50:51] neg_lo:[0,1] neg_hi:[0,1]
	v_mov_b32_e32 v9, v46
	v_sub_f32_e32 v7, v42, v48
	v_pk_add_f32 v[8:9], v[8:9], v[48:49] neg_lo:[0,1] neg_hi:[0,1]
	v_sub_f32_e32 v7, v50, v7
	v_add_f32_e32 v7, v8, v7
	v_add_f32_e32 v7, v7, v9
	;; [unrolled: 1-line block ×3, first 2 shown]
	v_cmp_eq_f32_e32 vcc, s56, v6
	v_cndmask_b32_e32 v7, v7, v6, vcc
	v_cmp_ngt_f32_e32 vcc, -1.0, v6
	v_cndmask_b32_e32 v7, v34, v7, vcc
	v_cmp_neq_f32_e32 vcc, -1.0, v6
	v_cndmask_b32_e32 v7, v35, v7, vcc
	v_cmp_lt_f32_e64 vcc, |v6|, s57
	v_cndmask_b32_e32 v6, v7, v6, vcc
	v_mul_f32_e32 v6, 0x3e800000, v6
	s_andn2_saveexec_b64 s[46:47], s[6:7]
	s_cbranch_execz .LBB69_13
	s_branch .LBB69_12
.LBB69_11:                              ;   in Loop: Header=BB69_4 Depth=1
	s_andn2_saveexec_b64 s[46:47], s[6:7]
	s_cbranch_execz .LBB69_13
.LBB69_12:                              ;   in Loop: Header=BB69_4 Depth=1
	v_cmp_lt_f32_e64 vcc, |v10|, s58
	v_cndmask_b32_e32 v6, 1.0, v36, vcc
	v_mul_f32_e64 v6, |v10|, v6
	v_log_f32_e32 v6, v6
	v_mul_f32_e32 v7, 0x3f317217, v6
	v_fma_f32 v8, v6, s59, -v7
	v_fmac_f32_e32 v8, 0x3377d1cf, v6
	v_add_f32_e32 v7, v7, v8
	v_cmp_lt_f32_e64 s[6:7], |v6|, s56
	v_cndmask_b32_e64 v6, v6, v7, s[6:7]
	v_cndmask_b32_e32 v7, 0, v37, vcc
	v_sub_f32_e32 v6, v6, v7
	v_sub_f32_e32 v6, 0x3f317218, v6
	v_mul_f32_e32 v6, 0.5, v6
.LBB69_13:                              ;   in Loop: Header=BB69_4 Depth=1
	s_or_b64 exec, exec, s[46:47]
                                        ; implicit-def: $vgpr8
	s_and_saveexec_b64 s[6:7], s[44:45]
	s_xor_b64 s[44:45], exec, s[6:7]
	s_cbranch_execz .LBB69_19
; %bb.14:                               ;   in Loop: Header=BB69_4 Depth=1
	v_sub_f32_e64 v7, 1.0, |v11|
	v_add_f32_e64 v8, |v11|, 1.0
	v_add_f32_e64 v1, |v10|, |v10|
	v_mul_f32_e32 v7, v7, v8
                                        ; implicit-def: $vgpr8
	s_and_saveexec_b64 s[6:7], s[42:43]
	s_xor_b64 s[42:43], exec, s[6:7]
	s_cbranch_execz .LBB69_16
; %bb.15:                               ;   in Loop: Header=BB69_4 Depth=1
	v_fma_f32 v7, -v10, v10, v7
	v_max_f32_e64 v8, |v1|, |v1|
	v_min_f32_e64 v9, |v7|, v8
	v_max_f32_e64 v8, |v7|, v8
	v_frexp_mant_f32_e32 v17, v8
	v_rcp_f32_e32 v17, v17
	v_frexp_exp_i32_f32_e32 v8, v8
	v_frexp_exp_i32_f32_e32 v19, v9
	v_frexp_mant_f32_e32 v9, v9
	v_mul_f32_e32 v9, v9, v17
	v_sub_u32_e32 v8, v19, v8
	v_ldexp_f32 v8, v9, v8
	v_mul_f32_e32 v9, v8, v8
	v_mov_b32_e32 v17, 0xbc7a590c
	v_fmac_f32_e32 v17, 0x3b2d2a58, v9
	v_fma_f32 v17, v9, v17, v27
	v_fma_f32 v17, v9, v17, v28
	;; [unrolled: 1-line block ×6, first 2 shown]
	v_mul_f32_e32 v9, v9, v17
	v_fmac_f32_e32 v8, v8, v9
	v_sub_f32_e32 v9, 0x3fc90fdb, v8
	v_cmp_gt_f32_e64 vcc, |v1|, |v7|
	v_cndmask_b32_e32 v8, v8, v9, vcc
	v_sub_f32_e32 v9, 0x40490fdb, v8
	v_cmp_gt_f32_e32 vcc, 0, v7
	v_cmp_gt_i32_e64 s[6:7], 0, v7
	v_cndmask_b32_e32 v8, v8, v9, vcc
	v_cndmask_b32_e64 v9, 0, v38, s[6:7]
	v_cmp_eq_f32_e64 s[6:7], 0, v1
	v_cndmask_b32_e64 v8, v8, v9, s[6:7]
	v_cmp_class_f32_e64 s[6:7], v7, s60
	v_cmp_class_f32_e64 s[46:47], v1, s60
	v_cndmask_b32_e32 v9, v39, v40, vcc
	s_and_b64 vcc, s[46:47], s[6:7]
	v_cndmask_b32_e32 v8, v8, v9, vcc
	v_cmp_o_f32_e32 vcc, v7, v1
	v_cndmask_b32_e32 v7, v34, v8, vcc
	v_bfi_b32 v8, s61, v7, v1
                                        ; implicit-def: $vgpr1
                                        ; implicit-def: $vgpr7
.LBB69_16:                              ;   in Loop: Header=BB69_4 Depth=1
	s_andn2_saveexec_b64 s[42:43], s[42:43]
	s_cbranch_execz .LBB69_18
; %bb.17:                               ;   in Loop: Header=BB69_4 Depth=1
	v_max_f32_e32 v8, v1, v1
	v_max_f32_e64 v9, |v7|, |v7|
	v_min_f32_e32 v17, v9, v8
	v_max_f32_e32 v8, v9, v8
	v_frexp_mant_f32_e32 v9, v8
	v_rcp_f32_e32 v9, v9
	v_frexp_exp_i32_f32_e32 v8, v8
	v_frexp_exp_i32_f32_e32 v19, v17
	v_frexp_mant_f32_e32 v17, v17
	v_mul_f32_e32 v9, v17, v9
	v_sub_u32_e32 v8, v19, v8
	v_ldexp_f32 v8, v9, v8
	v_mul_f32_e32 v9, v8, v8
	v_mov_b32_e32 v17, 0xbc7a590c
	v_fmac_f32_e32 v17, 0x3b2d2a58, v9
	v_fma_f32 v17, v9, v17, v27
	v_fma_f32 v17, v9, v17, v28
	;; [unrolled: 1-line block ×6, first 2 shown]
	v_mul_f32_e32 v9, v9, v17
	v_fmac_f32_e32 v8, v8, v9
	v_sub_f32_e32 v9, 0x3fc90fdb, v8
	v_cmp_gt_f32_e64 vcc, v1, |v7|
	v_cndmask_b32_e32 v8, v8, v9, vcc
	v_sub_f32_e32 v9, 0x40490fdb, v8
	v_cmp_gt_f32_e32 vcc, 0, v7
	v_cmp_gt_i32_e64 s[6:7], 0, v7
	v_cndmask_b32_e32 v8, v8, v9, vcc
	v_cndmask_b32_e64 v9, 0, v38, s[6:7]
	v_cmp_eq_f32_e64 s[6:7], 0, v1
	v_cndmask_b32_e64 v8, v8, v9, s[6:7]
	v_cndmask_b32_e32 v9, v39, v40, vcc
	v_cmp_class_f32_e64 s[6:7], v7, s60
	v_cmp_eq_f32_e32 vcc, s56, v1
	s_and_b64 vcc, vcc, s[6:7]
	v_cndmask_b32_e32 v1, v8, v9, vcc
	v_cmp_o_f32_e32 vcc, v7, v7
	v_cndmask_b32_e64 v8, v34, |v1|, vcc
.LBB69_18:                              ;   in Loop: Header=BB69_4 Depth=1
	s_or_b64 exec, exec, s[42:43]
                                        ; implicit-def: $vgpr1
	s_andn2_saveexec_b64 s[6:7], s[44:45]
	s_cbranch_execnz .LBB69_20
	s_branch .LBB69_21
.LBB69_19:                              ;   in Loop: Header=BB69_4 Depth=1
	s_andn2_saveexec_b64 s[6:7], s[44:45]
	s_cbranch_execz .LBB69_21
.LBB69_20:                              ;   in Loop: Header=BB69_4 Depth=1
	v_min_f32_e32 v7, 2.0, v1
	v_max_f32_e32 v1, 2.0, v1
	v_frexp_mant_f32_e32 v8, v1
	v_rcp_f32_e32 v8, v8
	v_frexp_exp_i32_f32_e32 v1, v1
	v_frexp_exp_i32_f32_e32 v9, v7
	v_frexp_mant_f32_e32 v7, v7
	v_mul_f32_e32 v7, v7, v8
	v_sub_u32_e32 v1, v9, v1
	v_ldexp_f32 v1, v7, v1
	v_mul_f32_e32 v7, v1, v1
	v_mov_b32_e32 v8, 0xbc7a590c
	v_fmac_f32_e32 v8, 0x3b2d2a58, v7
	v_fma_f32 v8, v7, v8, v27
	v_fma_f32 v8, v7, v8, v28
	;; [unrolled: 1-line block ×6, first 2 shown]
	v_mul_f32_e32 v7, v7, v8
	v_fmac_f32_e32 v1, v1, v7
	v_sub_f32_e32 v7, 0x3fc90fdb, v1
	v_cmp_lt_f32_e64 vcc, |v10|, 2.0
	v_cndmask_b32_e32 v1, v1, v7, vcc
	v_sub_f32_e32 v7, 0x40490fdb, v1
	v_cmp_lg_f32_e32 vcc, 0, v10
	v_cndmask_b32_e32 v1, v1, v7, vcc
	v_and_b32_e32 v8, 0x7fffffff, v1
.LBB69_21:                              ;   in Loop: Header=BB69_4 Depth=1
	s_or_b64 exec, exec, s[6:7]
	v_mul_f32_e32 v1, 0.5, v8
	v_bfi_b32 v7, s61, v6, v11
	v_bfi_b32 v6, s61, v1, v10
.LBB69_22:                              ;   in Loop: Header=BB69_4 Depth=1
	s_andn2_saveexec_b64 s[6:7], s[40:41]
	s_cbranch_execz .LBB69_24
; %bb.23:                               ;   in Loop: Header=BB69_4 Depth=1
	v_pk_mov_b32 v[6:7], s[22:23], s[22:23] op_sel:[0,1]
	flat_store_dword v[6:7], v33
	s_waitcnt vmcnt(0)
	flat_load_dword v1, v[6:7] glc
	s_waitcnt vmcnt(0)
	v_pk_mov_b32 v[6:7], s[24:25], s[24:25] op_sel:[0,1]
	s_waitcnt lgkmcnt(0)
	v_add_f32_e32 v1, 1.0, v1
	flat_store_dword v[6:7], v1
	s_waitcnt vmcnt(0)
	flat_load_dword v1, v[6:7] glc
	s_waitcnt vmcnt(0)
	v_mov_b32_e32 v7, v11
	v_mov_b32_e32 v6, v10
.LBB69_24:                              ;   in Loop: Header=BB69_4 Depth=1
	s_or_b64 exec, exec, s[6:7]
.LBB69_25:                              ;   in Loop: Header=BB69_4 Depth=1
	s_andn2_saveexec_b64 s[6:7], s[38:39]
	s_cbranch_execz .LBB69_39
; %bb.26:                               ;   in Loop: Header=BB69_4 Depth=1
	v_and_b32_e32 v6, 0x7f800000, v10
	s_waitcnt lgkmcnt(0)
	v_and_b32_e32 v1, 0x7f800000, v11
	v_sub_u32_e32 v7, v1, v6
	v_cmp_gt_i32_e32 vcc, s62, v7
	v_cmp_neq_f32_e64 s[38:39], |v11|, s56
	s_and_b64 s[38:39], s[38:39], vcc
                                        ; implicit-def: $vgpr7
	s_and_saveexec_b64 s[40:41], s[38:39]
	s_xor_b64 s[38:39], exec, s[40:41]
	s_cbranch_execz .LBB69_36
; %bb.27:                               ;   in Loop: Header=BB69_4 Depth=1
	v_sub_u32_e32 v6, v6, v1
	v_cmp_gt_i32_e32 vcc, s62, v6
                                        ; implicit-def: $vgpr7
	s_and_saveexec_b64 s[40:41], vcc
	s_xor_b64 s[40:41], exec, s[40:41]
	s_cbranch_execz .LBB69_33
; %bb.28:                               ;   in Loop: Header=BB69_4 Depth=1
	v_cmp_lt_u32_e32 vcc, s63, v1
                                        ; implicit-def: $vgpr7
	s_and_saveexec_b64 s[42:43], vcc
	s_xor_b64 s[42:43], exec, s[42:43]
	s_cbranch_execz .LBB69_30
; %bb.29:                               ;   in Loop: Header=BB69_4 Depth=1
	v_sub_u32_e32 v1, 0x7f800000, v1
	v_mul_f32_e32 v7, v10, v1
	v_mul_f32_e32 v6, v11, v1
	;; [unrolled: 1-line block ×3, first 2 shown]
	v_fmac_f32_e32 v7, v6, v6
	v_div_scale_f32 v8, s[44:45], v7, v7, v6
	v_rcp_f32_e32 v9, v8
	v_fma_f32 v17, -v8, v9, 1.0
	v_fmac_f32_e32 v9, v17, v9
	v_div_scale_f32 v17, vcc, v6, v7, v6
	v_mul_f32_e32 v19, v17, v9
	v_fma_f32 v42, -v8, v19, v17
	v_fmac_f32_e32 v19, v42, v9
	v_fma_f32 v8, -v8, v19, v17
	v_div_fmas_f32 v8, v8, v9, v19
	v_div_fixup_f32 v6, v8, v7, v6
	v_mul_f32_e32 v7, v6, v1
.LBB69_30:                              ;   in Loop: Header=BB69_4 Depth=1
	s_andn2_saveexec_b64 s[42:43], s[42:43]
	s_cbranch_execz .LBB69_32
; %bb.31:                               ;   in Loop: Header=BB69_4 Depth=1
	v_pk_mul_f32 v[6:7], v[10:11], v[10:11]
	v_add_f32_e32 v1, v6, v7
	v_div_scale_f32 v6, s[44:45], v1, v1, v11
	v_rcp_f32_e32 v7, v6
	v_div_scale_f32 v8, vcc, v11, v1, v11
	v_fma_f32 v9, -v6, v7, 1.0
	v_fmac_f32_e32 v7, v9, v7
	v_mul_f32_e32 v9, v8, v7
	v_fma_f32 v17, -v6, v9, v8
	v_fmac_f32_e32 v9, v17, v7
	v_fma_f32 v6, -v6, v9, v8
	v_div_fmas_f32 v6, v6, v7, v9
	v_div_fixup_f32 v7, v6, v1, v11
.LBB69_32:                              ;   in Loop: Header=BB69_4 Depth=1
	s_or_b64 exec, exec, s[42:43]
.LBB69_33:                              ;   in Loop: Header=BB69_4 Depth=1
	s_andn2_saveexec_b64 s[40:41], s[40:41]
	s_cbranch_execz .LBB69_35
; %bb.34:                               ;   in Loop: Header=BB69_4 Depth=1
	v_div_scale_f32 v1, s[42:43], v10, v10, v11
	v_rcp_f32_e32 v6, v1
	v_div_scale_f32 v7, vcc, v11, v10, v11
	v_fma_f32 v8, -v1, v6, 1.0
	v_fmac_f32_e32 v6, v8, v6
	v_mul_f32_e32 v8, v7, v6
	v_fma_f32 v9, -v1, v8, v7
	v_fmac_f32_e32 v8, v9, v6
	v_fma_f32 v1, -v1, v8, v7
	v_div_fmas_f32 v1, v1, v6, v8
	v_div_fixup_f32 v1, v1, v10, v11
	v_div_scale_f32 v6, s[42:43], v10, v10, v1
	v_rcp_f32_e32 v7, v6
	v_fma_f32 v8, -v6, v7, 1.0
	v_fmac_f32_e32 v7, v8, v7
	v_div_scale_f32 v8, vcc, v1, v10, v1
	v_mul_f32_e32 v9, v8, v7
	v_fma_f32 v17, -v6, v9, v8
	v_fmac_f32_e32 v9, v17, v7
	v_fma_f32 v6, -v6, v9, v8
	v_div_fmas_f32 v6, v6, v7, v9
	v_div_fixup_f32 v7, v6, v10, v1
.LBB69_35:                              ;   in Loop: Header=BB69_4 Depth=1
	s_or_b64 exec, exec, s[40:41]
.LBB69_36:                              ;   in Loop: Header=BB69_4 Depth=1
	s_andn2_saveexec_b64 s[38:39], s[38:39]
; %bb.37:                               ;   in Loop: Header=BB69_4 Depth=1
	v_div_scale_f32 v1, s[40:41], v11, v11, 1.0
	v_rcp_f32_e32 v6, v1
	v_div_scale_f32 v7, vcc, 1.0, v11, 1.0
	v_fma_f32 v8, -v1, v6, 1.0
	v_fmac_f32_e32 v6, v8, v6
	v_mul_f32_e32 v8, v7, v6
	v_fma_f32 v9, -v1, v8, v7
	v_fmac_f32_e32 v8, v9, v6
	v_fma_f32 v1, -v1, v8, v7
	v_div_fmas_f32 v1, v1, v6, v8
	v_div_fixup_f32 v7, v1, v11, 1.0
; %bb.38:                               ;   in Loop: Header=BB69_4 Depth=1
	s_or_b64 exec, exec, s[38:39]
	v_pk_mov_b32 v[8:9], s[20:21], s[20:21] op_sel:[0,1]
	flat_load_dword v1, v[8:9] glc
	s_waitcnt vmcnt(0) lgkmcnt(0)
	v_add_f32_e32 v1, 0x3fc90fdb, v1
	v_bfi_b32 v6, s61, v1, v10
.LBB69_39:                              ;   in Loop: Header=BB69_4 Depth=1
	s_or_b64 exec, exec, s[6:7]
.LBB69_40:                              ;   in Loop: Header=BB69_4 Depth=1
	s_andn2_saveexec_b64 s[6:7], s[36:37]
	s_cbranch_execz .LBB69_50
; %bb.41:                               ;   in Loop: Header=BB69_4 Depth=1
	v_cmp_neq_f32_e64 s[36:37], |v11|, s56
                                        ; implicit-def: $vgpr7
	s_and_saveexec_b64 s[38:39], s[36:37]
	s_xor_b64 s[36:37], exec, s[38:39]
	s_cbranch_execz .LBB69_47
; %bb.42:                               ;   in Loop: Header=BB69_4 Depth=1
	v_cmp_neq_f32_e64 s[38:39], |v10|, s56
                                        ; implicit-def: $vgpr7
	s_and_saveexec_b64 s[40:41], s[38:39]
	s_xor_b64 s[38:39], exec, s[40:41]
	s_cbranch_execz .LBB69_44
; %bb.43:                               ;   in Loop: Header=BB69_4 Depth=1
	s_waitcnt lgkmcnt(0)
	v_add_f32_e32 v1, 0, v10
	v_add_f32_e32 v7, v1, v11
.LBB69_44:                              ;   in Loop: Header=BB69_4 Depth=1
	s_or_saveexec_b64 s[38:39], s[38:39]
	v_mov_b32_e32 v6, v7
	s_xor_b64 exec, exec, s[38:39]
	s_cbranch_execz .LBB69_46
; %bb.45:                               ;   in Loop: Header=BB69_4 Depth=1
	v_pk_mov_b32 v[6:7], s[20:21], s[20:21] op_sel:[0,1]
	s_waitcnt lgkmcnt(0)
	flat_load_dword v1, v[6:7] glc
	s_waitcnt vmcnt(0)
	v_bfi_b32 v7, s61, 0, v11
	s_waitcnt lgkmcnt(0)
	v_add_f32_e32 v1, 0x3fc90fdb, v1
	v_bfi_b32 v6, s61, v1, v10
.LBB69_46:                              ;   in Loop: Header=BB69_4 Depth=1
	s_or_b64 exec, exec, s[38:39]
.LBB69_47:                              ;   in Loop: Header=BB69_4 Depth=1
	s_andn2_saveexec_b64 s[36:37], s[36:37]
; %bb.48:                               ;   in Loop: Header=BB69_4 Depth=1
	v_bfi_b32 v7, s61, 0, v11
	v_add_f32_e32 v6, v10, v10
; %bb.49:                               ;   in Loop: Header=BB69_4 Depth=1
	s_or_b64 exec, exec, s[36:37]
.LBB69_50:                              ;   in Loop: Header=BB69_4 Depth=1
	s_or_b64 exec, exec, s[6:7]
.LBB69_51:                              ;   in Loop: Header=BB69_4 Depth=1
	s_andn2_saveexec_b64 s[6:7], s[34:35]
	s_cbranch_execz .LBB69_53
; %bb.52:                               ;   in Loop: Header=BB69_4 Depth=1
	s_waitcnt lgkmcnt(0)
	v_rcp_f32_e64 v1, |v10|
	v_cmp_gt_f32_e64 vcc, |v10|, 1.0
	v_mov_b32_e32 v6, 0xbc7a590c
	v_cndmask_b32_e64 v1, |v10|, v1, vcc
	v_mul_f32_e32 v7, v1, v1
	v_fmac_f32_e32 v6, 0x3b2d2a58, v7
	v_fma_f32 v6, v7, v6, v27
	v_fma_f32 v6, v7, v6, v28
	v_fma_f32 v6, v7, v6, v29
	v_fma_f32 v6, v7, v6, v30
	v_fma_f32 v6, v7, v6, v31
	v_fma_f32 v6, v7, v6, v32
	v_mul_f32_e32 v6, v7, v6
	v_fmac_f32_e32 v1, v1, v6
	v_sub_f32_e32 v6, 0x3fc90fdb, v1
	v_cndmask_b32_e32 v1, v1, v6, vcc
	v_bfi_b32 v6, s61, v1, v10
	v_mov_b32_e32 v7, v11
.LBB69_53:                              ;   in Loop: Header=BB69_4 Depth=1
	s_or_b64 exec, exec, s[6:7]
.LBB69_54:                              ;   in Loop: Header=BB69_4 Depth=1
	s_andn2_saveexec_b64 s[6:7], s[30:31]
	s_cbranch_execz .LBB69_56
; %bb.55:                               ;   in Loop: Header=BB69_4 Depth=1
	s_waitcnt lgkmcnt(0)
	v_sub_f32_e64 v1, 1.0, |v11|
	v_rcp_f32_e32 v17, v1
	v_add_f32_e64 v8, |v11|, 1.0
	v_sub_f32_e32 v7, 1.0, v1
	v_sub_f32_e64 v7, v7, |v11|
	v_mul_f32_e32 v44, v8, v17
	v_mul_f32_e32 v9, v1, v44
	v_fma_f32 v19, v44, v1, -v9
	v_fmac_f32_e32 v19, v44, v7
	v_pk_add_f32 v[42:43], v[8:9], v[18:19]
	v_sub_f32_e32 v1, v43, v9
	v_sub_f32_e32 v9, v8, v43
	v_and_b32_e32 v6, 0x7fffffff, v11
	v_sub_f32_e32 v7, v8, v9
	v_pk_add_f32 v[6:7], v[6:7], v[42:43] neg_lo:[0,1] neg_hi:[0,1]
	v_sub_f32_e32 v1, v1, v19
	v_add_f32_e32 v1, v1, v7
	v_add_f32_e32 v1, v6, v1
	;; [unrolled: 1-line block ×3, first 2 shown]
	v_mul_f32_e32 v1, v17, v1
	v_add_f32_e32 v8, v44, v1
	v_sub_f32_e32 v6, v8, v44
	v_sub_f32_e32 v1, v1, v6
	v_frexp_mant_f32_e32 v9, v8
	v_cvt_f64_f32_e32 v[6:7], v8
	v_frexp_exp_i32_f64_e32 v6, v[6:7]
	v_cmp_gt_f32_e32 vcc, s54, v9
	v_subbrev_co_u32_e32 v19, vcc, 0, v6, vcc
	v_sub_u32_e32 v6, 0, v19
	v_ldexp_f32 v7, v8, v6
	v_ldexp_f32 v1, v1, v6
	v_add_f32_e32 v6, -1.0, v7
	v_add_f32_e32 v9, 1.0, v7
	v_add_f32_e32 v8, 1.0, v6
	v_add_f32_e32 v17, -1.0, v9
	v_sub_f32_e32 v8, v7, v8
	v_sub_f32_e32 v7, v7, v17
	v_add_f32_e32 v8, v1, v8
	v_add_f32_e32 v1, v1, v7
	;; [unrolled: 1-line block ×3, first 2 shown]
	v_rcp_f32_e32 v46, v17
	v_sub_f32_e32 v7, v17, v9
	v_sub_f32_e32 v1, v1, v7
	v_add_f32_e32 v7, v6, v8
	v_sub_f32_e32 v6, v7, v6
	v_mul_f32_e32 v48, v7, v46
	v_sub_f32_e32 v47, v8, v6
	v_mul_f32_e32 v8, v17, v48
	v_fma_f32 v42, v48, v17, -v8
	v_fmac_f32_e32 v42, v48, v1
	v_add_f32_e32 v6, v8, v42
	v_sub_f32_e32 v9, v7, v6
	v_pk_add_f32 v[44:45], v[6:7], v[8:9] neg_lo:[0,1] neg_hi:[0,1]
	v_mov_b32_e32 v43, v6
	v_pk_add_f32 v[6:7], v[44:45], v[42:43] neg_lo:[0,1] neg_hi:[0,1]
	v_add_f32_e32 v7, v47, v7
	v_add_f32_e32 v6, v6, v7
	;; [unrolled: 1-line block ×3, first 2 shown]
	v_mul_f32_e32 v47, v46, v7
	v_mul_f32_e32 v8, v17, v47
	v_fma_f32 v42, v47, v17, -v8
	v_fmac_f32_e32 v42, v47, v1
	v_sub_f32_e32 v1, v9, v7
	v_add_f32_e32 v1, v6, v1
	v_add_f32_e32 v6, v8, v42
	v_sub_f32_e32 v9, v7, v6
	v_pk_add_f32 v[44:45], v[6:7], v[8:9] neg_lo:[0,1] neg_hi:[0,1]
	v_mov_b32_e32 v43, v6
	v_pk_add_f32 v[6:7], v[44:45], v[42:43] neg_lo:[0,1] neg_hi:[0,1]
	v_add_f32_e32 v1, v1, v7
	v_add_f32_e32 v1, v6, v1
	;; [unrolled: 1-line block ×4, first 2 shown]
	v_sub_f32_e32 v6, v7, v48
	v_mul_f32_e32 v1, v46, v1
	v_sub_f32_e32 v6, v47, v6
	v_add_f32_e32 v1, v6, v1
	v_add_f32_e32 v8, v7, v1
	v_mul_f32_e32 v42, v8, v8
	v_mov_b32_e32 v6, 0x3ecc95a3
	v_fmac_f32_e32 v6, 0x3e9b6dac, v42
	v_fma_f32 v17, v42, v6, v26
	v_cvt_f32_i32_e32 v6, v19
	v_sub_f32_e32 v7, v8, v7
	v_sub_f32_e32 v1, v1, v7
	v_mul_f32_e32 v7, v8, v42
	v_pk_mul_f32 v[42:43], v[6:7], v[16:17]
	v_ldexp_f32 v9, v8, 1
	v_fma_f32 v8, v6, s55, -v42
	v_fmac_f32_e32 v8, 0xb102e308, v6
	v_pk_add_f32 v[6:7], v[42:43], v[8:9]
	v_sub_f32_e32 v9, v7, v9
	v_ldexp_f32 v1, v1, 1
	v_sub_f32_e32 v9, v43, v9
	v_add_f32_e32 v45, v1, v9
	v_mov_b32_e32 v44, v42
	v_pk_add_f32 v[42:43], v[6:7], v[42:43] neg_lo:[0,1] neg_hi:[0,1]
	v_pk_add_f32 v[46:47], v[6:7], v[44:45]
	v_mov_b32_e32 v43, v47
	v_mov_b32_e32 v9, v6
	v_pk_add_f32 v[48:49], v[8:9], v[42:43] neg_lo:[0,1] neg_hi:[0,1]
	v_pk_add_f32 v[8:9], v[8:9], v[42:43]
	v_mov_b32_e32 v42, v9
	v_pk_add_f32 v[50:51], v[42:43], v[6:7] neg_lo:[0,1] neg_hi:[0,1]
	v_mov_b32_e32 v1, v50
	v_pk_add_f32 v[52:53], v[46:47], v[0:1] neg_lo:[0,1] neg_hi:[0,1]
	v_mov_b32_e32 v8, v47
	v_mov_b32_e32 v46, v7
	;; [unrolled: 1-line block ×4, first 2 shown]
	v_pk_add_f32 v[8:9], v[8:9], v[46:47] neg_lo:[0,1] neg_hi:[0,1]
	v_mov_b32_e32 v44, v45
	v_mov_b32_e32 v45, v6
	v_pk_add_f32 v[6:7], v[44:45], v[8:9] neg_lo:[0,1] neg_hi:[0,1]
	v_mov_b32_e32 v52, v48
	v_pk_add_f32 v[8:9], v[52:53], v[6:7]
	v_mov_b32_e32 v44, v9
	v_pk_add_f32 v[44:45], v[8:9], v[44:45]
	v_pk_add_f32 v[42:43], v[42:43], v[44:45]
	v_mov_b32_e32 v9, v42
	v_pk_add_f32 v[46:47], v[8:9], v[48:49] neg_lo:[0,1] neg_hi:[0,1]
	v_mov_b32_e32 v7, v44
	v_sub_f32_e32 v1, v8, v46
	v_pk_add_f32 v[6:7], v[6:7], v[46:47] neg_lo:[0,1] neg_hi:[0,1]
	v_sub_f32_e32 v1, v48, v1
	v_add_f32_e32 v1, v6, v1
	v_add_f32_e32 v1, v1, v7
	v_add_f32_e32 v1, v42, v1
	v_mul_f32_e32 v1, 0.5, v1
	v_cmp_lt_f32_e64 s[30:31], |v11|, s64
	v_cndmask_b32_e64 v1, v1, |v11|, s[30:31]
	v_cmp_ngt_f32_e64 vcc, |v11|, 1.0
	v_cndmask_b32_e32 v1, v34, v1, vcc
	v_cmp_neq_f32_e64 vcc, |v11|, 1.0
	v_cndmask_b32_e32 v1, v41, v1, vcc
	v_bfi_b32 v7, s61, v1, v11
	v_mov_b32_e32 v6, v10
.LBB69_56:                              ;   in Loop: Header=BB69_4 Depth=1
	s_or_b64 exec, exec, s[6:7]
	v_cmp_neq_f32_e32 vcc, 0, v12
	v_cmp_nle_f32_e64 s[6:7], |v13|, 1.0
	v_pk_mov_b32 v[8:9], s[20:21], s[20:21] op_sel:[0,1]
	s_or_b64 s[6:7], vcc, s[6:7]
	flat_store_dword v[8:9], v25
	s_waitcnt vmcnt(0)
	s_and_saveexec_b64 s[30:31], s[6:7]
	s_xor_b64 s[30:31], exec, s[30:31]
	s_cbranch_execz .LBB69_106
; %bb.57:                               ;   in Loop: Header=BB69_4 Depth=1
	v_cmp_neq_f32_e32 vcc, 0, v13
	s_and_saveexec_b64 s[6:7], vcc
	s_xor_b64 s[34:35], exec, s[6:7]
	s_cbranch_execz .LBB69_103
; %bb.58:                               ;   in Loop: Header=BB69_4 Depth=1
	v_cmp_o_f32_e32 vcc, v13, v12
	s_and_saveexec_b64 s[6:7], vcc
	s_xor_b64 s[36:37], exec, s[6:7]
	s_cbranch_execz .LBB69_92
; %bb.59:                               ;   in Loop: Header=BB69_4 Depth=1
	v_max_f32_e64 v8, |v13|, |v13|
	s_waitcnt lgkmcnt(0)
	v_max_f32_e64 v1, |v12|, |v12|
	v_max_f32_e32 v8, v1, v8
	v_cmp_nlt_f32_e32 vcc, s50, v8
	s_and_saveexec_b64 s[6:7], vcc
	s_xor_b64 s[38:39], exec, s[6:7]
	s_cbranch_execz .LBB69_77
; %bb.60:                               ;   in Loop: Header=BB69_4 Depth=1
	v_cmp_nlt_f32_e64 s[6:7], |v13|, s51
	v_cmp_nlt_f32_e64 s[40:41], |v12|, s51
	s_or_b64 s[6:7], s[40:41], s[6:7]
	s_and_saveexec_b64 s[40:41], s[6:7]
	s_xor_b64 s[40:41], exec, s[40:41]
	s_cbranch_execz .LBB69_74
; %bb.61:                               ;   in Loop: Header=BB69_4 Depth=1
	v_cmp_neq_f32_e64 s[44:45], |v13|, 1.0
	v_cmp_nlt_f32_e64 s[42:43], |v12|, s52
	s_or_b64 s[6:7], s[42:43], s[44:45]
                                        ; implicit-def: $vgpr8
	s_and_saveexec_b64 s[46:47], s[6:7]
	s_xor_b64 s[6:7], exec, s[46:47]
	s_cbranch_execz .LBB69_63
; %bb.62:                               ;   in Loop: Header=BB69_4 Depth=1
	v_add_f32_e64 v9, |v13|, -1.0
	v_mul_f32_e32 v11, v12, v12
	v_mul_f32_e32 v10, v9, v9
	v_fmac_f32_e32 v11, v9, v9
	v_cmp_lt_f32_e64 vcc, |v12|, s53
	v_mul_f32_e64 v8, |v13|, 4.0
	v_cndmask_b32_e32 v9, v11, v10, vcc
	v_div_scale_f32 v10, s[46:47], v9, v9, v8
	v_rcp_f32_e32 v11, v10
	v_fma_f32 v17, -v10, v11, 1.0
	v_fmac_f32_e32 v11, v17, v11
	v_div_scale_f32 v17, vcc, v8, v9, v8
	v_mul_f32_e32 v19, v17, v11
	v_fma_f32 v42, -v10, v19, v17
	v_fmac_f32_e32 v19, v42, v11
	v_fma_f32 v10, -v10, v19, v17
	v_div_fmas_f32 v10, v10, v11, v19
	v_div_fixup_f32 v8, v10, v9, v8
	v_add_f32_e32 v11, 1.0, v8
	v_add_f32_e32 v9, -1.0, v11
	v_mov_b32_e32 v10, v9
	v_pk_add_f32 v[42:43], v[8:9], v[10:11] neg_lo:[0,1] neg_hi:[0,1]
	v_add_f32_e32 v9, 1.0, v43
	v_add_f32_e32 v9, v42, v9
	v_frexp_mant_f32_e32 v10, v11
	v_cvt_f64_f32_e32 v[42:43], v11
	v_frexp_exp_i32_f64_e32 v17, v[42:43]
	v_cmp_gt_f32_e32 vcc, s54, v10
	v_subbrev_co_u32_e32 v19, vcc, 0, v17, vcc
	v_sub_u32_e32 v10, 0, v19
	v_ldexp_f32 v11, v11, v10
	v_ldexp_f32 v9, v9, v10
	v_add_f32_e32 v10, -1.0, v11
	v_add_f32_e32 v42, 1.0, v11
	v_add_f32_e32 v17, 1.0, v10
	v_add_f32_e32 v43, -1.0, v42
	v_sub_f32_e32 v17, v11, v17
	v_sub_f32_e32 v11, v11, v43
	v_add_f32_e32 v17, v9, v17
	v_add_f32_e32 v9, v9, v11
	;; [unrolled: 1-line block ×3, first 2 shown]
	v_rcp_f32_e32 v49, v48
	v_sub_f32_e32 v11, v48, v42
	v_sub_f32_e32 v9, v9, v11
	v_add_f32_e32 v11, v10, v17
	v_mul_f32_e32 v50, v11, v49
	v_mul_f32_e32 v42, v48, v50
	v_fma_f32 v44, v50, v48, -v42
	v_sub_f32_e32 v10, v11, v10
	v_fmac_f32_e32 v44, v50, v9
	v_sub_f32_e32 v17, v17, v10
	v_add_f32_e32 v10, v42, v44
	v_sub_f32_e32 v43, v11, v10
	v_pk_add_f32 v[46:47], v[10:11], v[42:43] neg_lo:[0,1] neg_hi:[0,1]
	v_mov_b32_e32 v45, v10
	v_pk_add_f32 v[10:11], v[46:47], v[44:45] neg_lo:[0,1] neg_hi:[0,1]
	v_add_f32_e32 v11, v17, v11
	v_add_f32_e32 v10, v10, v11
	;; [unrolled: 1-line block ×3, first 2 shown]
	v_mul_f32_e32 v17, v49, v11
	v_mul_f32_e32 v42, v48, v17
	v_fma_f32 v44, v17, v48, -v42
	v_fmac_f32_e32 v44, v17, v9
	v_sub_f32_e32 v9, v43, v11
	v_add_f32_e32 v9, v10, v9
	v_add_f32_e32 v10, v42, v44
	v_sub_f32_e32 v43, v11, v10
	v_pk_add_f32 v[46:47], v[10:11], v[42:43] neg_lo:[0,1] neg_hi:[0,1]
	v_mov_b32_e32 v45, v10
	v_pk_add_f32 v[10:11], v[46:47], v[44:45] neg_lo:[0,1] neg_hi:[0,1]
	v_add_f32_e32 v9, v9, v11
	v_add_f32_e32 v9, v10, v9
	;; [unrolled: 1-line block ×4, first 2 shown]
	v_sub_f32_e32 v10, v11, v50
	v_mul_f32_e32 v9, v49, v9
	v_sub_f32_e32 v10, v17, v10
	v_add_f32_e32 v9, v10, v9
	v_add_f32_e32 v42, v11, v9
	v_mul_f32_e32 v44, v42, v42
	v_mov_b32_e32 v10, 0x3ecc95a3
	v_fmac_f32_e32 v10, 0x3e9b6dac, v44
	v_fma_f32 v17, v44, v10, v26
	v_cvt_f32_i32_e32 v10, v19
	v_sub_f32_e32 v11, v42, v11
	v_sub_f32_e32 v9, v9, v11
	v_mul_f32_e32 v11, v42, v44
	v_pk_mul_f32 v[44:45], v[10:11], v[16:17]
	v_ldexp_f32 v43, v42, 1
	v_fma_f32 v42, v10, s55, -v44
	v_fmac_f32_e32 v42, 0xb102e308, v10
	v_pk_add_f32 v[10:11], v[44:45], v[42:43]
	v_sub_f32_e32 v17, v11, v43
	v_ldexp_f32 v9, v9, 1
	v_sub_f32_e32 v17, v45, v17
	v_add_f32_e32 v47, v9, v17
	v_mov_b32_e32 v46, v44
	v_pk_add_f32 v[44:45], v[10:11], v[44:45] neg_lo:[0,1] neg_hi:[0,1]
	v_pk_add_f32 v[48:49], v[10:11], v[46:47]
	v_mov_b32_e32 v45, v49
	v_mov_b32_e32 v43, v10
	v_pk_add_f32 v[50:51], v[42:43], v[44:45] neg_lo:[0,1] neg_hi:[0,1]
	v_pk_add_f32 v[42:43], v[42:43], v[44:45]
	v_mov_b32_e32 v44, v43
	v_pk_add_f32 v[52:53], v[44:45], v[10:11] neg_lo:[0,1] neg_hi:[0,1]
	v_mov_b32_e32 v9, v52
	v_pk_add_f32 v[54:55], v[48:49], v[8:9] neg_lo:[0,1] neg_hi:[0,1]
	v_mov_b32_e32 v42, v49
	v_mov_b32_e32 v48, v11
	;; [unrolled: 1-line block ×4, first 2 shown]
	v_pk_add_f32 v[42:43], v[42:43], v[48:49] neg_lo:[0,1] neg_hi:[0,1]
	v_mov_b32_e32 v46, v47
	v_mov_b32_e32 v47, v10
	v_pk_add_f32 v[10:11], v[46:47], v[42:43] neg_lo:[0,1] neg_hi:[0,1]
	v_mov_b32_e32 v54, v50
	v_pk_add_f32 v[42:43], v[54:55], v[10:11]
	v_mov_b32_e32 v46, v43
	v_pk_add_f32 v[46:47], v[42:43], v[46:47]
	v_pk_add_f32 v[44:45], v[44:45], v[46:47]
	v_mov_b32_e32 v43, v44
	v_pk_add_f32 v[48:49], v[42:43], v[50:51] neg_lo:[0,1] neg_hi:[0,1]
	v_mov_b32_e32 v11, v46
	v_sub_f32_e32 v9, v42, v48
	v_pk_add_f32 v[10:11], v[10:11], v[48:49] neg_lo:[0,1] neg_hi:[0,1]
	v_sub_f32_e32 v9, v50, v9
	v_add_f32_e32 v9, v10, v9
	v_add_f32_e32 v9, v9, v11
	;; [unrolled: 1-line block ×3, first 2 shown]
	v_cmp_eq_f32_e32 vcc, s56, v8
	v_cndmask_b32_e32 v9, v9, v8, vcc
	v_cmp_ngt_f32_e32 vcc, -1.0, v8
	v_cndmask_b32_e32 v9, v34, v9, vcc
	v_cmp_neq_f32_e32 vcc, -1.0, v8
	v_cndmask_b32_e32 v9, v35, v9, vcc
	v_cmp_lt_f32_e64 vcc, |v8|, s57
	v_cndmask_b32_e32 v8, v9, v8, vcc
	v_mul_f32_e32 v8, 0x3e800000, v8
	s_andn2_saveexec_b64 s[46:47], s[6:7]
	s_cbranch_execz .LBB69_65
	s_branch .LBB69_64
.LBB69_63:                              ;   in Loop: Header=BB69_4 Depth=1
	s_andn2_saveexec_b64 s[46:47], s[6:7]
	s_cbranch_execz .LBB69_65
.LBB69_64:                              ;   in Loop: Header=BB69_4 Depth=1
	v_cmp_lt_f32_e64 vcc, |v12|, s58
	v_cndmask_b32_e32 v8, 1.0, v36, vcc
	v_mul_f32_e64 v8, |v12|, v8
	v_log_f32_e32 v8, v8
	v_mul_f32_e32 v9, 0x3f317217, v8
	v_fma_f32 v10, v8, s59, -v9
	v_fmac_f32_e32 v10, 0x3377d1cf, v8
	v_add_f32_e32 v9, v9, v10
	v_cmp_lt_f32_e64 s[6:7], |v8|, s56
	v_cndmask_b32_e64 v8, v8, v9, s[6:7]
	v_cndmask_b32_e32 v9, 0, v37, vcc
	v_sub_f32_e32 v8, v8, v9
	v_sub_f32_e32 v8, 0x3f317218, v8
	v_mul_f32_e32 v8, 0.5, v8
.LBB69_65:                              ;   in Loop: Header=BB69_4 Depth=1
	s_or_b64 exec, exec, s[46:47]
                                        ; implicit-def: $vgpr10
	s_and_saveexec_b64 s[6:7], s[44:45]
	s_xor_b64 s[44:45], exec, s[6:7]
	s_cbranch_execz .LBB69_71
; %bb.66:                               ;   in Loop: Header=BB69_4 Depth=1
	v_sub_f32_e64 v9, 1.0, |v13|
	v_add_f32_e64 v10, |v13|, 1.0
	v_add_f32_e64 v1, |v12|, |v12|
	v_mul_f32_e32 v9, v9, v10
                                        ; implicit-def: $vgpr10
	s_and_saveexec_b64 s[6:7], s[42:43]
	s_xor_b64 s[42:43], exec, s[6:7]
	s_cbranch_execz .LBB69_68
; %bb.67:                               ;   in Loop: Header=BB69_4 Depth=1
	v_fma_f32 v9, -v12, v12, v9
	v_max_f32_e64 v10, |v1|, |v1|
	v_min_f32_e64 v11, |v9|, v10
	v_max_f32_e64 v10, |v9|, v10
	v_frexp_mant_f32_e32 v17, v10
	v_rcp_f32_e32 v17, v17
	v_frexp_exp_i32_f32_e32 v10, v10
	v_frexp_exp_i32_f32_e32 v19, v11
	v_frexp_mant_f32_e32 v11, v11
	v_mul_f32_e32 v11, v11, v17
	v_sub_u32_e32 v10, v19, v10
	v_ldexp_f32 v10, v11, v10
	v_mul_f32_e32 v11, v10, v10
	v_mov_b32_e32 v17, 0xbc7a590c
	v_fmac_f32_e32 v17, 0x3b2d2a58, v11
	v_fma_f32 v17, v11, v17, v27
	v_fma_f32 v17, v11, v17, v28
	;; [unrolled: 1-line block ×6, first 2 shown]
	v_mul_f32_e32 v11, v11, v17
	v_fmac_f32_e32 v10, v10, v11
	v_sub_f32_e32 v11, 0x3fc90fdb, v10
	v_cmp_gt_f32_e64 vcc, |v1|, |v9|
	v_cndmask_b32_e32 v10, v10, v11, vcc
	v_sub_f32_e32 v11, 0x40490fdb, v10
	v_cmp_gt_f32_e32 vcc, 0, v9
	v_cmp_gt_i32_e64 s[6:7], 0, v9
	v_cndmask_b32_e32 v10, v10, v11, vcc
	v_cndmask_b32_e64 v11, 0, v38, s[6:7]
	v_cmp_eq_f32_e64 s[6:7], 0, v1
	v_cndmask_b32_e64 v10, v10, v11, s[6:7]
	v_cmp_class_f32_e64 s[6:7], v9, s60
	v_cmp_class_f32_e64 s[46:47], v1, s60
	v_cndmask_b32_e32 v11, v39, v40, vcc
	s_and_b64 vcc, s[46:47], s[6:7]
	v_cndmask_b32_e32 v10, v10, v11, vcc
	v_cmp_o_f32_e32 vcc, v9, v1
	v_cndmask_b32_e32 v9, v34, v10, vcc
	v_bfi_b32 v10, s61, v9, v1
                                        ; implicit-def: $vgpr1
                                        ; implicit-def: $vgpr9
.LBB69_68:                              ;   in Loop: Header=BB69_4 Depth=1
	s_andn2_saveexec_b64 s[42:43], s[42:43]
	s_cbranch_execz .LBB69_70
; %bb.69:                               ;   in Loop: Header=BB69_4 Depth=1
	v_max_f32_e32 v10, v1, v1
	v_max_f32_e64 v11, |v9|, |v9|
	v_min_f32_e32 v17, v11, v10
	v_max_f32_e32 v10, v11, v10
	v_frexp_mant_f32_e32 v11, v10
	v_rcp_f32_e32 v11, v11
	v_frexp_exp_i32_f32_e32 v10, v10
	v_frexp_exp_i32_f32_e32 v19, v17
	v_frexp_mant_f32_e32 v17, v17
	v_mul_f32_e32 v11, v17, v11
	v_sub_u32_e32 v10, v19, v10
	v_ldexp_f32 v10, v11, v10
	v_mul_f32_e32 v11, v10, v10
	v_mov_b32_e32 v17, 0xbc7a590c
	v_fmac_f32_e32 v17, 0x3b2d2a58, v11
	v_fma_f32 v17, v11, v17, v27
	v_fma_f32 v17, v11, v17, v28
	;; [unrolled: 1-line block ×6, first 2 shown]
	v_mul_f32_e32 v11, v11, v17
	v_fmac_f32_e32 v10, v10, v11
	v_sub_f32_e32 v11, 0x3fc90fdb, v10
	v_cmp_gt_f32_e64 vcc, v1, |v9|
	v_cndmask_b32_e32 v10, v10, v11, vcc
	v_sub_f32_e32 v11, 0x40490fdb, v10
	v_cmp_gt_f32_e32 vcc, 0, v9
	v_cmp_gt_i32_e64 s[6:7], 0, v9
	v_cndmask_b32_e32 v10, v10, v11, vcc
	v_cndmask_b32_e64 v11, 0, v38, s[6:7]
	v_cmp_eq_f32_e64 s[6:7], 0, v1
	v_cndmask_b32_e64 v10, v10, v11, s[6:7]
	v_cndmask_b32_e32 v11, v39, v40, vcc
	v_cmp_class_f32_e64 s[6:7], v9, s60
	v_cmp_eq_f32_e32 vcc, s56, v1
	s_and_b64 vcc, vcc, s[6:7]
	v_cndmask_b32_e32 v1, v10, v11, vcc
	v_cmp_o_f32_e32 vcc, v9, v9
	v_cndmask_b32_e64 v10, v34, |v1|, vcc
.LBB69_70:                              ;   in Loop: Header=BB69_4 Depth=1
	s_or_b64 exec, exec, s[42:43]
                                        ; implicit-def: $vgpr1
	s_andn2_saveexec_b64 s[6:7], s[44:45]
	s_cbranch_execnz .LBB69_72
	s_branch .LBB69_73
.LBB69_71:                              ;   in Loop: Header=BB69_4 Depth=1
	s_andn2_saveexec_b64 s[6:7], s[44:45]
	s_cbranch_execz .LBB69_73
.LBB69_72:                              ;   in Loop: Header=BB69_4 Depth=1
	v_min_f32_e32 v9, 2.0, v1
	v_max_f32_e32 v1, 2.0, v1
	v_frexp_mant_f32_e32 v10, v1
	v_rcp_f32_e32 v10, v10
	v_frexp_exp_i32_f32_e32 v1, v1
	v_frexp_exp_i32_f32_e32 v11, v9
	v_frexp_mant_f32_e32 v9, v9
	v_mul_f32_e32 v9, v9, v10
	v_sub_u32_e32 v1, v11, v1
	v_ldexp_f32 v1, v9, v1
	v_mul_f32_e32 v9, v1, v1
	v_mov_b32_e32 v10, 0xbc7a590c
	v_fmac_f32_e32 v10, 0x3b2d2a58, v9
	v_fma_f32 v10, v9, v10, v27
	v_fma_f32 v10, v9, v10, v28
	v_fma_f32 v10, v9, v10, v29
	v_fma_f32 v10, v9, v10, v30
	v_fma_f32 v10, v9, v10, v31
	v_fma_f32 v10, v9, v10, v32
	v_mul_f32_e32 v9, v9, v10
	v_fmac_f32_e32 v1, v1, v9
	v_sub_f32_e32 v9, 0x3fc90fdb, v1
	v_cmp_lt_f32_e64 vcc, |v12|, 2.0
	v_cndmask_b32_e32 v1, v1, v9, vcc
	v_sub_f32_e32 v9, 0x40490fdb, v1
	v_cmp_lg_f32_e32 vcc, 0, v12
	v_cndmask_b32_e32 v1, v1, v9, vcc
	v_and_b32_e32 v10, 0x7fffffff, v1
.LBB69_73:                              ;   in Loop: Header=BB69_4 Depth=1
	s_or_b64 exec, exec, s[6:7]
	v_mul_f32_e32 v1, 0.5, v10
	v_bfi_b32 v9, s61, v8, v13
	v_bfi_b32 v8, s61, v1, v12
                                        ; implicit-def: $vgpr13
.LBB69_74:                              ;   in Loop: Header=BB69_4 Depth=1
	s_andn2_saveexec_b64 s[6:7], s[40:41]
	s_cbranch_execz .LBB69_76
; %bb.75:                               ;   in Loop: Header=BB69_4 Depth=1
	v_pk_mov_b32 v[8:9], s[22:23], s[22:23] op_sel:[0,1]
	flat_store_dword v[8:9], v33
	s_waitcnt vmcnt(0)
	flat_load_dword v1, v[8:9] glc
	s_waitcnt vmcnt(0)
	v_pk_mov_b32 v[8:9], s[24:25], s[24:25] op_sel:[0,1]
	s_waitcnt lgkmcnt(0)
	v_add_f32_e32 v1, 1.0, v1
	flat_store_dword v[8:9], v1
	s_waitcnt vmcnt(0)
	flat_load_dword v1, v[8:9] glc
	s_waitcnt vmcnt(0)
	v_mov_b32_e32 v9, v13
	v_mov_b32_e32 v8, v12
.LBB69_76:                              ;   in Loop: Header=BB69_4 Depth=1
	s_or_b64 exec, exec, s[6:7]
                                        ; implicit-def: $vgpr10_vgpr11_vgpr12_vgpr13
.LBB69_77:                              ;   in Loop: Header=BB69_4 Depth=1
	s_andn2_saveexec_b64 s[6:7], s[38:39]
	s_cbranch_execz .LBB69_91
; %bb.78:                               ;   in Loop: Header=BB69_4 Depth=1
	v_and_b32_e32 v8, 0x7f800000, v12
	s_waitcnt lgkmcnt(0)
	v_and_b32_e32 v1, 0x7f800000, v13
	v_sub_u32_e32 v9, v1, v8
	v_cmp_gt_i32_e32 vcc, s62, v9
	v_cmp_neq_f32_e64 s[38:39], |v13|, s56
	s_and_b64 s[38:39], s[38:39], vcc
	s_and_saveexec_b64 s[40:41], s[38:39]
	s_xor_b64 s[38:39], exec, s[40:41]
	s_cbranch_execz .LBB69_88
; %bb.79:                               ;   in Loop: Header=BB69_4 Depth=1
	v_sub_u32_e32 v8, v8, v1
	v_cmp_gt_i32_e32 vcc, s62, v8
	s_and_saveexec_b64 s[40:41], vcc
	s_xor_b64 s[40:41], exec, s[40:41]
	s_cbranch_execz .LBB69_85
; %bb.80:                               ;   in Loop: Header=BB69_4 Depth=1
	v_cmp_lt_u32_e32 vcc, s63, v1
	s_and_saveexec_b64 s[42:43], vcc
	s_xor_b64 s[42:43], exec, s[42:43]
	s_cbranch_execz .LBB69_82
; %bb.81:                               ;   in Loop: Header=BB69_4 Depth=1
	v_sub_u32_e32 v1, 0x7f800000, v1
	v_mul_f32_e32 v9, v12, v1
	v_mul_f32_e32 v8, v13, v1
	;; [unrolled: 1-line block ×3, first 2 shown]
	v_fmac_f32_e32 v9, v8, v8
	v_div_scale_f32 v10, s[44:45], v9, v9, v8
	v_rcp_f32_e32 v11, v10
	v_fma_f32 v17, -v10, v11, 1.0
	v_fmac_f32_e32 v11, v17, v11
	v_div_scale_f32 v17, vcc, v8, v9, v8
	v_mul_f32_e32 v19, v17, v11
	v_fma_f32 v42, -v10, v19, v17
	v_fmac_f32_e32 v19, v42, v11
	v_fma_f32 v10, -v10, v19, v17
	v_div_fmas_f32 v10, v10, v11, v19
	v_div_fixup_f32 v8, v10, v9, v8
	v_mul_f32_e32 v9, v8, v1
.LBB69_82:                              ;   in Loop: Header=BB69_4 Depth=1
	s_andn2_saveexec_b64 s[42:43], s[42:43]
	s_cbranch_execz .LBB69_84
; %bb.83:                               ;   in Loop: Header=BB69_4 Depth=1
	v_pk_mul_f32 v[8:9], v[12:13], v[12:13]
	v_add_f32_e32 v1, v8, v9
	v_div_scale_f32 v8, s[44:45], v1, v1, v13
	v_rcp_f32_e32 v9, v8
	v_div_scale_f32 v10, vcc, v13, v1, v13
	v_fma_f32 v11, -v8, v9, 1.0
	v_fmac_f32_e32 v9, v11, v9
	v_mul_f32_e32 v11, v10, v9
	v_fma_f32 v17, -v8, v11, v10
	v_fmac_f32_e32 v11, v17, v9
	v_fma_f32 v8, -v8, v11, v10
	v_div_fmas_f32 v8, v8, v9, v11
	v_div_fixup_f32 v9, v8, v1, v13
.LBB69_84:                              ;   in Loop: Header=BB69_4 Depth=1
	s_or_b64 exec, exec, s[42:43]
.LBB69_85:                              ;   in Loop: Header=BB69_4 Depth=1
	s_andn2_saveexec_b64 s[40:41], s[40:41]
	s_cbranch_execz .LBB69_87
; %bb.86:                               ;   in Loop: Header=BB69_4 Depth=1
	v_div_scale_f32 v1, s[42:43], v12, v12, v13
	v_rcp_f32_e32 v8, v1
	v_div_scale_f32 v9, vcc, v13, v12, v13
	v_fma_f32 v10, -v1, v8, 1.0
	v_fmac_f32_e32 v8, v10, v8
	v_mul_f32_e32 v10, v9, v8
	v_fma_f32 v11, -v1, v10, v9
	v_fmac_f32_e32 v10, v11, v8
	v_fma_f32 v1, -v1, v10, v9
	v_div_fmas_f32 v1, v1, v8, v10
	v_div_fixup_f32 v1, v1, v12, v13
	v_div_scale_f32 v8, s[42:43], v12, v12, v1
	v_rcp_f32_e32 v9, v8
	v_fma_f32 v10, -v8, v9, 1.0
	v_fmac_f32_e32 v9, v10, v9
	v_div_scale_f32 v10, vcc, v1, v12, v1
	v_mul_f32_e32 v11, v10, v9
	v_fma_f32 v17, -v8, v11, v10
	v_fmac_f32_e32 v11, v17, v9
	v_fma_f32 v8, -v8, v11, v10
	v_div_fmas_f32 v8, v8, v9, v11
	v_div_fixup_f32 v9, v8, v12, v1
.LBB69_87:                              ;   in Loop: Header=BB69_4 Depth=1
	s_or_b64 exec, exec, s[40:41]
.LBB69_88:                              ;   in Loop: Header=BB69_4 Depth=1
	s_andn2_saveexec_b64 s[38:39], s[38:39]
; %bb.89:                               ;   in Loop: Header=BB69_4 Depth=1
	v_div_scale_f32 v1, s[40:41], v13, v13, 1.0
	v_rcp_f32_e32 v8, v1
	v_div_scale_f32 v9, vcc, 1.0, v13, 1.0
	v_fma_f32 v10, -v1, v8, 1.0
	v_fmac_f32_e32 v8, v10, v8
	v_mul_f32_e32 v10, v9, v8
	v_fma_f32 v11, -v1, v10, v9
	v_fmac_f32_e32 v10, v11, v8
	v_fma_f32 v1, -v1, v10, v9
	v_div_fmas_f32 v1, v1, v8, v10
	v_div_fixup_f32 v9, v1, v13, 1.0
; %bb.90:                               ;   in Loop: Header=BB69_4 Depth=1
	s_or_b64 exec, exec, s[38:39]
	v_pk_mov_b32 v[10:11], s[20:21], s[20:21] op_sel:[0,1]
	flat_load_dword v1, v[10:11] glc
	s_waitcnt vmcnt(0) lgkmcnt(0)
	v_add_f32_e32 v1, 0x3fc90fdb, v1
	v_bfi_b32 v8, s61, v1, v12
.LBB69_91:                              ;   in Loop: Header=BB69_4 Depth=1
	s_or_b64 exec, exec, s[6:7]
                                        ; implicit-def: $vgpr10_vgpr11_vgpr12_vgpr13
.LBB69_92:                              ;   in Loop: Header=BB69_4 Depth=1
	s_andn2_saveexec_b64 s[6:7], s[36:37]
	s_cbranch_execz .LBB69_102
; %bb.93:                               ;   in Loop: Header=BB69_4 Depth=1
	v_cmp_neq_f32_e64 s[36:37], |v13|, s56
	s_and_saveexec_b64 s[38:39], s[36:37]
	s_xor_b64 s[36:37], exec, s[38:39]
	s_cbranch_execz .LBB69_99
; %bb.94:                               ;   in Loop: Header=BB69_4 Depth=1
	v_cmp_neq_f32_e64 s[38:39], |v12|, s56
	s_and_saveexec_b64 s[40:41], s[38:39]
	s_xor_b64 s[38:39], exec, s[40:41]
	s_cbranch_execz .LBB69_96
; %bb.95:                               ;   in Loop: Header=BB69_4 Depth=1
	s_waitcnt lgkmcnt(0)
	v_add_f32_e32 v1, 0, v12
	v_add_f32_e32 v9, v1, v13
                                        ; implicit-def: $vgpr12_vgpr13
.LBB69_96:                              ;   in Loop: Header=BB69_4 Depth=1
	s_or_saveexec_b64 s[38:39], s[38:39]
	v_mov_b32_e32 v8, v9
	s_xor_b64 exec, exec, s[38:39]
	s_cbranch_execz .LBB69_98
; %bb.97:                               ;   in Loop: Header=BB69_4 Depth=1
	v_pk_mov_b32 v[8:9], s[20:21], s[20:21] op_sel:[0,1]
	s_waitcnt lgkmcnt(0)
	flat_load_dword v1, v[8:9] glc
	s_waitcnt vmcnt(0)
	v_bfi_b32 v9, s61, 0, v13
	s_waitcnt lgkmcnt(0)
	v_add_f32_e32 v1, 0x3fc90fdb, v1
	v_bfi_b32 v8, s61, v1, v12
.LBB69_98:                              ;   in Loop: Header=BB69_4 Depth=1
	s_or_b64 exec, exec, s[38:39]
                                        ; implicit-def: $vgpr10_vgpr11_vgpr12_vgpr13
.LBB69_99:                              ;   in Loop: Header=BB69_4 Depth=1
	s_andn2_saveexec_b64 s[36:37], s[36:37]
; %bb.100:                              ;   in Loop: Header=BB69_4 Depth=1
	v_bfi_b32 v9, s61, 0, v13
	v_add_f32_e32 v8, v12, v12
; %bb.101:                              ;   in Loop: Header=BB69_4 Depth=1
	s_or_b64 exec, exec, s[36:37]
.LBB69_102:                             ;   in Loop: Header=BB69_4 Depth=1
	s_or_b64 exec, exec, s[6:7]
                                        ; implicit-def: $vgpr10_vgpr11_vgpr12_vgpr13
.LBB69_103:                             ;   in Loop: Header=BB69_4 Depth=1
	s_andn2_saveexec_b64 s[6:7], s[34:35]
	s_cbranch_execz .LBB69_105
; %bb.104:                              ;   in Loop: Header=BB69_4 Depth=1
	s_waitcnt lgkmcnt(0)
	v_rcp_f32_e64 v1, |v12|
	v_cmp_gt_f32_e64 vcc, |v12|, 1.0
	v_mov_b32_e32 v8, 0xbc7a590c
	v_cndmask_b32_e64 v1, |v12|, v1, vcc
	v_mul_f32_e32 v9, v1, v1
	v_fmac_f32_e32 v8, 0x3b2d2a58, v9
	v_fma_f32 v8, v9, v8, v27
	v_fma_f32 v8, v9, v8, v28
	;; [unrolled: 1-line block ×6, first 2 shown]
	v_mul_f32_e32 v8, v9, v8
	v_fmac_f32_e32 v1, v1, v8
	v_sub_f32_e32 v8, 0x3fc90fdb, v1
	v_cndmask_b32_e32 v1, v1, v8, vcc
	v_bfi_b32 v8, s61, v1, v12
	v_mov_b32_e32 v9, v13
.LBB69_105:                             ;   in Loop: Header=BB69_4 Depth=1
	s_or_b64 exec, exec, s[6:7]
                                        ; implicit-def: $vgpr10_vgpr11_vgpr12_vgpr13
.LBB69_106:                             ;   in Loop: Header=BB69_4 Depth=1
	s_andn2_saveexec_b64 s[6:7], s[30:31]
	s_cbranch_execz .LBB69_108
; %bb.107:                              ;   in Loop: Header=BB69_4 Depth=1
	s_waitcnt lgkmcnt(0)
	v_sub_f32_e64 v1, 1.0, |v13|
	v_rcp_f32_e32 v17, v1
	v_add_f32_e64 v10, |v13|, 1.0
	v_sub_f32_e32 v9, 1.0, v1
	v_sub_f32_e64 v9, v9, |v13|
	v_mul_f32_e32 v44, v10, v17
	v_mul_f32_e32 v11, v1, v44
	v_fma_f32 v19, v44, v1, -v11
	v_fmac_f32_e32 v19, v44, v9
	v_pk_add_f32 v[42:43], v[10:11], v[18:19]
	v_sub_f32_e32 v1, v43, v11
	v_sub_f32_e32 v11, v10, v43
	v_and_b32_e32 v8, 0x7fffffff, v13
	v_sub_f32_e32 v9, v10, v11
	v_pk_add_f32 v[8:9], v[8:9], v[42:43] neg_lo:[0,1] neg_hi:[0,1]
	v_sub_f32_e32 v1, v1, v19
	v_add_f32_e32 v1, v1, v9
	v_add_f32_e32 v1, v8, v1
	v_add_f32_e32 v1, v11, v1
	v_mul_f32_e32 v1, v17, v1
	v_add_f32_e32 v10, v44, v1
	v_sub_f32_e32 v8, v10, v44
	v_sub_f32_e32 v1, v1, v8
	v_frexp_mant_f32_e32 v11, v10
	v_cvt_f64_f32_e32 v[8:9], v10
	v_frexp_exp_i32_f64_e32 v8, v[8:9]
	v_cmp_gt_f32_e32 vcc, s54, v11
	v_subbrev_co_u32_e32 v19, vcc, 0, v8, vcc
	v_sub_u32_e32 v8, 0, v19
	v_ldexp_f32 v9, v10, v8
	v_ldexp_f32 v1, v1, v8
	v_add_f32_e32 v8, -1.0, v9
	v_add_f32_e32 v11, 1.0, v9
	v_add_f32_e32 v10, 1.0, v8
	v_add_f32_e32 v17, -1.0, v11
	v_sub_f32_e32 v10, v9, v10
	v_sub_f32_e32 v9, v9, v17
	v_add_f32_e32 v10, v1, v10
	v_add_f32_e32 v1, v1, v9
	;; [unrolled: 1-line block ×3, first 2 shown]
	v_rcp_f32_e32 v46, v17
	v_sub_f32_e32 v9, v17, v11
	v_sub_f32_e32 v1, v1, v9
	v_add_f32_e32 v9, v8, v10
	v_sub_f32_e32 v8, v9, v8
	v_mul_f32_e32 v48, v9, v46
	v_sub_f32_e32 v47, v10, v8
	v_mul_f32_e32 v10, v17, v48
	v_fma_f32 v42, v48, v17, -v10
	v_fmac_f32_e32 v42, v48, v1
	v_add_f32_e32 v8, v10, v42
	v_sub_f32_e32 v11, v9, v8
	v_pk_add_f32 v[44:45], v[8:9], v[10:11] neg_lo:[0,1] neg_hi:[0,1]
	v_mov_b32_e32 v43, v8
	v_pk_add_f32 v[8:9], v[44:45], v[42:43] neg_lo:[0,1] neg_hi:[0,1]
	v_add_f32_e32 v9, v47, v9
	v_add_f32_e32 v8, v8, v9
	;; [unrolled: 1-line block ×3, first 2 shown]
	v_mul_f32_e32 v47, v46, v9
	v_mul_f32_e32 v10, v17, v47
	v_fma_f32 v42, v47, v17, -v10
	v_fmac_f32_e32 v42, v47, v1
	v_sub_f32_e32 v1, v11, v9
	v_add_f32_e32 v1, v8, v1
	v_add_f32_e32 v8, v10, v42
	v_sub_f32_e32 v11, v9, v8
	v_pk_add_f32 v[44:45], v[8:9], v[10:11] neg_lo:[0,1] neg_hi:[0,1]
	v_mov_b32_e32 v43, v8
	v_pk_add_f32 v[8:9], v[44:45], v[42:43] neg_lo:[0,1] neg_hi:[0,1]
	v_add_f32_e32 v1, v1, v9
	v_add_f32_e32 v1, v8, v1
	;; [unrolled: 1-line block ×4, first 2 shown]
	v_sub_f32_e32 v8, v9, v48
	v_mul_f32_e32 v1, v46, v1
	v_sub_f32_e32 v8, v47, v8
	v_add_f32_e32 v1, v8, v1
	v_add_f32_e32 v10, v9, v1
	v_mul_f32_e32 v42, v10, v10
	v_mov_b32_e32 v8, 0x3ecc95a3
	v_fmac_f32_e32 v8, 0x3e9b6dac, v42
	v_fma_f32 v17, v42, v8, v26
	v_cvt_f32_i32_e32 v8, v19
	v_sub_f32_e32 v9, v10, v9
	v_sub_f32_e32 v1, v1, v9
	v_mul_f32_e32 v9, v10, v42
	v_pk_mul_f32 v[42:43], v[8:9], v[16:17]
	v_ldexp_f32 v11, v10, 1
	v_fma_f32 v10, v8, s55, -v42
	v_fmac_f32_e32 v10, 0xb102e308, v8
	v_pk_add_f32 v[8:9], v[42:43], v[10:11]
	v_sub_f32_e32 v11, v9, v11
	v_ldexp_f32 v1, v1, 1
	v_sub_f32_e32 v11, v43, v11
	v_add_f32_e32 v45, v1, v11
	v_mov_b32_e32 v44, v42
	v_pk_add_f32 v[42:43], v[8:9], v[42:43] neg_lo:[0,1] neg_hi:[0,1]
	v_pk_add_f32 v[46:47], v[8:9], v[44:45]
	v_mov_b32_e32 v43, v47
	v_mov_b32_e32 v11, v8
	v_pk_add_f32 v[48:49], v[10:11], v[42:43] neg_lo:[0,1] neg_hi:[0,1]
	v_pk_add_f32 v[10:11], v[10:11], v[42:43]
	v_mov_b32_e32 v42, v11
	v_pk_add_f32 v[50:51], v[42:43], v[8:9] neg_lo:[0,1] neg_hi:[0,1]
	v_mov_b32_e32 v1, v50
	v_pk_add_f32 v[52:53], v[46:47], v[0:1] neg_lo:[0,1] neg_hi:[0,1]
	v_mov_b32_e32 v10, v47
	v_mov_b32_e32 v46, v9
	v_mov_b32_e32 v47, v50
	v_mov_b32_e32 v49, v11
	v_pk_add_f32 v[10:11], v[10:11], v[46:47] neg_lo:[0,1] neg_hi:[0,1]
	v_mov_b32_e32 v44, v45
	v_mov_b32_e32 v45, v8
	v_pk_add_f32 v[8:9], v[44:45], v[10:11] neg_lo:[0,1] neg_hi:[0,1]
	v_mov_b32_e32 v52, v48
	v_pk_add_f32 v[10:11], v[52:53], v[8:9]
	v_mov_b32_e32 v44, v11
	v_pk_add_f32 v[44:45], v[10:11], v[44:45]
	v_pk_add_f32 v[42:43], v[42:43], v[44:45]
	v_mov_b32_e32 v11, v42
	v_pk_add_f32 v[46:47], v[10:11], v[48:49] neg_lo:[0,1] neg_hi:[0,1]
	v_mov_b32_e32 v9, v44
	v_sub_f32_e32 v1, v10, v46
	v_pk_add_f32 v[8:9], v[8:9], v[46:47] neg_lo:[0,1] neg_hi:[0,1]
	v_sub_f32_e32 v1, v48, v1
	v_add_f32_e32 v1, v8, v1
	v_add_f32_e32 v1, v1, v9
	;; [unrolled: 1-line block ×3, first 2 shown]
	v_mul_f32_e32 v1, 0.5, v1
	v_cmp_lt_f32_e64 s[30:31], |v13|, s64
	v_cndmask_b32_e64 v1, v1, |v13|, s[30:31]
	v_cmp_ngt_f32_e64 vcc, |v13|, 1.0
	v_cndmask_b32_e32 v1, v34, v1, vcc
	v_cmp_neq_f32_e64 vcc, |v13|, 1.0
	v_cndmask_b32_e32 v1, v41, v1, vcc
	v_bfi_b32 v9, s61, v1, v13
	v_mov_b32_e32 v8, v12
.LBB69_108:                             ;   in Loop: Header=BB69_4 Depth=1
	s_or_b64 exec, exec, s[6:7]
	v_cmp_neq_f32_e32 vcc, 0, v2
	v_cmp_nle_f32_e64 s[6:7], |v3|, 1.0
	v_pk_mov_b32 v[10:11], s[20:21], s[20:21] op_sel:[0,1]
	s_or_b64 s[6:7], vcc, s[6:7]
	flat_store_dword v[10:11], v25
	s_waitcnt vmcnt(0)
                                        ; implicit-def: $vgpr11
	s_and_saveexec_b64 s[30:31], s[6:7]
	s_xor_b64 s[30:31], exec, s[30:31]
	s_cbranch_execz .LBB69_158
; %bb.109:                              ;   in Loop: Header=BB69_4 Depth=1
	v_cmp_neq_f32_e32 vcc, 0, v3
                                        ; implicit-def: $vgpr11
	s_and_saveexec_b64 s[6:7], vcc
	s_xor_b64 s[34:35], exec, s[6:7]
	s_cbranch_execz .LBB69_155
; %bb.110:                              ;   in Loop: Header=BB69_4 Depth=1
	v_cmp_o_f32_e32 vcc, v3, v2
                                        ; implicit-def: $vgpr11
	s_and_saveexec_b64 s[6:7], vcc
	s_xor_b64 s[36:37], exec, s[6:7]
	s_cbranch_execz .LBB69_144
; %bb.111:                              ;   in Loop: Header=BB69_4 Depth=1
	v_max_f32_e64 v10, |v3|, |v3|
	s_waitcnt lgkmcnt(0)
	v_max_f32_e64 v1, |v2|, |v2|
	v_max_f32_e32 v10, v1, v10
	v_cmp_nlt_f32_e32 vcc, s50, v10
                                        ; implicit-def: $vgpr11
	s_and_saveexec_b64 s[6:7], vcc
	s_xor_b64 s[38:39], exec, s[6:7]
	s_cbranch_execz .LBB69_129
; %bb.112:                              ;   in Loop: Header=BB69_4 Depth=1
	v_cmp_nlt_f32_e64 s[6:7], |v3|, s51
	v_cmp_nlt_f32_e64 s[40:41], |v2|, s51
	s_or_b64 s[6:7], s[40:41], s[6:7]
                                        ; implicit-def: $vgpr11
	s_and_saveexec_b64 s[40:41], s[6:7]
	s_xor_b64 s[40:41], exec, s[40:41]
	s_cbranch_execz .LBB69_126
; %bb.113:                              ;   in Loop: Header=BB69_4 Depth=1
	v_cmp_neq_f32_e64 s[44:45], |v3|, 1.0
	v_cmp_nlt_f32_e64 s[42:43], |v2|, s52
	s_or_b64 s[6:7], s[42:43], s[44:45]
                                        ; implicit-def: $vgpr10
	s_and_saveexec_b64 s[46:47], s[6:7]
	s_xor_b64 s[6:7], exec, s[46:47]
	s_cbranch_execz .LBB69_115
; %bb.114:                              ;   in Loop: Header=BB69_4 Depth=1
	v_add_f32_e64 v11, |v3|, -1.0
	v_mul_f32_e32 v13, v2, v2
	v_mul_f32_e32 v12, v11, v11
	v_fmac_f32_e32 v13, v11, v11
	v_cmp_lt_f32_e64 vcc, |v2|, s53
	v_mul_f32_e64 v10, |v3|, 4.0
	v_cndmask_b32_e32 v11, v13, v12, vcc
	v_div_scale_f32 v12, s[46:47], v11, v11, v10
	v_rcp_f32_e32 v13, v12
	v_fma_f32 v17, -v12, v13, 1.0
	v_fmac_f32_e32 v13, v17, v13
	v_div_scale_f32 v17, vcc, v10, v11, v10
	v_mul_f32_e32 v19, v17, v13
	v_fma_f32 v42, -v12, v19, v17
	v_fmac_f32_e32 v19, v42, v13
	v_fma_f32 v12, -v12, v19, v17
	v_div_fmas_f32 v12, v12, v13, v19
	v_div_fixup_f32 v10, v12, v11, v10
	v_add_f32_e32 v13, 1.0, v10
	v_add_f32_e32 v11, -1.0, v13
	v_mov_b32_e32 v12, v11
	v_pk_add_f32 v[42:43], v[10:11], v[12:13] neg_lo:[0,1] neg_hi:[0,1]
	v_add_f32_e32 v11, 1.0, v43
	v_add_f32_e32 v11, v42, v11
	v_frexp_mant_f32_e32 v12, v13
	v_cvt_f64_f32_e32 v[42:43], v13
	v_frexp_exp_i32_f64_e32 v17, v[42:43]
	v_cmp_gt_f32_e32 vcc, s54, v12
	v_subbrev_co_u32_e32 v19, vcc, 0, v17, vcc
	v_sub_u32_e32 v12, 0, v19
	v_ldexp_f32 v13, v13, v12
	v_ldexp_f32 v11, v11, v12
	v_add_f32_e32 v12, -1.0, v13
	v_add_f32_e32 v42, 1.0, v13
	v_add_f32_e32 v17, 1.0, v12
	v_add_f32_e32 v43, -1.0, v42
	v_sub_f32_e32 v17, v13, v17
	v_sub_f32_e32 v13, v13, v43
	v_add_f32_e32 v17, v11, v17
	v_add_f32_e32 v11, v11, v13
	;; [unrolled: 1-line block ×3, first 2 shown]
	v_rcp_f32_e32 v49, v48
	v_sub_f32_e32 v13, v48, v42
	v_sub_f32_e32 v11, v11, v13
	v_add_f32_e32 v13, v12, v17
	v_mul_f32_e32 v50, v13, v49
	v_mul_f32_e32 v42, v48, v50
	v_fma_f32 v44, v50, v48, -v42
	v_sub_f32_e32 v12, v13, v12
	v_fmac_f32_e32 v44, v50, v11
	v_sub_f32_e32 v17, v17, v12
	v_add_f32_e32 v12, v42, v44
	v_sub_f32_e32 v43, v13, v12
	v_pk_add_f32 v[46:47], v[12:13], v[42:43] neg_lo:[0,1] neg_hi:[0,1]
	v_mov_b32_e32 v45, v12
	v_pk_add_f32 v[12:13], v[46:47], v[44:45] neg_lo:[0,1] neg_hi:[0,1]
	v_add_f32_e32 v13, v17, v13
	v_add_f32_e32 v12, v12, v13
	;; [unrolled: 1-line block ×3, first 2 shown]
	v_mul_f32_e32 v17, v49, v13
	v_mul_f32_e32 v42, v48, v17
	v_fma_f32 v44, v17, v48, -v42
	v_fmac_f32_e32 v44, v17, v11
	v_sub_f32_e32 v11, v43, v13
	v_add_f32_e32 v11, v12, v11
	v_add_f32_e32 v12, v42, v44
	v_sub_f32_e32 v43, v13, v12
	v_pk_add_f32 v[46:47], v[12:13], v[42:43] neg_lo:[0,1] neg_hi:[0,1]
	v_mov_b32_e32 v45, v12
	v_pk_add_f32 v[12:13], v[46:47], v[44:45] neg_lo:[0,1] neg_hi:[0,1]
	v_add_f32_e32 v11, v11, v13
	v_add_f32_e32 v11, v12, v11
	;; [unrolled: 1-line block ×4, first 2 shown]
	v_sub_f32_e32 v12, v13, v50
	v_mul_f32_e32 v11, v49, v11
	v_sub_f32_e32 v12, v17, v12
	v_add_f32_e32 v11, v12, v11
	v_add_f32_e32 v42, v13, v11
	v_mul_f32_e32 v44, v42, v42
	v_mov_b32_e32 v12, 0x3ecc95a3
	v_fmac_f32_e32 v12, 0x3e9b6dac, v44
	v_fma_f32 v17, v44, v12, v26
	v_cvt_f32_i32_e32 v12, v19
	v_sub_f32_e32 v13, v42, v13
	v_sub_f32_e32 v11, v11, v13
	v_mul_f32_e32 v13, v42, v44
	v_pk_mul_f32 v[44:45], v[12:13], v[16:17]
	v_ldexp_f32 v43, v42, 1
	v_fma_f32 v42, v12, s55, -v44
	v_fmac_f32_e32 v42, 0xb102e308, v12
	v_pk_add_f32 v[12:13], v[44:45], v[42:43]
	v_sub_f32_e32 v17, v13, v43
	v_ldexp_f32 v11, v11, 1
	v_sub_f32_e32 v17, v45, v17
	v_add_f32_e32 v47, v11, v17
	v_mov_b32_e32 v46, v44
	v_pk_add_f32 v[44:45], v[12:13], v[44:45] neg_lo:[0,1] neg_hi:[0,1]
	v_pk_add_f32 v[48:49], v[12:13], v[46:47]
	v_mov_b32_e32 v45, v49
	v_mov_b32_e32 v43, v12
	v_pk_add_f32 v[50:51], v[42:43], v[44:45] neg_lo:[0,1] neg_hi:[0,1]
	v_pk_add_f32 v[42:43], v[42:43], v[44:45]
	v_mov_b32_e32 v44, v43
	v_pk_add_f32 v[52:53], v[44:45], v[12:13] neg_lo:[0,1] neg_hi:[0,1]
	v_mov_b32_e32 v11, v52
	v_pk_add_f32 v[54:55], v[48:49], v[10:11] neg_lo:[0,1] neg_hi:[0,1]
	v_mov_b32_e32 v42, v49
	v_mov_b32_e32 v48, v13
	;; [unrolled: 1-line block ×4, first 2 shown]
	v_pk_add_f32 v[42:43], v[42:43], v[48:49] neg_lo:[0,1] neg_hi:[0,1]
	v_mov_b32_e32 v46, v47
	v_mov_b32_e32 v47, v12
	v_pk_add_f32 v[12:13], v[46:47], v[42:43] neg_lo:[0,1] neg_hi:[0,1]
	v_mov_b32_e32 v54, v50
	v_pk_add_f32 v[42:43], v[54:55], v[12:13]
	v_mov_b32_e32 v46, v43
	v_pk_add_f32 v[46:47], v[42:43], v[46:47]
	v_pk_add_f32 v[44:45], v[44:45], v[46:47]
	v_mov_b32_e32 v43, v44
	v_pk_add_f32 v[48:49], v[42:43], v[50:51] neg_lo:[0,1] neg_hi:[0,1]
	v_mov_b32_e32 v13, v46
	v_sub_f32_e32 v11, v42, v48
	v_pk_add_f32 v[12:13], v[12:13], v[48:49] neg_lo:[0,1] neg_hi:[0,1]
	v_sub_f32_e32 v11, v50, v11
	v_add_f32_e32 v11, v12, v11
	v_add_f32_e32 v11, v11, v13
	;; [unrolled: 1-line block ×3, first 2 shown]
	v_cmp_eq_f32_e32 vcc, s56, v10
	v_cndmask_b32_e32 v11, v11, v10, vcc
	v_cmp_ngt_f32_e32 vcc, -1.0, v10
	v_cndmask_b32_e32 v11, v34, v11, vcc
	v_cmp_neq_f32_e32 vcc, -1.0, v10
	v_cndmask_b32_e32 v11, v35, v11, vcc
	v_cmp_lt_f32_e64 vcc, |v10|, s57
	v_cndmask_b32_e32 v10, v11, v10, vcc
	v_mul_f32_e32 v10, 0x3e800000, v10
	s_andn2_saveexec_b64 s[46:47], s[6:7]
	s_cbranch_execz .LBB69_117
	s_branch .LBB69_116
.LBB69_115:                             ;   in Loop: Header=BB69_4 Depth=1
	s_andn2_saveexec_b64 s[46:47], s[6:7]
	s_cbranch_execz .LBB69_117
.LBB69_116:                             ;   in Loop: Header=BB69_4 Depth=1
	v_cmp_lt_f32_e64 vcc, |v2|, s58
	v_cndmask_b32_e32 v10, 1.0, v36, vcc
	v_mul_f32_e64 v10, |v2|, v10
	v_log_f32_e32 v10, v10
	v_mul_f32_e32 v11, 0x3f317217, v10
	v_fma_f32 v12, v10, s59, -v11
	v_fmac_f32_e32 v12, 0x3377d1cf, v10
	v_add_f32_e32 v11, v11, v12
	v_cmp_lt_f32_e64 s[6:7], |v10|, s56
	v_cndmask_b32_e64 v10, v10, v11, s[6:7]
	v_cndmask_b32_e32 v11, 0, v37, vcc
	v_sub_f32_e32 v10, v10, v11
	v_sub_f32_e32 v10, 0x3f317218, v10
	v_mul_f32_e32 v10, 0.5, v10
.LBB69_117:                             ;   in Loop: Header=BB69_4 Depth=1
	s_or_b64 exec, exec, s[46:47]
                                        ; implicit-def: $vgpr12
	s_and_saveexec_b64 s[6:7], s[44:45]
	s_xor_b64 s[44:45], exec, s[6:7]
	s_cbranch_execz .LBB69_123
; %bb.118:                              ;   in Loop: Header=BB69_4 Depth=1
	v_sub_f32_e64 v11, 1.0, |v3|
	v_add_f32_e64 v12, |v3|, 1.0
	v_add_f32_e64 v1, |v2|, |v2|
	v_mul_f32_e32 v11, v11, v12
                                        ; implicit-def: $vgpr12
	s_and_saveexec_b64 s[6:7], s[42:43]
	s_xor_b64 s[42:43], exec, s[6:7]
	s_cbranch_execz .LBB69_120
; %bb.119:                              ;   in Loop: Header=BB69_4 Depth=1
	v_fma_f32 v11, -v2, v2, v11
	v_max_f32_e64 v12, |v1|, |v1|
	v_min_f32_e64 v13, |v11|, v12
	v_max_f32_e64 v12, |v11|, v12
	v_frexp_mant_f32_e32 v17, v12
	v_rcp_f32_e32 v17, v17
	v_frexp_exp_i32_f32_e32 v12, v12
	v_frexp_exp_i32_f32_e32 v19, v13
	v_frexp_mant_f32_e32 v13, v13
	v_mul_f32_e32 v13, v13, v17
	v_sub_u32_e32 v12, v19, v12
	v_ldexp_f32 v12, v13, v12
	v_mul_f32_e32 v13, v12, v12
	v_mov_b32_e32 v17, 0xbc7a590c
	v_fmac_f32_e32 v17, 0x3b2d2a58, v13
	v_fma_f32 v17, v13, v17, v27
	v_fma_f32 v17, v13, v17, v28
	;; [unrolled: 1-line block ×6, first 2 shown]
	v_mul_f32_e32 v13, v13, v17
	v_fmac_f32_e32 v12, v12, v13
	v_sub_f32_e32 v13, 0x3fc90fdb, v12
	v_cmp_gt_f32_e64 vcc, |v1|, |v11|
	v_cndmask_b32_e32 v12, v12, v13, vcc
	v_sub_f32_e32 v13, 0x40490fdb, v12
	v_cmp_gt_f32_e32 vcc, 0, v11
	v_cmp_gt_i32_e64 s[6:7], 0, v11
	v_cndmask_b32_e32 v12, v12, v13, vcc
	v_cndmask_b32_e64 v13, 0, v38, s[6:7]
	v_cmp_eq_f32_e64 s[6:7], 0, v1
	v_cndmask_b32_e64 v12, v12, v13, s[6:7]
	v_cmp_class_f32_e64 s[6:7], v11, s60
	v_cmp_class_f32_e64 s[46:47], v1, s60
	v_cndmask_b32_e32 v13, v39, v40, vcc
	s_and_b64 vcc, s[46:47], s[6:7]
	v_cndmask_b32_e32 v12, v12, v13, vcc
	v_cmp_o_f32_e32 vcc, v11, v1
	v_cndmask_b32_e32 v11, v34, v12, vcc
	v_bfi_b32 v12, s61, v11, v1
                                        ; implicit-def: $vgpr1
                                        ; implicit-def: $vgpr11
.LBB69_120:                             ;   in Loop: Header=BB69_4 Depth=1
	s_andn2_saveexec_b64 s[42:43], s[42:43]
	s_cbranch_execz .LBB69_122
; %bb.121:                              ;   in Loop: Header=BB69_4 Depth=1
	v_max_f32_e32 v12, v1, v1
	v_max_f32_e64 v13, |v11|, |v11|
	v_min_f32_e32 v17, v13, v12
	v_max_f32_e32 v12, v13, v12
	v_frexp_mant_f32_e32 v13, v12
	v_rcp_f32_e32 v13, v13
	v_frexp_exp_i32_f32_e32 v12, v12
	v_frexp_exp_i32_f32_e32 v19, v17
	v_frexp_mant_f32_e32 v17, v17
	v_mul_f32_e32 v13, v17, v13
	v_sub_u32_e32 v12, v19, v12
	v_ldexp_f32 v12, v13, v12
	v_mul_f32_e32 v13, v12, v12
	v_mov_b32_e32 v17, 0xbc7a590c
	v_fmac_f32_e32 v17, 0x3b2d2a58, v13
	v_fma_f32 v17, v13, v17, v27
	v_fma_f32 v17, v13, v17, v28
	v_fma_f32 v17, v13, v17, v29
	v_fma_f32 v17, v13, v17, v30
	v_fma_f32 v17, v13, v17, v31
	v_fma_f32 v17, v13, v17, v32
	v_mul_f32_e32 v13, v13, v17
	v_fmac_f32_e32 v12, v12, v13
	v_sub_f32_e32 v13, 0x3fc90fdb, v12
	v_cmp_gt_f32_e64 vcc, v1, |v11|
	v_cndmask_b32_e32 v12, v12, v13, vcc
	v_sub_f32_e32 v13, 0x40490fdb, v12
	v_cmp_gt_f32_e32 vcc, 0, v11
	v_cmp_gt_i32_e64 s[6:7], 0, v11
	v_cndmask_b32_e32 v12, v12, v13, vcc
	v_cndmask_b32_e64 v13, 0, v38, s[6:7]
	v_cmp_eq_f32_e64 s[6:7], 0, v1
	v_cndmask_b32_e64 v12, v12, v13, s[6:7]
	v_cndmask_b32_e32 v13, v39, v40, vcc
	v_cmp_class_f32_e64 s[6:7], v11, s60
	v_cmp_eq_f32_e32 vcc, s56, v1
	s_and_b64 vcc, vcc, s[6:7]
	v_cndmask_b32_e32 v1, v12, v13, vcc
	v_cmp_o_f32_e32 vcc, v11, v11
	v_cndmask_b32_e64 v12, v34, |v1|, vcc
.LBB69_122:                             ;   in Loop: Header=BB69_4 Depth=1
	s_or_b64 exec, exec, s[42:43]
                                        ; implicit-def: $vgpr1
	s_andn2_saveexec_b64 s[6:7], s[44:45]
	s_cbranch_execnz .LBB69_124
	s_branch .LBB69_125
.LBB69_123:                             ;   in Loop: Header=BB69_4 Depth=1
	s_andn2_saveexec_b64 s[6:7], s[44:45]
	s_cbranch_execz .LBB69_125
.LBB69_124:                             ;   in Loop: Header=BB69_4 Depth=1
	v_min_f32_e32 v11, 2.0, v1
	v_max_f32_e32 v1, 2.0, v1
	v_frexp_mant_f32_e32 v12, v1
	v_rcp_f32_e32 v12, v12
	v_frexp_exp_i32_f32_e32 v1, v1
	v_frexp_exp_i32_f32_e32 v13, v11
	v_frexp_mant_f32_e32 v11, v11
	v_mul_f32_e32 v11, v11, v12
	v_sub_u32_e32 v1, v13, v1
	v_ldexp_f32 v1, v11, v1
	v_mul_f32_e32 v11, v1, v1
	v_mov_b32_e32 v12, 0xbc7a590c
	v_fmac_f32_e32 v12, 0x3b2d2a58, v11
	v_fma_f32 v12, v11, v12, v27
	v_fma_f32 v12, v11, v12, v28
	;; [unrolled: 1-line block ×6, first 2 shown]
	v_mul_f32_e32 v11, v11, v12
	v_fmac_f32_e32 v1, v1, v11
	v_sub_f32_e32 v11, 0x3fc90fdb, v1
	v_cmp_lt_f32_e64 vcc, |v2|, 2.0
	v_cndmask_b32_e32 v1, v1, v11, vcc
	v_sub_f32_e32 v11, 0x40490fdb, v1
	v_cmp_lg_f32_e32 vcc, 0, v2
	v_cndmask_b32_e32 v1, v1, v11, vcc
	v_and_b32_e32 v12, 0x7fffffff, v1
.LBB69_125:                             ;   in Loop: Header=BB69_4 Depth=1
	s_or_b64 exec, exec, s[6:7]
	v_mul_f32_e32 v1, 0.5, v12
	v_bfi_b32 v11, s61, v10, v3
	v_bfi_b32 v10, s61, v1, v2
.LBB69_126:                             ;   in Loop: Header=BB69_4 Depth=1
	s_andn2_saveexec_b64 s[6:7], s[40:41]
	s_cbranch_execz .LBB69_128
; %bb.127:                              ;   in Loop: Header=BB69_4 Depth=1
	v_pk_mov_b32 v[10:11], s[22:23], s[22:23] op_sel:[0,1]
	flat_store_dword v[10:11], v33
	s_waitcnt vmcnt(0)
	flat_load_dword v1, v[10:11] glc
	s_waitcnt vmcnt(0)
	v_pk_mov_b32 v[10:11], s[24:25], s[24:25] op_sel:[0,1]
	s_waitcnt lgkmcnt(0)
	v_add_f32_e32 v1, 1.0, v1
	flat_store_dword v[10:11], v1
	s_waitcnt vmcnt(0)
	flat_load_dword v1, v[10:11] glc
	s_waitcnt vmcnt(0)
	v_mov_b32_e32 v11, v3
	v_mov_b32_e32 v10, v2
.LBB69_128:                             ;   in Loop: Header=BB69_4 Depth=1
	s_or_b64 exec, exec, s[6:7]
.LBB69_129:                             ;   in Loop: Header=BB69_4 Depth=1
	s_andn2_saveexec_b64 s[6:7], s[38:39]
	s_cbranch_execz .LBB69_143
; %bb.130:                              ;   in Loop: Header=BB69_4 Depth=1
	v_and_b32_e32 v10, 0x7f800000, v2
	s_waitcnt lgkmcnt(0)
	v_and_b32_e32 v1, 0x7f800000, v3
	v_sub_u32_e32 v11, v1, v10
	v_cmp_gt_i32_e32 vcc, s62, v11
	v_cmp_neq_f32_e64 s[38:39], |v3|, s56
	s_and_b64 s[38:39], s[38:39], vcc
                                        ; implicit-def: $vgpr11
	s_and_saveexec_b64 s[40:41], s[38:39]
	s_xor_b64 s[38:39], exec, s[40:41]
	s_cbranch_execz .LBB69_140
; %bb.131:                              ;   in Loop: Header=BB69_4 Depth=1
	v_sub_u32_e32 v10, v10, v1
	v_cmp_gt_i32_e32 vcc, s62, v10
                                        ; implicit-def: $vgpr11
	s_and_saveexec_b64 s[40:41], vcc
	s_xor_b64 s[40:41], exec, s[40:41]
	s_cbranch_execz .LBB69_137
; %bb.132:                              ;   in Loop: Header=BB69_4 Depth=1
	v_cmp_lt_u32_e32 vcc, s63, v1
                                        ; implicit-def: $vgpr11
	s_and_saveexec_b64 s[42:43], vcc
	s_xor_b64 s[42:43], exec, s[42:43]
	s_cbranch_execz .LBB69_134
; %bb.133:                              ;   in Loop: Header=BB69_4 Depth=1
	v_sub_u32_e32 v1, 0x7f800000, v1
	v_mul_f32_e32 v11, v2, v1
	v_mul_f32_e32 v10, v3, v1
	;; [unrolled: 1-line block ×3, first 2 shown]
	v_fmac_f32_e32 v11, v10, v10
	v_div_scale_f32 v12, s[44:45], v11, v11, v10
	v_rcp_f32_e32 v13, v12
	v_fma_f32 v17, -v12, v13, 1.0
	v_fmac_f32_e32 v13, v17, v13
	v_div_scale_f32 v17, vcc, v10, v11, v10
	v_mul_f32_e32 v19, v17, v13
	v_fma_f32 v42, -v12, v19, v17
	v_fmac_f32_e32 v19, v42, v13
	v_fma_f32 v12, -v12, v19, v17
	v_div_fmas_f32 v12, v12, v13, v19
	v_div_fixup_f32 v10, v12, v11, v10
	v_mul_f32_e32 v11, v10, v1
.LBB69_134:                             ;   in Loop: Header=BB69_4 Depth=1
	s_andn2_saveexec_b64 s[42:43], s[42:43]
	s_cbranch_execz .LBB69_136
; %bb.135:                              ;   in Loop: Header=BB69_4 Depth=1
	v_pk_mul_f32 v[10:11], v[2:3], v[2:3]
	v_add_f32_e32 v1, v10, v11
	v_div_scale_f32 v10, s[44:45], v1, v1, v3
	v_rcp_f32_e32 v11, v10
	v_div_scale_f32 v12, vcc, v3, v1, v3
	v_fma_f32 v13, -v10, v11, 1.0
	v_fmac_f32_e32 v11, v13, v11
	v_mul_f32_e32 v13, v12, v11
	v_fma_f32 v17, -v10, v13, v12
	v_fmac_f32_e32 v13, v17, v11
	v_fma_f32 v10, -v10, v13, v12
	v_div_fmas_f32 v10, v10, v11, v13
	v_div_fixup_f32 v11, v10, v1, v3
.LBB69_136:                             ;   in Loop: Header=BB69_4 Depth=1
	s_or_b64 exec, exec, s[42:43]
.LBB69_137:                             ;   in Loop: Header=BB69_4 Depth=1
	s_andn2_saveexec_b64 s[40:41], s[40:41]
	s_cbranch_execz .LBB69_139
; %bb.138:                              ;   in Loop: Header=BB69_4 Depth=1
	v_div_scale_f32 v1, s[42:43], v2, v2, v3
	v_rcp_f32_e32 v10, v1
	v_div_scale_f32 v11, vcc, v3, v2, v3
	v_fma_f32 v12, -v1, v10, 1.0
	v_fmac_f32_e32 v10, v12, v10
	v_mul_f32_e32 v12, v11, v10
	v_fma_f32 v13, -v1, v12, v11
	v_fmac_f32_e32 v12, v13, v10
	v_fma_f32 v1, -v1, v12, v11
	v_div_fmas_f32 v1, v1, v10, v12
	v_div_fixup_f32 v1, v1, v2, v3
	v_div_scale_f32 v10, s[42:43], v2, v2, v1
	v_rcp_f32_e32 v11, v10
	v_fma_f32 v12, -v10, v11, 1.0
	v_fmac_f32_e32 v11, v12, v11
	v_div_scale_f32 v12, vcc, v1, v2, v1
	v_mul_f32_e32 v13, v12, v11
	v_fma_f32 v17, -v10, v13, v12
	v_fmac_f32_e32 v13, v17, v11
	v_fma_f32 v10, -v10, v13, v12
	v_div_fmas_f32 v10, v10, v11, v13
	v_div_fixup_f32 v11, v10, v2, v1
.LBB69_139:                             ;   in Loop: Header=BB69_4 Depth=1
	s_or_b64 exec, exec, s[40:41]
.LBB69_140:                             ;   in Loop: Header=BB69_4 Depth=1
	s_andn2_saveexec_b64 s[38:39], s[38:39]
; %bb.141:                              ;   in Loop: Header=BB69_4 Depth=1
	v_div_scale_f32 v1, s[40:41], v3, v3, 1.0
	v_rcp_f32_e32 v10, v1
	v_div_scale_f32 v11, vcc, 1.0, v3, 1.0
	v_fma_f32 v12, -v1, v10, 1.0
	v_fmac_f32_e32 v10, v12, v10
	v_mul_f32_e32 v12, v11, v10
	v_fma_f32 v13, -v1, v12, v11
	v_fmac_f32_e32 v12, v13, v10
	v_fma_f32 v1, -v1, v12, v11
	v_div_fmas_f32 v1, v1, v10, v12
	v_div_fixup_f32 v11, v1, v3, 1.0
; %bb.142:                              ;   in Loop: Header=BB69_4 Depth=1
	s_or_b64 exec, exec, s[38:39]
	v_pk_mov_b32 v[12:13], s[20:21], s[20:21] op_sel:[0,1]
	flat_load_dword v1, v[12:13] glc
	s_waitcnt vmcnt(0) lgkmcnt(0)
	v_add_f32_e32 v1, 0x3fc90fdb, v1
	v_bfi_b32 v10, s61, v1, v2
.LBB69_143:                             ;   in Loop: Header=BB69_4 Depth=1
	s_or_b64 exec, exec, s[6:7]
.LBB69_144:                             ;   in Loop: Header=BB69_4 Depth=1
	s_andn2_saveexec_b64 s[6:7], s[36:37]
	s_cbranch_execz .LBB69_154
; %bb.145:                              ;   in Loop: Header=BB69_4 Depth=1
	v_cmp_neq_f32_e64 s[36:37], |v3|, s56
                                        ; implicit-def: $vgpr11
	s_and_saveexec_b64 s[38:39], s[36:37]
	s_xor_b64 s[36:37], exec, s[38:39]
	s_cbranch_execz .LBB69_151
; %bb.146:                              ;   in Loop: Header=BB69_4 Depth=1
	v_cmp_neq_f32_e64 s[38:39], |v2|, s56
                                        ; implicit-def: $vgpr11
	s_and_saveexec_b64 s[40:41], s[38:39]
	s_xor_b64 s[38:39], exec, s[40:41]
	s_cbranch_execz .LBB69_148
; %bb.147:                              ;   in Loop: Header=BB69_4 Depth=1
	s_waitcnt lgkmcnt(0)
	v_add_f32_e32 v1, 0, v2
	v_add_f32_e32 v11, v1, v3
.LBB69_148:                             ;   in Loop: Header=BB69_4 Depth=1
	s_or_saveexec_b64 s[38:39], s[38:39]
	v_mov_b32_e32 v10, v11
	s_xor_b64 exec, exec, s[38:39]
	s_cbranch_execz .LBB69_150
; %bb.149:                              ;   in Loop: Header=BB69_4 Depth=1
	v_pk_mov_b32 v[10:11], s[20:21], s[20:21] op_sel:[0,1]
	s_waitcnt lgkmcnt(0)
	flat_load_dword v1, v[10:11] glc
	s_waitcnt vmcnt(0)
	v_bfi_b32 v11, s61, 0, v3
	s_waitcnt lgkmcnt(0)
	v_add_f32_e32 v1, 0x3fc90fdb, v1
	v_bfi_b32 v10, s61, v1, v2
.LBB69_150:                             ;   in Loop: Header=BB69_4 Depth=1
	s_or_b64 exec, exec, s[38:39]
.LBB69_151:                             ;   in Loop: Header=BB69_4 Depth=1
	s_andn2_saveexec_b64 s[36:37], s[36:37]
; %bb.152:                              ;   in Loop: Header=BB69_4 Depth=1
	v_bfi_b32 v11, s61, 0, v3
	v_add_f32_e32 v10, v2, v2
; %bb.153:                              ;   in Loop: Header=BB69_4 Depth=1
	s_or_b64 exec, exec, s[36:37]
.LBB69_154:                             ;   in Loop: Header=BB69_4 Depth=1
	s_or_b64 exec, exec, s[6:7]
.LBB69_155:                             ;   in Loop: Header=BB69_4 Depth=1
	s_andn2_saveexec_b64 s[6:7], s[34:35]
	s_cbranch_execz .LBB69_157
; %bb.156:                              ;   in Loop: Header=BB69_4 Depth=1
	s_waitcnt lgkmcnt(0)
	v_rcp_f32_e64 v1, |v2|
	v_cmp_gt_f32_e64 vcc, |v2|, 1.0
	v_mov_b32_e32 v10, 0xbc7a590c
	v_cndmask_b32_e64 v1, |v2|, v1, vcc
	v_mul_f32_e32 v11, v1, v1
	v_fmac_f32_e32 v10, 0x3b2d2a58, v11
	v_fma_f32 v10, v11, v10, v27
	v_fma_f32 v10, v11, v10, v28
	;; [unrolled: 1-line block ×6, first 2 shown]
	v_mul_f32_e32 v10, v11, v10
	v_fmac_f32_e32 v1, v1, v10
	v_sub_f32_e32 v10, 0x3fc90fdb, v1
	v_cndmask_b32_e32 v1, v1, v10, vcc
	v_bfi_b32 v10, s61, v1, v2
	v_mov_b32_e32 v11, v3
.LBB69_157:                             ;   in Loop: Header=BB69_4 Depth=1
	s_or_b64 exec, exec, s[6:7]
.LBB69_158:                             ;   in Loop: Header=BB69_4 Depth=1
	s_andn2_saveexec_b64 s[6:7], s[30:31]
	s_cbranch_execz .LBB69_160
; %bb.159:                              ;   in Loop: Header=BB69_4 Depth=1
	s_waitcnt lgkmcnt(0)
	v_sub_f32_e64 v1, 1.0, |v3|
	v_rcp_f32_e32 v17, v1
	v_add_f32_e64 v12, |v3|, 1.0
	v_sub_f32_e32 v11, 1.0, v1
	v_sub_f32_e64 v11, v11, |v3|
	v_mul_f32_e32 v44, v12, v17
	v_mul_f32_e32 v13, v1, v44
	v_fma_f32 v19, v44, v1, -v13
	v_fmac_f32_e32 v19, v44, v11
	v_pk_add_f32 v[42:43], v[12:13], v[18:19]
	v_sub_f32_e32 v1, v43, v13
	v_sub_f32_e32 v13, v12, v43
	v_and_b32_e32 v10, 0x7fffffff, v3
	v_sub_f32_e32 v11, v12, v13
	v_pk_add_f32 v[10:11], v[10:11], v[42:43] neg_lo:[0,1] neg_hi:[0,1]
	v_sub_f32_e32 v1, v1, v19
	v_add_f32_e32 v1, v1, v11
	v_add_f32_e32 v1, v10, v1
	v_add_f32_e32 v1, v13, v1
	v_mul_f32_e32 v1, v17, v1
	v_add_f32_e32 v12, v44, v1
	v_sub_f32_e32 v10, v12, v44
	v_sub_f32_e32 v1, v1, v10
	v_frexp_mant_f32_e32 v13, v12
	v_cvt_f64_f32_e32 v[10:11], v12
	v_frexp_exp_i32_f64_e32 v10, v[10:11]
	v_cmp_gt_f32_e32 vcc, s54, v13
	v_subbrev_co_u32_e32 v19, vcc, 0, v10, vcc
	v_sub_u32_e32 v10, 0, v19
	v_ldexp_f32 v11, v12, v10
	v_ldexp_f32 v1, v1, v10
	v_add_f32_e32 v10, -1.0, v11
	v_add_f32_e32 v13, 1.0, v11
	v_add_f32_e32 v12, 1.0, v10
	v_add_f32_e32 v17, -1.0, v13
	v_sub_f32_e32 v12, v11, v12
	v_sub_f32_e32 v11, v11, v17
	v_add_f32_e32 v12, v1, v12
	v_add_f32_e32 v1, v1, v11
	;; [unrolled: 1-line block ×3, first 2 shown]
	v_rcp_f32_e32 v46, v17
	v_sub_f32_e32 v11, v17, v13
	v_sub_f32_e32 v1, v1, v11
	v_add_f32_e32 v11, v10, v12
	v_sub_f32_e32 v10, v11, v10
	v_mul_f32_e32 v48, v11, v46
	v_sub_f32_e32 v47, v12, v10
	v_mul_f32_e32 v12, v17, v48
	v_fma_f32 v42, v48, v17, -v12
	v_fmac_f32_e32 v42, v48, v1
	v_add_f32_e32 v10, v12, v42
	v_sub_f32_e32 v13, v11, v10
	v_pk_add_f32 v[44:45], v[10:11], v[12:13] neg_lo:[0,1] neg_hi:[0,1]
	v_mov_b32_e32 v43, v10
	v_pk_add_f32 v[10:11], v[44:45], v[42:43] neg_lo:[0,1] neg_hi:[0,1]
	v_add_f32_e32 v11, v47, v11
	v_add_f32_e32 v10, v10, v11
	v_add_f32_e32 v11, v13, v10
	v_mul_f32_e32 v47, v46, v11
	v_mul_f32_e32 v12, v17, v47
	v_fma_f32 v42, v47, v17, -v12
	v_fmac_f32_e32 v42, v47, v1
	v_sub_f32_e32 v1, v13, v11
	v_add_f32_e32 v1, v10, v1
	v_add_f32_e32 v10, v12, v42
	v_sub_f32_e32 v13, v11, v10
	v_pk_add_f32 v[44:45], v[10:11], v[12:13] neg_lo:[0,1] neg_hi:[0,1]
	v_mov_b32_e32 v43, v10
	v_pk_add_f32 v[10:11], v[44:45], v[42:43] neg_lo:[0,1] neg_hi:[0,1]
	v_add_f32_e32 v1, v1, v11
	v_add_f32_e32 v1, v10, v1
	;; [unrolled: 1-line block ×4, first 2 shown]
	v_sub_f32_e32 v10, v11, v48
	v_mul_f32_e32 v1, v46, v1
	v_sub_f32_e32 v10, v47, v10
	v_add_f32_e32 v1, v10, v1
	v_add_f32_e32 v12, v11, v1
	v_mul_f32_e32 v42, v12, v12
	v_mov_b32_e32 v10, 0x3ecc95a3
	v_fmac_f32_e32 v10, 0x3e9b6dac, v42
	v_fma_f32 v17, v42, v10, v26
	v_cvt_f32_i32_e32 v10, v19
	v_sub_f32_e32 v11, v12, v11
	v_sub_f32_e32 v1, v1, v11
	v_mul_f32_e32 v11, v12, v42
	v_pk_mul_f32 v[42:43], v[10:11], v[16:17]
	v_ldexp_f32 v13, v12, 1
	v_fma_f32 v12, v10, s55, -v42
	v_fmac_f32_e32 v12, 0xb102e308, v10
	v_pk_add_f32 v[10:11], v[42:43], v[12:13]
	v_sub_f32_e32 v13, v11, v13
	v_ldexp_f32 v1, v1, 1
	v_sub_f32_e32 v13, v43, v13
	v_add_f32_e32 v45, v1, v13
	v_mov_b32_e32 v44, v42
	v_pk_add_f32 v[42:43], v[10:11], v[42:43] neg_lo:[0,1] neg_hi:[0,1]
	v_pk_add_f32 v[46:47], v[10:11], v[44:45]
	v_mov_b32_e32 v43, v47
	v_mov_b32_e32 v13, v10
	v_pk_add_f32 v[48:49], v[12:13], v[42:43] neg_lo:[0,1] neg_hi:[0,1]
	v_pk_add_f32 v[12:13], v[12:13], v[42:43]
	v_mov_b32_e32 v42, v13
	v_pk_add_f32 v[50:51], v[42:43], v[10:11] neg_lo:[0,1] neg_hi:[0,1]
	v_mov_b32_e32 v1, v50
	v_pk_add_f32 v[52:53], v[46:47], v[0:1] neg_lo:[0,1] neg_hi:[0,1]
	v_mov_b32_e32 v12, v47
	v_mov_b32_e32 v46, v11
	;; [unrolled: 1-line block ×4, first 2 shown]
	v_pk_add_f32 v[12:13], v[12:13], v[46:47] neg_lo:[0,1] neg_hi:[0,1]
	v_mov_b32_e32 v44, v45
	v_mov_b32_e32 v45, v10
	v_pk_add_f32 v[10:11], v[44:45], v[12:13] neg_lo:[0,1] neg_hi:[0,1]
	v_mov_b32_e32 v52, v48
	v_pk_add_f32 v[12:13], v[52:53], v[10:11]
	v_mov_b32_e32 v44, v13
	v_pk_add_f32 v[44:45], v[12:13], v[44:45]
	v_pk_add_f32 v[42:43], v[42:43], v[44:45]
	v_mov_b32_e32 v13, v42
	v_pk_add_f32 v[46:47], v[12:13], v[48:49] neg_lo:[0,1] neg_hi:[0,1]
	v_mov_b32_e32 v11, v44
	v_sub_f32_e32 v1, v12, v46
	v_pk_add_f32 v[10:11], v[10:11], v[46:47] neg_lo:[0,1] neg_hi:[0,1]
	v_sub_f32_e32 v1, v48, v1
	v_add_f32_e32 v1, v10, v1
	v_add_f32_e32 v1, v1, v11
	v_add_f32_e32 v1, v42, v1
	v_mul_f32_e32 v1, 0.5, v1
	v_cmp_lt_f32_e64 s[30:31], |v3|, s64
	v_cndmask_b32_e64 v1, v1, |v3|, s[30:31]
	v_cmp_ngt_f32_e64 vcc, |v3|, 1.0
	v_cndmask_b32_e32 v1, v34, v1, vcc
	v_cmp_neq_f32_e64 vcc, |v3|, 1.0
	v_cndmask_b32_e32 v1, v41, v1, vcc
	v_bfi_b32 v11, s61, v1, v3
	v_mov_b32_e32 v10, v2
.LBB69_160:                             ;   in Loop: Header=BB69_4 Depth=1
	s_or_b64 exec, exec, s[6:7]
	v_cmp_neq_f32_e32 vcc, 0, v4
	v_cmp_nle_f32_e64 s[6:7], |v5|, 1.0
	v_pk_mov_b32 v[2:3], s[20:21], s[20:21] op_sel:[0,1]
	s_or_b64 s[6:7], vcc, s[6:7]
	flat_store_dword v[2:3], v25
	s_waitcnt vmcnt(0)
	s_and_saveexec_b64 s[30:31], s[6:7]
	s_xor_b64 s[30:31], exec, s[30:31]
	s_cbranch_execz .LBB69_210
; %bb.161:                              ;   in Loop: Header=BB69_4 Depth=1
	v_cmp_neq_f32_e32 vcc, 0, v5
	s_and_saveexec_b64 s[6:7], vcc
	s_xor_b64 s[34:35], exec, s[6:7]
	s_cbranch_execz .LBB69_207
; %bb.162:                              ;   in Loop: Header=BB69_4 Depth=1
	v_cmp_o_f32_e32 vcc, v5, v4
	s_and_saveexec_b64 s[6:7], vcc
	s_xor_b64 s[36:37], exec, s[6:7]
	s_cbranch_execz .LBB69_196
; %bb.163:                              ;   in Loop: Header=BB69_4 Depth=1
	v_max_f32_e64 v2, |v5|, |v5|
	s_waitcnt lgkmcnt(0)
	v_max_f32_e64 v1, |v4|, |v4|
	v_max_f32_e32 v2, v1, v2
	v_cmp_nlt_f32_e32 vcc, s50, v2
	s_and_saveexec_b64 s[6:7], vcc
	s_xor_b64 s[38:39], exec, s[6:7]
	s_cbranch_execz .LBB69_181
; %bb.164:                              ;   in Loop: Header=BB69_4 Depth=1
	v_cmp_nlt_f32_e64 s[6:7], |v5|, s51
	v_cmp_nlt_f32_e64 s[40:41], |v4|, s51
	s_or_b64 s[6:7], s[40:41], s[6:7]
	s_and_saveexec_b64 s[40:41], s[6:7]
	s_xor_b64 s[40:41], exec, s[40:41]
	s_cbranch_execz .LBB69_178
; %bb.165:                              ;   in Loop: Header=BB69_4 Depth=1
	v_cmp_neq_f32_e64 s[44:45], |v5|, 1.0
	v_cmp_nlt_f32_e64 s[42:43], |v4|, s52
	s_or_b64 s[6:7], s[42:43], s[44:45]
                                        ; implicit-def: $vgpr2
	s_and_saveexec_b64 s[46:47], s[6:7]
	s_xor_b64 s[6:7], exec, s[46:47]
	s_cbranch_execz .LBB69_167
; %bb.166:                              ;   in Loop: Header=BB69_4 Depth=1
	v_add_f32_e64 v3, |v5|, -1.0
	v_mul_f32_e32 v13, v4, v4
	v_mul_f32_e32 v12, v3, v3
	v_fmac_f32_e32 v13, v3, v3
	v_cmp_lt_f32_e64 vcc, |v4|, s53
	v_mul_f32_e64 v2, |v5|, 4.0
	v_cndmask_b32_e32 v3, v13, v12, vcc
	v_div_scale_f32 v12, s[46:47], v3, v3, v2
	v_rcp_f32_e32 v13, v12
	v_fma_f32 v17, -v12, v13, 1.0
	v_fmac_f32_e32 v13, v17, v13
	v_div_scale_f32 v17, vcc, v2, v3, v2
	v_mul_f32_e32 v19, v17, v13
	v_fma_f32 v42, -v12, v19, v17
	v_fmac_f32_e32 v19, v42, v13
	v_fma_f32 v12, -v12, v19, v17
	v_div_fmas_f32 v12, v12, v13, v19
	v_div_fixup_f32 v2, v12, v3, v2
	v_add_f32_e32 v13, 1.0, v2
	v_add_f32_e32 v3, -1.0, v13
	v_mov_b32_e32 v12, v3
	v_pk_add_f32 v[42:43], v[2:3], v[12:13] neg_lo:[0,1] neg_hi:[0,1]
	v_add_f32_e32 v3, 1.0, v43
	v_add_f32_e32 v3, v42, v3
	v_frexp_mant_f32_e32 v12, v13
	v_cvt_f64_f32_e32 v[42:43], v13
	v_frexp_exp_i32_f64_e32 v17, v[42:43]
	v_cmp_gt_f32_e32 vcc, s54, v12
	v_subbrev_co_u32_e32 v19, vcc, 0, v17, vcc
	v_sub_u32_e32 v12, 0, v19
	v_ldexp_f32 v13, v13, v12
	v_ldexp_f32 v3, v3, v12
	v_add_f32_e32 v12, -1.0, v13
	v_add_f32_e32 v42, 1.0, v13
	v_add_f32_e32 v17, 1.0, v12
	v_add_f32_e32 v43, -1.0, v42
	v_sub_f32_e32 v17, v13, v17
	v_sub_f32_e32 v13, v13, v43
	v_add_f32_e32 v17, v3, v17
	v_add_f32_e32 v3, v3, v13
	;; [unrolled: 1-line block ×3, first 2 shown]
	v_rcp_f32_e32 v49, v48
	v_sub_f32_e32 v13, v48, v42
	v_sub_f32_e32 v3, v3, v13
	v_add_f32_e32 v13, v12, v17
	v_mul_f32_e32 v50, v13, v49
	v_mul_f32_e32 v42, v48, v50
	v_fma_f32 v44, v50, v48, -v42
	v_sub_f32_e32 v12, v13, v12
	v_fmac_f32_e32 v44, v50, v3
	v_sub_f32_e32 v17, v17, v12
	v_add_f32_e32 v12, v42, v44
	v_sub_f32_e32 v43, v13, v12
	v_pk_add_f32 v[46:47], v[12:13], v[42:43] neg_lo:[0,1] neg_hi:[0,1]
	v_mov_b32_e32 v45, v12
	v_pk_add_f32 v[12:13], v[46:47], v[44:45] neg_lo:[0,1] neg_hi:[0,1]
	v_add_f32_e32 v13, v17, v13
	v_add_f32_e32 v12, v12, v13
	;; [unrolled: 1-line block ×3, first 2 shown]
	v_mul_f32_e32 v17, v49, v13
	v_mul_f32_e32 v42, v48, v17
	v_fma_f32 v44, v17, v48, -v42
	v_fmac_f32_e32 v44, v17, v3
	v_sub_f32_e32 v3, v43, v13
	v_add_f32_e32 v3, v12, v3
	v_add_f32_e32 v12, v42, v44
	v_sub_f32_e32 v43, v13, v12
	v_pk_add_f32 v[46:47], v[12:13], v[42:43] neg_lo:[0,1] neg_hi:[0,1]
	v_mov_b32_e32 v45, v12
	v_pk_add_f32 v[12:13], v[46:47], v[44:45] neg_lo:[0,1] neg_hi:[0,1]
	v_add_f32_e32 v3, v3, v13
	v_add_f32_e32 v3, v12, v3
	;; [unrolled: 1-line block ×4, first 2 shown]
	v_sub_f32_e32 v12, v13, v50
	v_mul_f32_e32 v3, v49, v3
	v_sub_f32_e32 v12, v17, v12
	v_add_f32_e32 v3, v12, v3
	v_add_f32_e32 v42, v13, v3
	v_mul_f32_e32 v44, v42, v42
	v_mov_b32_e32 v12, 0x3ecc95a3
	v_fmac_f32_e32 v12, 0x3e9b6dac, v44
	v_fma_f32 v17, v44, v12, v26
	v_cvt_f32_i32_e32 v12, v19
	v_sub_f32_e32 v13, v42, v13
	v_sub_f32_e32 v3, v3, v13
	v_mul_f32_e32 v13, v42, v44
	v_pk_mul_f32 v[44:45], v[12:13], v[16:17]
	v_ldexp_f32 v43, v42, 1
	v_fma_f32 v42, v12, s55, -v44
	v_fmac_f32_e32 v42, 0xb102e308, v12
	v_pk_add_f32 v[12:13], v[44:45], v[42:43]
	v_sub_f32_e32 v17, v13, v43
	v_ldexp_f32 v3, v3, 1
	v_sub_f32_e32 v17, v45, v17
	v_add_f32_e32 v47, v3, v17
	v_mov_b32_e32 v46, v44
	v_pk_add_f32 v[44:45], v[12:13], v[44:45] neg_lo:[0,1] neg_hi:[0,1]
	v_pk_add_f32 v[48:49], v[12:13], v[46:47]
	v_mov_b32_e32 v45, v49
	v_mov_b32_e32 v43, v12
	v_pk_add_f32 v[50:51], v[42:43], v[44:45] neg_lo:[0,1] neg_hi:[0,1]
	v_pk_add_f32 v[42:43], v[42:43], v[44:45]
	v_mov_b32_e32 v44, v43
	v_pk_add_f32 v[52:53], v[44:45], v[12:13] neg_lo:[0,1] neg_hi:[0,1]
	v_mov_b32_e32 v3, v52
	v_pk_add_f32 v[54:55], v[48:49], v[2:3] neg_lo:[0,1] neg_hi:[0,1]
	v_mov_b32_e32 v42, v49
	v_mov_b32_e32 v48, v13
	v_mov_b32_e32 v49, v52
	v_mov_b32_e32 v51, v43
	v_pk_add_f32 v[42:43], v[42:43], v[48:49] neg_lo:[0,1] neg_hi:[0,1]
	v_mov_b32_e32 v46, v47
	v_mov_b32_e32 v47, v12
	v_pk_add_f32 v[12:13], v[46:47], v[42:43] neg_lo:[0,1] neg_hi:[0,1]
	v_mov_b32_e32 v54, v50
	v_pk_add_f32 v[42:43], v[54:55], v[12:13]
	v_mov_b32_e32 v46, v43
	v_pk_add_f32 v[46:47], v[42:43], v[46:47]
	v_pk_add_f32 v[44:45], v[44:45], v[46:47]
	v_mov_b32_e32 v43, v44
	v_pk_add_f32 v[48:49], v[42:43], v[50:51] neg_lo:[0,1] neg_hi:[0,1]
	v_mov_b32_e32 v13, v46
	v_sub_f32_e32 v3, v42, v48
	v_pk_add_f32 v[12:13], v[12:13], v[48:49] neg_lo:[0,1] neg_hi:[0,1]
	v_sub_f32_e32 v3, v50, v3
	v_add_f32_e32 v3, v12, v3
	v_add_f32_e32 v3, v3, v13
	v_add_f32_e32 v3, v44, v3
	v_cmp_eq_f32_e32 vcc, s56, v2
	v_cndmask_b32_e32 v3, v3, v2, vcc
	v_cmp_ngt_f32_e32 vcc, -1.0, v2
	v_cndmask_b32_e32 v3, v34, v3, vcc
	v_cmp_neq_f32_e32 vcc, -1.0, v2
	v_cndmask_b32_e32 v3, v35, v3, vcc
	v_cmp_lt_f32_e64 vcc, |v2|, s57
	v_cndmask_b32_e32 v2, v3, v2, vcc
	v_mul_f32_e32 v2, 0x3e800000, v2
	s_andn2_saveexec_b64 s[46:47], s[6:7]
	s_cbranch_execz .LBB69_169
	s_branch .LBB69_168
.LBB69_167:                             ;   in Loop: Header=BB69_4 Depth=1
	s_andn2_saveexec_b64 s[46:47], s[6:7]
	s_cbranch_execz .LBB69_169
.LBB69_168:                             ;   in Loop: Header=BB69_4 Depth=1
	v_cmp_lt_f32_e64 vcc, |v4|, s58
	v_cndmask_b32_e32 v2, 1.0, v36, vcc
	v_mul_f32_e64 v2, |v4|, v2
	v_log_f32_e32 v2, v2
	v_mul_f32_e32 v3, 0x3f317217, v2
	v_fma_f32 v12, v2, s59, -v3
	v_fmac_f32_e32 v12, 0x3377d1cf, v2
	v_add_f32_e32 v3, v3, v12
	v_cmp_lt_f32_e64 s[6:7], |v2|, s56
	v_cndmask_b32_e64 v2, v2, v3, s[6:7]
	v_cndmask_b32_e32 v3, 0, v37, vcc
	v_sub_f32_e32 v2, v2, v3
	v_sub_f32_e32 v2, 0x3f317218, v2
	v_mul_f32_e32 v2, 0.5, v2
.LBB69_169:                             ;   in Loop: Header=BB69_4 Depth=1
	s_or_b64 exec, exec, s[46:47]
                                        ; implicit-def: $vgpr12
	s_and_saveexec_b64 s[6:7], s[44:45]
	s_xor_b64 s[44:45], exec, s[6:7]
	s_cbranch_execz .LBB69_175
; %bb.170:                              ;   in Loop: Header=BB69_4 Depth=1
	v_sub_f32_e64 v3, 1.0, |v5|
	v_add_f32_e64 v12, |v5|, 1.0
	v_add_f32_e64 v1, |v4|, |v4|
	v_mul_f32_e32 v3, v3, v12
                                        ; implicit-def: $vgpr12
	s_and_saveexec_b64 s[6:7], s[42:43]
	s_xor_b64 s[42:43], exec, s[6:7]
	s_cbranch_execz .LBB69_172
; %bb.171:                              ;   in Loop: Header=BB69_4 Depth=1
	v_fma_f32 v3, -v4, v4, v3
	v_max_f32_e64 v12, |v1|, |v1|
	v_min_f32_e64 v13, |v3|, v12
	v_max_f32_e64 v12, |v3|, v12
	v_frexp_mant_f32_e32 v17, v12
	v_rcp_f32_e32 v17, v17
	v_frexp_exp_i32_f32_e32 v12, v12
	v_frexp_exp_i32_f32_e32 v19, v13
	v_frexp_mant_f32_e32 v13, v13
	v_mul_f32_e32 v13, v13, v17
	v_sub_u32_e32 v12, v19, v12
	v_ldexp_f32 v12, v13, v12
	v_mul_f32_e32 v13, v12, v12
	v_mov_b32_e32 v17, 0xbc7a590c
	v_fmac_f32_e32 v17, 0x3b2d2a58, v13
	v_fma_f32 v17, v13, v17, v27
	v_fma_f32 v17, v13, v17, v28
	;; [unrolled: 1-line block ×6, first 2 shown]
	v_mul_f32_e32 v13, v13, v17
	v_fmac_f32_e32 v12, v12, v13
	v_sub_f32_e32 v13, 0x3fc90fdb, v12
	v_cmp_gt_f32_e64 vcc, |v1|, |v3|
	v_cndmask_b32_e32 v12, v12, v13, vcc
	v_sub_f32_e32 v13, 0x40490fdb, v12
	v_cmp_gt_f32_e32 vcc, 0, v3
	v_cmp_gt_i32_e64 s[6:7], 0, v3
	v_cndmask_b32_e32 v12, v12, v13, vcc
	v_cndmask_b32_e64 v13, 0, v38, s[6:7]
	v_cmp_eq_f32_e64 s[6:7], 0, v1
	v_cndmask_b32_e64 v12, v12, v13, s[6:7]
	v_cmp_class_f32_e64 s[6:7], v3, s60
	v_cmp_class_f32_e64 s[46:47], v1, s60
	v_cndmask_b32_e32 v13, v39, v40, vcc
	s_and_b64 vcc, s[46:47], s[6:7]
	v_cndmask_b32_e32 v12, v12, v13, vcc
	v_cmp_o_f32_e32 vcc, v3, v1
	v_cndmask_b32_e32 v3, v34, v12, vcc
	v_bfi_b32 v12, s61, v3, v1
                                        ; implicit-def: $vgpr1
                                        ; implicit-def: $vgpr3
.LBB69_172:                             ;   in Loop: Header=BB69_4 Depth=1
	s_andn2_saveexec_b64 s[42:43], s[42:43]
	s_cbranch_execz .LBB69_174
; %bb.173:                              ;   in Loop: Header=BB69_4 Depth=1
	v_max_f32_e32 v12, v1, v1
	v_max_f32_e64 v13, |v3|, |v3|
	v_min_f32_e32 v17, v13, v12
	v_max_f32_e32 v12, v13, v12
	v_frexp_mant_f32_e32 v13, v12
	v_rcp_f32_e32 v13, v13
	v_frexp_exp_i32_f32_e32 v12, v12
	v_frexp_exp_i32_f32_e32 v19, v17
	v_frexp_mant_f32_e32 v17, v17
	v_mul_f32_e32 v13, v17, v13
	v_sub_u32_e32 v12, v19, v12
	v_ldexp_f32 v12, v13, v12
	v_mul_f32_e32 v13, v12, v12
	v_mov_b32_e32 v17, 0xbc7a590c
	v_fmac_f32_e32 v17, 0x3b2d2a58, v13
	v_fma_f32 v17, v13, v17, v27
	v_fma_f32 v17, v13, v17, v28
	;; [unrolled: 1-line block ×6, first 2 shown]
	v_mul_f32_e32 v13, v13, v17
	v_fmac_f32_e32 v12, v12, v13
	v_sub_f32_e32 v13, 0x3fc90fdb, v12
	v_cmp_gt_f32_e64 vcc, v1, |v3|
	v_cndmask_b32_e32 v12, v12, v13, vcc
	v_sub_f32_e32 v13, 0x40490fdb, v12
	v_cmp_gt_f32_e32 vcc, 0, v3
	v_cmp_gt_i32_e64 s[6:7], 0, v3
	v_cndmask_b32_e32 v12, v12, v13, vcc
	v_cndmask_b32_e64 v13, 0, v38, s[6:7]
	v_cmp_eq_f32_e64 s[6:7], 0, v1
	v_cndmask_b32_e64 v12, v12, v13, s[6:7]
	v_cndmask_b32_e32 v13, v39, v40, vcc
	v_cmp_class_f32_e64 s[6:7], v3, s60
	v_cmp_eq_f32_e32 vcc, s56, v1
	s_and_b64 vcc, vcc, s[6:7]
	v_cndmask_b32_e32 v1, v12, v13, vcc
	v_cmp_o_f32_e32 vcc, v3, v3
	v_cndmask_b32_e64 v12, v34, |v1|, vcc
.LBB69_174:                             ;   in Loop: Header=BB69_4 Depth=1
	s_or_b64 exec, exec, s[42:43]
                                        ; implicit-def: $vgpr1
	s_andn2_saveexec_b64 s[6:7], s[44:45]
	s_cbranch_execnz .LBB69_176
	s_branch .LBB69_177
.LBB69_175:                             ;   in Loop: Header=BB69_4 Depth=1
	s_andn2_saveexec_b64 s[6:7], s[44:45]
	s_cbranch_execz .LBB69_177
.LBB69_176:                             ;   in Loop: Header=BB69_4 Depth=1
	v_min_f32_e32 v3, 2.0, v1
	v_max_f32_e32 v1, 2.0, v1
	v_frexp_mant_f32_e32 v12, v1
	v_rcp_f32_e32 v12, v12
	v_frexp_exp_i32_f32_e32 v1, v1
	v_frexp_exp_i32_f32_e32 v13, v3
	v_frexp_mant_f32_e32 v3, v3
	v_mul_f32_e32 v3, v3, v12
	v_sub_u32_e32 v1, v13, v1
	v_ldexp_f32 v1, v3, v1
	v_mul_f32_e32 v3, v1, v1
	v_mov_b32_e32 v12, 0xbc7a590c
	v_fmac_f32_e32 v12, 0x3b2d2a58, v3
	v_fma_f32 v12, v3, v12, v27
	v_fma_f32 v12, v3, v12, v28
	;; [unrolled: 1-line block ×6, first 2 shown]
	v_mul_f32_e32 v3, v3, v12
	v_fmac_f32_e32 v1, v1, v3
	v_sub_f32_e32 v3, 0x3fc90fdb, v1
	v_cmp_lt_f32_e64 vcc, |v4|, 2.0
	v_cndmask_b32_e32 v1, v1, v3, vcc
	v_sub_f32_e32 v3, 0x40490fdb, v1
	v_cmp_lg_f32_e32 vcc, 0, v4
	v_cndmask_b32_e32 v1, v1, v3, vcc
	v_and_b32_e32 v12, 0x7fffffff, v1
.LBB69_177:                             ;   in Loop: Header=BB69_4 Depth=1
	s_or_b64 exec, exec, s[6:7]
	v_mul_f32_e32 v1, 0.5, v12
	v_bfi_b32 v13, s61, v2, v5
	v_bfi_b32 v12, s61, v1, v4
                                        ; implicit-def: $vgpr5
.LBB69_178:                             ;   in Loop: Header=BB69_4 Depth=1
	s_andn2_saveexec_b64 s[6:7], s[40:41]
	s_cbranch_execz .LBB69_180
; %bb.179:                              ;   in Loop: Header=BB69_4 Depth=1
	v_pk_mov_b32 v[2:3], s[22:23], s[22:23] op_sel:[0,1]
	flat_store_dword v[2:3], v33
	s_waitcnt vmcnt(0)
	flat_load_dword v1, v[2:3] glc
	s_waitcnt vmcnt(0)
	v_pk_mov_b32 v[2:3], s[24:25], s[24:25] op_sel:[0,1]
	v_mov_b32_e32 v13, v5
	v_mov_b32_e32 v12, v4
	s_waitcnt lgkmcnt(0)
	v_add_f32_e32 v1, 1.0, v1
	flat_store_dword v[2:3], v1
	s_waitcnt vmcnt(0)
	flat_load_dword v1, v[2:3] glc
	s_waitcnt vmcnt(0)
.LBB69_180:                             ;   in Loop: Header=BB69_4 Depth=1
	s_or_b64 exec, exec, s[6:7]
                                        ; implicit-def: $vgpr2_vgpr3_vgpr4_vgpr5
.LBB69_181:                             ;   in Loop: Header=BB69_4 Depth=1
	s_andn2_saveexec_b64 s[6:7], s[38:39]
	s_cbranch_execz .LBB69_195
; %bb.182:                              ;   in Loop: Header=BB69_4 Depth=1
	v_and_b32_e32 v2, 0x7f800000, v4
	s_waitcnt lgkmcnt(0)
	v_and_b32_e32 v1, 0x7f800000, v5
	v_sub_u32_e32 v3, v1, v2
	v_cmp_gt_i32_e32 vcc, s62, v3
	v_cmp_neq_f32_e64 s[38:39], |v5|, s56
	s_and_b64 s[38:39], s[38:39], vcc
	s_and_saveexec_b64 s[40:41], s[38:39]
	s_xor_b64 s[38:39], exec, s[40:41]
	s_cbranch_execz .LBB69_192
; %bb.183:                              ;   in Loop: Header=BB69_4 Depth=1
	v_sub_u32_e32 v2, v2, v1
	v_cmp_gt_i32_e32 vcc, s62, v2
	s_and_saveexec_b64 s[40:41], vcc
	s_xor_b64 s[40:41], exec, s[40:41]
	s_cbranch_execz .LBB69_189
; %bb.184:                              ;   in Loop: Header=BB69_4 Depth=1
	v_cmp_lt_u32_e32 vcc, s63, v1
	s_and_saveexec_b64 s[42:43], vcc
	s_xor_b64 s[42:43], exec, s[42:43]
	s_cbranch_execz .LBB69_186
; %bb.185:                              ;   in Loop: Header=BB69_4 Depth=1
	v_sub_u32_e32 v1, 0x7f800000, v1
	v_mul_f32_e32 v3, v4, v1
	v_mul_f32_e32 v2, v5, v1
	;; [unrolled: 1-line block ×3, first 2 shown]
	v_fmac_f32_e32 v3, v2, v2
	v_div_scale_f32 v12, s[44:45], v3, v3, v2
	v_rcp_f32_e32 v13, v12
	v_fma_f32 v17, -v12, v13, 1.0
	v_fmac_f32_e32 v13, v17, v13
	v_div_scale_f32 v17, vcc, v2, v3, v2
	v_mul_f32_e32 v19, v17, v13
	v_fma_f32 v42, -v12, v19, v17
	v_fmac_f32_e32 v19, v42, v13
	v_fma_f32 v12, -v12, v19, v17
	v_div_fmas_f32 v12, v12, v13, v19
	v_div_fixup_f32 v2, v12, v3, v2
	v_mul_f32_e32 v13, v2, v1
.LBB69_186:                             ;   in Loop: Header=BB69_4 Depth=1
	s_andn2_saveexec_b64 s[42:43], s[42:43]
	s_cbranch_execz .LBB69_188
; %bb.187:                              ;   in Loop: Header=BB69_4 Depth=1
	v_pk_mul_f32 v[2:3], v[4:5], v[4:5]
	v_add_f32_e32 v1, v2, v3
	v_div_scale_f32 v2, s[44:45], v1, v1, v5
	v_rcp_f32_e32 v3, v2
	v_div_scale_f32 v12, vcc, v5, v1, v5
	v_fma_f32 v13, -v2, v3, 1.0
	v_fmac_f32_e32 v3, v13, v3
	v_mul_f32_e32 v13, v12, v3
	v_fma_f32 v17, -v2, v13, v12
	v_fmac_f32_e32 v13, v17, v3
	v_fma_f32 v2, -v2, v13, v12
	v_div_fmas_f32 v2, v2, v3, v13
	v_div_fixup_f32 v13, v2, v1, v5
.LBB69_188:                             ;   in Loop: Header=BB69_4 Depth=1
	s_or_b64 exec, exec, s[42:43]
.LBB69_189:                             ;   in Loop: Header=BB69_4 Depth=1
	s_andn2_saveexec_b64 s[40:41], s[40:41]
	s_cbranch_execz .LBB69_191
; %bb.190:                              ;   in Loop: Header=BB69_4 Depth=1
	v_div_scale_f32 v1, s[42:43], v4, v4, v5
	v_rcp_f32_e32 v2, v1
	v_div_scale_f32 v3, vcc, v5, v4, v5
	v_fma_f32 v12, -v1, v2, 1.0
	v_fmac_f32_e32 v2, v12, v2
	v_mul_f32_e32 v12, v3, v2
	v_fma_f32 v13, -v1, v12, v3
	v_fmac_f32_e32 v12, v13, v2
	v_fma_f32 v1, -v1, v12, v3
	v_div_fmas_f32 v1, v1, v2, v12
	v_div_fixup_f32 v1, v1, v4, v5
	v_div_scale_f32 v2, s[42:43], v4, v4, v1
	v_rcp_f32_e32 v3, v2
	v_fma_f32 v12, -v2, v3, 1.0
	v_fmac_f32_e32 v3, v12, v3
	v_div_scale_f32 v12, vcc, v1, v4, v1
	v_mul_f32_e32 v13, v12, v3
	v_fma_f32 v17, -v2, v13, v12
	v_fmac_f32_e32 v13, v17, v3
	v_fma_f32 v2, -v2, v13, v12
	v_div_fmas_f32 v2, v2, v3, v13
	v_div_fixup_f32 v13, v2, v4, v1
.LBB69_191:                             ;   in Loop: Header=BB69_4 Depth=1
	s_or_b64 exec, exec, s[40:41]
.LBB69_192:                             ;   in Loop: Header=BB69_4 Depth=1
	s_andn2_saveexec_b64 s[38:39], s[38:39]
; %bb.193:                              ;   in Loop: Header=BB69_4 Depth=1
	v_div_scale_f32 v1, s[40:41], v5, v5, 1.0
	v_rcp_f32_e32 v2, v1
	v_div_scale_f32 v3, vcc, 1.0, v5, 1.0
	v_fma_f32 v12, -v1, v2, 1.0
	v_fmac_f32_e32 v2, v12, v2
	v_mul_f32_e32 v12, v3, v2
	v_fma_f32 v13, -v1, v12, v3
	v_fmac_f32_e32 v12, v13, v2
	v_fma_f32 v1, -v1, v12, v3
	v_div_fmas_f32 v1, v1, v2, v12
	v_div_fixup_f32 v13, v1, v5, 1.0
; %bb.194:                              ;   in Loop: Header=BB69_4 Depth=1
	s_or_b64 exec, exec, s[38:39]
	v_pk_mov_b32 v[2:3], s[20:21], s[20:21] op_sel:[0,1]
	flat_load_dword v1, v[2:3] glc
	s_waitcnt vmcnt(0) lgkmcnt(0)
	v_add_f32_e32 v1, 0x3fc90fdb, v1
	v_bfi_b32 v12, s61, v1, v4
.LBB69_195:                             ;   in Loop: Header=BB69_4 Depth=1
	s_or_b64 exec, exec, s[6:7]
                                        ; implicit-def: $vgpr2_vgpr3_vgpr4_vgpr5
.LBB69_196:                             ;   in Loop: Header=BB69_4 Depth=1
	s_andn2_saveexec_b64 s[6:7], s[36:37]
	s_cbranch_execz .LBB69_206
; %bb.197:                              ;   in Loop: Header=BB69_4 Depth=1
	v_cmp_neq_f32_e64 s[36:37], |v5|, s56
	s_and_saveexec_b64 s[38:39], s[36:37]
	s_xor_b64 s[36:37], exec, s[38:39]
	s_cbranch_execz .LBB69_203
; %bb.198:                              ;   in Loop: Header=BB69_4 Depth=1
	v_cmp_neq_f32_e64 s[38:39], |v4|, s56
	s_and_saveexec_b64 s[40:41], s[38:39]
	s_xor_b64 s[38:39], exec, s[40:41]
	s_cbranch_execz .LBB69_200
; %bb.199:                              ;   in Loop: Header=BB69_4 Depth=1
	s_waitcnt lgkmcnt(0)
	v_add_f32_e32 v1, 0, v4
	v_add_f32_e32 v13, v1, v5
                                        ; implicit-def: $vgpr4_vgpr5
.LBB69_200:                             ;   in Loop: Header=BB69_4 Depth=1
	s_or_saveexec_b64 s[38:39], s[38:39]
	v_mov_b32_e32 v12, v13
	s_xor_b64 exec, exec, s[38:39]
	s_cbranch_execz .LBB69_202
; %bb.201:                              ;   in Loop: Header=BB69_4 Depth=1
	v_pk_mov_b32 v[2:3], s[20:21], s[20:21] op_sel:[0,1]
	s_waitcnt lgkmcnt(0)
	flat_load_dword v1, v[2:3] glc
	s_waitcnt vmcnt(0)
	v_bfi_b32 v13, s61, 0, v5
	s_waitcnt lgkmcnt(0)
	v_add_f32_e32 v1, 0x3fc90fdb, v1
	v_bfi_b32 v12, s61, v1, v4
.LBB69_202:                             ;   in Loop: Header=BB69_4 Depth=1
	s_or_b64 exec, exec, s[38:39]
                                        ; implicit-def: $vgpr2_vgpr3_vgpr4_vgpr5
.LBB69_203:                             ;   in Loop: Header=BB69_4 Depth=1
	s_andn2_saveexec_b64 s[36:37], s[36:37]
; %bb.204:                              ;   in Loop: Header=BB69_4 Depth=1
	v_bfi_b32 v13, s61, 0, v5
	v_add_f32_e32 v12, v4, v4
; %bb.205:                              ;   in Loop: Header=BB69_4 Depth=1
	s_or_b64 exec, exec, s[36:37]
.LBB69_206:                             ;   in Loop: Header=BB69_4 Depth=1
	s_or_b64 exec, exec, s[6:7]
                                        ; implicit-def: $vgpr2_vgpr3_vgpr4_vgpr5
.LBB69_207:                             ;   in Loop: Header=BB69_4 Depth=1
	s_andn2_saveexec_b64 s[6:7], s[34:35]
	s_cbranch_execz .LBB69_209
; %bb.208:                              ;   in Loop: Header=BB69_4 Depth=1
	s_waitcnt lgkmcnt(0)
	v_rcp_f32_e64 v1, |v4|
	v_cmp_gt_f32_e64 vcc, |v4|, 1.0
	v_mov_b32_e32 v2, 0xbc7a590c
	v_mov_b32_e32 v13, v5
	v_cndmask_b32_e64 v1, |v4|, v1, vcc
	v_mul_f32_e32 v3, v1, v1
	v_fmac_f32_e32 v2, 0x3b2d2a58, v3
	v_fma_f32 v2, v3, v2, v27
	v_fma_f32 v2, v3, v2, v28
	v_fma_f32 v2, v3, v2, v29
	v_fma_f32 v2, v3, v2, v30
	v_fma_f32 v2, v3, v2, v31
	v_fma_f32 v2, v3, v2, v32
	v_mul_f32_e32 v2, v3, v2
	v_fmac_f32_e32 v1, v1, v2
	v_sub_f32_e32 v2, 0x3fc90fdb, v1
	v_cndmask_b32_e32 v1, v1, v2, vcc
	v_bfi_b32 v12, s61, v1, v4
.LBB69_209:                             ;   in Loop: Header=BB69_4 Depth=1
	s_or_b64 exec, exec, s[6:7]
                                        ; implicit-def: $vgpr2_vgpr3_vgpr4_vgpr5
.LBB69_210:                             ;   in Loop: Header=BB69_4 Depth=1
	s_andn2_saveexec_b64 s[6:7], s[30:31]
	s_cbranch_execz .LBB69_3
; %bb.211:                              ;   in Loop: Header=BB69_4 Depth=1
	s_waitcnt lgkmcnt(0)
	v_sub_f32_e64 v1, 1.0, |v5|
	v_rcp_f32_e32 v17, v1
	v_add_f32_e64 v12, |v5|, 1.0
	v_sub_f32_e32 v3, 1.0, v1
	v_sub_f32_e64 v3, v3, |v5|
	v_mul_f32_e32 v44, v12, v17
	v_mul_f32_e32 v13, v1, v44
	v_fma_f32 v19, v44, v1, -v13
	v_fmac_f32_e32 v19, v44, v3
	v_pk_add_f32 v[42:43], v[12:13], v[18:19]
	v_sub_f32_e32 v1, v43, v13
	v_sub_f32_e32 v13, v12, v43
	v_and_b32_e32 v2, 0x7fffffff, v5
	v_sub_f32_e32 v3, v12, v13
	v_pk_add_f32 v[2:3], v[2:3], v[42:43] neg_lo:[0,1] neg_hi:[0,1]
	v_sub_f32_e32 v1, v1, v19
	v_add_f32_e32 v1, v1, v3
	v_add_f32_e32 v1, v2, v1
	;; [unrolled: 1-line block ×3, first 2 shown]
	v_mul_f32_e32 v1, v17, v1
	v_add_f32_e32 v12, v44, v1
	v_sub_f32_e32 v2, v12, v44
	v_sub_f32_e32 v1, v1, v2
	v_frexp_mant_f32_e32 v13, v12
	v_cvt_f64_f32_e32 v[2:3], v12
	v_frexp_exp_i32_f64_e32 v2, v[2:3]
	v_cmp_gt_f32_e32 vcc, s54, v13
	v_subbrev_co_u32_e32 v19, vcc, 0, v2, vcc
	v_sub_u32_e32 v2, 0, v19
	v_ldexp_f32 v3, v12, v2
	v_ldexp_f32 v1, v1, v2
	v_add_f32_e32 v2, -1.0, v3
	v_add_f32_e32 v13, 1.0, v3
	v_add_f32_e32 v12, 1.0, v2
	v_add_f32_e32 v17, -1.0, v13
	v_sub_f32_e32 v12, v3, v12
	v_sub_f32_e32 v3, v3, v17
	v_add_f32_e32 v12, v1, v12
	v_add_f32_e32 v1, v1, v3
	;; [unrolled: 1-line block ×3, first 2 shown]
	v_rcp_f32_e32 v46, v17
	v_sub_f32_e32 v3, v17, v13
	v_sub_f32_e32 v1, v1, v3
	v_add_f32_e32 v3, v2, v12
	v_sub_f32_e32 v2, v3, v2
	v_mul_f32_e32 v48, v3, v46
	v_sub_f32_e32 v47, v12, v2
	v_mul_f32_e32 v12, v17, v48
	v_fma_f32 v42, v48, v17, -v12
	v_fmac_f32_e32 v42, v48, v1
	v_add_f32_e32 v2, v12, v42
	v_sub_f32_e32 v13, v3, v2
	v_pk_add_f32 v[44:45], v[2:3], v[12:13] neg_lo:[0,1] neg_hi:[0,1]
	v_mov_b32_e32 v43, v2
	v_pk_add_f32 v[2:3], v[44:45], v[42:43] neg_lo:[0,1] neg_hi:[0,1]
	v_add_f32_e32 v3, v47, v3
	v_add_f32_e32 v2, v2, v3
	;; [unrolled: 1-line block ×3, first 2 shown]
	v_mul_f32_e32 v47, v46, v3
	v_mul_f32_e32 v12, v17, v47
	v_fma_f32 v42, v47, v17, -v12
	v_fmac_f32_e32 v42, v47, v1
	v_sub_f32_e32 v1, v13, v3
	v_add_f32_e32 v1, v2, v1
	v_add_f32_e32 v2, v12, v42
	v_sub_f32_e32 v13, v3, v2
	v_pk_add_f32 v[44:45], v[2:3], v[12:13] neg_lo:[0,1] neg_hi:[0,1]
	v_mov_b32_e32 v43, v2
	v_pk_add_f32 v[2:3], v[44:45], v[42:43] neg_lo:[0,1] neg_hi:[0,1]
	v_add_f32_e32 v1, v1, v3
	v_add_f32_e32 v1, v2, v1
	;; [unrolled: 1-line block ×4, first 2 shown]
	v_sub_f32_e32 v2, v3, v48
	v_mul_f32_e32 v1, v46, v1
	v_sub_f32_e32 v2, v47, v2
	v_add_f32_e32 v1, v2, v1
	v_add_f32_e32 v12, v3, v1
	v_mul_f32_e32 v42, v12, v12
	v_mov_b32_e32 v2, 0x3ecc95a3
	v_fmac_f32_e32 v2, 0x3e9b6dac, v42
	v_fma_f32 v17, v42, v2, v26
	v_cvt_f32_i32_e32 v2, v19
	v_sub_f32_e32 v3, v12, v3
	v_sub_f32_e32 v1, v1, v3
	v_mul_f32_e32 v3, v12, v42
	v_pk_mul_f32 v[42:43], v[2:3], v[16:17]
	v_ldexp_f32 v13, v12, 1
	v_fma_f32 v12, v2, s55, -v42
	v_fmac_f32_e32 v12, 0xb102e308, v2
	v_pk_add_f32 v[2:3], v[42:43], v[12:13]
	v_sub_f32_e32 v13, v3, v13
	v_ldexp_f32 v1, v1, 1
	v_sub_f32_e32 v13, v43, v13
	v_add_f32_e32 v45, v1, v13
	v_mov_b32_e32 v44, v42
	v_pk_add_f32 v[42:43], v[2:3], v[42:43] neg_lo:[0,1] neg_hi:[0,1]
	v_pk_add_f32 v[46:47], v[2:3], v[44:45]
	v_mov_b32_e32 v43, v47
	v_mov_b32_e32 v13, v2
	v_pk_add_f32 v[48:49], v[12:13], v[42:43] neg_lo:[0,1] neg_hi:[0,1]
	v_pk_add_f32 v[12:13], v[12:13], v[42:43]
	v_mov_b32_e32 v42, v13
	v_pk_add_f32 v[50:51], v[42:43], v[2:3] neg_lo:[0,1] neg_hi:[0,1]
	v_mov_b32_e32 v1, v50
	v_pk_add_f32 v[52:53], v[46:47], v[0:1] neg_lo:[0,1] neg_hi:[0,1]
	v_mov_b32_e32 v12, v47
	v_mov_b32_e32 v46, v3
	;; [unrolled: 1-line block ×4, first 2 shown]
	v_pk_add_f32 v[12:13], v[12:13], v[46:47] neg_lo:[0,1] neg_hi:[0,1]
	v_mov_b32_e32 v44, v45
	v_mov_b32_e32 v45, v2
	v_pk_add_f32 v[2:3], v[44:45], v[12:13] neg_lo:[0,1] neg_hi:[0,1]
	v_mov_b32_e32 v52, v48
	v_pk_add_f32 v[12:13], v[52:53], v[2:3]
	v_mov_b32_e32 v44, v13
	v_pk_add_f32 v[44:45], v[12:13], v[44:45]
	v_pk_add_f32 v[42:43], v[42:43], v[44:45]
	v_mov_b32_e32 v13, v42
	v_pk_add_f32 v[46:47], v[12:13], v[48:49] neg_lo:[0,1] neg_hi:[0,1]
	v_mov_b32_e32 v3, v44
	v_sub_f32_e32 v1, v12, v46
	v_pk_add_f32 v[2:3], v[2:3], v[46:47] neg_lo:[0,1] neg_hi:[0,1]
	v_sub_f32_e32 v1, v48, v1
	v_add_f32_e32 v1, v2, v1
	v_add_f32_e32 v1, v1, v3
	;; [unrolled: 1-line block ×3, first 2 shown]
	v_mul_f32_e32 v1, 0.5, v1
	v_cmp_lt_f32_e64 s[30:31], |v5|, s64
	v_cndmask_b32_e64 v1, v1, |v5|, s[30:31]
	v_cmp_ngt_f32_e64 vcc, |v5|, 1.0
	v_cndmask_b32_e32 v1, v34, v1, vcc
	v_cmp_neq_f32_e64 vcc, |v5|, 1.0
	v_cndmask_b32_e32 v1, v41, v1, vcc
	v_bfi_b32 v13, s61, v1, v5
	v_mov_b32_e32 v12, v4
	s_branch .LBB69_3
.LBB69_212:
	s_or_b64 exec, exec, s[12:13]
	s_mov_b64 s[6:7], 0
.LBB69_213:
	s_andn2_b64 vcc, exec, s[6:7]
	s_cbranch_vccnz .LBB69_441
; %bb.214:
	v_cmp_lt_i64_e64 s[6:7], s[16:17], 1
	s_and_b64 vcc, exec, s[6:7]
	s_cbranch_vccnz .LBB69_441
; %bb.215:
	s_load_dword s4, s[4:5], 0xc5c
	v_mov_b32_e32 v2, 0x10000
	v_mov_b32_e32 v3, 0
	v_cmp_lt_u64_e32 vcc, s[16:17], v[2:3]
	v_lshlrev_b32_e32 v10, 3, v0
	s_waitcnt lgkmcnt(0)
	s_and_b32 s6, s4, 0xffff
	s_and_b64 s[4:5], vcc, exec
	v_mov_b32_e32 v13, s11
	v_add_co_u32_e32 v2, vcc, s10, v10
	v_addc_co_u32_e32 v1, vcc, 0, v13, vcc
	v_mov_b32_e32 v11, 0
	v_mov_b32_e32 v15, s9
	v_add_co_u32_e32 v4, vcc, s8, v10
	v_addc_co_u32_e32 v3, vcc, 0, v15, vcc
	v_mad_u64_u32 v[8:9], s[4:5], s6, 24, v[10:11]
	v_add_co_u32_e32 v6, vcc, s10, v8
	v_addc_co_u32_e32 v5, vcc, v13, v9, vcc
	v_add_co_u32_e32 v8, vcc, s8, v8
	s_mul_i32 s12, s6, 3
	v_addc_co_u32_e32 v7, vcc, v15, v9, vcc
	v_add_co_u32_e32 v17, vcc, s12, v0
	v_addc_co_u32_e64 v32, s[4:5], 0, 0, vcc
	s_cselect_b32 s19, s17, 0
	s_cselect_b32 s18, s16, 0x10000
	s_lshl_b32 s4, s6, 4
	v_add_co_u32_e32 v11, vcc, s4, v10
	v_addc_co_u32_e64 v14, s[4:5], 0, 0, vcc
	v_add_co_u32_e32 v10, vcc, s10, v11
	v_addc_co_u32_e32 v9, vcc, v13, v14, vcc
	v_add_co_u32_e32 v12, vcc, s8, v11
	s_lshl_b32 s7, s6, 1
	v_addc_co_u32_e32 v11, vcc, v15, v14, vcc
	v_add_co_u32_e32 v33, vcc, s7, v0
	v_addc_co_u32_e64 v34, s[4:5], 0, 0, vcc
	v_add_co_u32_e32 v35, vcc, s6, v0
	v_lshlrev_b32_e32 v16, 3, v35
	v_addc_co_u32_e64 v36, s[4:5], 0, 0, vcc
	v_add_co_u32_e32 v14, vcc, s10, v16
	v_addc_co_u32_e32 v13, vcc, 0, v13, vcc
	s_mov_b64 s[20:21], src_private_base
	v_add_co_u32_e32 v16, vcc, s8, v16
	s_mov_b32 s33, 0
	s_lshl_b32 s46, s6, 2
	s_mov_b32 s20, 8
	s_mov_b32 s22, 0
	;; [unrolled: 1-line block ×5, first 2 shown]
	s_lshl_b32 s47, s6, 5
	v_addc_co_u32_e32 v15, vcc, 0, v15, vcc
	s_mov_b64 s[26:27], 0
	v_mov_b32_e32 v37, 0x248d3132
	s_mov_b32 s48, 0x4b000000
	s_mov_b32 s49, 0x399cc471
	s_brev_b32 s50, 44
	s_brev_b32 s51, 4
	s_mov_b32 s52, 0x3f2aaaab
	v_mov_b32_e32 v38, 0x3f2aaada
	s_mov_b32 s53, 0x3f317218
	s_mov_b32 s54, 0x7f800000
	;; [unrolled: 1-line block ×5, first 2 shown]
	v_mov_b32_e32 v39, 0x3d29fb3f
	v_mov_b32_e32 v40, 0xbd97d4d7
	;; [unrolled: 1-line block ×6, first 2 shown]
	s_movk_i32 s58, 0x204
	s_brev_b32 s59, -2
	v_mov_b32_e32 v45, 0xd800000
	s_mov_b32 s60, 0x6800000
	s_mov_b32 s61, 0x59000000
	;; [unrolled: 1-line block ×3, first 2 shown]
	v_mov_b32_e32 v18, 0x3f317218
	v_mov_b32_e32 v46, 0x7fc00000
	v_mov_b32_e32 v47, 0xff800000
	v_mov_b32_e32 v48, 0x4f800000
	v_mov_b32_e32 v49, 0x41b17218
	v_mov_b32_e32 v50, 0x40490fdb
	v_mov_b32_e32 v51, 0x3f490fdb
	v_mov_b32_e32 v52, 0x4016cbe4
	v_mov_b32_e32 v20, -1.0
	v_mov_b32_e32 v53, 0x7f800000
	s_branch .LBB69_217
.LBB69_216:                             ;   in Loop: Header=BB69_217 Depth=1
	s_or_b64 exec, exec, s[4:5]
	s_add_u32 s26, s26, s46
	s_addc_u32 s27, s27, 0
	v_pk_mov_b32 v[22:23], s[16:17], s[16:17] op_sel:[0,1]
	v_cmp_ge_i64_e32 vcc, s[26:27], v[22:23]
	v_mov_b32_e32 v22, 0xffff
	v_mov_b32_e32 v23, 0
	v_cmp_gt_u64_e64 s[4:5], s[26:27], v[22:23]
	s_or_b64 s[4:5], vcc, s[4:5]
	s_waitcnt lgkmcnt(0)
	v_mov_b32_e32 v19, s33
	v_add_co_u32_e32 v2, vcc, s47, v2
	v_addc_co_u32_e32 v1, vcc, v1, v19, vcc
	v_add_co_u32_e32 v4, vcc, s47, v4
	v_addc_co_u32_e32 v3, vcc, v3, v19, vcc
	;; [unrolled: 2-line block ×8, first 2 shown]
	s_and_b64 vcc, exec, s[4:5]
	s_cbranch_vccnz .LBB69_441
.LBB69_217:                             ; =>This Inner Loop Header: Depth=1
	v_mov_b32_e32 v19, s27
	v_add_co_u32_e32 v22, vcc, s26, v0
	v_addc_co_u32_e32 v23, vcc, 0, v19, vcc
	v_cmp_gt_u64_e64 s[4:5], s[18:19], v[22:23]
	v_mov_b32_e32 v28, 0
	v_mov_b32_e32 v29, 0
	s_and_saveexec_b64 s[6:7], s[4:5]
	s_cbranch_execz .LBB69_219
; %bb.218:                              ;   in Loop: Header=BB69_217 Depth=1
	v_mov_b32_e32 v19, s15
	v_add_co_u32_e32 v22, vcc, s14, v2
	v_addc_co_u32_e32 v23, vcc, v1, v19, vcc
	global_load_dwordx2 v[28:29], v[22:23], off
.LBB69_219:                             ;   in Loop: Header=BB69_217 Depth=1
	s_or_b64 exec, exec, s[6:7]
	v_mov_b32_e32 v19, s27
	v_add_co_u32_e32 v22, vcc, s26, v35
	v_addc_co_u32_e32 v23, vcc, v36, v19, vcc
	v_cmp_gt_u64_e64 s[6:7], s[18:19], v[22:23]
	v_mov_b32_e32 v26, 0
	v_mov_b32_e32 v30, 0
	;; [unrolled: 1-line block ×3, first 2 shown]
	s_and_saveexec_b64 s[8:9], s[6:7]
	s_cbranch_execz .LBB69_221
; %bb.220:                              ;   in Loop: Header=BB69_217 Depth=1
	v_mov_b32_e32 v19, s15
	v_add_co_u32_e32 v22, vcc, s14, v14
	v_addc_co_u32_e32 v23, vcc, v13, v19, vcc
	global_load_dwordx2 v[30:31], v[22:23], off
.LBB69_221:                             ;   in Loop: Header=BB69_217 Depth=1
	s_or_b64 exec, exec, s[8:9]
	v_mov_b32_e32 v19, s27
	v_add_co_u32_e32 v22, vcc, s26, v33
	v_addc_co_u32_e32 v23, vcc, v34, v19, vcc
	v_cmp_gt_u64_e64 s[8:9], s[18:19], v[22:23]
	v_mov_b32_e32 v27, 0
	s_and_saveexec_b64 s[10:11], s[8:9]
	s_cbranch_execz .LBB69_223
; %bb.222:                              ;   in Loop: Header=BB69_217 Depth=1
	v_mov_b32_e32 v19, s15
	v_add_co_u32_e32 v22, vcc, s14, v10
	v_addc_co_u32_e32 v23, vcc, v9, v19, vcc
	global_load_dwordx2 v[26:27], v[22:23], off
.LBB69_223:                             ;   in Loop: Header=BB69_217 Depth=1
	s_or_b64 exec, exec, s[10:11]
	v_mov_b32_e32 v19, s27
	v_add_co_u32_e32 v22, vcc, s26, v17
	v_addc_co_u32_e32 v23, vcc, v32, v19, vcc
	v_cmp_gt_u64_e64 s[10:11], s[18:19], v[22:23]
	v_mov_b32_e32 v22, 0
	v_mov_b32_e32 v23, v22
	s_and_saveexec_b64 s[12:13], s[10:11]
	s_cbranch_execz .LBB69_225
; %bb.224:                              ;   in Loop: Header=BB69_217 Depth=1
	v_mov_b32_e32 v19, s15
	v_add_co_u32_e32 v22, vcc, s14, v6
	v_addc_co_u32_e32 v23, vcc, v5, v19, vcc
	global_load_dwordx2 v[22:23], v[22:23], off
.LBB69_225:                             ;   in Loop: Header=BB69_217 Depth=1
	s_or_b64 exec, exec, s[12:13]
	s_waitcnt vmcnt(0)
	v_cmp_neq_f32_e32 vcc, 0, v28
	v_cmp_nle_f32_e64 s[12:13], |v29|, 1.0
	v_pk_mov_b32 v[24:25], s[20:21], s[20:21] op_sel:[0,1]
	s_or_b64 s[12:13], vcc, s[12:13]
	flat_store_dword v[24:25], v37
	s_waitcnt vmcnt(0)
                                        ; implicit-def: $vgpr25
	s_and_saveexec_b64 s[28:29], s[12:13]
	s_xor_b64 s[28:29], exec, s[28:29]
	s_cbranch_execz .LBB69_275
; %bb.226:                              ;   in Loop: Header=BB69_217 Depth=1
	v_cmp_neq_f32_e32 vcc, 0, v29
                                        ; implicit-def: $vgpr25
	s_and_saveexec_b64 s[12:13], vcc
	s_xor_b64 s[30:31], exec, s[12:13]
	s_cbranch_execz .LBB69_272
; %bb.227:                              ;   in Loop: Header=BB69_217 Depth=1
	v_cmp_o_f32_e32 vcc, v29, v28
                                        ; implicit-def: $vgpr25
	s_and_saveexec_b64 s[12:13], vcc
	s_xor_b64 s[34:35], exec, s[12:13]
	s_cbranch_execz .LBB69_261
; %bb.228:                              ;   in Loop: Header=BB69_217 Depth=1
	v_max_f32_e64 v21, |v28|, |v28|
	v_max_f32_e64 v19, |v29|, |v29|
	v_max_f32_e32 v19, v19, v21
	v_cmp_nlt_f32_e32 vcc, s48, v19
                                        ; implicit-def: $vgpr25
	s_and_saveexec_b64 s[12:13], vcc
	s_xor_b64 s[36:37], exec, s[12:13]
	s_cbranch_execz .LBB69_246
; %bb.229:                              ;   in Loop: Header=BB69_217 Depth=1
	v_cmp_nlt_f32_e64 s[12:13], |v29|, s49
	v_cmp_nlt_f32_e64 s[38:39], |v28|, s49
	s_or_b64 s[12:13], s[12:13], s[38:39]
                                        ; implicit-def: $vgpr25
	s_and_saveexec_b64 s[38:39], s[12:13]
	s_xor_b64 s[38:39], exec, s[38:39]
	s_cbranch_execz .LBB69_243
; %bb.230:                              ;   in Loop: Header=BB69_217 Depth=1
	v_cmp_neq_f32_e64 s[42:43], |v29|, 1.0
	v_cmp_nlt_f32_e64 s[40:41], |v28|, s50
	s_or_b64 s[12:13], s[42:43], s[40:41]
                                        ; implicit-def: $vgpr19
	s_and_saveexec_b64 s[44:45], s[12:13]
	s_xor_b64 s[12:13], exec, s[44:45]
	s_cbranch_execz .LBB69_232
; %bb.231:                              ;   in Loop: Header=BB69_217 Depth=1
	v_add_f32_e64 v24, |v29|, -1.0
	v_mul_f32_e32 v54, v28, v28
	v_mul_f32_e32 v25, v24, v24
	v_fmac_f32_e32 v54, v24, v24
	v_cmp_lt_f32_e64 vcc, |v28|, s51
	v_mul_f32_e64 v19, |v29|, 4.0
	v_cndmask_b32_e32 v24, v54, v25, vcc
	v_div_scale_f32 v25, s[44:45], v24, v24, v19
	v_rcp_f32_e32 v54, v25
	v_fma_f32 v55, -v25, v54, 1.0
	v_fmac_f32_e32 v54, v55, v54
	v_div_scale_f32 v55, vcc, v19, v24, v19
	v_mul_f32_e32 v56, v55, v54
	v_fma_f32 v57, -v25, v56, v55
	v_fmac_f32_e32 v56, v57, v54
	v_fma_f32 v25, -v25, v56, v55
	v_div_fmas_f32 v25, v25, v54, v56
	v_div_fixup_f32 v24, v25, v24, v19
	v_add_f32_e32 v55, 1.0, v24
	v_add_f32_e32 v25, -1.0, v55
	v_mov_b32_e32 v54, v25
	v_pk_add_f32 v[56:57], v[24:25], v[54:55] neg_lo:[0,1] neg_hi:[0,1]
	v_add_f32_e32 v19, 1.0, v57
	v_add_f32_e32 v19, v56, v19
	v_frexp_mant_f32_e32 v25, v55
	v_cvt_f64_f32_e32 v[56:57], v55
	v_frexp_exp_i32_f64_e32 v54, v[56:57]
	v_cmp_gt_f32_e32 vcc, s52, v25
	v_subbrev_co_u32_e32 v25, vcc, 0, v54, vcc
	v_sub_u32_e32 v54, 0, v25
	v_ldexp_f32 v55, v55, v54
	v_ldexp_f32 v19, v19, v54
	v_add_f32_e32 v54, -1.0, v55
	v_add_f32_e32 v57, 1.0, v55
	v_add_f32_e32 v56, 1.0, v54
	v_add_f32_e32 v58, -1.0, v57
	v_sub_f32_e32 v56, v55, v56
	v_sub_f32_e32 v55, v55, v58
	v_add_f32_e32 v56, v19, v56
	v_add_f32_e32 v19, v19, v55
	;; [unrolled: 1-line block ×3, first 2 shown]
	v_rcp_f32_e32 v63, v62
	v_sub_f32_e32 v55, v62, v57
	v_sub_f32_e32 v19, v19, v55
	v_add_f32_e32 v55, v54, v56
	v_sub_f32_e32 v54, v55, v54
	v_mul_f32_e32 v65, v55, v63
	v_sub_f32_e32 v64, v56, v54
	v_mul_f32_e32 v56, v62, v65
	v_fma_f32 v58, v65, v62, -v56
	v_fmac_f32_e32 v58, v65, v19
	v_add_f32_e32 v54, v56, v58
	v_sub_f32_e32 v57, v55, v54
	v_pk_add_f32 v[60:61], v[54:55], v[56:57] neg_lo:[0,1] neg_hi:[0,1]
	v_mov_b32_e32 v59, v54
	v_pk_add_f32 v[54:55], v[60:61], v[58:59] neg_lo:[0,1] neg_hi:[0,1]
	v_add_f32_e32 v55, v64, v55
	v_add_f32_e32 v54, v54, v55
	;; [unrolled: 1-line block ×3, first 2 shown]
	v_mul_f32_e32 v64, v63, v55
	v_mul_f32_e32 v56, v62, v64
	v_fma_f32 v58, v64, v62, -v56
	v_fmac_f32_e32 v58, v64, v19
	v_sub_f32_e32 v19, v57, v55
	v_add_f32_e32 v19, v54, v19
	v_add_f32_e32 v54, v56, v58
	v_sub_f32_e32 v57, v55, v54
	v_pk_add_f32 v[60:61], v[54:55], v[56:57] neg_lo:[0,1] neg_hi:[0,1]
	v_mov_b32_e32 v59, v54
	v_pk_add_f32 v[54:55], v[60:61], v[58:59] neg_lo:[0,1] neg_hi:[0,1]
	v_add_f32_e32 v19, v19, v55
	v_add_f32_e32 v19, v54, v19
	;; [unrolled: 1-line block ×4, first 2 shown]
	v_sub_f32_e32 v54, v55, v65
	v_mul_f32_e32 v19, v63, v19
	v_sub_f32_e32 v54, v64, v54
	v_add_f32_e32 v56, v54, v19
	v_add_f32_e32 v58, v55, v56
	v_cvt_f32_i32_e32 v54, v25
	v_mul_f32_e32 v59, v58, v58
	v_mov_b32_e32 v19, 0x3ecc95a3
	v_fmac_f32_e32 v19, 0x3e9b6dac, v59
	v_fma_f32 v19, v59, v19, v38
	v_sub_f32_e32 v25, v58, v55
	v_mul_f32_e32 v55, v58, v59
	v_ldexp_f32 v57, v58, 1
	v_pk_mul_f32 v[58:59], v[54:55], v[18:19]
	v_sub_f32_e32 v25, v56, v25
	v_fma_f32 v56, v54, s53, -v58
	v_fmac_f32_e32 v56, 0xb102e308, v54
	v_pk_add_f32 v[54:55], v[58:59], v[56:57]
	v_sub_f32_e32 v19, v55, v57
	v_ldexp_f32 v25, v25, 1
	v_sub_f32_e32 v19, v59, v19
	v_add_f32_e32 v61, v25, v19
	v_mov_b32_e32 v60, v58
	v_pk_add_f32 v[58:59], v[54:55], v[58:59] neg_lo:[0,1] neg_hi:[0,1]
	v_pk_add_f32 v[62:63], v[54:55], v[60:61]
	v_mov_b32_e32 v59, v63
	v_mov_b32_e32 v57, v54
	v_pk_add_f32 v[64:65], v[56:57], v[58:59] neg_lo:[0,1] neg_hi:[0,1]
	v_pk_add_f32 v[56:57], v[56:57], v[58:59]
	v_mov_b32_e32 v58, v57
	v_pk_add_f32 v[66:67], v[58:59], v[54:55] neg_lo:[0,1] neg_hi:[0,1]
	v_mov_b32_e32 v19, v66
	v_pk_add_f32 v[68:69], v[62:63], v[18:19] neg_lo:[0,1] neg_hi:[0,1]
	v_mov_b32_e32 v56, v63
	v_mov_b32_e32 v62, v55
	;; [unrolled: 1-line block ×4, first 2 shown]
	v_pk_add_f32 v[56:57], v[56:57], v[62:63] neg_lo:[0,1] neg_hi:[0,1]
	v_mov_b32_e32 v60, v61
	v_mov_b32_e32 v61, v54
	v_pk_add_f32 v[54:55], v[60:61], v[56:57] neg_lo:[0,1] neg_hi:[0,1]
	v_mov_b32_e32 v68, v64
	v_pk_add_f32 v[56:57], v[68:69], v[54:55]
	v_mov_b32_e32 v60, v57
	v_pk_add_f32 v[60:61], v[56:57], v[60:61]
	v_pk_add_f32 v[58:59], v[58:59], v[60:61]
	v_mov_b32_e32 v57, v58
	v_pk_add_f32 v[62:63], v[56:57], v[64:65] neg_lo:[0,1] neg_hi:[0,1]
	v_mov_b32_e32 v55, v60
	v_sub_f32_e32 v19, v56, v62
	v_pk_add_f32 v[54:55], v[54:55], v[62:63] neg_lo:[0,1] neg_hi:[0,1]
	v_sub_f32_e32 v19, v64, v19
	v_add_f32_e32 v19, v54, v19
	v_add_f32_e32 v19, v19, v55
	;; [unrolled: 1-line block ×3, first 2 shown]
	v_cmp_eq_f32_e32 vcc, s54, v24
	v_cndmask_b32_e32 v19, v19, v24, vcc
	v_cmp_ngt_f32_e32 vcc, -1.0, v24
	v_cndmask_b32_e32 v19, v46, v19, vcc
	v_cmp_neq_f32_e32 vcc, -1.0, v24
	v_cndmask_b32_e32 v19, v47, v19, vcc
	v_cmp_lt_f32_e64 vcc, |v24|, s55
	v_cndmask_b32_e32 v19, v19, v24, vcc
	v_mul_f32_e32 v19, 0x3e800000, v19
	s_andn2_saveexec_b64 s[44:45], s[12:13]
	s_cbranch_execz .LBB69_234
	s_branch .LBB69_233
.LBB69_232:                             ;   in Loop: Header=BB69_217 Depth=1
	s_andn2_saveexec_b64 s[44:45], s[12:13]
	s_cbranch_execz .LBB69_234
.LBB69_233:                             ;   in Loop: Header=BB69_217 Depth=1
	v_cmp_lt_f32_e64 vcc, |v28|, s56
	v_cndmask_b32_e32 v19, 1.0, v48, vcc
	v_mul_f32_e64 v19, |v28|, v19
	v_log_f32_e32 v19, v19
	v_mul_f32_e32 v24, 0x3f317217, v19
	v_fma_f32 v25, v19, s57, -v24
	v_fmac_f32_e32 v25, 0x3377d1cf, v19
	v_add_f32_e32 v24, v24, v25
	v_cmp_lt_f32_e64 s[12:13], |v19|, s54
	v_cndmask_b32_e64 v19, v19, v24, s[12:13]
	v_cndmask_b32_e32 v24, 0, v49, vcc
	v_sub_f32_e32 v19, v19, v24
	v_sub_f32_e32 v19, 0x3f317218, v19
	v_mul_f32_e32 v19, 0.5, v19
.LBB69_234:                             ;   in Loop: Header=BB69_217 Depth=1
	s_or_b64 exec, exec, s[44:45]
                                        ; implicit-def: $vgpr25
	s_and_saveexec_b64 s[12:13], s[42:43]
	s_xor_b64 s[42:43], exec, s[12:13]
	s_cbranch_execz .LBB69_240
; %bb.235:                              ;   in Loop: Header=BB69_217 Depth=1
	v_sub_f32_e64 v24, 1.0, |v29|
	v_add_f32_e64 v25, |v29|, 1.0
	v_add_f32_e64 v21, |v28|, |v28|
	v_mul_f32_e32 v24, v24, v25
                                        ; implicit-def: $vgpr25
	s_and_saveexec_b64 s[12:13], s[40:41]
	s_xor_b64 s[40:41], exec, s[12:13]
	s_cbranch_execz .LBB69_237
; %bb.236:                              ;   in Loop: Header=BB69_217 Depth=1
	v_fma_f32 v24, -v28, v28, v24
	v_max_f32_e64 v25, |v21|, |v21|
	v_min_f32_e64 v54, |v24|, v25
	v_max_f32_e64 v25, |v24|, v25
	v_frexp_mant_f32_e32 v55, v25
	v_rcp_f32_e32 v55, v55
	v_frexp_exp_i32_f32_e32 v25, v25
	v_frexp_exp_i32_f32_e32 v56, v54
	v_frexp_mant_f32_e32 v54, v54
	v_mul_f32_e32 v54, v54, v55
	v_sub_u32_e32 v25, v56, v25
	v_ldexp_f32 v25, v54, v25
	v_mul_f32_e32 v54, v25, v25
	v_mov_b32_e32 v55, 0xbc7a590c
	v_fmac_f32_e32 v55, 0x3b2d2a58, v54
	v_fma_f32 v55, v54, v55, v39
	v_fma_f32 v55, v54, v55, v40
	;; [unrolled: 1-line block ×6, first 2 shown]
	v_mul_f32_e32 v54, v54, v55
	v_fmac_f32_e32 v25, v25, v54
	v_sub_f32_e32 v54, 0x3fc90fdb, v25
	v_cmp_gt_f32_e64 vcc, |v21|, |v24|
	v_cndmask_b32_e32 v25, v25, v54, vcc
	v_sub_f32_e32 v54, 0x40490fdb, v25
	v_cmp_gt_f32_e32 vcc, 0, v24
	v_cmp_gt_i32_e64 s[12:13], 0, v24
	v_cndmask_b32_e32 v25, v25, v54, vcc
	v_cndmask_b32_e64 v54, 0, v50, s[12:13]
	v_cmp_eq_f32_e64 s[12:13], 0, v21
	v_cndmask_b32_e64 v25, v25, v54, s[12:13]
	v_cmp_class_f32_e64 s[12:13], v24, s58
	v_cmp_class_f32_e64 s[44:45], v21, s58
	v_cndmask_b32_e32 v54, v51, v52, vcc
	s_and_b64 vcc, s[44:45], s[12:13]
	v_cndmask_b32_e32 v25, v25, v54, vcc
	v_cmp_o_f32_e32 vcc, v24, v21
	v_cndmask_b32_e32 v24, v46, v25, vcc
	v_bfi_b32 v25, s59, v24, v21
                                        ; implicit-def: $vgpr21
                                        ; implicit-def: $vgpr24
.LBB69_237:                             ;   in Loop: Header=BB69_217 Depth=1
	s_andn2_saveexec_b64 s[40:41], s[40:41]
	s_cbranch_execz .LBB69_239
; %bb.238:                              ;   in Loop: Header=BB69_217 Depth=1
	v_max_f32_e32 v25, v21, v21
	v_max_f32_e64 v54, |v24|, |v24|
	v_min_f32_e32 v55, v54, v25
	v_max_f32_e32 v25, v54, v25
	v_frexp_mant_f32_e32 v54, v25
	v_rcp_f32_e32 v54, v54
	v_frexp_exp_i32_f32_e32 v25, v25
	v_frexp_exp_i32_f32_e32 v56, v55
	v_frexp_mant_f32_e32 v55, v55
	v_mul_f32_e32 v54, v55, v54
	v_sub_u32_e32 v25, v56, v25
	v_ldexp_f32 v25, v54, v25
	v_mul_f32_e32 v54, v25, v25
	v_mov_b32_e32 v55, 0xbc7a590c
	v_fmac_f32_e32 v55, 0x3b2d2a58, v54
	v_fma_f32 v55, v54, v55, v39
	v_fma_f32 v55, v54, v55, v40
	;; [unrolled: 1-line block ×6, first 2 shown]
	v_mul_f32_e32 v54, v54, v55
	v_fmac_f32_e32 v25, v25, v54
	v_sub_f32_e32 v54, 0x3fc90fdb, v25
	v_cmp_gt_f32_e64 vcc, v21, |v24|
	v_cndmask_b32_e32 v25, v25, v54, vcc
	v_sub_f32_e32 v54, 0x40490fdb, v25
	v_cmp_gt_f32_e32 vcc, 0, v24
	v_cmp_gt_i32_e64 s[12:13], 0, v24
	v_cndmask_b32_e32 v25, v25, v54, vcc
	v_cndmask_b32_e64 v54, 0, v50, s[12:13]
	v_cmp_eq_f32_e64 s[12:13], 0, v21
	v_cndmask_b32_e64 v25, v25, v54, s[12:13]
	v_cndmask_b32_e32 v54, v51, v52, vcc
	v_cmp_class_f32_e64 s[12:13], v24, s58
	v_cmp_eq_f32_e32 vcc, s54, v21
	s_and_b64 vcc, vcc, s[12:13]
	v_cndmask_b32_e32 v21, v25, v54, vcc
	v_cmp_o_f32_e32 vcc, v24, v24
	v_cndmask_b32_e64 v25, v46, |v21|, vcc
.LBB69_239:                             ;   in Loop: Header=BB69_217 Depth=1
	s_or_b64 exec, exec, s[40:41]
                                        ; implicit-def: $vgpr21
	s_andn2_saveexec_b64 s[12:13], s[42:43]
	s_cbranch_execnz .LBB69_241
	s_branch .LBB69_242
.LBB69_240:                             ;   in Loop: Header=BB69_217 Depth=1
	s_andn2_saveexec_b64 s[12:13], s[42:43]
	s_cbranch_execz .LBB69_242
.LBB69_241:                             ;   in Loop: Header=BB69_217 Depth=1
	v_min_f32_e32 v24, 2.0, v21
	v_max_f32_e32 v21, 2.0, v21
	v_frexp_mant_f32_e32 v25, v21
	v_rcp_f32_e32 v25, v25
	v_frexp_exp_i32_f32_e32 v21, v21
	v_frexp_exp_i32_f32_e32 v54, v24
	v_frexp_mant_f32_e32 v24, v24
	v_mul_f32_e32 v24, v24, v25
	v_sub_u32_e32 v21, v54, v21
	v_ldexp_f32 v21, v24, v21
	v_mul_f32_e32 v24, v21, v21
	v_mov_b32_e32 v25, 0xbc7a590c
	v_fmac_f32_e32 v25, 0x3b2d2a58, v24
	v_fma_f32 v25, v24, v25, v39
	v_fma_f32 v25, v24, v25, v40
	;; [unrolled: 1-line block ×6, first 2 shown]
	v_mul_f32_e32 v24, v24, v25
	v_fmac_f32_e32 v21, v21, v24
	v_sub_f32_e32 v24, 0x3fc90fdb, v21
	v_cmp_lt_f32_e64 vcc, |v28|, 2.0
	v_cndmask_b32_e32 v21, v21, v24, vcc
	v_sub_f32_e32 v24, 0x40490fdb, v21
	v_cmp_lg_f32_e32 vcc, 0, v28
	v_cndmask_b32_e32 v21, v21, v24, vcc
	v_and_b32_e32 v25, 0x7fffffff, v21
.LBB69_242:                             ;   in Loop: Header=BB69_217 Depth=1
	s_or_b64 exec, exec, s[12:13]
	v_mul_f32_e32 v21, 0.5, v25
	v_bfi_b32 v25, s59, v19, v29
	v_bfi_b32 v24, s59, v21, v28
                                        ; implicit-def: $vgpr29
.LBB69_243:                             ;   in Loop: Header=BB69_217 Depth=1
	s_andn2_saveexec_b64 s[12:13], s[38:39]
	s_cbranch_execz .LBB69_245
; %bb.244:                              ;   in Loop: Header=BB69_217 Depth=1
	v_pk_mov_b32 v[24:25], s[22:23], s[22:23] op_sel:[0,1]
	flat_store_dword v[24:25], v45
	s_waitcnt vmcnt(0)
	flat_load_dword v19, v[24:25] glc
	s_waitcnt vmcnt(0)
	v_pk_mov_b32 v[24:25], s[24:25], s[24:25] op_sel:[0,1]
	s_waitcnt lgkmcnt(0)
	v_add_f32_e32 v19, 1.0, v19
	flat_store_dword v[24:25], v19
	s_waitcnt vmcnt(0)
	flat_load_dword v19, v[24:25] glc
	s_waitcnt vmcnt(0)
	v_mov_b32_e32 v25, v29
	v_mov_b32_e32 v24, v28
.LBB69_245:                             ;   in Loop: Header=BB69_217 Depth=1
	s_or_b64 exec, exec, s[12:13]
                                        ; implicit-def: $vgpr28
.LBB69_246:                             ;   in Loop: Header=BB69_217 Depth=1
	s_andn2_saveexec_b64 s[12:13], s[36:37]
	s_cbranch_execz .LBB69_260
; %bb.247:                              ;   in Loop: Header=BB69_217 Depth=1
	v_and_b32_e32 v21, 0x7f800000, v28
	s_waitcnt lgkmcnt(0)
	v_and_b32_e32 v19, 0x7f800000, v29
	v_sub_u32_e32 v24, v19, v21
	v_cmp_gt_i32_e32 vcc, s60, v24
	v_cmp_neq_f32_e64 s[36:37], |v29|, s54
	s_and_b64 s[36:37], s[36:37], vcc
                                        ; implicit-def: $vgpr25
	s_and_saveexec_b64 s[38:39], s[36:37]
	s_xor_b64 s[36:37], exec, s[38:39]
	s_cbranch_execz .LBB69_257
; %bb.248:                              ;   in Loop: Header=BB69_217 Depth=1
	v_sub_u32_e32 v21, v21, v19
	v_cmp_gt_i32_e32 vcc, s60, v21
                                        ; implicit-def: $vgpr25
	s_and_saveexec_b64 s[38:39], vcc
	s_xor_b64 s[38:39], exec, s[38:39]
	s_cbranch_execz .LBB69_254
; %bb.249:                              ;   in Loop: Header=BB69_217 Depth=1
	v_cmp_lt_u32_e32 vcc, s61, v19
                                        ; implicit-def: $vgpr25
	s_and_saveexec_b64 s[40:41], vcc
	s_xor_b64 s[40:41], exec, s[40:41]
	s_cbranch_execz .LBB69_251
; %bb.250:                              ;   in Loop: Header=BB69_217 Depth=1
	v_sub_u32_e32 v19, 0x7f800000, v19
	v_mul_f32_e32 v24, v28, v19
	v_mul_f32_e32 v21, v29, v19
	;; [unrolled: 1-line block ×3, first 2 shown]
	v_fmac_f32_e32 v24, v21, v21
	v_div_scale_f32 v25, s[42:43], v24, v24, v21
	v_rcp_f32_e32 v29, v25
	v_fma_f32 v54, -v25, v29, 1.0
	v_fmac_f32_e32 v29, v54, v29
	v_div_scale_f32 v54, vcc, v21, v24, v21
	v_mul_f32_e32 v55, v54, v29
	v_fma_f32 v56, -v25, v55, v54
	v_fmac_f32_e32 v55, v56, v29
	v_fma_f32 v25, -v25, v55, v54
	v_div_fmas_f32 v25, v25, v29, v55
	v_div_fixup_f32 v21, v25, v24, v21
	v_mul_f32_e32 v25, v21, v19
.LBB69_251:                             ;   in Loop: Header=BB69_217 Depth=1
	s_andn2_saveexec_b64 s[40:41], s[40:41]
	s_cbranch_execz .LBB69_253
; %bb.252:                              ;   in Loop: Header=BB69_217 Depth=1
	v_pk_mul_f32 v[24:25], v[28:29], v[28:29]
	v_add_f32_e32 v19, v25, v24
	v_div_scale_f32 v21, s[42:43], v19, v19, v29
	v_rcp_f32_e32 v24, v21
	v_div_scale_f32 v25, vcc, v29, v19, v29
	v_fma_f32 v54, -v21, v24, 1.0
	v_fmac_f32_e32 v24, v54, v24
	v_mul_f32_e32 v54, v25, v24
	v_fma_f32 v55, -v21, v54, v25
	v_fmac_f32_e32 v54, v55, v24
	v_fma_f32 v21, -v21, v54, v25
	v_div_fmas_f32 v21, v21, v24, v54
	v_div_fixup_f32 v25, v21, v19, v29
.LBB69_253:                             ;   in Loop: Header=BB69_217 Depth=1
	s_or_b64 exec, exec, s[40:41]
.LBB69_254:                             ;   in Loop: Header=BB69_217 Depth=1
	s_andn2_saveexec_b64 s[38:39], s[38:39]
	s_cbranch_execz .LBB69_256
; %bb.255:                              ;   in Loop: Header=BB69_217 Depth=1
	v_div_scale_f32 v19, s[40:41], v28, v28, v29
	v_rcp_f32_e32 v21, v19
	v_div_scale_f32 v24, vcc, v29, v28, v29
	v_fma_f32 v25, -v19, v21, 1.0
	v_fmac_f32_e32 v21, v25, v21
	v_mul_f32_e32 v25, v24, v21
	v_fma_f32 v54, -v19, v25, v24
	v_fmac_f32_e32 v25, v54, v21
	v_fma_f32 v19, -v19, v25, v24
	v_div_fmas_f32 v19, v19, v21, v25
	v_div_fixup_f32 v19, v19, v28, v29
	v_div_scale_f32 v21, s[40:41], v28, v28, v19
	v_rcp_f32_e32 v24, v21
	v_fma_f32 v25, -v21, v24, 1.0
	v_fmac_f32_e32 v24, v25, v24
	v_div_scale_f32 v25, vcc, v19, v28, v19
	v_mul_f32_e32 v29, v25, v24
	v_fma_f32 v54, -v21, v29, v25
	v_fmac_f32_e32 v29, v54, v24
	v_fma_f32 v21, -v21, v29, v25
	v_div_fmas_f32 v21, v21, v24, v29
	v_div_fixup_f32 v25, v21, v28, v19
.LBB69_256:                             ;   in Loop: Header=BB69_217 Depth=1
	s_or_b64 exec, exec, s[38:39]
.LBB69_257:                             ;   in Loop: Header=BB69_217 Depth=1
	s_andn2_saveexec_b64 s[36:37], s[36:37]
; %bb.258:                              ;   in Loop: Header=BB69_217 Depth=1
	v_div_scale_f32 v19, s[38:39], v29, v29, 1.0
	v_rcp_f32_e32 v21, v19
	v_div_scale_f32 v24, vcc, 1.0, v29, 1.0
	v_fma_f32 v25, -v19, v21, 1.0
	v_fmac_f32_e32 v21, v25, v21
	v_mul_f32_e32 v25, v24, v21
	v_fma_f32 v54, -v19, v25, v24
	v_fmac_f32_e32 v25, v54, v21
	v_fma_f32 v19, -v19, v25, v24
	v_div_fmas_f32 v19, v19, v21, v25
	v_div_fixup_f32 v25, v19, v29, 1.0
; %bb.259:                              ;   in Loop: Header=BB69_217 Depth=1
	s_or_b64 exec, exec, s[36:37]
	v_pk_mov_b32 v[54:55], s[20:21], s[20:21] op_sel:[0,1]
	flat_load_dword v19, v[54:55] glc
	s_waitcnt vmcnt(0) lgkmcnt(0)
	v_add_f32_e32 v19, 0x3fc90fdb, v19
	v_bfi_b32 v24, s59, v19, v28
.LBB69_260:                             ;   in Loop: Header=BB69_217 Depth=1
	s_or_b64 exec, exec, s[12:13]
                                        ; implicit-def: $vgpr29
.LBB69_261:                             ;   in Loop: Header=BB69_217 Depth=1
	s_andn2_saveexec_b64 s[12:13], s[34:35]
	s_cbranch_execz .LBB69_271
; %bb.262:                              ;   in Loop: Header=BB69_217 Depth=1
	v_cmp_neq_f32_e64 s[34:35], |v29|, s54
                                        ; implicit-def: $vgpr25
	s_and_saveexec_b64 s[36:37], s[34:35]
	s_xor_b64 s[34:35], exec, s[36:37]
	s_cbranch_execz .LBB69_268
; %bb.263:                              ;   in Loop: Header=BB69_217 Depth=1
	v_cmp_neq_f32_e64 s[36:37], |v28|, s54
                                        ; implicit-def: $vgpr25
	s_and_saveexec_b64 s[38:39], s[36:37]
	s_xor_b64 s[36:37], exec, s[38:39]
	s_cbranch_execz .LBB69_265
; %bb.264:                              ;   in Loop: Header=BB69_217 Depth=1
	s_waitcnt lgkmcnt(0)
	v_add_f32_e32 v19, 0, v28
	v_add_f32_e32 v25, v29, v19
                                        ; implicit-def: $vgpr28_vgpr29
.LBB69_265:                             ;   in Loop: Header=BB69_217 Depth=1
	s_or_saveexec_b64 s[36:37], s[36:37]
	v_mov_b32_e32 v24, v25
	s_xor_b64 exec, exec, s[36:37]
	s_cbranch_execz .LBB69_267
; %bb.266:                              ;   in Loop: Header=BB69_217 Depth=1
	v_pk_mov_b32 v[24:25], s[20:21], s[20:21] op_sel:[0,1]
	s_waitcnt lgkmcnt(0)
	flat_load_dword v19, v[24:25] glc
	s_waitcnt vmcnt(0)
	v_bfi_b32 v25, s59, 0, v29
	s_waitcnt lgkmcnt(0)
	v_add_f32_e32 v19, 0x3fc90fdb, v19
	v_bfi_b32 v24, s59, v19, v28
.LBB69_267:                             ;   in Loop: Header=BB69_217 Depth=1
	s_or_b64 exec, exec, s[36:37]
                                        ; implicit-def: $vgpr29
.LBB69_268:                             ;   in Loop: Header=BB69_217 Depth=1
	s_andn2_saveexec_b64 s[34:35], s[34:35]
; %bb.269:                              ;   in Loop: Header=BB69_217 Depth=1
	v_bfi_b32 v25, s59, 0, v29
	v_add_f32_e32 v24, v28, v28
; %bb.270:                              ;   in Loop: Header=BB69_217 Depth=1
	s_or_b64 exec, exec, s[34:35]
.LBB69_271:                             ;   in Loop: Header=BB69_217 Depth=1
	s_or_b64 exec, exec, s[12:13]
                                        ; implicit-def: $vgpr28
.LBB69_272:                             ;   in Loop: Header=BB69_217 Depth=1
	s_andn2_saveexec_b64 s[12:13], s[30:31]
	s_cbranch_execz .LBB69_274
; %bb.273:                              ;   in Loop: Header=BB69_217 Depth=1
	s_waitcnt lgkmcnt(0)
	v_rcp_f32_e64 v19, |v28|
	v_cmp_gt_f32_e64 vcc, |v28|, 1.0
	v_mov_b32_e32 v21, 0xbc7a590c
	v_mov_b32_e32 v25, v29
	v_cndmask_b32_e64 v19, |v28|, v19, vcc
	v_mul_f32_e32 v24, v19, v19
	v_fmac_f32_e32 v21, 0x3b2d2a58, v24
	v_fma_f32 v21, v24, v21, v39
	v_fma_f32 v21, v24, v21, v40
	;; [unrolled: 1-line block ×6, first 2 shown]
	v_mul_f32_e32 v21, v24, v21
	v_fmac_f32_e32 v19, v19, v21
	v_sub_f32_e32 v21, 0x3fc90fdb, v19
	v_cndmask_b32_e32 v19, v19, v21, vcc
	v_bfi_b32 v24, s59, v19, v28
.LBB69_274:                             ;   in Loop: Header=BB69_217 Depth=1
	s_or_b64 exec, exec, s[12:13]
                                        ; implicit-def: $vgpr29
.LBB69_275:                             ;   in Loop: Header=BB69_217 Depth=1
	s_andn2_saveexec_b64 s[12:13], s[28:29]
	s_cbranch_execz .LBB69_277
; %bb.276:                              ;   in Loop: Header=BB69_217 Depth=1
	s_waitcnt lgkmcnt(0)
	v_sub_f32_e64 v19, 1.0, |v29|
	v_rcp_f32_e32 v58, v19
	v_add_f32_e64 v54, |v29|, 1.0
	v_sub_f32_e32 v21, 1.0, v19
	v_sub_f32_e64 v25, v21, |v29|
	v_mul_f32_e32 v59, v54, v58
	v_mul_f32_e32 v55, v19, v59
	v_fma_f32 v21, v59, v19, -v55
	v_fmac_f32_e32 v21, v59, v25
	v_pk_add_f32 v[56:57], v[54:55], v[20:21]
	v_sub_f32_e32 v19, v57, v55
	v_sub_f32_e32 v55, v54, v57
	v_and_b32_e32 v24, 0x7fffffff, v29
	v_sub_f32_e32 v25, v54, v55
	v_pk_add_f32 v[24:25], v[24:25], v[56:57] neg_lo:[0,1] neg_hi:[0,1]
	v_sub_f32_e32 v19, v19, v21
	v_add_f32_e32 v19, v19, v25
	v_add_f32_e32 v19, v24, v19
	v_add_f32_e32 v19, v55, v19
	v_mul_f32_e32 v19, v58, v19
	v_add_f32_e32 v21, v59, v19
	v_sub_f32_e32 v24, v21, v59
	v_sub_f32_e32 v19, v19, v24
	v_frexp_mant_f32_e32 v54, v21
	v_cvt_f64_f32_e32 v[24:25], v21
	v_frexp_exp_i32_f64_e32 v24, v[24:25]
	v_cmp_gt_f32_e32 vcc, s52, v54
	v_subbrev_co_u32_e32 v60, vcc, 0, v24, vcc
	v_sub_u32_e32 v24, 0, v60
	v_ldexp_f32 v21, v21, v24
	v_ldexp_f32 v19, v19, v24
	v_add_f32_e32 v24, -1.0, v21
	v_add_f32_e32 v25, 1.0, v24
	v_sub_f32_e32 v25, v21, v25
	v_add_f32_e32 v54, v19, v25
	v_add_f32_e32 v25, 1.0, v21
	v_add_f32_e32 v55, -1.0, v25
	v_sub_f32_e32 v21, v21, v55
	v_add_f32_e32 v19, v19, v21
	v_add_f32_e32 v21, v25, v19
	v_rcp_f32_e32 v61, v21
	v_sub_f32_e32 v25, v21, v25
	v_sub_f32_e32 v19, v19, v25
	v_add_f32_e32 v25, v24, v54
	v_sub_f32_e32 v24, v25, v24
	v_mul_f32_e32 v63, v25, v61
	v_sub_f32_e32 v62, v54, v24
	v_mul_f32_e32 v54, v21, v63
	v_fma_f32 v56, v63, v21, -v54
	v_fmac_f32_e32 v56, v63, v19
	v_add_f32_e32 v24, v54, v56
	v_sub_f32_e32 v55, v25, v24
	v_pk_add_f32 v[58:59], v[24:25], v[54:55] neg_lo:[0,1] neg_hi:[0,1]
	v_mov_b32_e32 v57, v24
	v_pk_add_f32 v[24:25], v[58:59], v[56:57] neg_lo:[0,1] neg_hi:[0,1]
	v_add_f32_e32 v25, v62, v25
	v_add_f32_e32 v24, v24, v25
	;; [unrolled: 1-line block ×3, first 2 shown]
	v_mul_f32_e32 v62, v61, v25
	v_mul_f32_e32 v54, v21, v62
	v_fma_f32 v56, v62, v21, -v54
	v_fmac_f32_e32 v56, v62, v19
	v_sub_f32_e32 v19, v55, v25
	v_add_f32_e32 v19, v24, v19
	v_add_f32_e32 v24, v54, v56
	v_sub_f32_e32 v55, v25, v24
	v_pk_add_f32 v[58:59], v[24:25], v[54:55] neg_lo:[0,1] neg_hi:[0,1]
	v_mov_b32_e32 v57, v24
	v_pk_add_f32 v[24:25], v[58:59], v[56:57] neg_lo:[0,1] neg_hi:[0,1]
	v_add_f32_e32 v19, v19, v25
	v_add_f32_e32 v19, v24, v19
	;; [unrolled: 1-line block ×4, first 2 shown]
	v_sub_f32_e32 v24, v21, v63
	v_mul_f32_e32 v19, v61, v19
	v_sub_f32_e32 v24, v62, v24
	v_add_f32_e32 v25, v24, v19
	v_add_f32_e32 v54, v21, v25
	v_cvt_f32_i32_e32 v24, v60
	v_mul_f32_e32 v56, v54, v54
	v_mov_b32_e32 v19, 0x3ecc95a3
	v_fmac_f32_e32 v19, 0x3e9b6dac, v56
	v_sub_f32_e32 v21, v54, v21
	v_fma_f32 v19, v56, v19, v38
	v_sub_f32_e32 v21, v25, v21
	v_mul_f32_e32 v25, v54, v56
	v_pk_mul_f32 v[56:57], v[24:25], v[18:19]
	v_ldexp_f32 v55, v54, 1
	v_fma_f32 v54, v24, s53, -v56
	v_fmac_f32_e32 v54, 0xb102e308, v24
	v_pk_add_f32 v[24:25], v[56:57], v[54:55]
	v_sub_f32_e32 v19, v25, v55
	v_ldexp_f32 v21, v21, 1
	v_sub_f32_e32 v19, v57, v19
	v_add_f32_e32 v59, v21, v19
	v_mov_b32_e32 v58, v56
	v_pk_add_f32 v[56:57], v[24:25], v[56:57] neg_lo:[0,1] neg_hi:[0,1]
	v_pk_add_f32 v[60:61], v[24:25], v[58:59]
	v_mov_b32_e32 v57, v61
	v_mov_b32_e32 v55, v24
	v_pk_add_f32 v[62:63], v[54:55], v[56:57] neg_lo:[0,1] neg_hi:[0,1]
	v_pk_add_f32 v[54:55], v[54:55], v[56:57]
	v_mov_b32_e32 v56, v55
	v_pk_add_f32 v[64:65], v[56:57], v[24:25] neg_lo:[0,1] neg_hi:[0,1]
	v_mov_b32_e32 v19, v64
	v_pk_add_f32 v[66:67], v[60:61], v[18:19] neg_lo:[0,1] neg_hi:[0,1]
	v_mov_b32_e32 v54, v61
	v_mov_b32_e32 v60, v25
	;; [unrolled: 1-line block ×4, first 2 shown]
	v_pk_add_f32 v[54:55], v[54:55], v[60:61] neg_lo:[0,1] neg_hi:[0,1]
	v_mov_b32_e32 v58, v59
	v_mov_b32_e32 v59, v24
	v_pk_add_f32 v[24:25], v[58:59], v[54:55] neg_lo:[0,1] neg_hi:[0,1]
	v_mov_b32_e32 v66, v62
	v_pk_add_f32 v[54:55], v[66:67], v[24:25]
	v_mov_b32_e32 v58, v55
	v_pk_add_f32 v[58:59], v[54:55], v[58:59]
	v_pk_add_f32 v[56:57], v[56:57], v[58:59]
	v_mov_b32_e32 v55, v56
	v_pk_add_f32 v[60:61], v[54:55], v[62:63] neg_lo:[0,1] neg_hi:[0,1]
	v_mov_b32_e32 v25, v58
	v_sub_f32_e32 v19, v54, v60
	v_pk_add_f32 v[24:25], v[24:25], v[60:61] neg_lo:[0,1] neg_hi:[0,1]
	v_sub_f32_e32 v19, v62, v19
	v_add_f32_e32 v19, v24, v19
	v_add_f32_e32 v19, v19, v25
	;; [unrolled: 1-line block ×3, first 2 shown]
	v_mul_f32_e32 v19, 0.5, v19
	v_cmp_lt_f32_e64 s[28:29], |v29|, s62
	v_cndmask_b32_e64 v19, v19, |v29|, s[28:29]
	v_cmp_ngt_f32_e64 vcc, |v29|, 1.0
	v_cndmask_b32_e32 v19, v46, v19, vcc
	v_cmp_neq_f32_e64 vcc, |v29|, 1.0
	v_cndmask_b32_e32 v19, v53, v19, vcc
	v_bfi_b32 v25, s59, v19, v29
	v_mov_b32_e32 v24, v28
.LBB69_277:                             ;   in Loop: Header=BB69_217 Depth=1
	s_or_b64 exec, exec, s[12:13]
	v_cmp_neq_f32_e32 vcc, 0, v30
	v_cmp_nle_f32_e64 s[12:13], |v31|, 1.0
	v_pk_mov_b32 v[28:29], s[20:21], s[20:21] op_sel:[0,1]
	s_or_b64 s[12:13], vcc, s[12:13]
	flat_store_dword v[28:29], v37
	s_waitcnt vmcnt(0)
                                        ; implicit-def: $vgpr29
	s_and_saveexec_b64 s[28:29], s[12:13]
	s_xor_b64 s[28:29], exec, s[28:29]
	s_cbranch_execz .LBB69_327
; %bb.278:                              ;   in Loop: Header=BB69_217 Depth=1
	v_cmp_neq_f32_e32 vcc, 0, v31
                                        ; implicit-def: $vgpr29
	s_and_saveexec_b64 s[12:13], vcc
	s_xor_b64 s[30:31], exec, s[12:13]
	s_cbranch_execz .LBB69_324
; %bb.279:                              ;   in Loop: Header=BB69_217 Depth=1
	v_cmp_o_f32_e32 vcc, v31, v30
                                        ; implicit-def: $vgpr29
	s_and_saveexec_b64 s[12:13], vcc
	s_xor_b64 s[34:35], exec, s[12:13]
	s_cbranch_execz .LBB69_313
; %bb.280:                              ;   in Loop: Header=BB69_217 Depth=1
	v_max_f32_e64 v21, |v30|, |v30|
	s_waitcnt lgkmcnt(0)
	v_max_f32_e64 v19, |v31|, |v31|
	v_max_f32_e32 v19, v19, v21
	v_cmp_nlt_f32_e32 vcc, s48, v19
                                        ; implicit-def: $vgpr29
	s_and_saveexec_b64 s[12:13], vcc
	s_xor_b64 s[36:37], exec, s[12:13]
	s_cbranch_execz .LBB69_298
; %bb.281:                              ;   in Loop: Header=BB69_217 Depth=1
	v_cmp_nlt_f32_e64 s[12:13], |v31|, s49
	v_cmp_nlt_f32_e64 s[38:39], |v30|, s49
	s_or_b64 s[12:13], s[12:13], s[38:39]
                                        ; implicit-def: $vgpr29
	s_and_saveexec_b64 s[38:39], s[12:13]
	s_xor_b64 s[38:39], exec, s[38:39]
	s_cbranch_execz .LBB69_295
; %bb.282:                              ;   in Loop: Header=BB69_217 Depth=1
	v_cmp_neq_f32_e64 s[42:43], |v31|, 1.0
	v_cmp_nlt_f32_e64 s[40:41], |v30|, s50
	s_or_b64 s[12:13], s[42:43], s[40:41]
                                        ; implicit-def: $vgpr19
	s_and_saveexec_b64 s[44:45], s[12:13]
	s_xor_b64 s[12:13], exec, s[44:45]
	s_cbranch_execz .LBB69_284
; %bb.283:                              ;   in Loop: Header=BB69_217 Depth=1
	v_add_f32_e64 v28, |v31|, -1.0
	v_mul_f32_e32 v54, v30, v30
	v_mul_f32_e32 v29, v28, v28
	v_fmac_f32_e32 v54, v28, v28
	v_cmp_lt_f32_e64 vcc, |v30|, s51
	v_mul_f32_e64 v19, |v31|, 4.0
	v_cndmask_b32_e32 v28, v54, v29, vcc
	v_div_scale_f32 v29, s[44:45], v28, v28, v19
	v_rcp_f32_e32 v54, v29
	v_fma_f32 v55, -v29, v54, 1.0
	v_fmac_f32_e32 v54, v55, v54
	v_div_scale_f32 v55, vcc, v19, v28, v19
	v_mul_f32_e32 v56, v55, v54
	v_fma_f32 v57, -v29, v56, v55
	v_fmac_f32_e32 v56, v57, v54
	v_fma_f32 v29, -v29, v56, v55
	v_div_fmas_f32 v29, v29, v54, v56
	v_div_fixup_f32 v28, v29, v28, v19
	v_add_f32_e32 v55, 1.0, v28
	v_add_f32_e32 v29, -1.0, v55
	v_mov_b32_e32 v54, v29
	v_pk_add_f32 v[56:57], v[28:29], v[54:55] neg_lo:[0,1] neg_hi:[0,1]
	v_add_f32_e32 v19, 1.0, v57
	v_add_f32_e32 v19, v56, v19
	v_frexp_mant_f32_e32 v29, v55
	v_cvt_f64_f32_e32 v[56:57], v55
	v_frexp_exp_i32_f64_e32 v54, v[56:57]
	v_cmp_gt_f32_e32 vcc, s52, v29
	v_subbrev_co_u32_e32 v29, vcc, 0, v54, vcc
	v_sub_u32_e32 v54, 0, v29
	v_ldexp_f32 v55, v55, v54
	v_ldexp_f32 v19, v19, v54
	v_add_f32_e32 v54, -1.0, v55
	v_add_f32_e32 v57, 1.0, v55
	v_add_f32_e32 v56, 1.0, v54
	v_add_f32_e32 v58, -1.0, v57
	v_sub_f32_e32 v56, v55, v56
	v_sub_f32_e32 v55, v55, v58
	v_add_f32_e32 v56, v19, v56
	v_add_f32_e32 v19, v19, v55
	;; [unrolled: 1-line block ×3, first 2 shown]
	v_rcp_f32_e32 v63, v62
	v_sub_f32_e32 v55, v62, v57
	v_sub_f32_e32 v19, v19, v55
	v_add_f32_e32 v55, v54, v56
	v_sub_f32_e32 v54, v55, v54
	v_mul_f32_e32 v65, v55, v63
	v_sub_f32_e32 v64, v56, v54
	v_mul_f32_e32 v56, v62, v65
	v_fma_f32 v58, v65, v62, -v56
	v_fmac_f32_e32 v58, v65, v19
	v_add_f32_e32 v54, v56, v58
	v_sub_f32_e32 v57, v55, v54
	v_pk_add_f32 v[60:61], v[54:55], v[56:57] neg_lo:[0,1] neg_hi:[0,1]
	v_mov_b32_e32 v59, v54
	v_pk_add_f32 v[54:55], v[60:61], v[58:59] neg_lo:[0,1] neg_hi:[0,1]
	v_add_f32_e32 v55, v64, v55
	v_add_f32_e32 v54, v54, v55
	;; [unrolled: 1-line block ×3, first 2 shown]
	v_mul_f32_e32 v64, v63, v55
	v_mul_f32_e32 v56, v62, v64
	v_fma_f32 v58, v64, v62, -v56
	v_fmac_f32_e32 v58, v64, v19
	v_sub_f32_e32 v19, v57, v55
	v_add_f32_e32 v19, v54, v19
	v_add_f32_e32 v54, v56, v58
	v_sub_f32_e32 v57, v55, v54
	v_pk_add_f32 v[60:61], v[54:55], v[56:57] neg_lo:[0,1] neg_hi:[0,1]
	v_mov_b32_e32 v59, v54
	v_pk_add_f32 v[54:55], v[60:61], v[58:59] neg_lo:[0,1] neg_hi:[0,1]
	v_add_f32_e32 v19, v19, v55
	v_add_f32_e32 v19, v54, v19
	;; [unrolled: 1-line block ×4, first 2 shown]
	v_sub_f32_e32 v54, v55, v65
	v_mul_f32_e32 v19, v63, v19
	v_sub_f32_e32 v54, v64, v54
	v_add_f32_e32 v56, v54, v19
	v_add_f32_e32 v58, v55, v56
	v_cvt_f32_i32_e32 v54, v29
	v_mul_f32_e32 v59, v58, v58
	v_mov_b32_e32 v19, 0x3ecc95a3
	v_fmac_f32_e32 v19, 0x3e9b6dac, v59
	v_fma_f32 v19, v59, v19, v38
	v_sub_f32_e32 v29, v58, v55
	v_mul_f32_e32 v55, v58, v59
	v_ldexp_f32 v57, v58, 1
	v_pk_mul_f32 v[58:59], v[54:55], v[18:19]
	v_sub_f32_e32 v29, v56, v29
	v_fma_f32 v56, v54, s53, -v58
	v_fmac_f32_e32 v56, 0xb102e308, v54
	v_pk_add_f32 v[54:55], v[58:59], v[56:57]
	v_sub_f32_e32 v19, v55, v57
	v_ldexp_f32 v29, v29, 1
	v_sub_f32_e32 v19, v59, v19
	v_add_f32_e32 v61, v29, v19
	v_mov_b32_e32 v60, v58
	v_pk_add_f32 v[58:59], v[54:55], v[58:59] neg_lo:[0,1] neg_hi:[0,1]
	v_pk_add_f32 v[62:63], v[54:55], v[60:61]
	v_mov_b32_e32 v59, v63
	v_mov_b32_e32 v57, v54
	v_pk_add_f32 v[64:65], v[56:57], v[58:59] neg_lo:[0,1] neg_hi:[0,1]
	v_pk_add_f32 v[56:57], v[56:57], v[58:59]
	v_mov_b32_e32 v58, v57
	v_pk_add_f32 v[66:67], v[58:59], v[54:55] neg_lo:[0,1] neg_hi:[0,1]
	v_mov_b32_e32 v19, v66
	v_pk_add_f32 v[68:69], v[62:63], v[18:19] neg_lo:[0,1] neg_hi:[0,1]
	v_mov_b32_e32 v56, v63
	v_mov_b32_e32 v62, v55
	;; [unrolled: 1-line block ×4, first 2 shown]
	v_pk_add_f32 v[56:57], v[56:57], v[62:63] neg_lo:[0,1] neg_hi:[0,1]
	v_mov_b32_e32 v60, v61
	v_mov_b32_e32 v61, v54
	v_pk_add_f32 v[54:55], v[60:61], v[56:57] neg_lo:[0,1] neg_hi:[0,1]
	v_mov_b32_e32 v68, v64
	v_pk_add_f32 v[56:57], v[68:69], v[54:55]
	v_mov_b32_e32 v60, v57
	v_pk_add_f32 v[60:61], v[56:57], v[60:61]
	v_pk_add_f32 v[58:59], v[58:59], v[60:61]
	v_mov_b32_e32 v57, v58
	v_pk_add_f32 v[62:63], v[56:57], v[64:65] neg_lo:[0,1] neg_hi:[0,1]
	v_mov_b32_e32 v55, v60
	v_sub_f32_e32 v19, v56, v62
	v_pk_add_f32 v[54:55], v[54:55], v[62:63] neg_lo:[0,1] neg_hi:[0,1]
	v_sub_f32_e32 v19, v64, v19
	v_add_f32_e32 v19, v54, v19
	v_add_f32_e32 v19, v19, v55
	;; [unrolled: 1-line block ×3, first 2 shown]
	v_cmp_eq_f32_e32 vcc, s54, v28
	v_cndmask_b32_e32 v19, v19, v28, vcc
	v_cmp_ngt_f32_e32 vcc, -1.0, v28
	v_cndmask_b32_e32 v19, v46, v19, vcc
	v_cmp_neq_f32_e32 vcc, -1.0, v28
	v_cndmask_b32_e32 v19, v47, v19, vcc
	v_cmp_lt_f32_e64 vcc, |v28|, s55
	v_cndmask_b32_e32 v19, v19, v28, vcc
	v_mul_f32_e32 v19, 0x3e800000, v19
	s_andn2_saveexec_b64 s[44:45], s[12:13]
	s_cbranch_execz .LBB69_286
	s_branch .LBB69_285
.LBB69_284:                             ;   in Loop: Header=BB69_217 Depth=1
	s_andn2_saveexec_b64 s[44:45], s[12:13]
	s_cbranch_execz .LBB69_286
.LBB69_285:                             ;   in Loop: Header=BB69_217 Depth=1
	v_cmp_lt_f32_e64 vcc, |v30|, s56
	v_cndmask_b32_e32 v19, 1.0, v48, vcc
	v_mul_f32_e64 v19, |v30|, v19
	v_log_f32_e32 v19, v19
	v_mul_f32_e32 v28, 0x3f317217, v19
	v_fma_f32 v29, v19, s57, -v28
	v_fmac_f32_e32 v29, 0x3377d1cf, v19
	v_add_f32_e32 v28, v28, v29
	v_cmp_lt_f32_e64 s[12:13], |v19|, s54
	v_cndmask_b32_e64 v19, v19, v28, s[12:13]
	v_cndmask_b32_e32 v28, 0, v49, vcc
	v_sub_f32_e32 v19, v19, v28
	v_sub_f32_e32 v19, 0x3f317218, v19
	v_mul_f32_e32 v19, 0.5, v19
.LBB69_286:                             ;   in Loop: Header=BB69_217 Depth=1
	s_or_b64 exec, exec, s[44:45]
                                        ; implicit-def: $vgpr29
	s_and_saveexec_b64 s[12:13], s[42:43]
	s_xor_b64 s[42:43], exec, s[12:13]
	s_cbranch_execz .LBB69_292
; %bb.287:                              ;   in Loop: Header=BB69_217 Depth=1
	v_sub_f32_e64 v28, 1.0, |v31|
	v_add_f32_e64 v29, |v31|, 1.0
	v_add_f32_e64 v21, |v30|, |v30|
	v_mul_f32_e32 v28, v28, v29
                                        ; implicit-def: $vgpr29
	s_and_saveexec_b64 s[12:13], s[40:41]
	s_xor_b64 s[40:41], exec, s[12:13]
	s_cbranch_execz .LBB69_289
; %bb.288:                              ;   in Loop: Header=BB69_217 Depth=1
	v_fma_f32 v28, -v30, v30, v28
	v_max_f32_e64 v29, |v21|, |v21|
	v_min_f32_e64 v54, |v28|, v29
	v_max_f32_e64 v29, |v28|, v29
	v_frexp_mant_f32_e32 v55, v29
	v_rcp_f32_e32 v55, v55
	v_frexp_exp_i32_f32_e32 v29, v29
	v_frexp_exp_i32_f32_e32 v56, v54
	v_frexp_mant_f32_e32 v54, v54
	v_mul_f32_e32 v54, v54, v55
	v_sub_u32_e32 v29, v56, v29
	v_ldexp_f32 v29, v54, v29
	v_mul_f32_e32 v54, v29, v29
	v_mov_b32_e32 v55, 0xbc7a590c
	v_fmac_f32_e32 v55, 0x3b2d2a58, v54
	v_fma_f32 v55, v54, v55, v39
	v_fma_f32 v55, v54, v55, v40
	;; [unrolled: 1-line block ×6, first 2 shown]
	v_mul_f32_e32 v54, v54, v55
	v_fmac_f32_e32 v29, v29, v54
	v_sub_f32_e32 v54, 0x3fc90fdb, v29
	v_cmp_gt_f32_e64 vcc, |v21|, |v28|
	v_cndmask_b32_e32 v29, v29, v54, vcc
	v_sub_f32_e32 v54, 0x40490fdb, v29
	v_cmp_gt_f32_e32 vcc, 0, v28
	v_cmp_gt_i32_e64 s[12:13], 0, v28
	v_cndmask_b32_e32 v29, v29, v54, vcc
	v_cndmask_b32_e64 v54, 0, v50, s[12:13]
	v_cmp_eq_f32_e64 s[12:13], 0, v21
	v_cndmask_b32_e64 v29, v29, v54, s[12:13]
	v_cmp_class_f32_e64 s[12:13], v28, s58
	v_cmp_class_f32_e64 s[44:45], v21, s58
	v_cndmask_b32_e32 v54, v51, v52, vcc
	s_and_b64 vcc, s[44:45], s[12:13]
	v_cndmask_b32_e32 v29, v29, v54, vcc
	v_cmp_o_f32_e32 vcc, v28, v21
	v_cndmask_b32_e32 v28, v46, v29, vcc
	v_bfi_b32 v29, s59, v28, v21
                                        ; implicit-def: $vgpr21
                                        ; implicit-def: $vgpr28
.LBB69_289:                             ;   in Loop: Header=BB69_217 Depth=1
	s_andn2_saveexec_b64 s[40:41], s[40:41]
	s_cbranch_execz .LBB69_291
; %bb.290:                              ;   in Loop: Header=BB69_217 Depth=1
	v_max_f32_e32 v29, v21, v21
	v_max_f32_e64 v54, |v28|, |v28|
	v_min_f32_e32 v55, v54, v29
	v_max_f32_e32 v29, v54, v29
	v_frexp_mant_f32_e32 v54, v29
	v_rcp_f32_e32 v54, v54
	v_frexp_exp_i32_f32_e32 v29, v29
	v_frexp_exp_i32_f32_e32 v56, v55
	v_frexp_mant_f32_e32 v55, v55
	v_mul_f32_e32 v54, v55, v54
	v_sub_u32_e32 v29, v56, v29
	v_ldexp_f32 v29, v54, v29
	v_mul_f32_e32 v54, v29, v29
	v_mov_b32_e32 v55, 0xbc7a590c
	v_fmac_f32_e32 v55, 0x3b2d2a58, v54
	v_fma_f32 v55, v54, v55, v39
	v_fma_f32 v55, v54, v55, v40
	;; [unrolled: 1-line block ×6, first 2 shown]
	v_mul_f32_e32 v54, v54, v55
	v_fmac_f32_e32 v29, v29, v54
	v_sub_f32_e32 v54, 0x3fc90fdb, v29
	v_cmp_gt_f32_e64 vcc, v21, |v28|
	v_cndmask_b32_e32 v29, v29, v54, vcc
	v_sub_f32_e32 v54, 0x40490fdb, v29
	v_cmp_gt_f32_e32 vcc, 0, v28
	v_cmp_gt_i32_e64 s[12:13], 0, v28
	v_cndmask_b32_e32 v29, v29, v54, vcc
	v_cndmask_b32_e64 v54, 0, v50, s[12:13]
	v_cmp_eq_f32_e64 s[12:13], 0, v21
	v_cndmask_b32_e64 v29, v29, v54, s[12:13]
	v_cndmask_b32_e32 v54, v51, v52, vcc
	v_cmp_class_f32_e64 s[12:13], v28, s58
	v_cmp_eq_f32_e32 vcc, s54, v21
	s_and_b64 vcc, vcc, s[12:13]
	v_cndmask_b32_e32 v21, v29, v54, vcc
	v_cmp_o_f32_e32 vcc, v28, v28
	v_cndmask_b32_e64 v29, v46, |v21|, vcc
.LBB69_291:                             ;   in Loop: Header=BB69_217 Depth=1
	s_or_b64 exec, exec, s[40:41]
                                        ; implicit-def: $vgpr21
	s_andn2_saveexec_b64 s[12:13], s[42:43]
	s_cbranch_execnz .LBB69_293
	s_branch .LBB69_294
.LBB69_292:                             ;   in Loop: Header=BB69_217 Depth=1
	s_andn2_saveexec_b64 s[12:13], s[42:43]
	s_cbranch_execz .LBB69_294
.LBB69_293:                             ;   in Loop: Header=BB69_217 Depth=1
	v_min_f32_e32 v28, 2.0, v21
	v_max_f32_e32 v21, 2.0, v21
	v_frexp_mant_f32_e32 v29, v21
	v_rcp_f32_e32 v29, v29
	v_frexp_exp_i32_f32_e32 v21, v21
	v_frexp_exp_i32_f32_e32 v54, v28
	v_frexp_mant_f32_e32 v28, v28
	v_mul_f32_e32 v28, v28, v29
	v_sub_u32_e32 v21, v54, v21
	v_ldexp_f32 v21, v28, v21
	v_mul_f32_e32 v28, v21, v21
	v_mov_b32_e32 v29, 0xbc7a590c
	v_fmac_f32_e32 v29, 0x3b2d2a58, v28
	v_fma_f32 v29, v28, v29, v39
	v_fma_f32 v29, v28, v29, v40
	;; [unrolled: 1-line block ×6, first 2 shown]
	v_mul_f32_e32 v28, v28, v29
	v_fmac_f32_e32 v21, v21, v28
	v_sub_f32_e32 v28, 0x3fc90fdb, v21
	v_cmp_lt_f32_e64 vcc, |v30|, 2.0
	v_cndmask_b32_e32 v21, v21, v28, vcc
	v_sub_f32_e32 v28, 0x40490fdb, v21
	v_cmp_lg_f32_e32 vcc, 0, v30
	v_cndmask_b32_e32 v21, v21, v28, vcc
	v_and_b32_e32 v29, 0x7fffffff, v21
.LBB69_294:                             ;   in Loop: Header=BB69_217 Depth=1
	s_or_b64 exec, exec, s[12:13]
	v_mul_f32_e32 v21, 0.5, v29
	v_bfi_b32 v29, s59, v19, v31
	v_bfi_b32 v28, s59, v21, v30
                                        ; implicit-def: $vgpr31
.LBB69_295:                             ;   in Loop: Header=BB69_217 Depth=1
	s_andn2_saveexec_b64 s[12:13], s[38:39]
	s_cbranch_execz .LBB69_297
; %bb.296:                              ;   in Loop: Header=BB69_217 Depth=1
	v_pk_mov_b32 v[28:29], s[22:23], s[22:23] op_sel:[0,1]
	flat_store_dword v[28:29], v45
	s_waitcnt vmcnt(0)
	flat_load_dword v19, v[28:29] glc
	s_waitcnt vmcnt(0)
	v_pk_mov_b32 v[28:29], s[24:25], s[24:25] op_sel:[0,1]
	s_waitcnt lgkmcnt(0)
	v_add_f32_e32 v19, 1.0, v19
	flat_store_dword v[28:29], v19
	s_waitcnt vmcnt(0)
	flat_load_dword v19, v[28:29] glc
	s_waitcnt vmcnt(0)
	v_mov_b32_e32 v29, v31
	v_mov_b32_e32 v28, v30
.LBB69_297:                             ;   in Loop: Header=BB69_217 Depth=1
	s_or_b64 exec, exec, s[12:13]
                                        ; implicit-def: $vgpr30
.LBB69_298:                             ;   in Loop: Header=BB69_217 Depth=1
	s_andn2_saveexec_b64 s[12:13], s[36:37]
	s_cbranch_execz .LBB69_312
; %bb.299:                              ;   in Loop: Header=BB69_217 Depth=1
	v_and_b32_e32 v21, 0x7f800000, v30
	s_waitcnt lgkmcnt(0)
	v_and_b32_e32 v19, 0x7f800000, v31
	v_sub_u32_e32 v28, v19, v21
	v_cmp_gt_i32_e32 vcc, s60, v28
	v_cmp_neq_f32_e64 s[36:37], |v31|, s54
	s_and_b64 s[36:37], s[36:37], vcc
                                        ; implicit-def: $vgpr29
	s_and_saveexec_b64 s[38:39], s[36:37]
	s_xor_b64 s[36:37], exec, s[38:39]
	s_cbranch_execz .LBB69_309
; %bb.300:                              ;   in Loop: Header=BB69_217 Depth=1
	v_sub_u32_e32 v21, v21, v19
	v_cmp_gt_i32_e32 vcc, s60, v21
                                        ; implicit-def: $vgpr29
	s_and_saveexec_b64 s[38:39], vcc
	s_xor_b64 s[38:39], exec, s[38:39]
	s_cbranch_execz .LBB69_306
; %bb.301:                              ;   in Loop: Header=BB69_217 Depth=1
	v_cmp_lt_u32_e32 vcc, s61, v19
                                        ; implicit-def: $vgpr29
	s_and_saveexec_b64 s[40:41], vcc
	s_xor_b64 s[40:41], exec, s[40:41]
	s_cbranch_execz .LBB69_303
; %bb.302:                              ;   in Loop: Header=BB69_217 Depth=1
	v_sub_u32_e32 v19, 0x7f800000, v19
	v_mul_f32_e32 v28, v30, v19
	v_mul_f32_e32 v21, v31, v19
	;; [unrolled: 1-line block ×3, first 2 shown]
	v_fmac_f32_e32 v28, v21, v21
	v_div_scale_f32 v29, s[42:43], v28, v28, v21
	v_rcp_f32_e32 v31, v29
	v_fma_f32 v54, -v29, v31, 1.0
	v_fmac_f32_e32 v31, v54, v31
	v_div_scale_f32 v54, vcc, v21, v28, v21
	v_mul_f32_e32 v55, v54, v31
	v_fma_f32 v56, -v29, v55, v54
	v_fmac_f32_e32 v55, v56, v31
	v_fma_f32 v29, -v29, v55, v54
	v_div_fmas_f32 v29, v29, v31, v55
	v_div_fixup_f32 v21, v29, v28, v21
	v_mul_f32_e32 v29, v21, v19
.LBB69_303:                             ;   in Loop: Header=BB69_217 Depth=1
	s_andn2_saveexec_b64 s[40:41], s[40:41]
	s_cbranch_execz .LBB69_305
; %bb.304:                              ;   in Loop: Header=BB69_217 Depth=1
	v_pk_mul_f32 v[28:29], v[30:31], v[30:31]
	v_add_f32_e32 v19, v29, v28
	v_div_scale_f32 v21, s[42:43], v19, v19, v31
	v_rcp_f32_e32 v28, v21
	v_div_scale_f32 v29, vcc, v31, v19, v31
	v_fma_f32 v54, -v21, v28, 1.0
	v_fmac_f32_e32 v28, v54, v28
	v_mul_f32_e32 v54, v29, v28
	v_fma_f32 v55, -v21, v54, v29
	v_fmac_f32_e32 v54, v55, v28
	v_fma_f32 v21, -v21, v54, v29
	v_div_fmas_f32 v21, v21, v28, v54
	v_div_fixup_f32 v29, v21, v19, v31
.LBB69_305:                             ;   in Loop: Header=BB69_217 Depth=1
	s_or_b64 exec, exec, s[40:41]
.LBB69_306:                             ;   in Loop: Header=BB69_217 Depth=1
	s_andn2_saveexec_b64 s[38:39], s[38:39]
	s_cbranch_execz .LBB69_308
; %bb.307:                              ;   in Loop: Header=BB69_217 Depth=1
	v_div_scale_f32 v19, s[40:41], v30, v30, v31
	v_rcp_f32_e32 v21, v19
	v_div_scale_f32 v28, vcc, v31, v30, v31
	v_fma_f32 v29, -v19, v21, 1.0
	v_fmac_f32_e32 v21, v29, v21
	v_mul_f32_e32 v29, v28, v21
	v_fma_f32 v54, -v19, v29, v28
	v_fmac_f32_e32 v29, v54, v21
	v_fma_f32 v19, -v19, v29, v28
	v_div_fmas_f32 v19, v19, v21, v29
	v_div_fixup_f32 v19, v19, v30, v31
	v_div_scale_f32 v21, s[40:41], v30, v30, v19
	v_rcp_f32_e32 v28, v21
	v_fma_f32 v29, -v21, v28, 1.0
	v_fmac_f32_e32 v28, v29, v28
	v_div_scale_f32 v29, vcc, v19, v30, v19
	v_mul_f32_e32 v31, v29, v28
	v_fma_f32 v54, -v21, v31, v29
	v_fmac_f32_e32 v31, v54, v28
	v_fma_f32 v21, -v21, v31, v29
	v_div_fmas_f32 v21, v21, v28, v31
	v_div_fixup_f32 v29, v21, v30, v19
.LBB69_308:                             ;   in Loop: Header=BB69_217 Depth=1
	s_or_b64 exec, exec, s[38:39]
.LBB69_309:                             ;   in Loop: Header=BB69_217 Depth=1
	s_andn2_saveexec_b64 s[36:37], s[36:37]
; %bb.310:                              ;   in Loop: Header=BB69_217 Depth=1
	v_div_scale_f32 v19, s[38:39], v31, v31, 1.0
	v_rcp_f32_e32 v21, v19
	v_div_scale_f32 v28, vcc, 1.0, v31, 1.0
	v_fma_f32 v29, -v19, v21, 1.0
	v_fmac_f32_e32 v21, v29, v21
	v_mul_f32_e32 v29, v28, v21
	v_fma_f32 v54, -v19, v29, v28
	v_fmac_f32_e32 v29, v54, v21
	v_fma_f32 v19, -v19, v29, v28
	v_div_fmas_f32 v19, v19, v21, v29
	v_div_fixup_f32 v29, v19, v31, 1.0
; %bb.311:                              ;   in Loop: Header=BB69_217 Depth=1
	s_or_b64 exec, exec, s[36:37]
	v_pk_mov_b32 v[54:55], s[20:21], s[20:21] op_sel:[0,1]
	flat_load_dword v19, v[54:55] glc
	s_waitcnt vmcnt(0) lgkmcnt(0)
	v_add_f32_e32 v19, 0x3fc90fdb, v19
	v_bfi_b32 v28, s59, v19, v30
.LBB69_312:                             ;   in Loop: Header=BB69_217 Depth=1
	s_or_b64 exec, exec, s[12:13]
                                        ; implicit-def: $vgpr31
.LBB69_313:                             ;   in Loop: Header=BB69_217 Depth=1
	s_andn2_saveexec_b64 s[12:13], s[34:35]
	s_cbranch_execz .LBB69_323
; %bb.314:                              ;   in Loop: Header=BB69_217 Depth=1
	v_cmp_neq_f32_e64 s[34:35], |v31|, s54
                                        ; implicit-def: $vgpr29
	s_and_saveexec_b64 s[36:37], s[34:35]
	s_xor_b64 s[34:35], exec, s[36:37]
	s_cbranch_execz .LBB69_320
; %bb.315:                              ;   in Loop: Header=BB69_217 Depth=1
	v_cmp_neq_f32_e64 s[36:37], |v30|, s54
                                        ; implicit-def: $vgpr29
	s_and_saveexec_b64 s[38:39], s[36:37]
	s_xor_b64 s[36:37], exec, s[38:39]
	s_cbranch_execz .LBB69_317
; %bb.316:                              ;   in Loop: Header=BB69_217 Depth=1
	s_waitcnt lgkmcnt(0)
	v_add_f32_e32 v19, 0, v30
	v_add_f32_e32 v29, v31, v19
                                        ; implicit-def: $vgpr30_vgpr31
.LBB69_317:                             ;   in Loop: Header=BB69_217 Depth=1
	s_or_saveexec_b64 s[36:37], s[36:37]
	v_mov_b32_e32 v28, v29
	s_xor_b64 exec, exec, s[36:37]
	s_cbranch_execz .LBB69_319
; %bb.318:                              ;   in Loop: Header=BB69_217 Depth=1
	v_pk_mov_b32 v[28:29], s[20:21], s[20:21] op_sel:[0,1]
	s_waitcnt lgkmcnt(0)
	flat_load_dword v19, v[28:29] glc
	s_waitcnt vmcnt(0)
	v_bfi_b32 v29, s59, 0, v31
	s_waitcnt lgkmcnt(0)
	v_add_f32_e32 v19, 0x3fc90fdb, v19
	v_bfi_b32 v28, s59, v19, v30
.LBB69_319:                             ;   in Loop: Header=BB69_217 Depth=1
	s_or_b64 exec, exec, s[36:37]
                                        ; implicit-def: $vgpr31
.LBB69_320:                             ;   in Loop: Header=BB69_217 Depth=1
	s_andn2_saveexec_b64 s[34:35], s[34:35]
; %bb.321:                              ;   in Loop: Header=BB69_217 Depth=1
	v_bfi_b32 v29, s59, 0, v31
	v_add_f32_e32 v28, v30, v30
; %bb.322:                              ;   in Loop: Header=BB69_217 Depth=1
	s_or_b64 exec, exec, s[34:35]
.LBB69_323:                             ;   in Loop: Header=BB69_217 Depth=1
	s_or_b64 exec, exec, s[12:13]
                                        ; implicit-def: $vgpr30
.LBB69_324:                             ;   in Loop: Header=BB69_217 Depth=1
	s_andn2_saveexec_b64 s[12:13], s[30:31]
	s_cbranch_execz .LBB69_326
; %bb.325:                              ;   in Loop: Header=BB69_217 Depth=1
	s_waitcnt lgkmcnt(0)
	v_rcp_f32_e64 v19, |v30|
	v_cmp_gt_f32_e64 vcc, |v30|, 1.0
	v_mov_b32_e32 v21, 0xbc7a590c
	v_mov_b32_e32 v29, v31
	v_cndmask_b32_e64 v19, |v30|, v19, vcc
	v_mul_f32_e32 v28, v19, v19
	v_fmac_f32_e32 v21, 0x3b2d2a58, v28
	v_fma_f32 v21, v28, v21, v39
	v_fma_f32 v21, v28, v21, v40
	;; [unrolled: 1-line block ×6, first 2 shown]
	v_mul_f32_e32 v21, v28, v21
	v_fmac_f32_e32 v19, v19, v21
	v_sub_f32_e32 v21, 0x3fc90fdb, v19
	v_cndmask_b32_e32 v19, v19, v21, vcc
	v_bfi_b32 v28, s59, v19, v30
.LBB69_326:                             ;   in Loop: Header=BB69_217 Depth=1
	s_or_b64 exec, exec, s[12:13]
                                        ; implicit-def: $vgpr31
.LBB69_327:                             ;   in Loop: Header=BB69_217 Depth=1
	s_andn2_saveexec_b64 s[12:13], s[28:29]
	s_cbranch_execz .LBB69_329
; %bb.328:                              ;   in Loop: Header=BB69_217 Depth=1
	s_waitcnt lgkmcnt(0)
	v_sub_f32_e64 v19, 1.0, |v31|
	v_rcp_f32_e32 v58, v19
	v_add_f32_e64 v54, |v31|, 1.0
	v_sub_f32_e32 v21, 1.0, v19
	v_sub_f32_e64 v29, v21, |v31|
	v_mul_f32_e32 v59, v54, v58
	v_mul_f32_e32 v55, v19, v59
	v_fma_f32 v21, v59, v19, -v55
	v_fmac_f32_e32 v21, v59, v29
	v_pk_add_f32 v[56:57], v[54:55], v[20:21]
	v_sub_f32_e32 v19, v57, v55
	v_sub_f32_e32 v55, v54, v57
	v_and_b32_e32 v28, 0x7fffffff, v31
	v_sub_f32_e32 v29, v54, v55
	v_pk_add_f32 v[28:29], v[28:29], v[56:57] neg_lo:[0,1] neg_hi:[0,1]
	v_sub_f32_e32 v19, v19, v21
	v_add_f32_e32 v19, v19, v29
	v_add_f32_e32 v19, v28, v19
	;; [unrolled: 1-line block ×3, first 2 shown]
	v_mul_f32_e32 v19, v58, v19
	v_add_f32_e32 v21, v59, v19
	v_sub_f32_e32 v28, v21, v59
	v_sub_f32_e32 v19, v19, v28
	v_frexp_mant_f32_e32 v54, v21
	v_cvt_f64_f32_e32 v[28:29], v21
	v_frexp_exp_i32_f64_e32 v28, v[28:29]
	v_cmp_gt_f32_e32 vcc, s52, v54
	v_subbrev_co_u32_e32 v60, vcc, 0, v28, vcc
	v_sub_u32_e32 v28, 0, v60
	v_ldexp_f32 v21, v21, v28
	v_ldexp_f32 v19, v19, v28
	v_add_f32_e32 v28, -1.0, v21
	v_add_f32_e32 v29, 1.0, v28
	v_sub_f32_e32 v29, v21, v29
	v_add_f32_e32 v54, v19, v29
	v_add_f32_e32 v29, 1.0, v21
	v_add_f32_e32 v55, -1.0, v29
	v_sub_f32_e32 v21, v21, v55
	v_add_f32_e32 v19, v19, v21
	v_add_f32_e32 v21, v29, v19
	v_rcp_f32_e32 v61, v21
	v_sub_f32_e32 v29, v21, v29
	v_sub_f32_e32 v19, v19, v29
	v_add_f32_e32 v29, v28, v54
	v_sub_f32_e32 v28, v29, v28
	v_mul_f32_e32 v63, v29, v61
	v_sub_f32_e32 v62, v54, v28
	v_mul_f32_e32 v54, v21, v63
	v_fma_f32 v56, v63, v21, -v54
	v_fmac_f32_e32 v56, v63, v19
	v_add_f32_e32 v28, v54, v56
	v_sub_f32_e32 v55, v29, v28
	v_pk_add_f32 v[58:59], v[28:29], v[54:55] neg_lo:[0,1] neg_hi:[0,1]
	v_mov_b32_e32 v57, v28
	v_pk_add_f32 v[28:29], v[58:59], v[56:57] neg_lo:[0,1] neg_hi:[0,1]
	v_add_f32_e32 v29, v62, v29
	v_add_f32_e32 v28, v28, v29
	;; [unrolled: 1-line block ×3, first 2 shown]
	v_mul_f32_e32 v62, v61, v29
	v_mul_f32_e32 v54, v21, v62
	v_fma_f32 v56, v62, v21, -v54
	v_fmac_f32_e32 v56, v62, v19
	v_sub_f32_e32 v19, v55, v29
	v_add_f32_e32 v19, v28, v19
	v_add_f32_e32 v28, v54, v56
	v_sub_f32_e32 v55, v29, v28
	v_pk_add_f32 v[58:59], v[28:29], v[54:55] neg_lo:[0,1] neg_hi:[0,1]
	v_mov_b32_e32 v57, v28
	v_pk_add_f32 v[28:29], v[58:59], v[56:57] neg_lo:[0,1] neg_hi:[0,1]
	v_add_f32_e32 v19, v19, v29
	v_add_f32_e32 v19, v28, v19
	;; [unrolled: 1-line block ×4, first 2 shown]
	v_sub_f32_e32 v28, v21, v63
	v_mul_f32_e32 v19, v61, v19
	v_sub_f32_e32 v28, v62, v28
	v_add_f32_e32 v29, v28, v19
	v_add_f32_e32 v54, v21, v29
	v_cvt_f32_i32_e32 v28, v60
	v_mul_f32_e32 v56, v54, v54
	v_mov_b32_e32 v19, 0x3ecc95a3
	v_fmac_f32_e32 v19, 0x3e9b6dac, v56
	v_sub_f32_e32 v21, v54, v21
	v_fma_f32 v19, v56, v19, v38
	v_sub_f32_e32 v21, v29, v21
	v_mul_f32_e32 v29, v54, v56
	v_pk_mul_f32 v[56:57], v[28:29], v[18:19]
	v_ldexp_f32 v55, v54, 1
	v_fma_f32 v54, v28, s53, -v56
	v_fmac_f32_e32 v54, 0xb102e308, v28
	v_pk_add_f32 v[28:29], v[56:57], v[54:55]
	v_sub_f32_e32 v19, v29, v55
	v_ldexp_f32 v21, v21, 1
	v_sub_f32_e32 v19, v57, v19
	v_add_f32_e32 v59, v21, v19
	v_mov_b32_e32 v58, v56
	v_pk_add_f32 v[56:57], v[28:29], v[56:57] neg_lo:[0,1] neg_hi:[0,1]
	v_pk_add_f32 v[60:61], v[28:29], v[58:59]
	v_mov_b32_e32 v57, v61
	v_mov_b32_e32 v55, v28
	v_pk_add_f32 v[62:63], v[54:55], v[56:57] neg_lo:[0,1] neg_hi:[0,1]
	v_pk_add_f32 v[54:55], v[54:55], v[56:57]
	v_mov_b32_e32 v56, v55
	v_pk_add_f32 v[64:65], v[56:57], v[28:29] neg_lo:[0,1] neg_hi:[0,1]
	v_mov_b32_e32 v19, v64
	v_pk_add_f32 v[66:67], v[60:61], v[18:19] neg_lo:[0,1] neg_hi:[0,1]
	v_mov_b32_e32 v54, v61
	v_mov_b32_e32 v60, v29
	;; [unrolled: 1-line block ×4, first 2 shown]
	v_pk_add_f32 v[54:55], v[54:55], v[60:61] neg_lo:[0,1] neg_hi:[0,1]
	v_mov_b32_e32 v58, v59
	v_mov_b32_e32 v59, v28
	v_pk_add_f32 v[28:29], v[58:59], v[54:55] neg_lo:[0,1] neg_hi:[0,1]
	v_mov_b32_e32 v66, v62
	v_pk_add_f32 v[54:55], v[66:67], v[28:29]
	v_mov_b32_e32 v58, v55
	v_pk_add_f32 v[58:59], v[54:55], v[58:59]
	v_pk_add_f32 v[56:57], v[56:57], v[58:59]
	v_mov_b32_e32 v55, v56
	v_pk_add_f32 v[60:61], v[54:55], v[62:63] neg_lo:[0,1] neg_hi:[0,1]
	v_mov_b32_e32 v29, v58
	v_sub_f32_e32 v19, v54, v60
	v_pk_add_f32 v[28:29], v[28:29], v[60:61] neg_lo:[0,1] neg_hi:[0,1]
	v_sub_f32_e32 v19, v62, v19
	v_add_f32_e32 v19, v28, v19
	v_add_f32_e32 v19, v19, v29
	;; [unrolled: 1-line block ×3, first 2 shown]
	v_mul_f32_e32 v19, 0.5, v19
	v_cmp_lt_f32_e64 s[28:29], |v31|, s62
	v_cndmask_b32_e64 v19, v19, |v31|, s[28:29]
	v_cmp_ngt_f32_e64 vcc, |v31|, 1.0
	v_cndmask_b32_e32 v19, v46, v19, vcc
	v_cmp_neq_f32_e64 vcc, |v31|, 1.0
	v_cndmask_b32_e32 v19, v53, v19, vcc
	v_bfi_b32 v29, s59, v19, v31
	v_mov_b32_e32 v28, v30
.LBB69_329:                             ;   in Loop: Header=BB69_217 Depth=1
	s_or_b64 exec, exec, s[12:13]
	v_cmp_neq_f32_e32 vcc, 0, v26
	v_cmp_nle_f32_e64 s[12:13], |v27|, 1.0
	v_pk_mov_b32 v[30:31], s[20:21], s[20:21] op_sel:[0,1]
	s_or_b64 s[12:13], vcc, s[12:13]
	flat_store_dword v[30:31], v37
	s_waitcnt vmcnt(0)
                                        ; implicit-def: $vgpr31
	s_and_saveexec_b64 s[28:29], s[12:13]
	s_xor_b64 s[28:29], exec, s[28:29]
	s_cbranch_execz .LBB69_379
; %bb.330:                              ;   in Loop: Header=BB69_217 Depth=1
	v_cmp_neq_f32_e32 vcc, 0, v27
                                        ; implicit-def: $vgpr31
	s_and_saveexec_b64 s[12:13], vcc
	s_xor_b64 s[30:31], exec, s[12:13]
	s_cbranch_execz .LBB69_376
; %bb.331:                              ;   in Loop: Header=BB69_217 Depth=1
	v_cmp_o_f32_e32 vcc, v27, v26
                                        ; implicit-def: $vgpr31
	s_and_saveexec_b64 s[12:13], vcc
	s_xor_b64 s[34:35], exec, s[12:13]
	s_cbranch_execz .LBB69_365
; %bb.332:                              ;   in Loop: Header=BB69_217 Depth=1
	v_max_f32_e64 v21, |v26|, |v26|
	s_waitcnt lgkmcnt(0)
	v_max_f32_e64 v19, |v27|, |v27|
	v_max_f32_e32 v19, v19, v21
	v_cmp_nlt_f32_e32 vcc, s48, v19
                                        ; implicit-def: $vgpr31
	s_and_saveexec_b64 s[12:13], vcc
	s_xor_b64 s[36:37], exec, s[12:13]
	s_cbranch_execz .LBB69_350
; %bb.333:                              ;   in Loop: Header=BB69_217 Depth=1
	v_cmp_nlt_f32_e64 s[12:13], |v27|, s49
	v_cmp_nlt_f32_e64 s[38:39], |v26|, s49
	s_or_b64 s[12:13], s[12:13], s[38:39]
                                        ; implicit-def: $vgpr31
	s_and_saveexec_b64 s[38:39], s[12:13]
	s_xor_b64 s[38:39], exec, s[38:39]
	s_cbranch_execz .LBB69_347
; %bb.334:                              ;   in Loop: Header=BB69_217 Depth=1
	v_cmp_neq_f32_e64 s[42:43], |v27|, 1.0
	v_cmp_nlt_f32_e64 s[40:41], |v26|, s50
	s_or_b64 s[12:13], s[42:43], s[40:41]
                                        ; implicit-def: $vgpr19
	s_and_saveexec_b64 s[44:45], s[12:13]
	s_xor_b64 s[12:13], exec, s[44:45]
	s_cbranch_execz .LBB69_336
; %bb.335:                              ;   in Loop: Header=BB69_217 Depth=1
	v_add_f32_e64 v30, |v27|, -1.0
	v_mul_f32_e32 v54, v26, v26
	v_mul_f32_e32 v31, v30, v30
	v_fmac_f32_e32 v54, v30, v30
	v_cmp_lt_f32_e64 vcc, |v26|, s51
	v_mul_f32_e64 v19, |v27|, 4.0
	v_cndmask_b32_e32 v30, v54, v31, vcc
	v_div_scale_f32 v31, s[44:45], v30, v30, v19
	v_rcp_f32_e32 v54, v31
	v_fma_f32 v55, -v31, v54, 1.0
	v_fmac_f32_e32 v54, v55, v54
	v_div_scale_f32 v55, vcc, v19, v30, v19
	v_mul_f32_e32 v56, v55, v54
	v_fma_f32 v57, -v31, v56, v55
	v_fmac_f32_e32 v56, v57, v54
	v_fma_f32 v31, -v31, v56, v55
	v_div_fmas_f32 v31, v31, v54, v56
	v_div_fixup_f32 v30, v31, v30, v19
	v_add_f32_e32 v55, 1.0, v30
	v_add_f32_e32 v31, -1.0, v55
	v_mov_b32_e32 v54, v31
	v_pk_add_f32 v[56:57], v[30:31], v[54:55] neg_lo:[0,1] neg_hi:[0,1]
	v_add_f32_e32 v19, 1.0, v57
	v_add_f32_e32 v19, v56, v19
	v_frexp_mant_f32_e32 v31, v55
	v_cvt_f64_f32_e32 v[56:57], v55
	v_frexp_exp_i32_f64_e32 v54, v[56:57]
	v_cmp_gt_f32_e32 vcc, s52, v31
	v_subbrev_co_u32_e32 v31, vcc, 0, v54, vcc
	v_sub_u32_e32 v54, 0, v31
	v_ldexp_f32 v55, v55, v54
	v_ldexp_f32 v19, v19, v54
	v_add_f32_e32 v54, -1.0, v55
	v_add_f32_e32 v57, 1.0, v55
	v_add_f32_e32 v56, 1.0, v54
	v_add_f32_e32 v58, -1.0, v57
	v_sub_f32_e32 v56, v55, v56
	v_sub_f32_e32 v55, v55, v58
	v_add_f32_e32 v56, v19, v56
	v_add_f32_e32 v19, v19, v55
	;; [unrolled: 1-line block ×3, first 2 shown]
	v_rcp_f32_e32 v63, v62
	v_sub_f32_e32 v55, v62, v57
	v_sub_f32_e32 v19, v19, v55
	v_add_f32_e32 v55, v54, v56
	v_sub_f32_e32 v54, v55, v54
	v_mul_f32_e32 v65, v55, v63
	v_sub_f32_e32 v64, v56, v54
	v_mul_f32_e32 v56, v62, v65
	v_fma_f32 v58, v65, v62, -v56
	v_fmac_f32_e32 v58, v65, v19
	v_add_f32_e32 v54, v56, v58
	v_sub_f32_e32 v57, v55, v54
	v_pk_add_f32 v[60:61], v[54:55], v[56:57] neg_lo:[0,1] neg_hi:[0,1]
	v_mov_b32_e32 v59, v54
	v_pk_add_f32 v[54:55], v[60:61], v[58:59] neg_lo:[0,1] neg_hi:[0,1]
	v_add_f32_e32 v55, v64, v55
	v_add_f32_e32 v54, v54, v55
	;; [unrolled: 1-line block ×3, first 2 shown]
	v_mul_f32_e32 v64, v63, v55
	v_mul_f32_e32 v56, v62, v64
	v_fma_f32 v58, v64, v62, -v56
	v_fmac_f32_e32 v58, v64, v19
	v_sub_f32_e32 v19, v57, v55
	v_add_f32_e32 v19, v54, v19
	v_add_f32_e32 v54, v56, v58
	v_sub_f32_e32 v57, v55, v54
	v_pk_add_f32 v[60:61], v[54:55], v[56:57] neg_lo:[0,1] neg_hi:[0,1]
	v_mov_b32_e32 v59, v54
	v_pk_add_f32 v[54:55], v[60:61], v[58:59] neg_lo:[0,1] neg_hi:[0,1]
	v_add_f32_e32 v19, v19, v55
	v_add_f32_e32 v19, v54, v19
	;; [unrolled: 1-line block ×4, first 2 shown]
	v_sub_f32_e32 v54, v55, v65
	v_mul_f32_e32 v19, v63, v19
	v_sub_f32_e32 v54, v64, v54
	v_add_f32_e32 v56, v54, v19
	v_add_f32_e32 v58, v55, v56
	v_cvt_f32_i32_e32 v54, v31
	v_mul_f32_e32 v59, v58, v58
	v_mov_b32_e32 v19, 0x3ecc95a3
	v_fmac_f32_e32 v19, 0x3e9b6dac, v59
	v_fma_f32 v19, v59, v19, v38
	v_sub_f32_e32 v31, v58, v55
	v_mul_f32_e32 v55, v58, v59
	v_ldexp_f32 v57, v58, 1
	v_pk_mul_f32 v[58:59], v[54:55], v[18:19]
	v_sub_f32_e32 v31, v56, v31
	v_fma_f32 v56, v54, s53, -v58
	v_fmac_f32_e32 v56, 0xb102e308, v54
	v_pk_add_f32 v[54:55], v[58:59], v[56:57]
	v_sub_f32_e32 v19, v55, v57
	v_ldexp_f32 v31, v31, 1
	v_sub_f32_e32 v19, v59, v19
	v_add_f32_e32 v61, v31, v19
	v_mov_b32_e32 v60, v58
	v_pk_add_f32 v[58:59], v[54:55], v[58:59] neg_lo:[0,1] neg_hi:[0,1]
	v_pk_add_f32 v[62:63], v[54:55], v[60:61]
	v_mov_b32_e32 v59, v63
	v_mov_b32_e32 v57, v54
	v_pk_add_f32 v[64:65], v[56:57], v[58:59] neg_lo:[0,1] neg_hi:[0,1]
	v_pk_add_f32 v[56:57], v[56:57], v[58:59]
	v_mov_b32_e32 v58, v57
	v_pk_add_f32 v[66:67], v[58:59], v[54:55] neg_lo:[0,1] neg_hi:[0,1]
	v_mov_b32_e32 v19, v66
	v_pk_add_f32 v[68:69], v[62:63], v[18:19] neg_lo:[0,1] neg_hi:[0,1]
	v_mov_b32_e32 v56, v63
	v_mov_b32_e32 v62, v55
	;; [unrolled: 1-line block ×4, first 2 shown]
	v_pk_add_f32 v[56:57], v[56:57], v[62:63] neg_lo:[0,1] neg_hi:[0,1]
	v_mov_b32_e32 v60, v61
	v_mov_b32_e32 v61, v54
	v_pk_add_f32 v[54:55], v[60:61], v[56:57] neg_lo:[0,1] neg_hi:[0,1]
	v_mov_b32_e32 v68, v64
	v_pk_add_f32 v[56:57], v[68:69], v[54:55]
	v_mov_b32_e32 v60, v57
	v_pk_add_f32 v[60:61], v[56:57], v[60:61]
	v_pk_add_f32 v[58:59], v[58:59], v[60:61]
	v_mov_b32_e32 v57, v58
	v_pk_add_f32 v[62:63], v[56:57], v[64:65] neg_lo:[0,1] neg_hi:[0,1]
	v_mov_b32_e32 v55, v60
	v_sub_f32_e32 v19, v56, v62
	v_pk_add_f32 v[54:55], v[54:55], v[62:63] neg_lo:[0,1] neg_hi:[0,1]
	v_sub_f32_e32 v19, v64, v19
	v_add_f32_e32 v19, v54, v19
	v_add_f32_e32 v19, v19, v55
	;; [unrolled: 1-line block ×3, first 2 shown]
	v_cmp_eq_f32_e32 vcc, s54, v30
	v_cndmask_b32_e32 v19, v19, v30, vcc
	v_cmp_ngt_f32_e32 vcc, -1.0, v30
	v_cndmask_b32_e32 v19, v46, v19, vcc
	v_cmp_neq_f32_e32 vcc, -1.0, v30
	v_cndmask_b32_e32 v19, v47, v19, vcc
	v_cmp_lt_f32_e64 vcc, |v30|, s55
	v_cndmask_b32_e32 v19, v19, v30, vcc
	v_mul_f32_e32 v19, 0x3e800000, v19
	s_andn2_saveexec_b64 s[44:45], s[12:13]
	s_cbranch_execz .LBB69_338
	s_branch .LBB69_337
.LBB69_336:                             ;   in Loop: Header=BB69_217 Depth=1
	s_andn2_saveexec_b64 s[44:45], s[12:13]
	s_cbranch_execz .LBB69_338
.LBB69_337:                             ;   in Loop: Header=BB69_217 Depth=1
	v_cmp_lt_f32_e64 vcc, |v26|, s56
	v_cndmask_b32_e32 v19, 1.0, v48, vcc
	v_mul_f32_e64 v19, |v26|, v19
	v_log_f32_e32 v19, v19
	v_mul_f32_e32 v30, 0x3f317217, v19
	v_fma_f32 v31, v19, s57, -v30
	v_fmac_f32_e32 v31, 0x3377d1cf, v19
	v_add_f32_e32 v30, v30, v31
	v_cmp_lt_f32_e64 s[12:13], |v19|, s54
	v_cndmask_b32_e64 v19, v19, v30, s[12:13]
	v_cndmask_b32_e32 v30, 0, v49, vcc
	v_sub_f32_e32 v19, v19, v30
	v_sub_f32_e32 v19, 0x3f317218, v19
	v_mul_f32_e32 v19, 0.5, v19
.LBB69_338:                             ;   in Loop: Header=BB69_217 Depth=1
	s_or_b64 exec, exec, s[44:45]
                                        ; implicit-def: $vgpr31
	s_and_saveexec_b64 s[12:13], s[42:43]
	s_xor_b64 s[42:43], exec, s[12:13]
	s_cbranch_execz .LBB69_344
; %bb.339:                              ;   in Loop: Header=BB69_217 Depth=1
	v_sub_f32_e64 v30, 1.0, |v27|
	v_add_f32_e64 v31, |v27|, 1.0
	v_add_f32_e64 v21, |v26|, |v26|
	v_mul_f32_e32 v30, v30, v31
                                        ; implicit-def: $vgpr31
	s_and_saveexec_b64 s[12:13], s[40:41]
	s_xor_b64 s[40:41], exec, s[12:13]
	s_cbranch_execz .LBB69_341
; %bb.340:                              ;   in Loop: Header=BB69_217 Depth=1
	v_fma_f32 v30, -v26, v26, v30
	v_max_f32_e64 v31, |v21|, |v21|
	v_min_f32_e64 v54, |v30|, v31
	v_max_f32_e64 v31, |v30|, v31
	v_frexp_mant_f32_e32 v55, v31
	v_rcp_f32_e32 v55, v55
	v_frexp_exp_i32_f32_e32 v31, v31
	v_frexp_exp_i32_f32_e32 v56, v54
	v_frexp_mant_f32_e32 v54, v54
	v_mul_f32_e32 v54, v54, v55
	v_sub_u32_e32 v31, v56, v31
	v_ldexp_f32 v31, v54, v31
	v_mul_f32_e32 v54, v31, v31
	v_mov_b32_e32 v55, 0xbc7a590c
	v_fmac_f32_e32 v55, 0x3b2d2a58, v54
	v_fma_f32 v55, v54, v55, v39
	v_fma_f32 v55, v54, v55, v40
	;; [unrolled: 1-line block ×6, first 2 shown]
	v_mul_f32_e32 v54, v54, v55
	v_fmac_f32_e32 v31, v31, v54
	v_sub_f32_e32 v54, 0x3fc90fdb, v31
	v_cmp_gt_f32_e64 vcc, |v21|, |v30|
	v_cndmask_b32_e32 v31, v31, v54, vcc
	v_sub_f32_e32 v54, 0x40490fdb, v31
	v_cmp_gt_f32_e32 vcc, 0, v30
	v_cmp_gt_i32_e64 s[12:13], 0, v30
	v_cndmask_b32_e32 v31, v31, v54, vcc
	v_cndmask_b32_e64 v54, 0, v50, s[12:13]
	v_cmp_eq_f32_e64 s[12:13], 0, v21
	v_cndmask_b32_e64 v31, v31, v54, s[12:13]
	v_cmp_class_f32_e64 s[12:13], v30, s58
	v_cmp_class_f32_e64 s[44:45], v21, s58
	v_cndmask_b32_e32 v54, v51, v52, vcc
	s_and_b64 vcc, s[44:45], s[12:13]
	v_cndmask_b32_e32 v31, v31, v54, vcc
	v_cmp_o_f32_e32 vcc, v30, v21
	v_cndmask_b32_e32 v30, v46, v31, vcc
	v_bfi_b32 v31, s59, v30, v21
                                        ; implicit-def: $vgpr21
                                        ; implicit-def: $vgpr30
.LBB69_341:                             ;   in Loop: Header=BB69_217 Depth=1
	s_andn2_saveexec_b64 s[40:41], s[40:41]
	s_cbranch_execz .LBB69_343
; %bb.342:                              ;   in Loop: Header=BB69_217 Depth=1
	v_max_f32_e32 v31, v21, v21
	v_max_f32_e64 v54, |v30|, |v30|
	v_min_f32_e32 v55, v54, v31
	v_max_f32_e32 v31, v54, v31
	v_frexp_mant_f32_e32 v54, v31
	v_rcp_f32_e32 v54, v54
	v_frexp_exp_i32_f32_e32 v31, v31
	v_frexp_exp_i32_f32_e32 v56, v55
	v_frexp_mant_f32_e32 v55, v55
	v_mul_f32_e32 v54, v55, v54
	v_sub_u32_e32 v31, v56, v31
	v_ldexp_f32 v31, v54, v31
	v_mul_f32_e32 v54, v31, v31
	v_mov_b32_e32 v55, 0xbc7a590c
	v_fmac_f32_e32 v55, 0x3b2d2a58, v54
	v_fma_f32 v55, v54, v55, v39
	v_fma_f32 v55, v54, v55, v40
	v_fma_f32 v55, v54, v55, v41
	v_fma_f32 v55, v54, v55, v42
	v_fma_f32 v55, v54, v55, v43
	v_fma_f32 v55, v54, v55, v44
	v_mul_f32_e32 v54, v54, v55
	v_fmac_f32_e32 v31, v31, v54
	v_sub_f32_e32 v54, 0x3fc90fdb, v31
	v_cmp_gt_f32_e64 vcc, v21, |v30|
	v_cndmask_b32_e32 v31, v31, v54, vcc
	v_sub_f32_e32 v54, 0x40490fdb, v31
	v_cmp_gt_f32_e32 vcc, 0, v30
	v_cmp_gt_i32_e64 s[12:13], 0, v30
	v_cndmask_b32_e32 v31, v31, v54, vcc
	v_cndmask_b32_e64 v54, 0, v50, s[12:13]
	v_cmp_eq_f32_e64 s[12:13], 0, v21
	v_cndmask_b32_e64 v31, v31, v54, s[12:13]
	v_cndmask_b32_e32 v54, v51, v52, vcc
	v_cmp_class_f32_e64 s[12:13], v30, s58
	v_cmp_eq_f32_e32 vcc, s54, v21
	s_and_b64 vcc, vcc, s[12:13]
	v_cndmask_b32_e32 v21, v31, v54, vcc
	v_cmp_o_f32_e32 vcc, v30, v30
	v_cndmask_b32_e64 v31, v46, |v21|, vcc
.LBB69_343:                             ;   in Loop: Header=BB69_217 Depth=1
	s_or_b64 exec, exec, s[40:41]
                                        ; implicit-def: $vgpr21
	s_andn2_saveexec_b64 s[12:13], s[42:43]
	s_cbranch_execnz .LBB69_345
	s_branch .LBB69_346
.LBB69_344:                             ;   in Loop: Header=BB69_217 Depth=1
	s_andn2_saveexec_b64 s[12:13], s[42:43]
	s_cbranch_execz .LBB69_346
.LBB69_345:                             ;   in Loop: Header=BB69_217 Depth=1
	v_min_f32_e32 v30, 2.0, v21
	v_max_f32_e32 v21, 2.0, v21
	v_frexp_mant_f32_e32 v31, v21
	v_rcp_f32_e32 v31, v31
	v_frexp_exp_i32_f32_e32 v21, v21
	v_frexp_exp_i32_f32_e32 v54, v30
	v_frexp_mant_f32_e32 v30, v30
	v_mul_f32_e32 v30, v30, v31
	v_sub_u32_e32 v21, v54, v21
	v_ldexp_f32 v21, v30, v21
	v_mul_f32_e32 v30, v21, v21
	v_mov_b32_e32 v31, 0xbc7a590c
	v_fmac_f32_e32 v31, 0x3b2d2a58, v30
	v_fma_f32 v31, v30, v31, v39
	v_fma_f32 v31, v30, v31, v40
	;; [unrolled: 1-line block ×6, first 2 shown]
	v_mul_f32_e32 v30, v30, v31
	v_fmac_f32_e32 v21, v21, v30
	v_sub_f32_e32 v30, 0x3fc90fdb, v21
	v_cmp_lt_f32_e64 vcc, |v26|, 2.0
	v_cndmask_b32_e32 v21, v21, v30, vcc
	v_sub_f32_e32 v30, 0x40490fdb, v21
	v_cmp_lg_f32_e32 vcc, 0, v26
	v_cndmask_b32_e32 v21, v21, v30, vcc
	v_and_b32_e32 v31, 0x7fffffff, v21
.LBB69_346:                             ;   in Loop: Header=BB69_217 Depth=1
	s_or_b64 exec, exec, s[12:13]
	v_mul_f32_e32 v21, 0.5, v31
	v_bfi_b32 v31, s59, v19, v27
	v_bfi_b32 v30, s59, v21, v26
                                        ; implicit-def: $vgpr27
.LBB69_347:                             ;   in Loop: Header=BB69_217 Depth=1
	s_andn2_saveexec_b64 s[12:13], s[38:39]
	s_cbranch_execz .LBB69_349
; %bb.348:                              ;   in Loop: Header=BB69_217 Depth=1
	v_pk_mov_b32 v[30:31], s[22:23], s[22:23] op_sel:[0,1]
	flat_store_dword v[30:31], v45
	s_waitcnt vmcnt(0)
	flat_load_dword v19, v[30:31] glc
	s_waitcnt vmcnt(0)
	v_pk_mov_b32 v[30:31], s[24:25], s[24:25] op_sel:[0,1]
	s_waitcnt lgkmcnt(0)
	v_add_f32_e32 v19, 1.0, v19
	flat_store_dword v[30:31], v19
	s_waitcnt vmcnt(0)
	flat_load_dword v19, v[30:31] glc
	s_waitcnt vmcnt(0)
	v_mov_b32_e32 v31, v27
	v_mov_b32_e32 v30, v26
.LBB69_349:                             ;   in Loop: Header=BB69_217 Depth=1
	s_or_b64 exec, exec, s[12:13]
                                        ; implicit-def: $vgpr26
.LBB69_350:                             ;   in Loop: Header=BB69_217 Depth=1
	s_andn2_saveexec_b64 s[12:13], s[36:37]
	s_cbranch_execz .LBB69_364
; %bb.351:                              ;   in Loop: Header=BB69_217 Depth=1
	v_and_b32_e32 v21, 0x7f800000, v26
	s_waitcnt lgkmcnt(0)
	v_and_b32_e32 v19, 0x7f800000, v27
	v_sub_u32_e32 v30, v19, v21
	v_cmp_gt_i32_e32 vcc, s60, v30
	v_cmp_neq_f32_e64 s[36:37], |v27|, s54
	s_and_b64 s[36:37], s[36:37], vcc
                                        ; implicit-def: $vgpr31
	s_and_saveexec_b64 s[38:39], s[36:37]
	s_xor_b64 s[36:37], exec, s[38:39]
	s_cbranch_execz .LBB69_361
; %bb.352:                              ;   in Loop: Header=BB69_217 Depth=1
	v_sub_u32_e32 v21, v21, v19
	v_cmp_gt_i32_e32 vcc, s60, v21
                                        ; implicit-def: $vgpr31
	s_and_saveexec_b64 s[38:39], vcc
	s_xor_b64 s[38:39], exec, s[38:39]
	s_cbranch_execz .LBB69_358
; %bb.353:                              ;   in Loop: Header=BB69_217 Depth=1
	v_cmp_lt_u32_e32 vcc, s61, v19
                                        ; implicit-def: $vgpr31
	s_and_saveexec_b64 s[40:41], vcc
	s_xor_b64 s[40:41], exec, s[40:41]
	s_cbranch_execz .LBB69_355
; %bb.354:                              ;   in Loop: Header=BB69_217 Depth=1
	v_sub_u32_e32 v19, 0x7f800000, v19
	v_mul_f32_e32 v21, v27, v19
	v_mul_f32_e32 v27, v26, v19
	;; [unrolled: 1-line block ×3, first 2 shown]
	v_fmac_f32_e32 v27, v21, v21
	v_div_scale_f32 v30, s[42:43], v27, v27, v21
	v_rcp_f32_e32 v31, v30
	v_fma_f32 v54, -v30, v31, 1.0
	v_fmac_f32_e32 v31, v54, v31
	v_div_scale_f32 v54, vcc, v21, v27, v21
	v_mul_f32_e32 v55, v54, v31
	v_fma_f32 v56, -v30, v55, v54
	v_fmac_f32_e32 v55, v56, v31
	v_fma_f32 v30, -v30, v55, v54
	v_div_fmas_f32 v30, v30, v31, v55
	v_div_fixup_f32 v21, v30, v27, v21
	v_mul_f32_e32 v31, v21, v19
.LBB69_355:                             ;   in Loop: Header=BB69_217 Depth=1
	s_andn2_saveexec_b64 s[40:41], s[40:41]
	s_cbranch_execz .LBB69_357
; %bb.356:                              ;   in Loop: Header=BB69_217 Depth=1
	v_pk_mul_f32 v[30:31], v[26:27], v[26:27]
	v_add_f32_e32 v19, v31, v30
	v_div_scale_f32 v21, s[42:43], v19, v19, v27
	v_rcp_f32_e32 v30, v21
	v_div_scale_f32 v31, vcc, v27, v19, v27
	v_fma_f32 v54, -v21, v30, 1.0
	v_fmac_f32_e32 v30, v54, v30
	v_mul_f32_e32 v54, v31, v30
	v_fma_f32 v55, -v21, v54, v31
	v_fmac_f32_e32 v54, v55, v30
	v_fma_f32 v21, -v21, v54, v31
	v_div_fmas_f32 v21, v21, v30, v54
	v_div_fixup_f32 v31, v21, v19, v27
.LBB69_357:                             ;   in Loop: Header=BB69_217 Depth=1
	s_or_b64 exec, exec, s[40:41]
.LBB69_358:                             ;   in Loop: Header=BB69_217 Depth=1
	s_andn2_saveexec_b64 s[38:39], s[38:39]
	s_cbranch_execz .LBB69_360
; %bb.359:                              ;   in Loop: Header=BB69_217 Depth=1
	v_div_scale_f32 v19, s[40:41], v26, v26, v27
	v_rcp_f32_e32 v21, v19
	v_div_scale_f32 v30, vcc, v27, v26, v27
	v_fma_f32 v31, -v19, v21, 1.0
	v_fmac_f32_e32 v21, v31, v21
	v_mul_f32_e32 v31, v30, v21
	v_fma_f32 v54, -v19, v31, v30
	v_fmac_f32_e32 v31, v54, v21
	v_fma_f32 v19, -v19, v31, v30
	v_div_fmas_f32 v19, v19, v21, v31
	v_div_fixup_f32 v19, v19, v26, v27
	v_div_scale_f32 v21, s[40:41], v26, v26, v19
	v_rcp_f32_e32 v27, v21
	v_fma_f32 v30, -v21, v27, 1.0
	v_fmac_f32_e32 v27, v30, v27
	v_div_scale_f32 v30, vcc, v19, v26, v19
	v_mul_f32_e32 v31, v30, v27
	v_fma_f32 v54, -v21, v31, v30
	v_fmac_f32_e32 v31, v54, v27
	v_fma_f32 v21, -v21, v31, v30
	v_div_fmas_f32 v21, v21, v27, v31
	v_div_fixup_f32 v31, v21, v26, v19
.LBB69_360:                             ;   in Loop: Header=BB69_217 Depth=1
	s_or_b64 exec, exec, s[38:39]
.LBB69_361:                             ;   in Loop: Header=BB69_217 Depth=1
	s_andn2_saveexec_b64 s[36:37], s[36:37]
; %bb.362:                              ;   in Loop: Header=BB69_217 Depth=1
	v_div_scale_f32 v19, s[38:39], v27, v27, 1.0
	v_rcp_f32_e32 v21, v19
	v_div_scale_f32 v30, vcc, 1.0, v27, 1.0
	v_fma_f32 v31, -v19, v21, 1.0
	v_fmac_f32_e32 v21, v31, v21
	v_mul_f32_e32 v31, v30, v21
	v_fma_f32 v54, -v19, v31, v30
	v_fmac_f32_e32 v31, v54, v21
	v_fma_f32 v19, -v19, v31, v30
	v_div_fmas_f32 v19, v19, v21, v31
	v_div_fixup_f32 v31, v19, v27, 1.0
; %bb.363:                              ;   in Loop: Header=BB69_217 Depth=1
	s_or_b64 exec, exec, s[36:37]
	v_pk_mov_b32 v[54:55], s[20:21], s[20:21] op_sel:[0,1]
	flat_load_dword v19, v[54:55] glc
	s_waitcnt vmcnt(0) lgkmcnt(0)
	v_add_f32_e32 v19, 0x3fc90fdb, v19
	v_bfi_b32 v30, s59, v19, v26
.LBB69_364:                             ;   in Loop: Header=BB69_217 Depth=1
	s_or_b64 exec, exec, s[12:13]
                                        ; implicit-def: $vgpr27
.LBB69_365:                             ;   in Loop: Header=BB69_217 Depth=1
	s_andn2_saveexec_b64 s[12:13], s[34:35]
	s_cbranch_execz .LBB69_375
; %bb.366:                              ;   in Loop: Header=BB69_217 Depth=1
	v_cmp_neq_f32_e64 s[34:35], |v27|, s54
                                        ; implicit-def: $vgpr31
	s_and_saveexec_b64 s[36:37], s[34:35]
	s_xor_b64 s[34:35], exec, s[36:37]
	s_cbranch_execz .LBB69_372
; %bb.367:                              ;   in Loop: Header=BB69_217 Depth=1
	v_cmp_neq_f32_e64 s[36:37], |v26|, s54
                                        ; implicit-def: $vgpr31
	s_and_saveexec_b64 s[38:39], s[36:37]
	s_xor_b64 s[36:37], exec, s[38:39]
	s_cbranch_execz .LBB69_369
; %bb.368:                              ;   in Loop: Header=BB69_217 Depth=1
	s_waitcnt lgkmcnt(0)
	v_add_f32_e32 v19, 0, v26
	v_add_f32_e32 v31, v27, v19
                                        ; implicit-def: $vgpr26_vgpr27
.LBB69_369:                             ;   in Loop: Header=BB69_217 Depth=1
	s_or_saveexec_b64 s[36:37], s[36:37]
	v_mov_b32_e32 v30, v31
	s_xor_b64 exec, exec, s[36:37]
	s_cbranch_execz .LBB69_371
; %bb.370:                              ;   in Loop: Header=BB69_217 Depth=1
	v_pk_mov_b32 v[30:31], s[20:21], s[20:21] op_sel:[0,1]
	s_waitcnt lgkmcnt(0)
	flat_load_dword v19, v[30:31] glc
	s_waitcnt vmcnt(0)
	v_bfi_b32 v31, s59, 0, v27
	s_waitcnt lgkmcnt(0)
	v_add_f32_e32 v19, 0x3fc90fdb, v19
	v_bfi_b32 v30, s59, v19, v26
.LBB69_371:                             ;   in Loop: Header=BB69_217 Depth=1
	s_or_b64 exec, exec, s[36:37]
                                        ; implicit-def: $vgpr27
.LBB69_372:                             ;   in Loop: Header=BB69_217 Depth=1
	s_andn2_saveexec_b64 s[34:35], s[34:35]
; %bb.373:                              ;   in Loop: Header=BB69_217 Depth=1
	v_bfi_b32 v31, s59, 0, v27
	v_add_f32_e32 v30, v26, v26
; %bb.374:                              ;   in Loop: Header=BB69_217 Depth=1
	s_or_b64 exec, exec, s[34:35]
.LBB69_375:                             ;   in Loop: Header=BB69_217 Depth=1
	s_or_b64 exec, exec, s[12:13]
                                        ; implicit-def: $vgpr26
.LBB69_376:                             ;   in Loop: Header=BB69_217 Depth=1
	s_andn2_saveexec_b64 s[12:13], s[30:31]
	s_cbranch_execz .LBB69_378
; %bb.377:                              ;   in Loop: Header=BB69_217 Depth=1
	s_waitcnt lgkmcnt(0)
	v_rcp_f32_e64 v19, |v26|
	v_cmp_gt_f32_e64 vcc, |v26|, 1.0
	v_mov_b32_e32 v21, 0xbc7a590c
	v_mov_b32_e32 v31, v27
	v_cndmask_b32_e64 v19, |v26|, v19, vcc
	v_mul_f32_e32 v30, v19, v19
	v_fmac_f32_e32 v21, 0x3b2d2a58, v30
	v_fma_f32 v21, v30, v21, v39
	v_fma_f32 v21, v30, v21, v40
	;; [unrolled: 1-line block ×6, first 2 shown]
	v_mul_f32_e32 v21, v30, v21
	v_fmac_f32_e32 v19, v19, v21
	v_sub_f32_e32 v21, 0x3fc90fdb, v19
	v_cndmask_b32_e32 v19, v19, v21, vcc
	v_bfi_b32 v30, s59, v19, v26
.LBB69_378:                             ;   in Loop: Header=BB69_217 Depth=1
	s_or_b64 exec, exec, s[12:13]
                                        ; implicit-def: $vgpr27
.LBB69_379:                             ;   in Loop: Header=BB69_217 Depth=1
	s_andn2_saveexec_b64 s[12:13], s[28:29]
	s_cbranch_execz .LBB69_381
; %bb.380:                              ;   in Loop: Header=BB69_217 Depth=1
	s_waitcnt lgkmcnt(0)
	v_sub_f32_e64 v19, 1.0, |v27|
	v_rcp_f32_e32 v58, v19
	v_add_f32_e64 v54, |v27|, 1.0
	v_sub_f32_e32 v21, 1.0, v19
	v_sub_f32_e64 v31, v21, |v27|
	v_mul_f32_e32 v59, v54, v58
	v_mul_f32_e32 v55, v19, v59
	v_fma_f32 v21, v59, v19, -v55
	v_fmac_f32_e32 v21, v59, v31
	v_pk_add_f32 v[56:57], v[54:55], v[20:21]
	v_sub_f32_e32 v19, v57, v55
	v_sub_f32_e32 v55, v54, v57
	v_and_b32_e32 v30, 0x7fffffff, v27
	v_sub_f32_e32 v31, v54, v55
	v_pk_add_f32 v[30:31], v[30:31], v[56:57] neg_lo:[0,1] neg_hi:[0,1]
	v_sub_f32_e32 v19, v19, v21
	v_add_f32_e32 v19, v19, v31
	v_add_f32_e32 v19, v30, v19
	;; [unrolled: 1-line block ×3, first 2 shown]
	v_mul_f32_e32 v19, v58, v19
	v_add_f32_e32 v21, v59, v19
	v_sub_f32_e32 v30, v21, v59
	v_sub_f32_e32 v19, v19, v30
	v_frexp_mant_f32_e32 v54, v21
	v_cvt_f64_f32_e32 v[30:31], v21
	v_frexp_exp_i32_f64_e32 v30, v[30:31]
	v_cmp_gt_f32_e32 vcc, s52, v54
	v_subbrev_co_u32_e32 v60, vcc, 0, v30, vcc
	v_sub_u32_e32 v30, 0, v60
	v_ldexp_f32 v21, v21, v30
	v_ldexp_f32 v19, v19, v30
	v_add_f32_e32 v30, -1.0, v21
	v_add_f32_e32 v31, 1.0, v30
	v_sub_f32_e32 v31, v21, v31
	v_add_f32_e32 v54, v19, v31
	v_add_f32_e32 v31, 1.0, v21
	v_add_f32_e32 v55, -1.0, v31
	v_sub_f32_e32 v21, v21, v55
	v_add_f32_e32 v19, v19, v21
	v_add_f32_e32 v21, v31, v19
	v_rcp_f32_e32 v61, v21
	v_sub_f32_e32 v31, v21, v31
	v_sub_f32_e32 v19, v19, v31
	v_add_f32_e32 v31, v30, v54
	v_sub_f32_e32 v30, v31, v30
	v_mul_f32_e32 v63, v31, v61
	v_sub_f32_e32 v62, v54, v30
	v_mul_f32_e32 v54, v21, v63
	v_fma_f32 v56, v63, v21, -v54
	v_fmac_f32_e32 v56, v63, v19
	v_add_f32_e32 v30, v54, v56
	v_sub_f32_e32 v55, v31, v30
	v_pk_add_f32 v[58:59], v[30:31], v[54:55] neg_lo:[0,1] neg_hi:[0,1]
	v_mov_b32_e32 v57, v30
	v_pk_add_f32 v[30:31], v[58:59], v[56:57] neg_lo:[0,1] neg_hi:[0,1]
	v_add_f32_e32 v31, v62, v31
	v_add_f32_e32 v30, v30, v31
	v_add_f32_e32 v31, v55, v30
	v_mul_f32_e32 v62, v61, v31
	v_mul_f32_e32 v54, v21, v62
	v_fma_f32 v56, v62, v21, -v54
	v_fmac_f32_e32 v56, v62, v19
	v_sub_f32_e32 v19, v55, v31
	v_add_f32_e32 v19, v30, v19
	v_add_f32_e32 v30, v54, v56
	v_sub_f32_e32 v55, v31, v30
	v_pk_add_f32 v[58:59], v[30:31], v[54:55] neg_lo:[0,1] neg_hi:[0,1]
	v_mov_b32_e32 v57, v30
	v_pk_add_f32 v[30:31], v[58:59], v[56:57] neg_lo:[0,1] neg_hi:[0,1]
	v_add_f32_e32 v19, v19, v31
	v_add_f32_e32 v19, v30, v19
	;; [unrolled: 1-line block ×4, first 2 shown]
	v_sub_f32_e32 v30, v21, v63
	v_mul_f32_e32 v19, v61, v19
	v_sub_f32_e32 v30, v62, v30
	v_add_f32_e32 v31, v30, v19
	v_add_f32_e32 v54, v21, v31
	v_cvt_f32_i32_e32 v30, v60
	v_mul_f32_e32 v56, v54, v54
	v_mov_b32_e32 v19, 0x3ecc95a3
	v_fmac_f32_e32 v19, 0x3e9b6dac, v56
	v_sub_f32_e32 v21, v54, v21
	v_fma_f32 v19, v56, v19, v38
	v_sub_f32_e32 v21, v31, v21
	v_mul_f32_e32 v31, v54, v56
	v_pk_mul_f32 v[56:57], v[30:31], v[18:19]
	v_ldexp_f32 v55, v54, 1
	v_fma_f32 v54, v30, s53, -v56
	v_fmac_f32_e32 v54, 0xb102e308, v30
	v_pk_add_f32 v[30:31], v[56:57], v[54:55]
	v_sub_f32_e32 v19, v31, v55
	v_ldexp_f32 v21, v21, 1
	v_sub_f32_e32 v19, v57, v19
	v_add_f32_e32 v59, v21, v19
	v_mov_b32_e32 v58, v56
	v_pk_add_f32 v[56:57], v[30:31], v[56:57] neg_lo:[0,1] neg_hi:[0,1]
	v_pk_add_f32 v[60:61], v[30:31], v[58:59]
	v_mov_b32_e32 v57, v61
	v_mov_b32_e32 v55, v30
	v_pk_add_f32 v[62:63], v[54:55], v[56:57] neg_lo:[0,1] neg_hi:[0,1]
	v_pk_add_f32 v[54:55], v[54:55], v[56:57]
	v_mov_b32_e32 v56, v55
	v_pk_add_f32 v[64:65], v[56:57], v[30:31] neg_lo:[0,1] neg_hi:[0,1]
	v_mov_b32_e32 v19, v64
	v_pk_add_f32 v[66:67], v[60:61], v[18:19] neg_lo:[0,1] neg_hi:[0,1]
	v_mov_b32_e32 v54, v61
	v_mov_b32_e32 v60, v31
	;; [unrolled: 1-line block ×4, first 2 shown]
	v_pk_add_f32 v[54:55], v[54:55], v[60:61] neg_lo:[0,1] neg_hi:[0,1]
	v_mov_b32_e32 v58, v59
	v_mov_b32_e32 v59, v30
	v_pk_add_f32 v[30:31], v[58:59], v[54:55] neg_lo:[0,1] neg_hi:[0,1]
	v_mov_b32_e32 v66, v62
	v_pk_add_f32 v[54:55], v[66:67], v[30:31]
	v_mov_b32_e32 v58, v55
	v_pk_add_f32 v[58:59], v[54:55], v[58:59]
	v_pk_add_f32 v[56:57], v[56:57], v[58:59]
	v_mov_b32_e32 v55, v56
	v_pk_add_f32 v[60:61], v[54:55], v[62:63] neg_lo:[0,1] neg_hi:[0,1]
	v_mov_b32_e32 v31, v58
	v_sub_f32_e32 v19, v54, v60
	v_pk_add_f32 v[30:31], v[30:31], v[60:61] neg_lo:[0,1] neg_hi:[0,1]
	v_sub_f32_e32 v19, v62, v19
	v_add_f32_e32 v19, v30, v19
	v_add_f32_e32 v19, v19, v31
	;; [unrolled: 1-line block ×3, first 2 shown]
	v_mul_f32_e32 v19, 0.5, v19
	v_cmp_lt_f32_e64 s[28:29], |v27|, s62
	v_cndmask_b32_e64 v19, v19, |v27|, s[28:29]
	v_cmp_ngt_f32_e64 vcc, |v27|, 1.0
	v_cndmask_b32_e32 v19, v46, v19, vcc
	v_cmp_neq_f32_e64 vcc, |v27|, 1.0
	v_cndmask_b32_e32 v19, v53, v19, vcc
	v_bfi_b32 v31, s59, v19, v27
	v_mov_b32_e32 v30, v26
.LBB69_381:                             ;   in Loop: Header=BB69_217 Depth=1
	s_or_b64 exec, exec, s[12:13]
	v_cmp_neq_f32_e32 vcc, 0, v22
	v_cmp_nle_f32_e64 s[12:13], |v23|, 1.0
	v_pk_mov_b32 v[26:27], s[20:21], s[20:21] op_sel:[0,1]
	s_or_b64 s[12:13], vcc, s[12:13]
	flat_store_dword v[26:27], v37
	s_waitcnt vmcnt(0)
                                        ; implicit-def: $vgpr27
	s_and_saveexec_b64 s[28:29], s[12:13]
	s_xor_b64 s[28:29], exec, s[28:29]
	s_cbranch_execz .LBB69_388
; %bb.382:                              ;   in Loop: Header=BB69_217 Depth=1
	v_cmp_neq_f32_e32 vcc, 0, v23
                                        ; implicit-def: $vgpr27
	s_and_saveexec_b64 s[12:13], vcc
	s_xor_b64 s[30:31], exec, s[12:13]
	s_cbranch_execz .LBB69_433
; %bb.383:                              ;   in Loop: Header=BB69_217 Depth=1
	v_cmp_o_f32_e32 vcc, v23, v22
                                        ; implicit-def: $vgpr27
	s_and_saveexec_b64 s[12:13], vcc
	s_xor_b64 s[34:35], exec, s[12:13]
	s_cbranch_execz .LBB69_422
; %bb.384:                              ;   in Loop: Header=BB69_217 Depth=1
	v_max_f32_e64 v21, |v22|, |v22|
	s_waitcnt lgkmcnt(0)
	v_max_f32_e64 v19, |v23|, |v23|
	v_max_f32_e32 v19, v19, v21
	v_cmp_nlt_f32_e32 vcc, s48, v19
                                        ; implicit-def: $vgpr27
	s_and_saveexec_b64 s[12:13], vcc
	s_xor_b64 s[36:37], exec, s[12:13]
	s_cbranch_execz .LBB69_407
; %bb.385:                              ;   in Loop: Header=BB69_217 Depth=1
	v_cmp_nlt_f32_e64 s[12:13], |v23|, s49
	v_cmp_nlt_f32_e64 s[38:39], |v22|, s49
	s_or_b64 s[12:13], s[12:13], s[38:39]
                                        ; implicit-def: $vgpr27
	s_and_saveexec_b64 s[38:39], s[12:13]
	s_xor_b64 s[38:39], exec, s[38:39]
	s_cbranch_execz .LBB69_404
; %bb.386:                              ;   in Loop: Header=BB69_217 Depth=1
	v_cmp_neq_f32_e64 s[42:43], |v23|, 1.0
	v_cmp_nlt_f32_e64 s[40:41], |v22|, s50
	s_or_b64 s[12:13], s[42:43], s[40:41]
                                        ; implicit-def: $vgpr19
	s_and_saveexec_b64 s[44:45], s[12:13]
	s_xor_b64 s[12:13], exec, s[44:45]
	s_cbranch_execz .LBB69_393
; %bb.387:                              ;   in Loop: Header=BB69_217 Depth=1
	v_add_f32_e64 v26, |v23|, -1.0
	v_mul_f32_e32 v54, v22, v22
	v_mul_f32_e32 v27, v26, v26
	v_fmac_f32_e32 v54, v26, v26
	v_cmp_lt_f32_e64 vcc, |v22|, s51
	v_mul_f32_e64 v19, |v23|, 4.0
	v_cndmask_b32_e32 v26, v54, v27, vcc
	v_div_scale_f32 v27, s[44:45], v26, v26, v19
	v_rcp_f32_e32 v54, v27
	v_fma_f32 v55, -v27, v54, 1.0
	v_fmac_f32_e32 v54, v55, v54
	v_div_scale_f32 v55, vcc, v19, v26, v19
	v_mul_f32_e32 v56, v55, v54
	v_fma_f32 v57, -v27, v56, v55
	v_fmac_f32_e32 v56, v57, v54
	v_fma_f32 v27, -v27, v56, v55
	v_div_fmas_f32 v27, v27, v54, v56
	v_div_fixup_f32 v26, v27, v26, v19
	v_add_f32_e32 v55, 1.0, v26
	v_add_f32_e32 v27, -1.0, v55
	v_mov_b32_e32 v54, v27
	v_pk_add_f32 v[56:57], v[26:27], v[54:55] neg_lo:[0,1] neg_hi:[0,1]
	v_add_f32_e32 v19, 1.0, v57
	v_add_f32_e32 v19, v56, v19
	v_frexp_mant_f32_e32 v27, v55
	v_cvt_f64_f32_e32 v[56:57], v55
	v_frexp_exp_i32_f64_e32 v54, v[56:57]
	v_cmp_gt_f32_e32 vcc, s52, v27
	v_subbrev_co_u32_e32 v27, vcc, 0, v54, vcc
	v_sub_u32_e32 v54, 0, v27
	v_ldexp_f32 v55, v55, v54
	v_ldexp_f32 v19, v19, v54
	v_add_f32_e32 v54, -1.0, v55
	v_add_f32_e32 v57, 1.0, v55
	v_add_f32_e32 v56, 1.0, v54
	v_add_f32_e32 v58, -1.0, v57
	v_sub_f32_e32 v56, v55, v56
	v_sub_f32_e32 v55, v55, v58
	v_add_f32_e32 v56, v19, v56
	v_add_f32_e32 v19, v19, v55
	;; [unrolled: 1-line block ×3, first 2 shown]
	v_rcp_f32_e32 v63, v62
	v_sub_f32_e32 v55, v62, v57
	v_sub_f32_e32 v19, v19, v55
	v_add_f32_e32 v55, v54, v56
	v_sub_f32_e32 v54, v55, v54
	v_mul_f32_e32 v65, v55, v63
	v_sub_f32_e32 v64, v56, v54
	v_mul_f32_e32 v56, v62, v65
	v_fma_f32 v58, v65, v62, -v56
	v_fmac_f32_e32 v58, v65, v19
	v_add_f32_e32 v54, v56, v58
	v_sub_f32_e32 v57, v55, v54
	v_pk_add_f32 v[60:61], v[54:55], v[56:57] neg_lo:[0,1] neg_hi:[0,1]
	v_mov_b32_e32 v59, v54
	v_pk_add_f32 v[54:55], v[60:61], v[58:59] neg_lo:[0,1] neg_hi:[0,1]
	v_add_f32_e32 v55, v64, v55
	v_add_f32_e32 v54, v54, v55
	;; [unrolled: 1-line block ×3, first 2 shown]
	v_mul_f32_e32 v64, v63, v55
	v_mul_f32_e32 v56, v62, v64
	v_fma_f32 v58, v64, v62, -v56
	v_fmac_f32_e32 v58, v64, v19
	v_sub_f32_e32 v19, v57, v55
	v_add_f32_e32 v19, v54, v19
	v_add_f32_e32 v54, v56, v58
	v_sub_f32_e32 v57, v55, v54
	v_pk_add_f32 v[60:61], v[54:55], v[56:57] neg_lo:[0,1] neg_hi:[0,1]
	v_mov_b32_e32 v59, v54
	v_pk_add_f32 v[54:55], v[60:61], v[58:59] neg_lo:[0,1] neg_hi:[0,1]
	v_add_f32_e32 v19, v19, v55
	v_add_f32_e32 v19, v54, v19
	;; [unrolled: 1-line block ×4, first 2 shown]
	v_sub_f32_e32 v54, v55, v65
	v_mul_f32_e32 v19, v63, v19
	v_sub_f32_e32 v54, v64, v54
	v_add_f32_e32 v56, v54, v19
	v_add_f32_e32 v58, v55, v56
	v_cvt_f32_i32_e32 v54, v27
	v_mul_f32_e32 v59, v58, v58
	v_mov_b32_e32 v19, 0x3ecc95a3
	v_fmac_f32_e32 v19, 0x3e9b6dac, v59
	v_fma_f32 v19, v59, v19, v38
	v_sub_f32_e32 v27, v58, v55
	v_mul_f32_e32 v55, v58, v59
	v_ldexp_f32 v57, v58, 1
	v_pk_mul_f32 v[58:59], v[54:55], v[18:19]
	v_sub_f32_e32 v27, v56, v27
	v_fma_f32 v56, v54, s53, -v58
	v_fmac_f32_e32 v56, 0xb102e308, v54
	v_pk_add_f32 v[54:55], v[58:59], v[56:57]
	v_sub_f32_e32 v19, v55, v57
	v_ldexp_f32 v27, v27, 1
	v_sub_f32_e32 v19, v59, v19
	v_add_f32_e32 v61, v27, v19
	v_mov_b32_e32 v60, v58
	v_pk_add_f32 v[58:59], v[54:55], v[58:59] neg_lo:[0,1] neg_hi:[0,1]
	v_pk_add_f32 v[62:63], v[54:55], v[60:61]
	v_mov_b32_e32 v59, v63
	v_mov_b32_e32 v57, v54
	v_pk_add_f32 v[64:65], v[56:57], v[58:59] neg_lo:[0,1] neg_hi:[0,1]
	v_pk_add_f32 v[56:57], v[56:57], v[58:59]
	v_mov_b32_e32 v58, v57
	v_pk_add_f32 v[66:67], v[58:59], v[54:55] neg_lo:[0,1] neg_hi:[0,1]
	v_mov_b32_e32 v19, v66
	v_pk_add_f32 v[68:69], v[62:63], v[18:19] neg_lo:[0,1] neg_hi:[0,1]
	v_mov_b32_e32 v56, v63
	v_mov_b32_e32 v62, v55
	;; [unrolled: 1-line block ×4, first 2 shown]
	v_pk_add_f32 v[56:57], v[56:57], v[62:63] neg_lo:[0,1] neg_hi:[0,1]
	v_mov_b32_e32 v60, v61
	v_mov_b32_e32 v61, v54
	v_pk_add_f32 v[54:55], v[60:61], v[56:57] neg_lo:[0,1] neg_hi:[0,1]
	v_mov_b32_e32 v68, v64
	v_pk_add_f32 v[56:57], v[68:69], v[54:55]
	v_mov_b32_e32 v60, v57
	v_pk_add_f32 v[60:61], v[56:57], v[60:61]
	v_pk_add_f32 v[58:59], v[58:59], v[60:61]
	v_mov_b32_e32 v57, v58
	v_pk_add_f32 v[62:63], v[56:57], v[64:65] neg_lo:[0,1] neg_hi:[0,1]
	v_mov_b32_e32 v55, v60
	v_sub_f32_e32 v19, v56, v62
	v_pk_add_f32 v[54:55], v[54:55], v[62:63] neg_lo:[0,1] neg_hi:[0,1]
	v_sub_f32_e32 v19, v64, v19
	v_add_f32_e32 v19, v54, v19
	v_add_f32_e32 v19, v19, v55
	;; [unrolled: 1-line block ×3, first 2 shown]
	v_cmp_eq_f32_e32 vcc, s54, v26
	v_cndmask_b32_e32 v19, v19, v26, vcc
	v_cmp_ngt_f32_e32 vcc, -1.0, v26
	v_cndmask_b32_e32 v19, v46, v19, vcc
	v_cmp_neq_f32_e32 vcc, -1.0, v26
	v_cndmask_b32_e32 v19, v47, v19, vcc
	v_cmp_lt_f32_e64 vcc, |v26|, s55
	v_cndmask_b32_e32 v19, v19, v26, vcc
	v_mul_f32_e32 v19, 0x3e800000, v19
	s_andn2_saveexec_b64 s[44:45], s[12:13]
	s_cbranch_execz .LBB69_395
	s_branch .LBB69_394
.LBB69_388:                             ;   in Loop: Header=BB69_217 Depth=1
	s_andn2_saveexec_b64 s[12:13], s[28:29]
	s_cbranch_execz .LBB69_436
.LBB69_389:                             ;   in Loop: Header=BB69_217 Depth=1
	s_waitcnt lgkmcnt(0)
	v_sub_f32_e64 v19, 1.0, |v23|
	v_rcp_f32_e32 v58, v19
	v_add_f32_e64 v54, |v23|, 1.0
	v_sub_f32_e32 v21, 1.0, v19
	v_sub_f32_e64 v27, v21, |v23|
	v_mul_f32_e32 v59, v54, v58
	v_mul_f32_e32 v55, v19, v59
	v_fma_f32 v21, v59, v19, -v55
	v_fmac_f32_e32 v21, v59, v27
	v_pk_add_f32 v[56:57], v[54:55], v[20:21]
	v_sub_f32_e32 v19, v57, v55
	v_sub_f32_e32 v55, v54, v57
	v_and_b32_e32 v26, 0x7fffffff, v23
	v_sub_f32_e32 v27, v54, v55
	v_pk_add_f32 v[26:27], v[26:27], v[56:57] neg_lo:[0,1] neg_hi:[0,1]
	v_sub_f32_e32 v19, v19, v21
	v_add_f32_e32 v19, v19, v27
	v_add_f32_e32 v19, v26, v19
	v_add_f32_e32 v19, v55, v19
	v_mul_f32_e32 v19, v58, v19
	v_add_f32_e32 v21, v59, v19
	v_sub_f32_e32 v26, v21, v59
	v_sub_f32_e32 v19, v19, v26
	v_frexp_mant_f32_e32 v54, v21
	v_cvt_f64_f32_e32 v[26:27], v21
	v_frexp_exp_i32_f64_e32 v26, v[26:27]
	v_cmp_gt_f32_e32 vcc, s52, v54
	v_subbrev_co_u32_e32 v60, vcc, 0, v26, vcc
	v_sub_u32_e32 v26, 0, v60
	v_ldexp_f32 v21, v21, v26
	v_ldexp_f32 v19, v19, v26
	v_add_f32_e32 v26, -1.0, v21
	v_add_f32_e32 v27, 1.0, v26
	v_sub_f32_e32 v27, v21, v27
	v_add_f32_e32 v54, v19, v27
	v_add_f32_e32 v27, 1.0, v21
	v_add_f32_e32 v55, -1.0, v27
	v_sub_f32_e32 v21, v21, v55
	v_add_f32_e32 v19, v19, v21
	v_add_f32_e32 v21, v27, v19
	v_rcp_f32_e32 v61, v21
	v_sub_f32_e32 v27, v21, v27
	v_sub_f32_e32 v19, v19, v27
	v_add_f32_e32 v27, v26, v54
	v_sub_f32_e32 v26, v27, v26
	v_mul_f32_e32 v63, v27, v61
	v_sub_f32_e32 v62, v54, v26
	v_mul_f32_e32 v54, v21, v63
	v_fma_f32 v56, v63, v21, -v54
	v_fmac_f32_e32 v56, v63, v19
	v_add_f32_e32 v26, v54, v56
	v_sub_f32_e32 v55, v27, v26
	v_pk_add_f32 v[58:59], v[26:27], v[54:55] neg_lo:[0,1] neg_hi:[0,1]
	v_mov_b32_e32 v57, v26
	v_pk_add_f32 v[26:27], v[58:59], v[56:57] neg_lo:[0,1] neg_hi:[0,1]
	v_add_f32_e32 v27, v62, v27
	v_add_f32_e32 v26, v26, v27
	;; [unrolled: 1-line block ×3, first 2 shown]
	v_mul_f32_e32 v62, v61, v27
	v_mul_f32_e32 v54, v21, v62
	v_fma_f32 v56, v62, v21, -v54
	v_fmac_f32_e32 v56, v62, v19
	v_sub_f32_e32 v19, v55, v27
	v_add_f32_e32 v19, v26, v19
	v_add_f32_e32 v26, v54, v56
	v_sub_f32_e32 v55, v27, v26
	v_pk_add_f32 v[58:59], v[26:27], v[54:55] neg_lo:[0,1] neg_hi:[0,1]
	v_mov_b32_e32 v57, v26
	v_pk_add_f32 v[26:27], v[58:59], v[56:57] neg_lo:[0,1] neg_hi:[0,1]
	v_add_f32_e32 v19, v19, v27
	v_add_f32_e32 v19, v26, v19
	;; [unrolled: 1-line block ×4, first 2 shown]
	v_sub_f32_e32 v26, v21, v63
	v_mul_f32_e32 v19, v61, v19
	v_sub_f32_e32 v26, v62, v26
	v_add_f32_e32 v27, v26, v19
	v_add_f32_e32 v54, v21, v27
	v_cvt_f32_i32_e32 v26, v60
	v_mul_f32_e32 v56, v54, v54
	v_mov_b32_e32 v19, 0x3ecc95a3
	v_fmac_f32_e32 v19, 0x3e9b6dac, v56
	v_sub_f32_e32 v21, v54, v21
	v_fma_f32 v19, v56, v19, v38
	v_sub_f32_e32 v21, v27, v21
	v_mul_f32_e32 v27, v54, v56
	v_pk_mul_f32 v[56:57], v[26:27], v[18:19]
	v_ldexp_f32 v55, v54, 1
	v_fma_f32 v54, v26, s53, -v56
	v_fmac_f32_e32 v54, 0xb102e308, v26
	v_pk_add_f32 v[26:27], v[56:57], v[54:55]
	v_sub_f32_e32 v19, v27, v55
	v_ldexp_f32 v21, v21, 1
	v_sub_f32_e32 v19, v57, v19
	v_add_f32_e32 v59, v21, v19
	v_mov_b32_e32 v58, v56
	v_pk_add_f32 v[56:57], v[26:27], v[56:57] neg_lo:[0,1] neg_hi:[0,1]
	v_pk_add_f32 v[60:61], v[26:27], v[58:59]
	v_mov_b32_e32 v57, v61
	v_mov_b32_e32 v55, v26
	v_pk_add_f32 v[62:63], v[54:55], v[56:57] neg_lo:[0,1] neg_hi:[0,1]
	v_pk_add_f32 v[54:55], v[54:55], v[56:57]
	v_mov_b32_e32 v56, v55
	v_pk_add_f32 v[64:65], v[56:57], v[26:27] neg_lo:[0,1] neg_hi:[0,1]
	v_mov_b32_e32 v19, v64
	v_pk_add_f32 v[66:67], v[60:61], v[18:19] neg_lo:[0,1] neg_hi:[0,1]
	v_mov_b32_e32 v54, v61
	v_mov_b32_e32 v60, v27
	;; [unrolled: 1-line block ×4, first 2 shown]
	v_pk_add_f32 v[54:55], v[54:55], v[60:61] neg_lo:[0,1] neg_hi:[0,1]
	v_mov_b32_e32 v58, v59
	v_mov_b32_e32 v59, v26
	v_pk_add_f32 v[26:27], v[58:59], v[54:55] neg_lo:[0,1] neg_hi:[0,1]
	v_mov_b32_e32 v66, v62
	v_pk_add_f32 v[54:55], v[66:67], v[26:27]
	v_mov_b32_e32 v58, v55
	v_pk_add_f32 v[58:59], v[54:55], v[58:59]
	v_pk_add_f32 v[56:57], v[56:57], v[58:59]
	v_mov_b32_e32 v55, v56
	v_pk_add_f32 v[60:61], v[54:55], v[62:63] neg_lo:[0,1] neg_hi:[0,1]
	v_mov_b32_e32 v27, v58
	v_sub_f32_e32 v19, v54, v60
	v_pk_add_f32 v[26:27], v[26:27], v[60:61] neg_lo:[0,1] neg_hi:[0,1]
	v_sub_f32_e32 v19, v62, v19
	v_add_f32_e32 v19, v26, v19
	v_add_f32_e32 v19, v19, v27
	;; [unrolled: 1-line block ×3, first 2 shown]
	v_mul_f32_e32 v19, 0.5, v19
	v_cmp_lt_f32_e64 s[28:29], |v23|, s62
	v_cndmask_b32_e64 v19, v19, |v23|, s[28:29]
	v_cmp_ngt_f32_e64 vcc, |v23|, 1.0
	v_cndmask_b32_e32 v19, v46, v19, vcc
	v_cmp_neq_f32_e64 vcc, |v23|, 1.0
	v_cndmask_b32_e32 v19, v53, v19, vcc
	v_bfi_b32 v27, s59, v19, v23
	v_mov_b32_e32 v26, v22
	s_or_b64 exec, exec, s[12:13]
	s_and_saveexec_b64 s[12:13], s[4:5]
	s_xor_b64 s[4:5], exec, s[12:13]
	s_cbranch_execnz .LBB69_437
.LBB69_390:                             ;   in Loop: Header=BB69_217 Depth=1
	s_or_b64 exec, exec, s[4:5]
	s_and_saveexec_b64 s[4:5], s[6:7]
	s_cbranch_execz .LBB69_438
.LBB69_391:                             ;   in Loop: Header=BB69_217 Depth=1
	s_waitcnt lgkmcnt(0)
	v_mov_b32_e32 v19, s15
	v_add_co_u32_e32 v22, vcc, s14, v16
	v_addc_co_u32_e32 v23, vcc, v15, v19, vcc
	global_store_dwordx2 v[22:23], v[28:29], off
	s_or_b64 exec, exec, s[4:5]
	s_and_saveexec_b64 s[4:5], s[8:9]
	s_cbranch_execnz .LBB69_439
.LBB69_392:                             ;   in Loop: Header=BB69_217 Depth=1
	s_or_b64 exec, exec, s[4:5]
	s_and_saveexec_b64 s[4:5], s[10:11]
	s_cbranch_execz .LBB69_216
	s_branch .LBB69_440
.LBB69_393:                             ;   in Loop: Header=BB69_217 Depth=1
	s_andn2_saveexec_b64 s[44:45], s[12:13]
	s_cbranch_execz .LBB69_395
.LBB69_394:                             ;   in Loop: Header=BB69_217 Depth=1
	v_cmp_lt_f32_e64 vcc, |v22|, s56
	v_cndmask_b32_e32 v19, 1.0, v48, vcc
	v_mul_f32_e64 v19, |v22|, v19
	v_log_f32_e32 v19, v19
	v_mul_f32_e32 v26, 0x3f317217, v19
	v_fma_f32 v27, v19, s57, -v26
	v_fmac_f32_e32 v27, 0x3377d1cf, v19
	v_add_f32_e32 v26, v26, v27
	v_cmp_lt_f32_e64 s[12:13], |v19|, s54
	v_cndmask_b32_e64 v19, v19, v26, s[12:13]
	v_cndmask_b32_e32 v26, 0, v49, vcc
	v_sub_f32_e32 v19, v19, v26
	v_sub_f32_e32 v19, 0x3f317218, v19
	v_mul_f32_e32 v19, 0.5, v19
.LBB69_395:                             ;   in Loop: Header=BB69_217 Depth=1
	s_or_b64 exec, exec, s[44:45]
                                        ; implicit-def: $vgpr27
	s_and_saveexec_b64 s[12:13], s[42:43]
	s_xor_b64 s[42:43], exec, s[12:13]
	s_cbranch_execz .LBB69_401
; %bb.396:                              ;   in Loop: Header=BB69_217 Depth=1
	v_sub_f32_e64 v26, 1.0, |v23|
	v_add_f32_e64 v27, |v23|, 1.0
	v_add_f32_e64 v21, |v22|, |v22|
	v_mul_f32_e32 v26, v26, v27
                                        ; implicit-def: $vgpr27
	s_and_saveexec_b64 s[12:13], s[40:41]
	s_xor_b64 s[40:41], exec, s[12:13]
	s_cbranch_execz .LBB69_398
; %bb.397:                              ;   in Loop: Header=BB69_217 Depth=1
	v_fma_f32 v26, -v22, v22, v26
	v_max_f32_e64 v27, |v21|, |v21|
	v_min_f32_e64 v54, |v26|, v27
	v_max_f32_e64 v27, |v26|, v27
	v_frexp_mant_f32_e32 v55, v27
	v_rcp_f32_e32 v55, v55
	v_frexp_exp_i32_f32_e32 v27, v27
	v_frexp_exp_i32_f32_e32 v56, v54
	v_frexp_mant_f32_e32 v54, v54
	v_mul_f32_e32 v54, v54, v55
	v_sub_u32_e32 v27, v56, v27
	v_ldexp_f32 v27, v54, v27
	v_mul_f32_e32 v54, v27, v27
	v_mov_b32_e32 v55, 0xbc7a590c
	v_fmac_f32_e32 v55, 0x3b2d2a58, v54
	v_fma_f32 v55, v54, v55, v39
	v_fma_f32 v55, v54, v55, v40
	v_fma_f32 v55, v54, v55, v41
	v_fma_f32 v55, v54, v55, v42
	v_fma_f32 v55, v54, v55, v43
	v_fma_f32 v55, v54, v55, v44
	v_mul_f32_e32 v54, v54, v55
	v_fmac_f32_e32 v27, v27, v54
	v_sub_f32_e32 v54, 0x3fc90fdb, v27
	v_cmp_gt_f32_e64 vcc, |v21|, |v26|
	v_cndmask_b32_e32 v27, v27, v54, vcc
	v_sub_f32_e32 v54, 0x40490fdb, v27
	v_cmp_gt_f32_e32 vcc, 0, v26
	v_cmp_gt_i32_e64 s[12:13], 0, v26
	v_cndmask_b32_e32 v27, v27, v54, vcc
	v_cndmask_b32_e64 v54, 0, v50, s[12:13]
	v_cmp_eq_f32_e64 s[12:13], 0, v21
	v_cndmask_b32_e64 v27, v27, v54, s[12:13]
	v_cmp_class_f32_e64 s[12:13], v26, s58
	v_cmp_class_f32_e64 s[44:45], v21, s58
	v_cndmask_b32_e32 v54, v51, v52, vcc
	s_and_b64 vcc, s[44:45], s[12:13]
	v_cndmask_b32_e32 v27, v27, v54, vcc
	v_cmp_o_f32_e32 vcc, v26, v21
	v_cndmask_b32_e32 v26, v46, v27, vcc
	v_bfi_b32 v27, s59, v26, v21
                                        ; implicit-def: $vgpr21
                                        ; implicit-def: $vgpr26
.LBB69_398:                             ;   in Loop: Header=BB69_217 Depth=1
	s_andn2_saveexec_b64 s[40:41], s[40:41]
	s_cbranch_execz .LBB69_400
; %bb.399:                              ;   in Loop: Header=BB69_217 Depth=1
	v_max_f32_e32 v27, v21, v21
	v_max_f32_e64 v54, |v26|, |v26|
	v_min_f32_e32 v55, v54, v27
	v_max_f32_e32 v27, v54, v27
	v_frexp_mant_f32_e32 v54, v27
	v_rcp_f32_e32 v54, v54
	v_frexp_exp_i32_f32_e32 v27, v27
	v_frexp_exp_i32_f32_e32 v56, v55
	v_frexp_mant_f32_e32 v55, v55
	v_mul_f32_e32 v54, v55, v54
	v_sub_u32_e32 v27, v56, v27
	v_ldexp_f32 v27, v54, v27
	v_mul_f32_e32 v54, v27, v27
	v_mov_b32_e32 v55, 0xbc7a590c
	v_fmac_f32_e32 v55, 0x3b2d2a58, v54
	v_fma_f32 v55, v54, v55, v39
	v_fma_f32 v55, v54, v55, v40
	;; [unrolled: 1-line block ×6, first 2 shown]
	v_mul_f32_e32 v54, v54, v55
	v_fmac_f32_e32 v27, v27, v54
	v_sub_f32_e32 v54, 0x3fc90fdb, v27
	v_cmp_gt_f32_e64 vcc, v21, |v26|
	v_cndmask_b32_e32 v27, v27, v54, vcc
	v_sub_f32_e32 v54, 0x40490fdb, v27
	v_cmp_gt_f32_e32 vcc, 0, v26
	v_cmp_gt_i32_e64 s[12:13], 0, v26
	v_cndmask_b32_e32 v27, v27, v54, vcc
	v_cndmask_b32_e64 v54, 0, v50, s[12:13]
	v_cmp_eq_f32_e64 s[12:13], 0, v21
	v_cndmask_b32_e64 v27, v27, v54, s[12:13]
	v_cndmask_b32_e32 v54, v51, v52, vcc
	v_cmp_class_f32_e64 s[12:13], v26, s58
	v_cmp_eq_f32_e32 vcc, s54, v21
	s_and_b64 vcc, vcc, s[12:13]
	v_cndmask_b32_e32 v21, v27, v54, vcc
	v_cmp_o_f32_e32 vcc, v26, v26
	v_cndmask_b32_e64 v27, v46, |v21|, vcc
.LBB69_400:                             ;   in Loop: Header=BB69_217 Depth=1
	s_or_b64 exec, exec, s[40:41]
                                        ; implicit-def: $vgpr21
	s_andn2_saveexec_b64 s[12:13], s[42:43]
	s_cbranch_execnz .LBB69_402
	s_branch .LBB69_403
.LBB69_401:                             ;   in Loop: Header=BB69_217 Depth=1
	s_andn2_saveexec_b64 s[12:13], s[42:43]
	s_cbranch_execz .LBB69_403
.LBB69_402:                             ;   in Loop: Header=BB69_217 Depth=1
	v_min_f32_e32 v26, 2.0, v21
	v_max_f32_e32 v21, 2.0, v21
	v_frexp_mant_f32_e32 v27, v21
	v_rcp_f32_e32 v27, v27
	v_frexp_exp_i32_f32_e32 v21, v21
	v_frexp_exp_i32_f32_e32 v54, v26
	v_frexp_mant_f32_e32 v26, v26
	v_mul_f32_e32 v26, v26, v27
	v_sub_u32_e32 v21, v54, v21
	v_ldexp_f32 v21, v26, v21
	v_mul_f32_e32 v26, v21, v21
	v_mov_b32_e32 v27, 0xbc7a590c
	v_fmac_f32_e32 v27, 0x3b2d2a58, v26
	v_fma_f32 v27, v26, v27, v39
	v_fma_f32 v27, v26, v27, v40
	v_fma_f32 v27, v26, v27, v41
	v_fma_f32 v27, v26, v27, v42
	v_fma_f32 v27, v26, v27, v43
	v_fma_f32 v27, v26, v27, v44
	v_mul_f32_e32 v26, v26, v27
	v_fmac_f32_e32 v21, v21, v26
	v_sub_f32_e32 v26, 0x3fc90fdb, v21
	v_cmp_lt_f32_e64 vcc, |v22|, 2.0
	v_cndmask_b32_e32 v21, v21, v26, vcc
	v_sub_f32_e32 v26, 0x40490fdb, v21
	v_cmp_lg_f32_e32 vcc, 0, v22
	v_cndmask_b32_e32 v21, v21, v26, vcc
	v_and_b32_e32 v27, 0x7fffffff, v21
.LBB69_403:                             ;   in Loop: Header=BB69_217 Depth=1
	s_or_b64 exec, exec, s[12:13]
	v_mul_f32_e32 v21, 0.5, v27
	v_bfi_b32 v27, s59, v19, v23
	v_bfi_b32 v26, s59, v21, v22
                                        ; implicit-def: $vgpr23
.LBB69_404:                             ;   in Loop: Header=BB69_217 Depth=1
	s_andn2_saveexec_b64 s[12:13], s[38:39]
	s_cbranch_execz .LBB69_406
; %bb.405:                              ;   in Loop: Header=BB69_217 Depth=1
	v_pk_mov_b32 v[26:27], s[22:23], s[22:23] op_sel:[0,1]
	flat_store_dword v[26:27], v45
	s_waitcnt vmcnt(0)
	flat_load_dword v19, v[26:27] glc
	s_waitcnt vmcnt(0)
	v_pk_mov_b32 v[26:27], s[24:25], s[24:25] op_sel:[0,1]
	s_waitcnt lgkmcnt(0)
	v_add_f32_e32 v19, 1.0, v19
	flat_store_dword v[26:27], v19
	s_waitcnt vmcnt(0)
	flat_load_dword v19, v[26:27] glc
	s_waitcnt vmcnt(0)
	v_mov_b32_e32 v27, v23
	v_mov_b32_e32 v26, v22
.LBB69_406:                             ;   in Loop: Header=BB69_217 Depth=1
	s_or_b64 exec, exec, s[12:13]
                                        ; implicit-def: $vgpr22
.LBB69_407:                             ;   in Loop: Header=BB69_217 Depth=1
	s_andn2_saveexec_b64 s[12:13], s[36:37]
	s_cbranch_execz .LBB69_421
; %bb.408:                              ;   in Loop: Header=BB69_217 Depth=1
	v_and_b32_e32 v21, 0x7f800000, v22
	s_waitcnt lgkmcnt(0)
	v_and_b32_e32 v19, 0x7f800000, v23
	v_sub_u32_e32 v26, v19, v21
	v_cmp_gt_i32_e32 vcc, s60, v26
	v_cmp_neq_f32_e64 s[36:37], |v23|, s54
	s_and_b64 s[36:37], s[36:37], vcc
                                        ; implicit-def: $vgpr27
	s_and_saveexec_b64 s[38:39], s[36:37]
	s_xor_b64 s[36:37], exec, s[38:39]
	s_cbranch_execz .LBB69_418
; %bb.409:                              ;   in Loop: Header=BB69_217 Depth=1
	v_sub_u32_e32 v21, v21, v19
	v_cmp_gt_i32_e32 vcc, s60, v21
                                        ; implicit-def: $vgpr27
	s_and_saveexec_b64 s[38:39], vcc
	s_xor_b64 s[38:39], exec, s[38:39]
	s_cbranch_execz .LBB69_415
; %bb.410:                              ;   in Loop: Header=BB69_217 Depth=1
	v_cmp_lt_u32_e32 vcc, s61, v19
                                        ; implicit-def: $vgpr27
	s_and_saveexec_b64 s[40:41], vcc
	s_xor_b64 s[40:41], exec, s[40:41]
	s_cbranch_execz .LBB69_412
; %bb.411:                              ;   in Loop: Header=BB69_217 Depth=1
	v_sub_u32_e32 v19, 0x7f800000, v19
	v_mul_f32_e32 v21, v23, v19
	v_mul_f32_e32 v23, v22, v19
	;; [unrolled: 1-line block ×3, first 2 shown]
	v_fmac_f32_e32 v23, v21, v21
	v_div_scale_f32 v26, s[42:43], v23, v23, v21
	v_rcp_f32_e32 v27, v26
	v_fma_f32 v54, -v26, v27, 1.0
	v_fmac_f32_e32 v27, v54, v27
	v_div_scale_f32 v54, vcc, v21, v23, v21
	v_mul_f32_e32 v55, v54, v27
	v_fma_f32 v56, -v26, v55, v54
	v_fmac_f32_e32 v55, v56, v27
	v_fma_f32 v26, -v26, v55, v54
	v_div_fmas_f32 v26, v26, v27, v55
	v_div_fixup_f32 v21, v26, v23, v21
	v_mul_f32_e32 v27, v21, v19
.LBB69_412:                             ;   in Loop: Header=BB69_217 Depth=1
	s_andn2_saveexec_b64 s[40:41], s[40:41]
	s_cbranch_execz .LBB69_414
; %bb.413:                              ;   in Loop: Header=BB69_217 Depth=1
	v_pk_mul_f32 v[26:27], v[22:23], v[22:23]
	v_add_f32_e32 v19, v27, v26
	v_div_scale_f32 v21, s[42:43], v19, v19, v23
	v_rcp_f32_e32 v26, v21
	v_div_scale_f32 v27, vcc, v23, v19, v23
	v_fma_f32 v54, -v21, v26, 1.0
	v_fmac_f32_e32 v26, v54, v26
	v_mul_f32_e32 v54, v27, v26
	v_fma_f32 v55, -v21, v54, v27
	v_fmac_f32_e32 v54, v55, v26
	v_fma_f32 v21, -v21, v54, v27
	v_div_fmas_f32 v21, v21, v26, v54
	v_div_fixup_f32 v27, v21, v19, v23
.LBB69_414:                             ;   in Loop: Header=BB69_217 Depth=1
	s_or_b64 exec, exec, s[40:41]
.LBB69_415:                             ;   in Loop: Header=BB69_217 Depth=1
	s_andn2_saveexec_b64 s[38:39], s[38:39]
	s_cbranch_execz .LBB69_417
; %bb.416:                              ;   in Loop: Header=BB69_217 Depth=1
	v_div_scale_f32 v19, s[40:41], v22, v22, v23
	v_rcp_f32_e32 v21, v19
	v_div_scale_f32 v26, vcc, v23, v22, v23
	v_fma_f32 v27, -v19, v21, 1.0
	v_fmac_f32_e32 v21, v27, v21
	v_mul_f32_e32 v27, v26, v21
	v_fma_f32 v54, -v19, v27, v26
	v_fmac_f32_e32 v27, v54, v21
	v_fma_f32 v19, -v19, v27, v26
	v_div_fmas_f32 v19, v19, v21, v27
	v_div_fixup_f32 v19, v19, v22, v23
	v_div_scale_f32 v21, s[40:41], v22, v22, v19
	v_rcp_f32_e32 v23, v21
	v_fma_f32 v26, -v21, v23, 1.0
	v_fmac_f32_e32 v23, v26, v23
	v_div_scale_f32 v26, vcc, v19, v22, v19
	v_mul_f32_e32 v27, v26, v23
	v_fma_f32 v54, -v21, v27, v26
	v_fmac_f32_e32 v27, v54, v23
	v_fma_f32 v21, -v21, v27, v26
	v_div_fmas_f32 v21, v21, v23, v27
	v_div_fixup_f32 v27, v21, v22, v19
.LBB69_417:                             ;   in Loop: Header=BB69_217 Depth=1
	s_or_b64 exec, exec, s[38:39]
.LBB69_418:                             ;   in Loop: Header=BB69_217 Depth=1
	s_andn2_saveexec_b64 s[36:37], s[36:37]
; %bb.419:                              ;   in Loop: Header=BB69_217 Depth=1
	v_div_scale_f32 v19, s[38:39], v23, v23, 1.0
	v_rcp_f32_e32 v21, v19
	v_div_scale_f32 v26, vcc, 1.0, v23, 1.0
	v_fma_f32 v27, -v19, v21, 1.0
	v_fmac_f32_e32 v21, v27, v21
	v_mul_f32_e32 v27, v26, v21
	v_fma_f32 v54, -v19, v27, v26
	v_fmac_f32_e32 v27, v54, v21
	v_fma_f32 v19, -v19, v27, v26
	v_div_fmas_f32 v19, v19, v21, v27
	v_div_fixup_f32 v27, v19, v23, 1.0
; %bb.420:                              ;   in Loop: Header=BB69_217 Depth=1
	s_or_b64 exec, exec, s[36:37]
	v_pk_mov_b32 v[54:55], s[20:21], s[20:21] op_sel:[0,1]
	flat_load_dword v19, v[54:55] glc
	s_waitcnt vmcnt(0) lgkmcnt(0)
	v_add_f32_e32 v19, 0x3fc90fdb, v19
	v_bfi_b32 v26, s59, v19, v22
.LBB69_421:                             ;   in Loop: Header=BB69_217 Depth=1
	s_or_b64 exec, exec, s[12:13]
                                        ; implicit-def: $vgpr23
.LBB69_422:                             ;   in Loop: Header=BB69_217 Depth=1
	s_andn2_saveexec_b64 s[12:13], s[34:35]
	s_cbranch_execz .LBB69_432
; %bb.423:                              ;   in Loop: Header=BB69_217 Depth=1
	v_cmp_neq_f32_e64 s[34:35], |v23|, s54
                                        ; implicit-def: $vgpr27
	s_and_saveexec_b64 s[36:37], s[34:35]
	s_xor_b64 s[34:35], exec, s[36:37]
	s_cbranch_execz .LBB69_429
; %bb.424:                              ;   in Loop: Header=BB69_217 Depth=1
	v_cmp_neq_f32_e64 s[36:37], |v22|, s54
                                        ; implicit-def: $vgpr27
	s_and_saveexec_b64 s[38:39], s[36:37]
	s_xor_b64 s[36:37], exec, s[38:39]
	s_cbranch_execz .LBB69_426
; %bb.425:                              ;   in Loop: Header=BB69_217 Depth=1
	s_waitcnt lgkmcnt(0)
	v_add_f32_e32 v19, 0, v22
	v_add_f32_e32 v27, v23, v19
                                        ; implicit-def: $vgpr22_vgpr23
.LBB69_426:                             ;   in Loop: Header=BB69_217 Depth=1
	s_or_saveexec_b64 s[36:37], s[36:37]
	v_mov_b32_e32 v26, v27
	s_xor_b64 exec, exec, s[36:37]
	s_cbranch_execz .LBB69_428
; %bb.427:                              ;   in Loop: Header=BB69_217 Depth=1
	v_pk_mov_b32 v[26:27], s[20:21], s[20:21] op_sel:[0,1]
	s_waitcnt lgkmcnt(0)
	flat_load_dword v19, v[26:27] glc
	s_waitcnt vmcnt(0)
	v_bfi_b32 v27, s59, 0, v23
	s_waitcnt lgkmcnt(0)
	v_add_f32_e32 v19, 0x3fc90fdb, v19
	v_bfi_b32 v26, s59, v19, v22
.LBB69_428:                             ;   in Loop: Header=BB69_217 Depth=1
	s_or_b64 exec, exec, s[36:37]
                                        ; implicit-def: $vgpr23
.LBB69_429:                             ;   in Loop: Header=BB69_217 Depth=1
	s_andn2_saveexec_b64 s[34:35], s[34:35]
; %bb.430:                              ;   in Loop: Header=BB69_217 Depth=1
	v_bfi_b32 v27, s59, 0, v23
	v_add_f32_e32 v26, v22, v22
; %bb.431:                              ;   in Loop: Header=BB69_217 Depth=1
	s_or_b64 exec, exec, s[34:35]
.LBB69_432:                             ;   in Loop: Header=BB69_217 Depth=1
	s_or_b64 exec, exec, s[12:13]
                                        ; implicit-def: $vgpr22
.LBB69_433:                             ;   in Loop: Header=BB69_217 Depth=1
	s_andn2_saveexec_b64 s[12:13], s[30:31]
	s_cbranch_execz .LBB69_435
; %bb.434:                              ;   in Loop: Header=BB69_217 Depth=1
	s_waitcnt lgkmcnt(0)
	v_rcp_f32_e64 v19, |v22|
	v_cmp_gt_f32_e64 vcc, |v22|, 1.0
	v_mov_b32_e32 v21, 0xbc7a590c
	v_mov_b32_e32 v27, v23
	v_cndmask_b32_e64 v19, |v22|, v19, vcc
	v_mul_f32_e32 v26, v19, v19
	v_fmac_f32_e32 v21, 0x3b2d2a58, v26
	v_fma_f32 v21, v26, v21, v39
	v_fma_f32 v21, v26, v21, v40
	;; [unrolled: 1-line block ×6, first 2 shown]
	v_mul_f32_e32 v21, v26, v21
	v_fmac_f32_e32 v19, v19, v21
	v_sub_f32_e32 v21, 0x3fc90fdb, v19
	v_cndmask_b32_e32 v19, v19, v21, vcc
	v_bfi_b32 v26, s59, v19, v22
.LBB69_435:                             ;   in Loop: Header=BB69_217 Depth=1
	s_or_b64 exec, exec, s[12:13]
                                        ; implicit-def: $vgpr23
	s_andn2_saveexec_b64 s[12:13], s[28:29]
	s_cbranch_execnz .LBB69_389
.LBB69_436:                             ;   in Loop: Header=BB69_217 Depth=1
	s_or_b64 exec, exec, s[12:13]
	s_and_saveexec_b64 s[12:13], s[4:5]
	s_xor_b64 s[4:5], exec, s[12:13]
	s_cbranch_execz .LBB69_390
.LBB69_437:                             ;   in Loop: Header=BB69_217 Depth=1
	s_waitcnt lgkmcnt(0)
	v_mov_b32_e32 v19, s15
	v_add_co_u32_e32 v22, vcc, s14, v4
	v_addc_co_u32_e32 v23, vcc, v3, v19, vcc
	global_store_dwordx2 v[22:23], v[24:25], off
	s_or_b64 exec, exec, s[4:5]
	s_and_saveexec_b64 s[4:5], s[6:7]
	s_cbranch_execnz .LBB69_391
.LBB69_438:                             ;   in Loop: Header=BB69_217 Depth=1
	s_or_b64 exec, exec, s[4:5]
	s_and_saveexec_b64 s[4:5], s[8:9]
	s_cbranch_execz .LBB69_392
.LBB69_439:                             ;   in Loop: Header=BB69_217 Depth=1
	s_waitcnt lgkmcnt(0)
	v_mov_b32_e32 v19, s15
	v_add_co_u32_e32 v22, vcc, s14, v12
	v_addc_co_u32_e32 v23, vcc, v11, v19, vcc
	global_store_dwordx2 v[22:23], v[30:31], off
	s_or_b64 exec, exec, s[4:5]
	s_and_saveexec_b64 s[4:5], s[10:11]
	s_cbranch_execz .LBB69_216
.LBB69_440:                             ;   in Loop: Header=BB69_217 Depth=1
	s_waitcnt lgkmcnt(0)
	v_mov_b32_e32 v19, s15
	v_add_co_u32_e32 v22, vcc, s14, v8
	v_addc_co_u32_e32 v23, vcc, v7, v19, vcc
	global_store_dwordx2 v[22:23], v[26:27], off
	s_branch .LBB69_216
.LBB69_441:
	s_endpgm
	.section	.rodata,"a",@progbits
	.p2align	6, 0x0
	.amdhsa_kernel _ZN2at6native12_GLOBAL__N_125multi_tensor_apply_kernelINS1_18TensorListMetadataILi2EEENS1_14UnaryOpFunctorIN3c107complexIfEELi2ELi1ELi1EEEJNS0_4AtanIS8_EEEEEvT_T0_DpT1_
		.amdhsa_group_segment_fixed_size 0
		.amdhsa_private_segment_fixed_size 16
		.amdhsa_kernarg_size 3408
		.amdhsa_user_sgpr_count 8
		.amdhsa_user_sgpr_private_segment_buffer 1
		.amdhsa_user_sgpr_dispatch_ptr 0
		.amdhsa_user_sgpr_queue_ptr 0
		.amdhsa_user_sgpr_kernarg_segment_ptr 1
		.amdhsa_user_sgpr_dispatch_id 0
		.amdhsa_user_sgpr_flat_scratch_init 1
		.amdhsa_user_sgpr_kernarg_preload_length 0
		.amdhsa_user_sgpr_kernarg_preload_offset 0
		.amdhsa_user_sgpr_private_segment_size 0
		.amdhsa_uses_dynamic_stack 0
		.amdhsa_system_sgpr_private_segment_wavefront_offset 1
		.amdhsa_system_sgpr_workgroup_id_x 1
		.amdhsa_system_sgpr_workgroup_id_y 0
		.amdhsa_system_sgpr_workgroup_id_z 0
		.amdhsa_system_sgpr_workgroup_info 0
		.amdhsa_system_vgpr_workitem_id 0
		.amdhsa_next_free_vgpr 70
		.amdhsa_next_free_sgpr 65
		.amdhsa_accum_offset 72
		.amdhsa_reserve_vcc 1
		.amdhsa_reserve_flat_scratch 1
		.amdhsa_float_round_mode_32 0
		.amdhsa_float_round_mode_16_64 0
		.amdhsa_float_denorm_mode_32 3
		.amdhsa_float_denorm_mode_16_64 3
		.amdhsa_dx10_clamp 1
		.amdhsa_ieee_mode 1
		.amdhsa_fp16_overflow 0
		.amdhsa_tg_split 0
		.amdhsa_exception_fp_ieee_invalid_op 0
		.amdhsa_exception_fp_denorm_src 0
		.amdhsa_exception_fp_ieee_div_zero 0
		.amdhsa_exception_fp_ieee_overflow 0
		.amdhsa_exception_fp_ieee_underflow 0
		.amdhsa_exception_fp_ieee_inexact 0
		.amdhsa_exception_int_div_zero 0
	.end_amdhsa_kernel
	.section	.text._ZN2at6native12_GLOBAL__N_125multi_tensor_apply_kernelINS1_18TensorListMetadataILi2EEENS1_14UnaryOpFunctorIN3c107complexIfEELi2ELi1ELi1EEEJNS0_4AtanIS8_EEEEEvT_T0_DpT1_,"axG",@progbits,_ZN2at6native12_GLOBAL__N_125multi_tensor_apply_kernelINS1_18TensorListMetadataILi2EEENS1_14UnaryOpFunctorIN3c107complexIfEELi2ELi1ELi1EEEJNS0_4AtanIS8_EEEEEvT_T0_DpT1_,comdat
.Lfunc_end69:
	.size	_ZN2at6native12_GLOBAL__N_125multi_tensor_apply_kernelINS1_18TensorListMetadataILi2EEENS1_14UnaryOpFunctorIN3c107complexIfEELi2ELi1ELi1EEEJNS0_4AtanIS8_EEEEEvT_T0_DpT1_, .Lfunc_end69-_ZN2at6native12_GLOBAL__N_125multi_tensor_apply_kernelINS1_18TensorListMetadataILi2EEENS1_14UnaryOpFunctorIN3c107complexIfEELi2ELi1ELi1EEEJNS0_4AtanIS8_EEEEEvT_T0_DpT1_
                                        ; -- End function
	.section	.AMDGPU.csdata,"",@progbits
; Kernel info:
; codeLenInByte = 29552
; NumSgprs: 71
; NumVgprs: 70
; NumAgprs: 0
; TotalNumVgprs: 70
; ScratchSize: 16
; MemoryBound: 0
; FloatMode: 240
; IeeeMode: 1
; LDSByteSize: 0 bytes/workgroup (compile time only)
; SGPRBlocks: 8
; VGPRBlocks: 8
; NumSGPRsForWavesPerEU: 71
; NumVGPRsForWavesPerEU: 70
; AccumOffset: 72
; Occupancy: 7
; WaveLimiterHint : 0
; COMPUTE_PGM_RSRC2:SCRATCH_EN: 1
; COMPUTE_PGM_RSRC2:USER_SGPR: 8
; COMPUTE_PGM_RSRC2:TRAP_HANDLER: 0
; COMPUTE_PGM_RSRC2:TGID_X_EN: 1
; COMPUTE_PGM_RSRC2:TGID_Y_EN: 0
; COMPUTE_PGM_RSRC2:TGID_Z_EN: 0
; COMPUTE_PGM_RSRC2:TIDIG_COMP_CNT: 0
; COMPUTE_PGM_RSRC3_GFX90A:ACCUM_OFFSET: 17
; COMPUTE_PGM_RSRC3_GFX90A:TG_SPLIT: 0
	.section	.text._ZN2at6native12_GLOBAL__N_125multi_tensor_apply_kernelINS1_18TensorListMetadataILi2EEENS1_14UnaryOpFunctorIN3c104HalfELi2ELi1ELi1EEEJNS0_4AtanIfEEEEEvT_T0_DpT1_,"axG",@progbits,_ZN2at6native12_GLOBAL__N_125multi_tensor_apply_kernelINS1_18TensorListMetadataILi2EEENS1_14UnaryOpFunctorIN3c104HalfELi2ELi1ELi1EEEJNS0_4AtanIfEEEEEvT_T0_DpT1_,comdat
	.globl	_ZN2at6native12_GLOBAL__N_125multi_tensor_apply_kernelINS1_18TensorListMetadataILi2EEENS1_14UnaryOpFunctorIN3c104HalfELi2ELi1ELi1EEEJNS0_4AtanIfEEEEEvT_T0_DpT1_ ; -- Begin function _ZN2at6native12_GLOBAL__N_125multi_tensor_apply_kernelINS1_18TensorListMetadataILi2EEENS1_14UnaryOpFunctorIN3c104HalfELi2ELi1ELi1EEEJNS0_4AtanIfEEEEEvT_T0_DpT1_
	.p2align	8
	.type	_ZN2at6native12_GLOBAL__N_125multi_tensor_apply_kernelINS1_18TensorListMetadataILi2EEENS1_14UnaryOpFunctorIN3c104HalfELi2ELi1ELi1EEEJNS0_4AtanIfEEEEEvT_T0_DpT1_,@function
_ZN2at6native12_GLOBAL__N_125multi_tensor_apply_kernelINS1_18TensorListMetadataILi2EEENS1_14UnaryOpFunctorIN3c104HalfELi2ELi1ELi1EEEJNS0_4AtanIfEEEEEvT_T0_DpT1_: ; @_ZN2at6native12_GLOBAL__N_125multi_tensor_apply_kernelINS1_18TensorListMetadataILi2EEENS1_14UnaryOpFunctorIN3c104HalfELi2ELi1ELi1EEEJNS0_4AtanIfEEEEEvT_T0_DpT1_
; %bb.0:
	v_mov_b32_e32 v1, s6
	global_load_ubyte v1, v1, s[4:5] offset:1536
	s_add_u32 s0, s4, s6
	s_mul_hi_u32 s2, s6, 3
	s_mul_i32 s6, s6, 3
	s_addc_u32 s7, s5, 0
	s_add_u32 s6, s0, s6
	s_addc_u32 s7, s7, s2
	s_mov_b32 s1, 0
	s_mov_b32 s3, s1
	s_waitcnt vmcnt(0)
	v_readfirstlane_b32 s0, v1
	s_lshl_b32 s0, s0, 3
	s_load_dword s10, s[6:7], 0x740
	s_load_dwordx2 s[16:17], s[4:5], s0 offset:0x0
	s_load_dwordx2 s[12:13], s[4:5], s0 offset:0x400
	;; [unrolled: 1-line block ×3, first 2 shown]
	s_mov_b32 s7, s1
	s_waitcnt lgkmcnt(0)
	s_ashr_i32 s11, s10, 31
	s_and_b32 s0, s16, 7
	s_and_b32 s6, s12, 3
	;; [unrolled: 1-line block ×3, first 2 shown]
	s_or_b64 s[6:7], s[0:1], s[6:7]
	s_lshl_b64 s[8:9], s[10:11], 17
	s_or_b64 s[2:3], s[2:3], s[6:7]
	s_lshl_b64 s[6:7], s[10:11], 16
	s_sub_u32 s10, s12, s6
	s_subb_u32 s11, s13, s7
	s_cmp_eq_u64 s[2:3], 0
	s_mov_b64 s[2:3], -1
	s_cbranch_scc0 .LBB70_5
; %bb.1:
	v_mov_b32_e32 v3, 0
	v_lshlrev_b32_e32 v2, 2, v0
	v_cmp_gt_i64_e32 vcc, s[10:11], v[2:3]
	s_and_saveexec_b64 s[12:13], vcc
	s_cbranch_execz .LBB70_4
; %bb.2:
	s_load_dword s0, s[4:5], 0xc5c
	v_lshlrev_b32_e32 v1, 3, v0
	v_mov_b32_e32 v2, s9
	v_add_co_u32_e32 v4, vcc, s8, v1
	s_waitcnt lgkmcnt(0)
	s_and_b32 s0, s0, 0xffff
	v_addc_co_u32_e32 v1, vcc, 0, v2, vcc
	s_lshl_b32 s21, s0, 3
	v_add_lshl_u32 v2, v0, s0, 2
	s_lshl_b32 s23, s0, 2
	s_mov_b32 s0, 0xbc7a590c
	s_mov_b64 s[18:19], 0
	v_mov_b32_e32 v5, s17
	v_mov_b32_e32 v8, s15
	s_mov_b32 s20, 0x3b2d2a58
	v_pk_mov_b32 v[6:7], s[0:1], s[0:1] op_sel:[0,1]
	s_mov_b32 s22, 0x3d29fb3f
	s_mov_b32 s24, 0xbd97d4d7
	;; [unrolled: 1-line block ×6, first 2 shown]
	s_movk_i32 s25, 0x7fff
	s_mov_b64 s[36:37], 0xffff
	v_mov_b32_e32 v9, s1
	v_mov_b32_e32 v10, s1
.LBB70_3:                               ; =>This Inner Loop Header: Depth=1
	v_add_co_u32_e32 v12, vcc, s16, v4
	v_addc_co_u32_e32 v13, vcc, v5, v1, vcc
	global_load_dwordx2 v[12:13], v[12:13], off
	v_add_co_u32_e32 v14, vcc, s14, v4
	v_addc_co_u32_e32 v15, vcc, v8, v1, vcc
	v_add_co_u32_e64 v4, s[2:3], s21, v4
	v_cmp_le_i64_e32 vcc, s[10:11], v[2:3]
	v_cmp_lt_u64_e64 s[0:1], s[36:37], v[2:3]
	v_addc_co_u32_e64 v1, s[2:3], v1, v9, s[2:3]
	v_add_co_u32_e64 v2, s[2:3], s23, v2
	s_or_b64 s[0:1], vcc, s[0:1]
	v_addc_co_u32_e64 v3, s[2:3], v3, v10, s[2:3]
	s_and_b64 s[0:1], exec, s[0:1]
	s_or_b64 s[18:19], s[0:1], s[18:19]
	s_waitcnt vmcnt(0)
	v_lshrrev_b32_e32 v11, 16, v13
	v_lshrrev_b32_e32 v28, 16, v12
	v_cvt_f32_f16_e32 v16, v13
	v_cvt_f32_f16_e32 v17, v12
	;; [unrolled: 1-line block ×4, first 2 shown]
	v_rcp_f32_e64 v21, |v16|
	v_rcp_f32_e64 v18, |v17|
	;; [unrolled: 1-line block ×4, first 2 shown]
	v_cmp_gt_f32_e64 vcc, |v17|, 1.0
	v_cmp_gt_f32_e64 s[0:1], |v16|, 1.0
	v_cmp_gt_f32_e64 s[2:3], |v20|, 1.0
	;; [unrolled: 1-line block ×3, first 2 shown]
	v_cndmask_b32_e64 v16, |v16|, v21, s[0:1]
	v_cndmask_b32_e64 v18, |v17|, v18, vcc
	v_cndmask_b32_e64 v17, |v19|, v23, s[6:7]
	v_cndmask_b32_e64 v19, |v20|, v22, s[2:3]
	v_pk_mul_f32 v[20:21], v[18:19], v[18:19]
	v_pk_mul_f32 v[22:23], v[16:17], v[16:17]
	v_pk_fma_f32 v[24:25], v[22:23], s[20:21], v[6:7] op_sel_hi:[1,0,0]
	v_pk_fma_f32 v[26:27], v[20:21], s[20:21], v[6:7] op_sel_hi:[1,0,0]
	;; [unrolled: 1-line block ×14, first 2 shown]
	v_pk_mul_f32 v[20:21], v[20:21], v[26:27]
	v_pk_mul_f32 v[22:23], v[22:23], v[24:25]
	v_pk_fma_f32 v[16:17], v[16:17], v[22:23], v[16:17]
	v_pk_fma_f32 v[18:19], v[18:19], v[20:21], v[18:19]
	v_sub_f32_e32 v20, 0x3fc90fdb, v18
	v_sub_f32_e32 v21, 0x3fc90fdb, v19
	;; [unrolled: 1-line block ×4, first 2 shown]
	v_cndmask_b32_e64 v17, v17, v23, s[6:7]
	v_cndmask_b32_e64 v16, v16, v22, s[0:1]
	;; [unrolled: 1-line block ×3, first 2 shown]
	v_cndmask_b32_e32 v18, v18, v20, vcc
	v_cvt_f16_f32_e32 v17, v17
	v_cvt_f16_f32_e32 v16, v16
	;; [unrolled: 1-line block ×4, first 2 shown]
	v_bfi_b32 v11, s25, v17, v11
	v_bfi_b32 v13, s25, v16, v13
	;; [unrolled: 1-line block ×4, first 2 shown]
	v_pack_b32_f16 v13, v13, v11
	v_pack_b32_f16 v12, v12, v16
	global_store_dwordx2 v[14:15], v[12:13], off
	s_andn2_b64 exec, exec, s[18:19]
	s_cbranch_execnz .LBB70_3
.LBB70_4:
	s_or_b64 exec, exec, s[12:13]
	s_mov_b64 s[2:3], 0
.LBB70_5:
	s_andn2_b64 vcc, exec, s[2:3]
	s_cbranch_vccnz .LBB70_25
; %bb.6:
	v_cmp_lt_i64_e64 s[0:1], s[10:11], 1
	s_and_b64 vcc, exec, s[0:1]
	s_cbranch_vccnz .LBB70_25
; %bb.7:
	s_load_dword s0, s[4:5], 0xc5c
	v_mov_b32_e32 v2, 0x10000
	v_mov_b32_e32 v3, 0
	v_cmp_lt_u64_e32 vcc, s[10:11], v[2:3]
	v_lshlrev_b32_e32 v10, 1, v0
	s_waitcnt lgkmcnt(0)
	s_and_b32 s2, s0, 0xffff
	s_and_b64 s[0:1], vcc, exec
	v_mov_b32_e32 v13, s17
	v_add_co_u32_e32 v2, vcc, s16, v10
	v_addc_co_u32_e32 v1, vcc, 0, v13, vcc
	v_mov_b32_e32 v11, 0
	v_mov_b32_e32 v15, s15
	v_add_co_u32_e32 v4, vcc, s14, v10
	v_addc_co_u32_e32 v3, vcc, 0, v15, vcc
	v_mad_u64_u32 v[8:9], s[0:1], s2, 6, v[10:11]
	v_add_co_u32_e32 v6, vcc, s16, v8
	v_addc_co_u32_e32 v5, vcc, v13, v9, vcc
	v_add_co_u32_e32 v8, vcc, s14, v8
	s_mul_i32 s4, s2, 3
	v_addc_co_u32_e32 v7, vcc, v15, v9, vcc
	s_cselect_b32 s13, s11, 0
	s_cselect_b32 s12, s10, 0x10000
	s_lshl_b32 s19, s2, 2
	v_add_co_u32_e32 v17, vcc, s4, v0
	v_addc_co_u32_e64 v18, s[0:1], 0, 0, vcc
	v_add_co_u32_e32 v11, vcc, s19, v10
	v_addc_co_u32_e64 v14, s[0:1], 0, 0, vcc
	v_add_co_u32_e32 v10, vcc, s16, v11
	v_addc_co_u32_e32 v9, vcc, v13, v14, vcc
	v_add_co_u32_e32 v12, vcc, s14, v11
	s_lshl_b32 s3, s2, 1
	v_addc_co_u32_e32 v11, vcc, v15, v14, vcc
	v_add_co_u32_e32 v19, vcc, s3, v0
	v_addc_co_u32_e64 v20, s[0:1], 0, 0, vcc
	v_add_co_u32_e32 v21, vcc, s2, v0
	v_lshlrev_b32_e32 v16, 1, v21
	v_addc_co_u32_e64 v22, s[0:1], 0, 0, vcc
	v_add_co_u32_e32 v14, vcc, s16, v16
	v_addc_co_u32_e32 v13, vcc, 0, v13, vcc
	v_add_co_u32_e32 v16, vcc, s14, v16
	s_mov_b32 s18, 0
	s_lshl_b32 s20, s2, 3
	v_addc_co_u32_e32 v15, vcc, 0, v15, vcc
	s_mov_b64 s[14:15], 0
	v_mov_b32_e32 v23, 0x3d29fb3f
	v_mov_b32_e32 v24, 0xbd97d4d7
	;; [unrolled: 1-line block ×6, first 2 shown]
	s_movk_i32 s21, 0x7fff
	s_branch .LBB70_9
.LBB70_8:                               ;   in Loop: Header=BB70_9 Depth=1
	s_or_b64 exec, exec, s[0:1]
	s_add_u32 s14, s14, s19
	s_addc_u32 s15, s15, 0
	s_waitcnt vmcnt(0)
	v_pk_mov_b32 v[30:31], s[10:11], s[10:11] op_sel:[0,1]
	v_cmp_ge_i64_e32 vcc, s[14:15], v[30:31]
	v_mov_b32_e32 v30, 0xffff
	v_mov_b32_e32 v31, 0
	v_cmp_gt_u64_e64 s[0:1], s[14:15], v[30:31]
	s_or_b64 s[0:1], vcc, s[0:1]
	v_mov_b32_e32 v29, s18
	v_add_co_u32_e32 v2, vcc, s20, v2
	v_addc_co_u32_e32 v1, vcc, v1, v29, vcc
	v_add_co_u32_e32 v4, vcc, s20, v4
	v_addc_co_u32_e32 v3, vcc, v3, v29, vcc
	;; [unrolled: 2-line block ×8, first 2 shown]
	s_and_b64 vcc, exec, s[0:1]
	s_cbranch_vccnz .LBB70_25
.LBB70_9:                               ; =>This Inner Loop Header: Depth=1
	v_mov_b32_e32 v29, s15
	v_add_co_u32_e32 v30, vcc, s14, v0
	v_addc_co_u32_e32 v31, vcc, 0, v29, vcc
	v_cmp_gt_u64_e64 s[4:5], s[12:13], v[30:31]
	v_mov_b32_e32 v32, 0
	s_and_saveexec_b64 s[0:1], s[4:5]
	s_cbranch_execz .LBB70_11
; %bb.10:                               ;   in Loop: Header=BB70_9 Depth=1
	v_mov_b32_e32 v29, s9
	v_add_co_u32_e32 v30, vcc, s8, v2
	v_addc_co_u32_e32 v31, vcc, v1, v29, vcc
	global_load_ushort v32, v[30:31], off
.LBB70_11:                              ;   in Loop: Header=BB70_9 Depth=1
	s_or_b64 exec, exec, s[0:1]
	v_mov_b32_e32 v29, s15
	v_add_co_u32_e32 v30, vcc, s14, v21
	v_addc_co_u32_e32 v31, vcc, v22, v29, vcc
	v_cmp_gt_u64_e64 s[2:3], s[12:13], v[30:31]
	v_mov_b32_e32 v31, 0
	s_and_saveexec_b64 s[0:1], s[2:3]
	s_cbranch_execz .LBB70_13
; %bb.12:                               ;   in Loop: Header=BB70_9 Depth=1
	v_mov_b32_e32 v29, s9
	v_add_co_u32_e32 v30, vcc, s8, v14
	v_addc_co_u32_e32 v31, vcc, v13, v29, vcc
	global_load_ushort v31, v[30:31], off
.LBB70_13:                              ;   in Loop: Header=BB70_9 Depth=1
	s_or_b64 exec, exec, s[0:1]
	v_mov_b32_e32 v29, s15
	v_add_co_u32_e32 v34, vcc, s14, v19
	v_addc_co_u32_e32 v35, vcc, v20, v29, vcc
	v_cmp_gt_u64_e64 s[0:1], s[12:13], v[34:35]
	v_mov_b32_e32 v29, 0
	v_mov_b32_e32 v30, 0
	s_and_saveexec_b64 s[6:7], s[0:1]
	s_cbranch_execz .LBB70_15
; %bb.14:                               ;   in Loop: Header=BB70_9 Depth=1
	v_mov_b32_e32 v30, s9
	v_add_co_u32_e32 v34, vcc, s8, v10
	v_addc_co_u32_e32 v35, vcc, v9, v30, vcc
	global_load_ushort v30, v[34:35], off
.LBB70_15:                              ;   in Loop: Header=BB70_9 Depth=1
	s_or_b64 exec, exec, s[6:7]
	v_mov_b32_e32 v33, s15
	v_add_co_u32_e32 v34, vcc, s14, v17
	v_addc_co_u32_e32 v35, vcc, v18, v33, vcc
	v_cmp_gt_u64_e32 vcc, s[12:13], v[34:35]
	s_and_saveexec_b64 s[16:17], vcc
	s_cbranch_execnz .LBB70_20
; %bb.16:                               ;   in Loop: Header=BB70_9 Depth=1
	s_or_b64 exec, exec, s[16:17]
	s_and_saveexec_b64 s[6:7], s[4:5]
	s_cbranch_execnz .LBB70_21
.LBB70_17:                              ;   in Loop: Header=BB70_9 Depth=1
	s_or_b64 exec, exec, s[6:7]
	s_and_saveexec_b64 s[4:5], s[2:3]
	s_cbranch_execnz .LBB70_22
.LBB70_18:                              ;   in Loop: Header=BB70_9 Depth=1
	s_or_b64 exec, exec, s[4:5]
	s_and_saveexec_b64 s[2:3], s[0:1]
	s_cbranch_execnz .LBB70_23
.LBB70_19:                              ;   in Loop: Header=BB70_9 Depth=1
	s_or_b64 exec, exec, s[2:3]
	s_and_saveexec_b64 s[0:1], vcc
	s_cbranch_execz .LBB70_8
	s_branch .LBB70_24
.LBB70_20:                              ;   in Loop: Header=BB70_9 Depth=1
	v_mov_b32_e32 v29, s9
	v_add_co_u32_e64 v34, s[6:7], s8, v6
	v_addc_co_u32_e64 v35, s[6:7], v5, v29, s[6:7]
	global_load_ushort v29, v[34:35], off
	s_or_b64 exec, exec, s[16:17]
	s_and_saveexec_b64 s[6:7], s[4:5]
	s_cbranch_execz .LBB70_17
.LBB70_21:                              ;   in Loop: Header=BB70_9 Depth=1
	s_waitcnt vmcnt(0)
	v_cvt_f32_f16_e32 v33, v32
	v_mov_b32_e32 v35, 0xbc7a590c
	v_rcp_f32_e64 v34, |v33|
	v_cmp_gt_f32_e64 s[4:5], |v33|, 1.0
	v_cndmask_b32_e64 v33, |v33|, v34, s[4:5]
	v_mul_f32_e32 v34, v33, v33
	v_fmac_f32_e32 v35, 0x3b2d2a58, v34
	v_fma_f32 v35, v34, v35, v23
	v_fma_f32 v35, v34, v35, v24
	;; [unrolled: 1-line block ×6, first 2 shown]
	v_mul_f32_e32 v34, v34, v35
	v_fmac_f32_e32 v33, v33, v34
	v_sub_f32_e32 v34, 0x3fc90fdb, v33
	v_cndmask_b32_e64 v33, v33, v34, s[4:5]
	v_cvt_f16_f32_e32 v33, v33
	v_mov_b32_e32 v34, s9
	v_bfi_b32 v35, s21, v33, v32
	v_add_co_u32_e64 v32, s[4:5], s8, v4
	v_addc_co_u32_e64 v33, s[4:5], v3, v34, s[4:5]
	global_store_short v[32:33], v35, off
	s_or_b64 exec, exec, s[6:7]
	s_and_saveexec_b64 s[4:5], s[2:3]
	s_cbranch_execz .LBB70_18
.LBB70_22:                              ;   in Loop: Header=BB70_9 Depth=1
	s_waitcnt vmcnt(0)
	v_cvt_f32_f16_e32 v32, v31
	v_mov_b32_e32 v34, 0xbc7a590c
	v_rcp_f32_e64 v33, |v32|
	v_cmp_gt_f32_e64 s[2:3], |v32|, 1.0
	v_cndmask_b32_e64 v32, |v32|, v33, s[2:3]
	v_mul_f32_e32 v33, v32, v32
	v_fmac_f32_e32 v34, 0x3b2d2a58, v33
	v_fma_f32 v34, v33, v34, v23
	v_fma_f32 v34, v33, v34, v24
	;; [unrolled: 1-line block ×6, first 2 shown]
	v_mul_f32_e32 v33, v33, v34
	v_fmac_f32_e32 v32, v32, v33
	v_sub_f32_e32 v33, 0x3fc90fdb, v32
	v_cndmask_b32_e64 v32, v32, v33, s[2:3]
	v_cvt_f16_f32_e32 v32, v32
	v_mov_b32_e32 v33, s9
	v_bfi_b32 v31, s21, v32, v31
	v_add_co_u32_e64 v32, s[2:3], s8, v16
	v_addc_co_u32_e64 v33, s[2:3], v15, v33, s[2:3]
	global_store_short v[32:33], v31, off
	s_or_b64 exec, exec, s[4:5]
	s_and_saveexec_b64 s[2:3], s[0:1]
	s_cbranch_execz .LBB70_19
.LBB70_23:                              ;   in Loop: Header=BB70_9 Depth=1
	s_waitcnt vmcnt(0)
	v_cvt_f32_f16_e32 v31, v30
	v_mov_b32_e32 v33, 0xbc7a590c
	v_rcp_f32_e64 v32, |v31|
	v_cmp_gt_f32_e64 s[0:1], |v31|, 1.0
	v_cndmask_b32_e64 v31, |v31|, v32, s[0:1]
	v_mul_f32_e32 v32, v31, v31
	v_fmac_f32_e32 v33, 0x3b2d2a58, v32
	v_fma_f32 v33, v32, v33, v23
	v_fma_f32 v33, v32, v33, v24
	v_fma_f32 v33, v32, v33, v25
	v_fma_f32 v33, v32, v33, v26
	v_fma_f32 v33, v32, v33, v27
	v_fma_f32 v33, v32, v33, v28
	v_mul_f32_e32 v32, v32, v33
	v_fmac_f32_e32 v31, v31, v32
	v_sub_f32_e32 v32, 0x3fc90fdb, v31
	v_cndmask_b32_e64 v31, v31, v32, s[0:1]
	v_cvt_f16_f32_e32 v31, v31
	v_mov_b32_e32 v32, s9
	v_bfi_b32 v33, s21, v31, v30
	v_add_co_u32_e64 v30, s[0:1], s8, v12
	v_addc_co_u32_e64 v31, s[0:1], v11, v32, s[0:1]
	global_store_short v[30:31], v33, off
	s_or_b64 exec, exec, s[2:3]
	s_and_saveexec_b64 s[0:1], vcc
	s_cbranch_execz .LBB70_8
.LBB70_24:                              ;   in Loop: Header=BB70_9 Depth=1
	s_waitcnt vmcnt(0)
	v_cvt_f32_f16_e32 v30, v29
	v_mov_b32_e32 v32, 0xbc7a590c
	v_rcp_f32_e64 v31, |v30|
	v_cmp_gt_f32_e64 vcc, |v30|, 1.0
	v_cndmask_b32_e64 v30, |v30|, v31, vcc
	v_mul_f32_e32 v31, v30, v30
	v_fmac_f32_e32 v32, 0x3b2d2a58, v31
	v_fma_f32 v32, v31, v32, v23
	v_fma_f32 v32, v31, v32, v24
	;; [unrolled: 1-line block ×6, first 2 shown]
	v_mul_f32_e32 v31, v31, v32
	v_fmac_f32_e32 v30, v30, v31
	v_sub_f32_e32 v31, 0x3fc90fdb, v30
	v_cndmask_b32_e32 v30, v30, v31, vcc
	v_cvt_f16_f32_e32 v30, v30
	v_mov_b32_e32 v31, s9
	v_bfi_b32 v29, s21, v30, v29
	v_add_co_u32_e32 v30, vcc, s8, v8
	v_addc_co_u32_e32 v31, vcc, v7, v31, vcc
	global_store_short v[30:31], v29, off
	s_branch .LBB70_8
.LBB70_25:
	s_endpgm
	.section	.rodata,"a",@progbits
	.p2align	6, 0x0
	.amdhsa_kernel _ZN2at6native12_GLOBAL__N_125multi_tensor_apply_kernelINS1_18TensorListMetadataILi2EEENS1_14UnaryOpFunctorIN3c104HalfELi2ELi1ELi1EEEJNS0_4AtanIfEEEEEvT_T0_DpT1_
		.amdhsa_group_segment_fixed_size 0
		.amdhsa_private_segment_fixed_size 0
		.amdhsa_kernarg_size 3408
		.amdhsa_user_sgpr_count 6
		.amdhsa_user_sgpr_private_segment_buffer 1
		.amdhsa_user_sgpr_dispatch_ptr 0
		.amdhsa_user_sgpr_queue_ptr 0
		.amdhsa_user_sgpr_kernarg_segment_ptr 1
		.amdhsa_user_sgpr_dispatch_id 0
		.amdhsa_user_sgpr_flat_scratch_init 0
		.amdhsa_user_sgpr_kernarg_preload_length 0
		.amdhsa_user_sgpr_kernarg_preload_offset 0
		.amdhsa_user_sgpr_private_segment_size 0
		.amdhsa_uses_dynamic_stack 0
		.amdhsa_system_sgpr_private_segment_wavefront_offset 0
		.amdhsa_system_sgpr_workgroup_id_x 1
		.amdhsa_system_sgpr_workgroup_id_y 0
		.amdhsa_system_sgpr_workgroup_id_z 0
		.amdhsa_system_sgpr_workgroup_info 0
		.amdhsa_system_vgpr_workitem_id 0
		.amdhsa_next_free_vgpr 36
		.amdhsa_next_free_sgpr 38
		.amdhsa_accum_offset 36
		.amdhsa_reserve_vcc 1
		.amdhsa_reserve_flat_scratch 0
		.amdhsa_float_round_mode_32 0
		.amdhsa_float_round_mode_16_64 0
		.amdhsa_float_denorm_mode_32 3
		.amdhsa_float_denorm_mode_16_64 3
		.amdhsa_dx10_clamp 1
		.amdhsa_ieee_mode 1
		.amdhsa_fp16_overflow 0
		.amdhsa_tg_split 0
		.amdhsa_exception_fp_ieee_invalid_op 0
		.amdhsa_exception_fp_denorm_src 0
		.amdhsa_exception_fp_ieee_div_zero 0
		.amdhsa_exception_fp_ieee_overflow 0
		.amdhsa_exception_fp_ieee_underflow 0
		.amdhsa_exception_fp_ieee_inexact 0
		.amdhsa_exception_int_div_zero 0
	.end_amdhsa_kernel
	.section	.text._ZN2at6native12_GLOBAL__N_125multi_tensor_apply_kernelINS1_18TensorListMetadataILi2EEENS1_14UnaryOpFunctorIN3c104HalfELi2ELi1ELi1EEEJNS0_4AtanIfEEEEEvT_T0_DpT1_,"axG",@progbits,_ZN2at6native12_GLOBAL__N_125multi_tensor_apply_kernelINS1_18TensorListMetadataILi2EEENS1_14UnaryOpFunctorIN3c104HalfELi2ELi1ELi1EEEJNS0_4AtanIfEEEEEvT_T0_DpT1_,comdat
.Lfunc_end70:
	.size	_ZN2at6native12_GLOBAL__N_125multi_tensor_apply_kernelINS1_18TensorListMetadataILi2EEENS1_14UnaryOpFunctorIN3c104HalfELi2ELi1ELi1EEEJNS0_4AtanIfEEEEEvT_T0_DpT1_, .Lfunc_end70-_ZN2at6native12_GLOBAL__N_125multi_tensor_apply_kernelINS1_18TensorListMetadataILi2EEENS1_14UnaryOpFunctorIN3c104HalfELi2ELi1ELi1EEEJNS0_4AtanIfEEEEEvT_T0_DpT1_
                                        ; -- End function
	.section	.AMDGPU.csdata,"",@progbits
; Kernel info:
; codeLenInByte = 2236
; NumSgprs: 42
; NumVgprs: 36
; NumAgprs: 0
; TotalNumVgprs: 36
; ScratchSize: 0
; MemoryBound: 0
; FloatMode: 240
; IeeeMode: 1
; LDSByteSize: 0 bytes/workgroup (compile time only)
; SGPRBlocks: 5
; VGPRBlocks: 4
; NumSGPRsForWavesPerEU: 42
; NumVGPRsForWavesPerEU: 36
; AccumOffset: 36
; Occupancy: 8
; WaveLimiterHint : 0
; COMPUTE_PGM_RSRC2:SCRATCH_EN: 0
; COMPUTE_PGM_RSRC2:USER_SGPR: 6
; COMPUTE_PGM_RSRC2:TRAP_HANDLER: 0
; COMPUTE_PGM_RSRC2:TGID_X_EN: 1
; COMPUTE_PGM_RSRC2:TGID_Y_EN: 0
; COMPUTE_PGM_RSRC2:TGID_Z_EN: 0
; COMPUTE_PGM_RSRC2:TIDIG_COMP_CNT: 0
; COMPUTE_PGM_RSRC3_GFX90A:ACCUM_OFFSET: 8
; COMPUTE_PGM_RSRC3_GFX90A:TG_SPLIT: 0
	.section	.text._ZN2at6native12_GLOBAL__N_125multi_tensor_apply_kernelINS1_18TensorListMetadataILi2EEENS1_14UnaryOpFunctorIN3c108BFloat16ELi2ELi1ELi1EEEJNS0_4AtanIfEEEEEvT_T0_DpT1_,"axG",@progbits,_ZN2at6native12_GLOBAL__N_125multi_tensor_apply_kernelINS1_18TensorListMetadataILi2EEENS1_14UnaryOpFunctorIN3c108BFloat16ELi2ELi1ELi1EEEJNS0_4AtanIfEEEEEvT_T0_DpT1_,comdat
	.globl	_ZN2at6native12_GLOBAL__N_125multi_tensor_apply_kernelINS1_18TensorListMetadataILi2EEENS1_14UnaryOpFunctorIN3c108BFloat16ELi2ELi1ELi1EEEJNS0_4AtanIfEEEEEvT_T0_DpT1_ ; -- Begin function _ZN2at6native12_GLOBAL__N_125multi_tensor_apply_kernelINS1_18TensorListMetadataILi2EEENS1_14UnaryOpFunctorIN3c108BFloat16ELi2ELi1ELi1EEEJNS0_4AtanIfEEEEEvT_T0_DpT1_
	.p2align	8
	.type	_ZN2at6native12_GLOBAL__N_125multi_tensor_apply_kernelINS1_18TensorListMetadataILi2EEENS1_14UnaryOpFunctorIN3c108BFloat16ELi2ELi1ELi1EEEJNS0_4AtanIfEEEEEvT_T0_DpT1_,@function
_ZN2at6native12_GLOBAL__N_125multi_tensor_apply_kernelINS1_18TensorListMetadataILi2EEENS1_14UnaryOpFunctorIN3c108BFloat16ELi2ELi1ELi1EEEJNS0_4AtanIfEEEEEvT_T0_DpT1_: ; @_ZN2at6native12_GLOBAL__N_125multi_tensor_apply_kernelINS1_18TensorListMetadataILi2EEENS1_14UnaryOpFunctorIN3c108BFloat16ELi2ELi1ELi1EEEJNS0_4AtanIfEEEEEvT_T0_DpT1_
; %bb.0:
	v_mov_b32_e32 v1, s6
	global_load_ubyte v1, v1, s[4:5] offset:1536
	s_add_u32 s0, s4, s6
	s_mul_hi_u32 s2, s6, 3
	s_mul_i32 s6, s6, 3
	s_addc_u32 s7, s5, 0
	s_add_u32 s6, s0, s6
	s_addc_u32 s7, s7, s2
	s_mov_b32 s1, 0
	s_mov_b32 s3, s1
	s_waitcnt vmcnt(0)
	v_readfirstlane_b32 s0, v1
	s_lshl_b32 s0, s0, 3
	s_load_dword s10, s[6:7], 0x740
	s_load_dwordx2 s[16:17], s[4:5], s0 offset:0x0
	s_load_dwordx2 s[12:13], s[4:5], s0 offset:0x400
	;; [unrolled: 1-line block ×3, first 2 shown]
	s_mov_b32 s7, s1
	s_waitcnt lgkmcnt(0)
	s_ashr_i32 s11, s10, 31
	s_and_b32 s0, s16, 7
	s_and_b32 s6, s12, 3
	;; [unrolled: 1-line block ×3, first 2 shown]
	s_or_b64 s[6:7], s[0:1], s[6:7]
	s_lshl_b64 s[8:9], s[10:11], 17
	s_or_b64 s[2:3], s[2:3], s[6:7]
	s_lshl_b64 s[6:7], s[10:11], 16
	s_sub_u32 s10, s12, s6
	s_subb_u32 s11, s13, s7
	s_cmp_eq_u64 s[2:3], 0
	s_mov_b64 s[2:3], -1
	s_cbranch_scc0 .LBB71_5
; %bb.1:
	v_mov_b32_e32 v3, 0
	v_lshlrev_b32_e32 v2, 2, v0
	v_cmp_gt_i64_e32 vcc, s[10:11], v[2:3]
	s_and_saveexec_b64 s[12:13], vcc
	s_cbranch_execz .LBB71_4
; %bb.2:
	s_load_dword s0, s[4:5], 0xc5c
	v_lshlrev_b32_e32 v1, 3, v0
	v_mov_b32_e32 v2, s9
	v_add_co_u32_e32 v4, vcc, s8, v1
	s_waitcnt lgkmcnt(0)
	s_and_b32 s0, s0, 0xffff
	v_addc_co_u32_e32 v1, vcc, 0, v2, vcc
	s_lshl_b32 s21, s0, 3
	v_add_lshl_u32 v2, v0, s0, 2
	s_lshl_b32 s23, s0, 2
	s_mov_b32 s0, 0xbc7a590c
	s_mov_b64 s[18:19], 0
	v_mov_b32_e32 v5, s17
	v_mov_b32_e32 v8, s15
	s_mov_b32 s20, 0x3b2d2a58
	v_pk_mov_b32 v[6:7], s[0:1], s[0:1] op_sel:[0,1]
	s_mov_b32 s22, 0x3d29fb3f
	s_mov_b32 s24, 0xbd97d4d7
	;; [unrolled: 1-line block ×6, first 2 shown]
	s_brev_b32 s25, -2
	s_movk_i32 s27, 0x7fff
	v_mov_b32_e32 v9, 0x7fc0
	v_mov_b32_e32 v10, 0x7fc00000
	s_mov_b64 s[36:37], 0xffff
	v_mov_b32_e32 v11, s1
	v_mov_b32_e32 v12, s1
.LBB71_3:                               ; =>This Inner Loop Header: Depth=1
	v_add_co_u32_e32 v14, vcc, s16, v4
	v_addc_co_u32_e32 v15, vcc, v5, v1, vcc
	global_load_dwordx2 v[14:15], v[14:15], off
	v_add_co_u32_e32 v16, vcc, s14, v4
	v_addc_co_u32_e32 v17, vcc, v8, v1, vcc
	v_cmp_le_i64_e32 vcc, s[10:11], v[2:3]
	v_cmp_lt_u64_e64 s[0:1], s[36:37], v[2:3]
	v_add_co_u32_e64 v4, s[2:3], s21, v4
	v_addc_co_u32_e64 v1, s[2:3], v1, v11, s[2:3]
	s_or_b64 s[0:1], vcc, s[0:1]
	v_add_co_u32_e64 v2, s[2:3], s23, v2
	s_and_b64 s[0:1], exec, s[0:1]
	v_addc_co_u32_e64 v3, s[2:3], v3, v12, s[2:3]
	s_or_b64 s[18:19], s[0:1], s[18:19]
	s_waitcnt vmcnt(0)
	v_alignbit_b32 v13, v15, v14, 16
	v_lshlrev_b32_e32 v28, 16, v14
	v_and_b32_e32 v30, 0xffff0000, v14
	v_and_b32_e32 v29, 0xffff0000, v15
	;; [unrolled: 1-line block ×3, first 2 shown]
	v_rcp_f32_e64 v14, |v28|
	v_rcp_f32_e64 v18, |v30|
	;; [unrolled: 1-line block ×4, first 2 shown]
	v_cmp_gt_f32_e64 vcc, |v28|, 1.0
	v_cmp_gt_f32_e64 s[0:1], |v30|, 1.0
	v_cmp_gt_f32_e64 s[2:3], |v29|, 1.0
	;; [unrolled: 1-line block ×3, first 2 shown]
	v_cndmask_b32_e64 v19, |v30|, v18, s[0:1]
	v_cndmask_b32_e64 v18, |v28|, v14, vcc
	v_cndmask_b32_e64 v15, |v29|, v15, s[2:3]
	v_cndmask_b32_e64 v14, |v13|, v20, s[6:7]
	v_pk_mul_f32 v[20:21], v[18:19], v[18:19]
	v_pk_mul_f32 v[22:23], v[14:15], v[14:15]
	v_pk_fma_f32 v[24:25], v[20:21], s[20:21], v[6:7] op_sel_hi:[1,0,0]
	v_pk_fma_f32 v[26:27], v[22:23], s[20:21], v[6:7] op_sel_hi:[1,0,0]
	;; [unrolled: 1-line block ×14, first 2 shown]
	v_pk_mul_f32 v[20:21], v[20:21], v[24:25]
	v_pk_mul_f32 v[22:23], v[22:23], v[26:27]
	v_pk_fma_f32 v[18:19], v[18:19], v[20:21], v[18:19]
	v_pk_fma_f32 v[14:15], v[14:15], v[22:23], v[14:15]
	v_sub_f32_e32 v20, 0x3fc90fdb, v19
	v_sub_f32_e32 v21, 0x3fc90fdb, v18
	;; [unrolled: 1-line block ×4, first 2 shown]
	v_cndmask_b32_e32 v18, v18, v21, vcc
	v_cndmask_b32_e64 v19, v19, v20, s[0:1]
	v_cndmask_b32_e64 v14, v14, v23, s[6:7]
	;; [unrolled: 1-line block ×3, first 2 shown]
	v_bfi_b32 v19, s25, v19, v30
	v_bfi_b32 v18, s25, v18, v28
	;; [unrolled: 1-line block ×4, first 2 shown]
	v_bfe_u32 v14, v18, 16, 1
	v_bfe_u32 v20, v19, 16, 1
	v_add3_u32 v14, v18, v14, s27
	v_add3_u32 v20, v19, v20, s27
	v_bfe_u32 v21, v13, 16, 1
	v_bfe_u32 v22, v15, 16, 1
	v_lshrrev_b32_e32 v14, 16, v14
	v_and_b32_e32 v20, 0xffff0000, v20
	v_add3_u32 v22, v15, v22, s27
	v_add3_u32 v21, v13, v21, s27
	v_cmp_o_f32_e32 vcc, v19, v19
	v_cmp_o_f32_e64 s[0:1], v18, v18
	v_lshrrev_b32_e32 v18, 16, v21
	v_and_b32_e32 v19, 0xffff0000, v22
	v_cndmask_b32_e64 v14, v9, v14, s[0:1]
	v_cmp_o_f32_e64 s[0:1], v15, v15
	v_cndmask_b32_e32 v15, v10, v20, vcc
	v_cmp_o_f32_e32 vcc, v13, v13
	v_cndmask_b32_e32 v13, v9, v18, vcc
	v_cndmask_b32_e64 v18, v10, v19, s[0:1]
	v_or3_b32 v14, v14, 0, v15
	v_or3_b32 v15, 0, v13, v18
	global_store_dwordx2 v[16:17], v[14:15], off
	s_andn2_b64 exec, exec, s[18:19]
	s_cbranch_execnz .LBB71_3
.LBB71_4:
	s_or_b64 exec, exec, s[12:13]
	s_mov_b64 s[2:3], 0
.LBB71_5:
	s_andn2_b64 vcc, exec, s[2:3]
	s_cbranch_vccnz .LBB71_25
; %bb.6:
	v_cmp_lt_i64_e64 s[0:1], s[10:11], 1
	s_and_b64 vcc, exec, s[0:1]
	s_cbranch_vccnz .LBB71_25
; %bb.7:
	s_load_dword s0, s[4:5], 0xc5c
	v_mov_b32_e32 v2, 0x10000
	v_mov_b32_e32 v3, 0
	v_cmp_lt_u64_e32 vcc, s[10:11], v[2:3]
	v_lshlrev_b32_e32 v10, 1, v0
	s_waitcnt lgkmcnt(0)
	s_and_b32 s2, s0, 0xffff
	s_and_b64 s[0:1], vcc, exec
	v_mov_b32_e32 v13, s17
	v_add_co_u32_e32 v2, vcc, s16, v10
	v_addc_co_u32_e32 v1, vcc, 0, v13, vcc
	v_mov_b32_e32 v11, 0
	v_mov_b32_e32 v15, s15
	v_add_co_u32_e32 v4, vcc, s14, v10
	v_addc_co_u32_e32 v3, vcc, 0, v15, vcc
	v_mad_u64_u32 v[8:9], s[0:1], s2, 6, v[10:11]
	v_add_co_u32_e32 v6, vcc, s16, v8
	v_addc_co_u32_e32 v5, vcc, v13, v9, vcc
	v_add_co_u32_e32 v8, vcc, s14, v8
	s_mul_i32 s4, s2, 3
	v_addc_co_u32_e32 v7, vcc, v15, v9, vcc
	s_cselect_b32 s13, s11, 0
	s_cselect_b32 s12, s10, 0x10000
	s_lshl_b32 s19, s2, 2
	v_add_co_u32_e32 v17, vcc, s4, v0
	v_addc_co_u32_e64 v18, s[0:1], 0, 0, vcc
	v_add_co_u32_e32 v11, vcc, s19, v10
	v_addc_co_u32_e64 v14, s[0:1], 0, 0, vcc
	v_add_co_u32_e32 v10, vcc, s16, v11
	v_addc_co_u32_e32 v9, vcc, v13, v14, vcc
	v_add_co_u32_e32 v12, vcc, s14, v11
	s_lshl_b32 s3, s2, 1
	v_addc_co_u32_e32 v11, vcc, v15, v14, vcc
	v_add_co_u32_e32 v19, vcc, s3, v0
	v_addc_co_u32_e64 v20, s[0:1], 0, 0, vcc
	v_add_co_u32_e32 v21, vcc, s2, v0
	v_lshlrev_b32_e32 v16, 1, v21
	v_addc_co_u32_e64 v22, s[0:1], 0, 0, vcc
	v_add_co_u32_e32 v14, vcc, s16, v16
	v_addc_co_u32_e32 v13, vcc, 0, v13, vcc
	v_add_co_u32_e32 v16, vcc, s14, v16
	s_mov_b32 s18, 0
	s_lshl_b32 s20, s2, 3
	v_addc_co_u32_e32 v15, vcc, 0, v15, vcc
	s_mov_b64 s[14:15], 0
	v_mov_b32_e32 v23, 0x3d29fb3f
	v_mov_b32_e32 v24, 0xbd97d4d7
	;; [unrolled: 1-line block ×6, first 2 shown]
	s_brev_b32 s21, -2
	s_movk_i32 s22, 0x7fff
	v_mov_b32_e32 v29, 0x7fc0
	s_branch .LBB71_9
.LBB71_8:                               ;   in Loop: Header=BB71_9 Depth=1
	s_or_b64 exec, exec, s[0:1]
	s_add_u32 s14, s14, s19
	s_addc_u32 s15, s15, 0
	s_waitcnt vmcnt(0)
	v_pk_mov_b32 v[30:31], s[10:11], s[10:11] op_sel:[0,1]
	v_cmp_ge_i64_e32 vcc, s[14:15], v[30:31]
	v_mov_b32_e32 v30, 0xffff
	v_mov_b32_e32 v31, 0
	v_cmp_gt_u64_e64 s[0:1], s[14:15], v[30:31]
	s_or_b64 s[0:1], vcc, s[0:1]
	v_mov_b32_e32 v30, s18
	v_add_co_u32_e32 v2, vcc, s20, v2
	v_addc_co_u32_e32 v1, vcc, v1, v30, vcc
	v_add_co_u32_e32 v4, vcc, s20, v4
	v_addc_co_u32_e32 v3, vcc, v3, v30, vcc
	;; [unrolled: 2-line block ×8, first 2 shown]
	s_and_b64 vcc, exec, s[0:1]
	s_cbranch_vccnz .LBB71_25
.LBB71_9:                               ; =>This Inner Loop Header: Depth=1
	v_mov_b32_e32 v31, s15
	v_add_co_u32_e32 v30, vcc, s14, v0
	v_addc_co_u32_e32 v31, vcc, 0, v31, vcc
	v_cmp_gt_u64_e64 s[4:5], s[12:13], v[30:31]
	v_mov_b32_e32 v33, 0
	s_and_saveexec_b64 s[0:1], s[4:5]
	s_cbranch_execz .LBB71_11
; %bb.10:                               ;   in Loop: Header=BB71_9 Depth=1
	v_mov_b32_e32 v31, s9
	v_add_co_u32_e32 v30, vcc, s8, v2
	v_addc_co_u32_e32 v31, vcc, v1, v31, vcc
	global_load_ushort v33, v[30:31], off
.LBB71_11:                              ;   in Loop: Header=BB71_9 Depth=1
	s_or_b64 exec, exec, s[0:1]
	v_mov_b32_e32 v31, s15
	v_add_co_u32_e32 v30, vcc, s14, v21
	v_addc_co_u32_e32 v31, vcc, v22, v31, vcc
	v_cmp_gt_u64_e64 s[2:3], s[12:13], v[30:31]
	v_mov_b32_e32 v32, 0
	s_and_saveexec_b64 s[0:1], s[2:3]
	s_cbranch_execz .LBB71_13
; %bb.12:                               ;   in Loop: Header=BB71_9 Depth=1
	v_mov_b32_e32 v31, s9
	v_add_co_u32_e32 v30, vcc, s8, v14
	v_addc_co_u32_e32 v31, vcc, v13, v31, vcc
	global_load_ushort v32, v[30:31], off
.LBB71_13:                              ;   in Loop: Header=BB71_9 Depth=1
	s_or_b64 exec, exec, s[0:1]
	v_mov_b32_e32 v31, s15
	v_add_co_u32_e32 v30, vcc, s14, v19
	v_addc_co_u32_e32 v31, vcc, v20, v31, vcc
	v_cmp_gt_u64_e64 s[0:1], s[12:13], v[30:31]
	v_mov_b32_e32 v30, 0
	v_mov_b32_e32 v31, 0
	s_and_saveexec_b64 s[6:7], s[0:1]
	s_cbranch_execz .LBB71_15
; %bb.14:                               ;   in Loop: Header=BB71_9 Depth=1
	v_mov_b32_e32 v31, s9
	v_add_co_u32_e32 v34, vcc, s8, v10
	v_addc_co_u32_e32 v35, vcc, v9, v31, vcc
	global_load_ushort v31, v[34:35], off
.LBB71_15:                              ;   in Loop: Header=BB71_9 Depth=1
	s_or_b64 exec, exec, s[6:7]
	v_mov_b32_e32 v35, s15
	v_add_co_u32_e32 v34, vcc, s14, v17
	v_addc_co_u32_e32 v35, vcc, v18, v35, vcc
	v_cmp_gt_u64_e32 vcc, s[12:13], v[34:35]
	s_and_saveexec_b64 s[16:17], vcc
	s_cbranch_execnz .LBB71_20
; %bb.16:                               ;   in Loop: Header=BB71_9 Depth=1
	s_or_b64 exec, exec, s[16:17]
	s_and_saveexec_b64 s[6:7], s[4:5]
	s_cbranch_execnz .LBB71_21
.LBB71_17:                              ;   in Loop: Header=BB71_9 Depth=1
	s_or_b64 exec, exec, s[6:7]
	s_and_saveexec_b64 s[4:5], s[2:3]
	s_cbranch_execnz .LBB71_22
.LBB71_18:                              ;   in Loop: Header=BB71_9 Depth=1
	s_or_b64 exec, exec, s[4:5]
	s_and_saveexec_b64 s[2:3], s[0:1]
	s_cbranch_execnz .LBB71_23
.LBB71_19:                              ;   in Loop: Header=BB71_9 Depth=1
	s_or_b64 exec, exec, s[2:3]
	s_and_saveexec_b64 s[0:1], vcc
	s_cbranch_execz .LBB71_8
	s_branch .LBB71_24
.LBB71_20:                              ;   in Loop: Header=BB71_9 Depth=1
	v_mov_b32_e32 v30, s9
	v_add_co_u32_e64 v34, s[6:7], s8, v6
	v_addc_co_u32_e64 v35, s[6:7], v5, v30, s[6:7]
	global_load_ushort v30, v[34:35], off
	s_or_b64 exec, exec, s[16:17]
	s_and_saveexec_b64 s[6:7], s[4:5]
	s_cbranch_execz .LBB71_17
.LBB71_21:                              ;   in Loop: Header=BB71_9 Depth=1
	s_waitcnt vmcnt(0)
	v_lshlrev_b32_e32 v33, 16, v33
	v_rcp_f32_e64 v34, |v33|
	v_cmp_gt_f32_e64 s[4:5], |v33|, 1.0
	v_mov_b32_e32 v35, 0xbc7a590c
	v_cndmask_b32_e64 v34, |v33|, v34, s[4:5]
	v_mul_f32_e32 v36, v34, v34
	v_fmac_f32_e32 v35, 0x3b2d2a58, v36
	v_fma_f32 v35, v36, v35, v23
	v_fma_f32 v35, v36, v35, v24
	;; [unrolled: 1-line block ×6, first 2 shown]
	v_mul_f32_e32 v35, v36, v35
	v_fmac_f32_e32 v34, v34, v35
	v_sub_f32_e32 v35, 0x3fc90fdb, v34
	v_cndmask_b32_e64 v34, v34, v35, s[4:5]
	v_bfi_b32 v33, s21, v34, v33
	v_bfe_u32 v34, v33, 16, 1
	v_add3_u32 v34, v33, v34, s22
	v_lshrrev_b32_e32 v34, 16, v34
	v_cmp_o_f32_e64 s[4:5], v33, v33
	v_cndmask_b32_e64 v33, v29, v34, s[4:5]
	v_mov_b32_e32 v35, s9
	v_add_co_u32_e64 v34, s[4:5], s8, v4
	v_addc_co_u32_e64 v35, s[4:5], v3, v35, s[4:5]
	global_store_short v[34:35], v33, off
	s_or_b64 exec, exec, s[6:7]
	s_and_saveexec_b64 s[4:5], s[2:3]
	s_cbranch_execz .LBB71_18
.LBB71_22:                              ;   in Loop: Header=BB71_9 Depth=1
	s_waitcnt vmcnt(0)
	v_lshlrev_b32_e32 v32, 16, v32
	v_rcp_f32_e64 v33, |v32|
	v_cmp_gt_f32_e64 s[2:3], |v32|, 1.0
	v_mov_b32_e32 v34, 0xbc7a590c
	v_cndmask_b32_e64 v33, |v32|, v33, s[2:3]
	v_mul_f32_e32 v35, v33, v33
	v_fmac_f32_e32 v34, 0x3b2d2a58, v35
	v_fma_f32 v34, v35, v34, v23
	v_fma_f32 v34, v35, v34, v24
	v_fma_f32 v34, v35, v34, v25
	v_fma_f32 v34, v35, v34, v26
	v_fma_f32 v34, v35, v34, v27
	v_fma_f32 v34, v35, v34, v28
	v_mul_f32_e32 v34, v35, v34
	v_fmac_f32_e32 v33, v33, v34
	v_sub_f32_e32 v34, 0x3fc90fdb, v33
	v_cndmask_b32_e64 v33, v33, v34, s[2:3]
	v_bfi_b32 v32, s21, v33, v32
	v_bfe_u32 v33, v32, 16, 1
	v_add3_u32 v33, v32, v33, s22
	v_lshrrev_b32_e32 v33, 16, v33
	v_cmp_o_f32_e64 s[2:3], v32, v32
	v_cndmask_b32_e64 v34, v29, v33, s[2:3]
	v_mov_b32_e32 v33, s9
	v_add_co_u32_e64 v32, s[2:3], s8, v16
	v_addc_co_u32_e64 v33, s[2:3], v15, v33, s[2:3]
	global_store_short v[32:33], v34, off
	s_or_b64 exec, exec, s[4:5]
	s_and_saveexec_b64 s[2:3], s[0:1]
	s_cbranch_execz .LBB71_19
.LBB71_23:                              ;   in Loop: Header=BB71_9 Depth=1
	s_waitcnt vmcnt(0)
	v_lshlrev_b32_e32 v31, 16, v31
	v_rcp_f32_e64 v32, |v31|
	v_cmp_gt_f32_e64 s[0:1], |v31|, 1.0
	v_mov_b32_e32 v33, 0xbc7a590c
	v_cndmask_b32_e64 v32, |v31|, v32, s[0:1]
	v_mul_f32_e32 v34, v32, v32
	v_fmac_f32_e32 v33, 0x3b2d2a58, v34
	v_fma_f32 v33, v34, v33, v23
	v_fma_f32 v33, v34, v33, v24
	;; [unrolled: 1-line block ×6, first 2 shown]
	v_mul_f32_e32 v33, v34, v33
	v_fmac_f32_e32 v32, v32, v33
	v_sub_f32_e32 v33, 0x3fc90fdb, v32
	v_cndmask_b32_e64 v32, v32, v33, s[0:1]
	v_bfi_b32 v31, s21, v32, v31
	v_bfe_u32 v32, v31, 16, 1
	v_add3_u32 v32, v31, v32, s22
	v_lshrrev_b32_e32 v32, 16, v32
	v_cmp_o_f32_e64 s[0:1], v31, v31
	v_cndmask_b32_e64 v31, v29, v32, s[0:1]
	v_mov_b32_e32 v33, s9
	v_add_co_u32_e64 v32, s[0:1], s8, v12
	v_addc_co_u32_e64 v33, s[0:1], v11, v33, s[0:1]
	global_store_short v[32:33], v31, off
	s_or_b64 exec, exec, s[2:3]
	s_and_saveexec_b64 s[0:1], vcc
	s_cbranch_execz .LBB71_8
.LBB71_24:                              ;   in Loop: Header=BB71_9 Depth=1
	s_waitcnt vmcnt(0)
	v_lshlrev_b32_e32 v30, 16, v30
	v_rcp_f32_e64 v31, |v30|
	v_cmp_gt_f32_e64 vcc, |v30|, 1.0
	v_mov_b32_e32 v32, 0xbc7a590c
	v_cndmask_b32_e64 v31, |v30|, v31, vcc
	v_mul_f32_e32 v33, v31, v31
	v_fmac_f32_e32 v32, 0x3b2d2a58, v33
	v_fma_f32 v32, v33, v32, v23
	v_fma_f32 v32, v33, v32, v24
	;; [unrolled: 1-line block ×6, first 2 shown]
	v_mul_f32_e32 v32, v33, v32
	v_fmac_f32_e32 v31, v31, v32
	v_sub_f32_e32 v32, 0x3fc90fdb, v31
	v_cndmask_b32_e32 v31, v31, v32, vcc
	v_bfi_b32 v30, s21, v31, v30
	v_bfe_u32 v31, v30, 16, 1
	v_add3_u32 v31, v30, v31, s22
	v_lshrrev_b32_e32 v31, 16, v31
	v_cmp_o_f32_e32 vcc, v30, v30
	v_cndmask_b32_e32 v32, v29, v31, vcc
	v_mov_b32_e32 v31, s9
	v_add_co_u32_e32 v30, vcc, s8, v8
	v_addc_co_u32_e32 v31, vcc, v7, v31, vcc
	global_store_short v[30:31], v32, off
	s_branch .LBB71_8
.LBB71_25:
	s_endpgm
	.section	.rodata,"a",@progbits
	.p2align	6, 0x0
	.amdhsa_kernel _ZN2at6native12_GLOBAL__N_125multi_tensor_apply_kernelINS1_18TensorListMetadataILi2EEENS1_14UnaryOpFunctorIN3c108BFloat16ELi2ELi1ELi1EEEJNS0_4AtanIfEEEEEvT_T0_DpT1_
		.amdhsa_group_segment_fixed_size 0
		.amdhsa_private_segment_fixed_size 0
		.amdhsa_kernarg_size 3408
		.amdhsa_user_sgpr_count 6
		.amdhsa_user_sgpr_private_segment_buffer 1
		.amdhsa_user_sgpr_dispatch_ptr 0
		.amdhsa_user_sgpr_queue_ptr 0
		.amdhsa_user_sgpr_kernarg_segment_ptr 1
		.amdhsa_user_sgpr_dispatch_id 0
		.amdhsa_user_sgpr_flat_scratch_init 0
		.amdhsa_user_sgpr_kernarg_preload_length 0
		.amdhsa_user_sgpr_kernarg_preload_offset 0
		.amdhsa_user_sgpr_private_segment_size 0
		.amdhsa_uses_dynamic_stack 0
		.amdhsa_system_sgpr_private_segment_wavefront_offset 0
		.amdhsa_system_sgpr_workgroup_id_x 1
		.amdhsa_system_sgpr_workgroup_id_y 0
		.amdhsa_system_sgpr_workgroup_id_z 0
		.amdhsa_system_sgpr_workgroup_info 0
		.amdhsa_system_vgpr_workitem_id 0
		.amdhsa_next_free_vgpr 37
		.amdhsa_next_free_sgpr 38
		.amdhsa_accum_offset 40
		.amdhsa_reserve_vcc 1
		.amdhsa_reserve_flat_scratch 0
		.amdhsa_float_round_mode_32 0
		.amdhsa_float_round_mode_16_64 0
		.amdhsa_float_denorm_mode_32 3
		.amdhsa_float_denorm_mode_16_64 3
		.amdhsa_dx10_clamp 1
		.amdhsa_ieee_mode 1
		.amdhsa_fp16_overflow 0
		.amdhsa_tg_split 0
		.amdhsa_exception_fp_ieee_invalid_op 0
		.amdhsa_exception_fp_denorm_src 0
		.amdhsa_exception_fp_ieee_div_zero 0
		.amdhsa_exception_fp_ieee_overflow 0
		.amdhsa_exception_fp_ieee_underflow 0
		.amdhsa_exception_fp_ieee_inexact 0
		.amdhsa_exception_int_div_zero 0
	.end_amdhsa_kernel
	.section	.text._ZN2at6native12_GLOBAL__N_125multi_tensor_apply_kernelINS1_18TensorListMetadataILi2EEENS1_14UnaryOpFunctorIN3c108BFloat16ELi2ELi1ELi1EEEJNS0_4AtanIfEEEEEvT_T0_DpT1_,"axG",@progbits,_ZN2at6native12_GLOBAL__N_125multi_tensor_apply_kernelINS1_18TensorListMetadataILi2EEENS1_14UnaryOpFunctorIN3c108BFloat16ELi2ELi1ELi1EEEJNS0_4AtanIfEEEEEvT_T0_DpT1_,comdat
.Lfunc_end71:
	.size	_ZN2at6native12_GLOBAL__N_125multi_tensor_apply_kernelINS1_18TensorListMetadataILi2EEENS1_14UnaryOpFunctorIN3c108BFloat16ELi2ELi1ELi1EEEJNS0_4AtanIfEEEEEvT_T0_DpT1_, .Lfunc_end71-_ZN2at6native12_GLOBAL__N_125multi_tensor_apply_kernelINS1_18TensorListMetadataILi2EEENS1_14UnaryOpFunctorIN3c108BFloat16ELi2ELi1ELi1EEEJNS0_4AtanIfEEEEEvT_T0_DpT1_
                                        ; -- End function
	.section	.AMDGPU.csdata,"",@progbits
; Kernel info:
; codeLenInByte = 2520
; NumSgprs: 42
; NumVgprs: 37
; NumAgprs: 0
; TotalNumVgprs: 37
; ScratchSize: 0
; MemoryBound: 0
; FloatMode: 240
; IeeeMode: 1
; LDSByteSize: 0 bytes/workgroup (compile time only)
; SGPRBlocks: 5
; VGPRBlocks: 4
; NumSGPRsForWavesPerEU: 42
; NumVGPRsForWavesPerEU: 37
; AccumOffset: 40
; Occupancy: 8
; WaveLimiterHint : 0
; COMPUTE_PGM_RSRC2:SCRATCH_EN: 0
; COMPUTE_PGM_RSRC2:USER_SGPR: 6
; COMPUTE_PGM_RSRC2:TRAP_HANDLER: 0
; COMPUTE_PGM_RSRC2:TGID_X_EN: 1
; COMPUTE_PGM_RSRC2:TGID_Y_EN: 0
; COMPUTE_PGM_RSRC2:TGID_Z_EN: 0
; COMPUTE_PGM_RSRC2:TIDIG_COMP_CNT: 0
; COMPUTE_PGM_RSRC3_GFX90A:ACCUM_OFFSET: 9
; COMPUTE_PGM_RSRC3_GFX90A:TG_SPLIT: 0
	.section	.text._ZN2at6native12_GLOBAL__N_125multi_tensor_apply_kernelINS1_18TensorListMetadataILi1EEENS1_14UnaryOpFunctorIdLi1ELi1ELi0EEEJNS0_4AtanIdEEEEEvT_T0_DpT1_,"axG",@progbits,_ZN2at6native12_GLOBAL__N_125multi_tensor_apply_kernelINS1_18TensorListMetadataILi1EEENS1_14UnaryOpFunctorIdLi1ELi1ELi0EEEJNS0_4AtanIdEEEEEvT_T0_DpT1_,comdat
	.globl	_ZN2at6native12_GLOBAL__N_125multi_tensor_apply_kernelINS1_18TensorListMetadataILi1EEENS1_14UnaryOpFunctorIdLi1ELi1ELi0EEEJNS0_4AtanIdEEEEEvT_T0_DpT1_ ; -- Begin function _ZN2at6native12_GLOBAL__N_125multi_tensor_apply_kernelINS1_18TensorListMetadataILi1EEENS1_14UnaryOpFunctorIdLi1ELi1ELi0EEEJNS0_4AtanIdEEEEEvT_T0_DpT1_
	.p2align	8
	.type	_ZN2at6native12_GLOBAL__N_125multi_tensor_apply_kernelINS1_18TensorListMetadataILi1EEENS1_14UnaryOpFunctorIdLi1ELi1ELi0EEEJNS0_4AtanIdEEEEEvT_T0_DpT1_,@function
_ZN2at6native12_GLOBAL__N_125multi_tensor_apply_kernelINS1_18TensorListMetadataILi1EEENS1_14UnaryOpFunctorIdLi1ELi1ELi0EEEJNS0_4AtanIdEEEEEvT_T0_DpT1_: ; @_ZN2at6native12_GLOBAL__N_125multi_tensor_apply_kernelINS1_18TensorListMetadataILi1EEENS1_14UnaryOpFunctorIdLi1ELi1ELi0EEEJNS0_4AtanIdEEEEEvT_T0_DpT1_
; %bb.0:
	v_mov_b32_e32 v1, s6
	global_load_ubyte v1, v1, s[4:5] offset:1760
	s_add_u32 s0, s4, s6
	s_mul_hi_u32 s1, s6, 3
	s_mul_i32 s6, s6, 3
	s_addc_u32 s2, s5, 0
	s_add_u32 s0, s0, s6
	s_addc_u32 s1, s2, s1
	s_load_dword s0, s[0:1], 0x820
	s_mov_b32 s7, 0
	s_waitcnt vmcnt(0)
	v_readfirstlane_b32 s2, v1
	s_lshl_b32 s1, s2, 3
	s_load_dwordx2 s[2:3], s[4:5], s1 offset:0x370
	s_load_dwordx2 s[12:13], s[4:5], s1 offset:0x0
	s_waitcnt lgkmcnt(0)
	s_ashr_i32 s1, s0, 31
	s_lshl_b64 s[14:15], s[0:1], 19
	s_lshl_b64 s[0:1], s[0:1], 16
	s_and_b32 s6, s12, 31
	s_sub_u32 s10, s2, s0
	s_subb_u32 s11, s3, s1
	s_and_b32 s0, s2, 3
	s_mov_b32 s1, s7
	s_or_b64 s[0:1], s[6:7], s[0:1]
	s_cmp_eq_u64 s[0:1], 0
	s_cbranch_scc1 .LBB72_21
; %bb.1:
	v_cmp_lt_i64_e64 s[0:1], s[10:11], 1
	s_and_b64 vcc, exec, s[0:1]
	s_cbranch_vccnz .LBB72_20
; %bb.2:
	s_load_dword s0, s[4:5], 0xd3c
	v_mov_b32_e32 v2, 0x10000
	v_mov_b32_e32 v3, 0
	v_cmp_lt_u64_e32 vcc, s[10:11], v[2:3]
	v_lshlrev_b32_e32 v1, 3, v0
	s_waitcnt lgkmcnt(0)
	s_and_b32 s2, s0, 0xffff
	s_and_b64 s[0:1], vcc, exec
	s_cselect_b32 s17, s11, 0
	s_cselect_b32 s16, s10, 0x10000
	s_lshl_b32 s3, s2, 1
	s_lshl_b32 s27, s2, 2
	s_add_u32 s6, s12, s14
	s_addc_u32 s7, s13, s15
	v_mov_b32_e32 v3, s7
	v_add_co_u32_e32 v2, vcc, s6, v1
	s_mul_i32 s0, s2, 3
	v_addc_co_u32_e32 v3, vcc, 0, v3, vcc
	v_add_co_u32_e32 v1, vcc, s0, v0
	v_addc_co_u32_e64 v54, s[0:1], 0, 0, vcc
	v_add_co_u32_e32 v55, vcc, s3, v0
	v_addc_co_u32_e64 v56, s[0:1], 0, 0, vcc
	v_add_co_u32_e32 v57, vcc, s2, v0
	v_lshlrev_b32_e32 v4, 3, v57
	s_mov_b32 s26, 0
	v_addc_co_u32_e64 v58, s[0:1], 0, 0, vcc
	v_mov_b32_e32 v5, s7
	v_add_co_u32_e32 v4, vcc, s6, v4
	s_mov_b32 s20, 0xb5e68a13
	s_mov_b32 s22, 0x336a0500
	s_lshl_b32 s28, s2, 5
	s_mul_i32 s29, s2, 24
	s_mov_b32 s30, s26
	s_lshl_b32 s31, s2, 4
	s_mov_b32 s33, s26
	v_addc_co_u32_e32 v5, vcc, 0, v5, vcc
	s_mov_b64 s[18:19], 0
	s_brev_b32 s34, -2
	s_mov_b32 s21, 0x3eeba404
	s_mov_b32 s23, 0x3fedd9ad
	v_mov_b32_e32 v6, 0xbd3237f4
	v_mov_b32_e32 v7, 0xbf23e260
	;; [unrolled: 1-line block ×40, first 2 shown]
	s_branch .LBB72_4
.LBB72_3:                               ;   in Loop: Header=BB72_4 Depth=1
	s_or_b64 exec, exec, s[2:3]
	s_add_u32 s18, s18, s27
	s_addc_u32 s19, s19, 0
	s_waitcnt vmcnt(0)
	v_pk_mov_b32 v[46:47], s[10:11], s[10:11] op_sel:[0,1]
	v_cmp_lt_i64_e32 vcc, s[18:19], v[46:47]
	v_mov_b32_e32 v46, 0x10000
	v_mov_b32_e32 v47, 0
	v_cmp_lt_u64_e64 s[0:1], s[18:19], v[46:47]
	s_and_b64 s[0:1], vcc, s[0:1]
	v_mov_b32_e32 v46, s26
	v_add_co_u32_e32 v2, vcc, s28, v2
	v_addc_co_u32_e32 v3, vcc, v3, v46, vcc
	v_add_co_u32_e32 v4, vcc, s28, v4
	v_addc_co_u32_e32 v5, vcc, v5, v46, vcc
	s_and_b64 vcc, exec, s[0:1]
	s_cbranch_vccz .LBB72_20
.LBB72_4:                               ; =>This Inner Loop Header: Depth=1
	v_mov_b32_e32 v47, s19
	v_add_co_u32_e32 v46, vcc, s18, v0
	v_addc_co_u32_e32 v47, vcc, 0, v47, vcc
	v_pk_mov_b32 v[50:51], 0, 0
	v_cmp_gt_u64_e32 vcc, s[16:17], v[46:47]
	v_pk_mov_b32 v[52:53], v[50:51], v[50:51] op_sel:[0,1]
	s_and_saveexec_b64 s[0:1], vcc
	s_cbranch_execz .LBB72_6
; %bb.5:                                ;   in Loop: Header=BB72_4 Depth=1
	global_load_dwordx2 v[52:53], v[2:3], off
.LBB72_6:                               ;   in Loop: Header=BB72_4 Depth=1
	s_or_b64 exec, exec, s[0:1]
	v_mov_b32_e32 v47, s19
	v_add_co_u32_e64 v46, s[0:1], s18, v57
	v_addc_co_u32_e64 v47, s[0:1], v58, v47, s[0:1]
	v_cmp_gt_u64_e64 s[6:7], s[16:17], v[46:47]
	s_and_saveexec_b64 s[0:1], s[6:7]
	s_cbranch_execz .LBB72_8
; %bb.7:                                ;   in Loop: Header=BB72_4 Depth=1
	global_load_dwordx2 v[50:51], v[4:5], off
.LBB72_8:                               ;   in Loop: Header=BB72_4 Depth=1
	s_or_b64 exec, exec, s[0:1]
	v_mov_b32_e32 v47, s19
	v_add_co_u32_e64 v46, s[0:1], s18, v55
	v_addc_co_u32_e64 v47, s[0:1], v56, v47, s[0:1]
	v_cmp_gt_u64_e64 s[2:3], s[16:17], v[46:47]
	v_pk_mov_b32 v[46:47], 0, 0
	v_pk_mov_b32 v[48:49], v[46:47], v[46:47] op_sel:[0,1]
	s_and_saveexec_b64 s[8:9], s[2:3]
	s_cbranch_execz .LBB72_10
; %bb.9:                                ;   in Loop: Header=BB72_4 Depth=1
	v_mov_b32_e32 v49, s33
	v_add_co_u32_e64 v48, s[0:1], s31, v2
	v_addc_co_u32_e64 v49, s[0:1], v3, v49, s[0:1]
	global_load_dwordx2 v[48:49], v[48:49], off
.LBB72_10:                              ;   in Loop: Header=BB72_4 Depth=1
	s_or_b64 exec, exec, s[8:9]
	v_mov_b32_e32 v59, s19
	v_add_co_u32_e64 v60, s[0:1], s18, v1
	v_addc_co_u32_e64 v61, s[0:1], v54, v59, s[0:1]
	v_cmp_gt_u64_e64 s[0:1], s[16:17], v[60:61]
	s_and_saveexec_b64 s[24:25], s[0:1]
	s_cbranch_execnz .LBB72_15
; %bb.11:                               ;   in Loop: Header=BB72_4 Depth=1
	s_or_b64 exec, exec, s[24:25]
	s_and_saveexec_b64 s[8:9], vcc
	s_cbranch_execnz .LBB72_16
.LBB72_12:                              ;   in Loop: Header=BB72_4 Depth=1
	s_or_b64 exec, exec, s[8:9]
	s_and_saveexec_b64 s[8:9], s[6:7]
	s_cbranch_execnz .LBB72_17
.LBB72_13:                              ;   in Loop: Header=BB72_4 Depth=1
	s_or_b64 exec, exec, s[8:9]
	s_and_saveexec_b64 s[6:7], s[2:3]
	s_cbranch_execnz .LBB72_18
.LBB72_14:                              ;   in Loop: Header=BB72_4 Depth=1
	s_or_b64 exec, exec, s[6:7]
	s_and_saveexec_b64 s[2:3], s[0:1]
	s_cbranch_execz .LBB72_3
	s_branch .LBB72_19
.LBB72_15:                              ;   in Loop: Header=BB72_4 Depth=1
	v_mov_b32_e32 v47, s30
	v_add_co_u32_e64 v46, s[8:9], s29, v2
	v_addc_co_u32_e64 v47, s[8:9], v3, v47, s[8:9]
	global_load_dwordx2 v[46:47], v[46:47], off
	s_or_b64 exec, exec, s[24:25]
	s_and_saveexec_b64 s[8:9], vcc
	s_cbranch_execz .LBB72_12
.LBB72_16:                              ;   in Loop: Header=BB72_4 Depth=1
	s_waitcnt vmcnt(0)
	v_and_b32_e32 v61, 0x7fffffff, v53
	v_mov_b32_e32 v60, v52
	v_div_scale_f64 v[62:63], s[24:25], v[60:61], v[60:61], 1.0
	v_rcp_f64_e32 v[64:65], v[62:63]
	v_fma_f64 v[66:67], -v[62:63], v[64:65], 1.0
	v_fmac_f64_e32 v[64:65], v[64:65], v[66:67]
	v_fma_f64 v[66:67], -v[62:63], v[64:65], 1.0
	v_fmac_f64_e32 v[64:65], v[64:65], v[66:67]
	v_div_scale_f64 v[66:67], vcc, 1.0, v[60:61], 1.0
	v_mul_f64 v[68:69], v[66:67], v[64:65]
	v_fma_f64 v[62:63], -v[62:63], v[68:69], v[66:67]
	v_pk_mov_b32 v[66:67], v[8:9], v[8:9] op_sel:[0,1]
	s_nop 0
	v_div_fmas_f64 v[62:63], v[62:63], v[64:65], v[68:69]
	v_div_fixup_f64 v[62:63], v[62:63], |v[52:53]|, 1.0
	v_cmp_gt_f64_e64 vcc, |v[52:53]|, 1.0
	v_cndmask_b32_e32 v61, v61, v63, vcc
	v_cndmask_b32_e32 v60, v60, v62, vcc
	v_mul_f64 v[62:63], v[60:61], v[60:61]
	v_pk_mov_b32 v[64:65], v[6:7], v[6:7] op_sel:[0,1]
	v_fmac_f64_e32 v[64:65], s[20:21], v[62:63]
	v_fmac_f64_e32 v[66:67], v[62:63], v[64:65]
	v_pk_mov_b32 v[64:65], v[10:11], v[10:11] op_sel:[0,1]
	v_fmac_f64_e32 v[64:65], v[62:63], v[66:67]
	v_pk_mov_b32 v[66:67], v[12:13], v[12:13] op_sel:[0,1]
	;; [unrolled: 2-line block ×17, first 2 shown]
	v_fmac_f64_e32 v[64:65], v[62:63], v[66:67]
	v_mul_f64 v[62:63], v[62:63], v[64:65]
	v_fmac_f64_e32 v[60:61], v[60:61], v[62:63]
	v_fma_f64 v[62:63], s[22:23], v[44:45], -v[60:61]
	v_cndmask_b32_e32 v59, v61, v63, vcc
	v_cndmask_b32_e32 v52, v60, v62, vcc
	v_bfi_b32 v53, s34, v59, v53
	global_store_dwordx2 v[2:3], v[52:53], off
	s_or_b64 exec, exec, s[8:9]
	s_and_saveexec_b64 s[8:9], s[6:7]
	s_cbranch_execz .LBB72_13
.LBB72_17:                              ;   in Loop: Header=BB72_4 Depth=1
	s_waitcnt vmcnt(0)
	v_and_b32_e32 v53, 0x7fffffff, v51
	v_mov_b32_e32 v52, v50
	v_div_scale_f64 v[60:61], s[6:7], v[52:53], v[52:53], 1.0
	v_rcp_f64_e32 v[62:63], v[60:61]
	v_fma_f64 v[64:65], -v[60:61], v[62:63], 1.0
	v_fmac_f64_e32 v[62:63], v[62:63], v[64:65]
	v_fma_f64 v[64:65], -v[60:61], v[62:63], 1.0
	v_fmac_f64_e32 v[62:63], v[62:63], v[64:65]
	v_div_scale_f64 v[64:65], vcc, 1.0, v[52:53], 1.0
	v_mul_f64 v[66:67], v[64:65], v[62:63]
	v_fma_f64 v[60:61], -v[60:61], v[66:67], v[64:65]
	v_pk_mov_b32 v[64:65], v[8:9], v[8:9] op_sel:[0,1]
	s_nop 0
	v_div_fmas_f64 v[60:61], v[60:61], v[62:63], v[66:67]
	v_div_fixup_f64 v[60:61], v[60:61], |v[50:51]|, 1.0
	v_cmp_gt_f64_e64 vcc, |v[50:51]|, 1.0
	v_cndmask_b32_e32 v53, v53, v61, vcc
	v_cndmask_b32_e32 v52, v52, v60, vcc
	v_mul_f64 v[60:61], v[52:53], v[52:53]
	v_pk_mov_b32 v[62:63], v[6:7], v[6:7] op_sel:[0,1]
	v_fmac_f64_e32 v[62:63], s[20:21], v[60:61]
	v_fmac_f64_e32 v[64:65], v[60:61], v[62:63]
	v_pk_mov_b32 v[62:63], v[10:11], v[10:11] op_sel:[0,1]
	v_fmac_f64_e32 v[62:63], v[60:61], v[64:65]
	v_pk_mov_b32 v[64:65], v[12:13], v[12:13] op_sel:[0,1]
	;; [unrolled: 2-line block ×17, first 2 shown]
	v_fmac_f64_e32 v[62:63], v[60:61], v[64:65]
	v_mul_f64 v[60:61], v[60:61], v[62:63]
	v_fmac_f64_e32 v[52:53], v[52:53], v[60:61]
	v_fma_f64 v[60:61], s[22:23], v[44:45], -v[52:53]
	v_cndmask_b32_e32 v50, v52, v60, vcc
	v_cndmask_b32_e32 v52, v53, v61, vcc
	v_bfi_b32 v51, s34, v52, v51
	global_store_dwordx2 v[4:5], v[50:51], off
	s_or_b64 exec, exec, s[8:9]
	s_and_saveexec_b64 s[6:7], s[2:3]
	s_cbranch_execz .LBB72_14
.LBB72_18:                              ;   in Loop: Header=BB72_4 Depth=1
	s_waitcnt vmcnt(0)
	v_and_b32_e32 v51, 0x7fffffff, v49
	v_mov_b32_e32 v50, v48
	v_div_scale_f64 v[52:53], s[2:3], v[50:51], v[50:51], 1.0
	v_rcp_f64_e32 v[60:61], v[52:53]
	v_fma_f64 v[62:63], -v[52:53], v[60:61], 1.0
	v_fmac_f64_e32 v[60:61], v[60:61], v[62:63]
	v_fma_f64 v[62:63], -v[52:53], v[60:61], 1.0
	v_fmac_f64_e32 v[60:61], v[60:61], v[62:63]
	v_div_scale_f64 v[62:63], vcc, 1.0, v[50:51], 1.0
	v_mul_f64 v[64:65], v[62:63], v[60:61]
	v_fma_f64 v[52:53], -v[52:53], v[64:65], v[62:63]
	v_pk_mov_b32 v[62:63], v[8:9], v[8:9] op_sel:[0,1]
	s_nop 0
	v_div_fmas_f64 v[52:53], v[52:53], v[60:61], v[64:65]
	v_div_fixup_f64 v[52:53], v[52:53], |v[48:49]|, 1.0
	v_cmp_gt_f64_e64 vcc, |v[48:49]|, 1.0
	v_cndmask_b32_e32 v51, v51, v53, vcc
	v_cndmask_b32_e32 v50, v50, v52, vcc
	v_mul_f64 v[52:53], v[50:51], v[50:51]
	v_pk_mov_b32 v[60:61], v[6:7], v[6:7] op_sel:[0,1]
	v_fmac_f64_e32 v[60:61], s[20:21], v[52:53]
	v_fmac_f64_e32 v[62:63], v[52:53], v[60:61]
	v_pk_mov_b32 v[60:61], v[10:11], v[10:11] op_sel:[0,1]
	v_fmac_f64_e32 v[60:61], v[52:53], v[62:63]
	v_pk_mov_b32 v[62:63], v[12:13], v[12:13] op_sel:[0,1]
	;; [unrolled: 2-line block ×17, first 2 shown]
	v_fmac_f64_e32 v[60:61], v[52:53], v[62:63]
	v_mul_f64 v[52:53], v[52:53], v[60:61]
	v_fmac_f64_e32 v[50:51], v[50:51], v[52:53]
	v_fma_f64 v[52:53], s[22:23], v[44:45], -v[50:51]
	v_cndmask_b32_e32 v48, v50, v52, vcc
	v_cndmask_b32_e32 v50, v51, v53, vcc
	v_bfi_b32 v49, s34, v50, v49
	v_mov_b32_e32 v51, s33
	v_add_co_u32_e32 v50, vcc, s31, v2
	v_addc_co_u32_e32 v51, vcc, v3, v51, vcc
	global_store_dwordx2 v[50:51], v[48:49], off
	s_or_b64 exec, exec, s[6:7]
	s_and_saveexec_b64 s[2:3], s[0:1]
	s_cbranch_execz .LBB72_3
.LBB72_19:                              ;   in Loop: Header=BB72_4 Depth=1
	s_waitcnt vmcnt(0)
	v_and_b32_e32 v49, 0x7fffffff, v47
	v_mov_b32_e32 v48, v46
	v_div_scale_f64 v[50:51], s[0:1], v[48:49], v[48:49], 1.0
	v_rcp_f64_e32 v[52:53], v[50:51]
	v_fma_f64 v[60:61], -v[50:51], v[52:53], 1.0
	v_fmac_f64_e32 v[52:53], v[52:53], v[60:61]
	v_fma_f64 v[60:61], -v[50:51], v[52:53], 1.0
	v_fmac_f64_e32 v[52:53], v[52:53], v[60:61]
	v_div_scale_f64 v[60:61], vcc, 1.0, v[48:49], 1.0
	v_mul_f64 v[62:63], v[60:61], v[52:53]
	v_fma_f64 v[50:51], -v[50:51], v[62:63], v[60:61]
	v_pk_mov_b32 v[60:61], v[8:9], v[8:9] op_sel:[0,1]
	s_nop 0
	v_div_fmas_f64 v[50:51], v[50:51], v[52:53], v[62:63]
	v_div_fixup_f64 v[50:51], v[50:51], |v[46:47]|, 1.0
	v_cmp_gt_f64_e64 vcc, |v[46:47]|, 1.0
	v_cndmask_b32_e32 v49, v49, v51, vcc
	v_cndmask_b32_e32 v48, v48, v50, vcc
	v_mul_f64 v[50:51], v[48:49], v[48:49]
	v_pk_mov_b32 v[52:53], v[6:7], v[6:7] op_sel:[0,1]
	v_fmac_f64_e32 v[52:53], s[20:21], v[50:51]
	v_fmac_f64_e32 v[60:61], v[50:51], v[52:53]
	v_pk_mov_b32 v[52:53], v[10:11], v[10:11] op_sel:[0,1]
	v_fmac_f64_e32 v[52:53], v[50:51], v[60:61]
	v_pk_mov_b32 v[60:61], v[12:13], v[12:13] op_sel:[0,1]
	;; [unrolled: 2-line block ×17, first 2 shown]
	v_fmac_f64_e32 v[52:53], v[50:51], v[60:61]
	v_mul_f64 v[50:51], v[50:51], v[52:53]
	v_fmac_f64_e32 v[48:49], v[48:49], v[50:51]
	v_fma_f64 v[50:51], s[22:23], v[44:45], -v[48:49]
	v_cndmask_b32_e32 v46, v48, v50, vcc
	v_cndmask_b32_e32 v48, v49, v51, vcc
	v_bfi_b32 v47, s34, v48, v47
	v_mov_b32_e32 v49, s30
	v_add_co_u32_e32 v48, vcc, s29, v2
	v_addc_co_u32_e32 v49, vcc, v3, v49, vcc
	global_store_dwordx2 v[48:49], v[46:47], off
	s_branch .LBB72_3
.LBB72_20:
	s_cbranch_execz .LBB72_22
	s_branch .LBB72_25
.LBB72_21:
.LBB72_22:
	v_mov_b32_e32 v5, 0
	v_lshlrev_b32_e32 v4, 2, v0
	s_mov_b32 s0, 0
	v_cmp_gt_i64_e32 vcc, s[10:11], v[4:5]
	s_and_saveexec_b64 s[2:3], vcc
	s_cbranch_execz .LBB72_25
; %bb.23:
	s_load_dword s1, s[4:5], 0xd3c
	v_lshlrev_b32_e32 v1, 5, v0
	s_mov_b32 s6, 0xb5e68a13
	s_mov_b32 s8, 0x69efb384
	;; [unrolled: 1-line block ×3, first 2 shown]
	s_waitcnt lgkmcnt(0)
	s_and_b32 s1, s1, 0xffff
	s_lshl_b32 s33, s1, 2
	s_add_u32 s2, s12, s14
	s_addc_u32 s3, s13, s15
	v_add_lshl_u32 v4, v0, s1, 2
	v_mov_b32_e32 v0, s3
	v_add_co_u32_e32 v1, vcc, s2, v1
	s_mov_b32 s2, 0xbd3237f4
	s_mov_b32 s3, 0xbf23e260
	v_addc_co_u32_e32 v0, vcc, 0, v0, vcc
	v_pk_mov_b32 v[8:9], s[2:3], s[2:3] op_sel:[0,1]
	s_mov_b32 s2, 0xeeb562d6
	v_add_co_u32_e32 v6, vcc, 16, v1
	s_mov_b32 s12, 0xaf56de9b
	s_mov_b32 s14, 0xa595c56f
	;; [unrolled: 1-line block ×18, first 2 shown]
	v_addc_co_u32_e32 v7, vcc, 0, v0, vcc
	s_lshl_b32 s52, s1, 5
	s_mov_b64 s[4:5], 0
	s_brev_b32 s53, -2
	s_mov_b32 s7, 0x3eeba404
	s_mov_b32 s9, 0x3f4b2bb0
	;; [unrolled: 1-line block ×20, first 2 shown]
	v_pk_mov_b32 v[10:11], s[2:3], s[2:3] op_sel:[0,1]
	s_mov_b64 s[50:51], 0xffff
	v_mov_b32_e32 v12, s0
	v_mov_b32_e32 v13, s0
.LBB72_24:                              ; =>This Inner Loop Header: Depth=1
	global_load_dwordx4 v[14:17], v[6:7], off offset:-16
	global_load_dwordx4 v[0:3], v[6:7], off
	s_waitcnt vmcnt(1)
	v_and_b32_e32 v19, 0x7fffffff, v15
	v_mov_b32_e32 v18, v14
	v_and_b32_e32 v21, 0x7fffffff, v17
	v_mov_b32_e32 v20, v16
	v_div_scale_f64 v[24:25], s[0:1], v[18:19], v[18:19], 1.0
	s_waitcnt vmcnt(0)
	v_and_b32_e32 v23, 0x7fffffff, v1
	v_mov_b32_e32 v22, v0
	v_div_scale_f64 v[28:29], s[0:1], v[20:21], v[20:21], 1.0
	v_rcp_f64_e32 v[34:35], v[24:25]
	v_div_scale_f64 v[32:33], s[2:3], v[22:23], v[22:23], 1.0
	v_rcp_f64_e32 v[36:37], v[28:29]
	v_rcp_f64_e32 v[38:39], v[32:33]
	v_fma_f64 v[42:43], -v[24:25], v[34:35], 1.0
	v_fmac_f64_e32 v[34:35], v[34:35], v[42:43]
	v_fma_f64 v[44:45], -v[28:29], v[36:37], 1.0
	v_fma_f64 v[46:47], -v[32:33], v[38:39], 1.0
	v_fmac_f64_e32 v[36:37], v[36:37], v[44:45]
	v_fma_f64 v[42:43], -v[24:25], v[34:35], 1.0
	v_div_scale_f64 v[26:27], vcc, 1.0, v[18:19], 1.0
	v_fmac_f64_e32 v[38:39], v[38:39], v[46:47]
	v_fma_f64 v[44:45], -v[28:29], v[36:37], 1.0
	v_fmac_f64_e32 v[34:35], v[34:35], v[42:43]
	v_div_scale_f64 v[30:31], s[0:1], 1.0, v[20:21], 1.0
	v_fma_f64 v[46:47], -v[32:33], v[38:39], 1.0
	v_fmac_f64_e32 v[36:37], v[36:37], v[44:45]
	v_mul_f64 v[42:43], v[26:27], v[34:35]
	v_div_scale_f64 v[40:41], s[2:3], 1.0, v[22:23], 1.0
	v_fmac_f64_e32 v[38:39], v[38:39], v[46:47]
	v_mul_f64 v[44:45], v[30:31], v[36:37]
	v_fma_f64 v[24:25], -v[24:25], v[42:43], v[26:27]
	v_mul_f64 v[46:47], v[40:41], v[38:39]
	v_fma_f64 v[26:27], -v[28:29], v[44:45], v[30:31]
	v_div_fmas_f64 v[24:25], v[24:25], v[34:35], v[42:43]
	s_mov_b64 vcc, s[0:1]
	v_fma_f64 v[28:29], -v[32:33], v[46:47], v[40:41]
	v_div_fixup_f64 v[24:25], v[24:25], |v[14:15]|, 1.0
	v_div_fmas_f64 v[26:27], v[26:27], v[36:37], v[44:45]
	v_cmp_gt_f64_e64 s[0:1], |v[14:15]|, 1.0
	s_mov_b64 vcc, s[2:3]
	v_cndmask_b32_e64 v19, v19, v25, s[0:1]
	v_cndmask_b32_e64 v18, v14, v24, s[0:1]
	v_div_fixup_f64 v[24:25], v[26:27], |v[16:17]|, 1.0
	v_div_fmas_f64 v[26:27], v[28:29], v[38:39], v[46:47]
	v_cmp_gt_f64_e64 vcc, |v[16:17]|, 1.0
	v_mul_f64 v[28:29], v[18:19], v[18:19]
	v_cndmask_b32_e32 v21, v21, v25, vcc
	v_cndmask_b32_e32 v20, v16, v24, vcc
	v_div_fixup_f64 v[24:25], v[26:27], |v[0:1]|, 1.0
	v_fma_f64 v[26:27], s[6:7], v[28:29], v[8:9]
	v_mul_f64 v[30:31], v[20:21], v[20:21]
	v_cmp_gt_f64_e64 s[2:3], |v[0:1]|, 1.0
	v_cndmask_b32_e64 v23, v23, v25, s[2:3]
	v_cndmask_b32_e64 v22, v0, v24, s[2:3]
	v_fma_f64 v[24:25], v[28:29], v[26:27], s[8:9]
	v_fma_f64 v[26:27], s[6:7], v[30:31], v[8:9]
	v_fma_f64 v[24:25], v[28:29], v[24:25], s[12:13]
	v_fma_f64 v[26:27], v[30:31], v[26:27], s[8:9]
	v_fma_f64 v[24:25], v[28:29], v[24:25], s[14:15]
	v_fma_f64 v[26:27], v[30:31], v[26:27], s[12:13]
	v_fma_f64 v[24:25], v[28:29], v[24:25], s[16:17]
	v_fma_f64 v[26:27], v[30:31], v[26:27], s[14:15]
	v_fma_f64 v[24:25], v[28:29], v[24:25], s[18:19]
	v_fma_f64 v[26:27], v[30:31], v[26:27], s[16:17]
	v_fma_f64 v[24:25], v[28:29], v[24:25], s[20:21]
	v_fma_f64 v[26:27], v[30:31], v[26:27], s[18:19]
	v_fma_f64 v[24:25], v[28:29], v[24:25], s[22:23]
	v_fma_f64 v[26:27], v[30:31], v[26:27], s[20:21]
	v_fma_f64 v[24:25], v[28:29], v[24:25], s[24:25]
	v_fma_f64 v[26:27], v[30:31], v[26:27], s[22:23]
	v_fma_f64 v[24:25], v[28:29], v[24:25], s[26:27]
	v_fma_f64 v[26:27], v[30:31], v[26:27], s[24:25]
	v_fma_f64 v[24:25], v[28:29], v[24:25], s[28:29]
	v_fma_f64 v[26:27], v[30:31], v[26:27], s[26:27]
	v_fma_f64 v[24:25], v[28:29], v[24:25], s[30:31]
	v_fma_f64 v[26:27], v[30:31], v[26:27], s[28:29]
	v_fma_f64 v[24:25], v[28:29], v[24:25], s[34:35]
	v_fma_f64 v[26:27], v[30:31], v[26:27], s[30:31]
	v_mul_f64 v[32:33], v[22:23], v[22:23]
	v_fma_f64 v[24:25], v[28:29], v[24:25], s[36:37]
	v_fma_f64 v[26:27], v[30:31], v[26:27], s[34:35]
	;; [unrolled: 1-line block ×18, first 2 shown]
	v_mul_f64 v[24:25], v[28:29], v[24:25]
	v_fma_f64 v[26:27], v[30:31], v[26:27], s[46:47]
	v_fma_f64 v[34:35], v[32:33], v[34:35], s[20:21]
	v_fmac_f64_e32 v[18:19], v[18:19], v[24:25]
	v_mul_f64 v[24:25], v[30:31], v[26:27]
	v_fma_f64 v[34:35], v[32:33], v[34:35], s[22:23]
	v_fma_f64 v[26:27], s[48:49], v[10:11], -v[18:19]
	v_fmac_f64_e32 v[20:21], v[20:21], v[24:25]
	v_fma_f64 v[34:35], v[32:33], v[34:35], s[24:25]
	v_cndmask_b32_e64 v14, v18, v26, s[0:1]
	v_cndmask_b32_e64 v0, v19, v27, s[0:1]
	v_fma_f64 v[18:19], s[48:49], v[10:11], -v[20:21]
	v_bfi_b32 v15, s53, v0, v15
	v_cndmask_b32_e32 v16, v20, v18, vcc
	v_cndmask_b32_e32 v0, v21, v19, vcc
	v_fma_f64 v[18:19], v[32:33], v[34:35], s[26:27]
	v_fma_f64 v[18:19], v[32:33], v[18:19], s[28:29]
	;; [unrolled: 1-line block ×9, first 2 shown]
	v_and_b32_e32 v21, 0x7fffffff, v3
	v_mov_b32_e32 v20, v2
	v_fma_f64 v[18:19], v[32:33], v[18:19], s[46:47]
	v_div_scale_f64 v[24:25], s[0:1], v[20:21], v[20:21], 1.0
	v_mul_f64 v[18:19], v[32:33], v[18:19]
	v_rcp_f64_e32 v[26:27], v[24:25]
	v_fmac_f64_e32 v[22:23], v[22:23], v[18:19]
	v_fma_f64 v[18:19], s[48:49], v[10:11], -v[22:23]
	v_bfi_b32 v17, s53, v0, v17
	v_cndmask_b32_e64 v0, v22, v18, s[2:3]
	v_cndmask_b32_e64 v18, v23, v19, s[2:3]
	v_bfi_b32 v1, s53, v18, v1
	v_fma_f64 v[18:19], -v[24:25], v[26:27], 1.0
	v_fmac_f64_e32 v[26:27], v[26:27], v[18:19]
	v_fma_f64 v[18:19], -v[24:25], v[26:27], 1.0
	v_fmac_f64_e32 v[26:27], v[26:27], v[18:19]
	v_div_scale_f64 v[18:19], vcc, 1.0, v[20:21], 1.0
	v_mul_f64 v[22:23], v[18:19], v[26:27]
	v_fma_f64 v[18:19], -v[24:25], v[22:23], v[18:19]
	v_cmp_lt_u64_e64 s[0:1], s[50:51], v[4:5]
	s_nop 0
	v_div_fmas_f64 v[18:19], v[18:19], v[26:27], v[22:23]
	v_div_fixup_f64 v[18:19], v[18:19], |v[2:3]|, 1.0
	v_cmp_gt_f64_e64 vcc, |v[2:3]|, 1.0
	v_cndmask_b32_e32 v19, v21, v19, vcc
	v_cndmask_b32_e32 v18, v2, v18, vcc
	v_mul_f64 v[20:21], v[18:19], v[18:19]
	v_fma_f64 v[22:23], s[6:7], v[20:21], v[8:9]
	v_fma_f64 v[22:23], v[20:21], v[22:23], s[8:9]
	;; [unrolled: 1-line block ×19, first 2 shown]
	v_mul_f64 v[20:21], v[20:21], v[22:23]
	v_fmac_f64_e32 v[18:19], v[18:19], v[20:21]
	v_fma_f64 v[20:21], s[48:49], v[10:11], -v[18:19]
	v_cndmask_b32_e32 v2, v18, v20, vcc
	v_cndmask_b32_e32 v18, v19, v21, vcc
	v_cmp_le_i64_e32 vcc, s[10:11], v[4:5]
	s_or_b64 s[0:1], vcc, s[0:1]
	v_add_co_u32_e32 v4, vcc, s33, v4
	v_addc_co_u32_e32 v5, vcc, v5, v12, vcc
	v_bfi_b32 v3, s53, v18, v3
	global_store_dwordx4 v[6:7], v[14:17], off offset:-16
	global_store_dwordx4 v[6:7], v[0:3], off
	s_and_b64 s[0:1], exec, s[0:1]
	v_add_co_u32_e32 v6, vcc, s52, v6
	s_or_b64 s[4:5], s[0:1], s[4:5]
	v_addc_co_u32_e32 v7, vcc, v7, v13, vcc
	s_andn2_b64 exec, exec, s[4:5]
	s_cbranch_execnz .LBB72_24
.LBB72_25:
	s_endpgm
	.section	.rodata,"a",@progbits
	.p2align	6, 0x0
	.amdhsa_kernel _ZN2at6native12_GLOBAL__N_125multi_tensor_apply_kernelINS1_18TensorListMetadataILi1EEENS1_14UnaryOpFunctorIdLi1ELi1ELi0EEEJNS0_4AtanIdEEEEEvT_T0_DpT1_
		.amdhsa_group_segment_fixed_size 0
		.amdhsa_private_segment_fixed_size 0
		.amdhsa_kernarg_size 3632
		.amdhsa_user_sgpr_count 6
		.amdhsa_user_sgpr_private_segment_buffer 1
		.amdhsa_user_sgpr_dispatch_ptr 0
		.amdhsa_user_sgpr_queue_ptr 0
		.amdhsa_user_sgpr_kernarg_segment_ptr 1
		.amdhsa_user_sgpr_dispatch_id 0
		.amdhsa_user_sgpr_flat_scratch_init 0
		.amdhsa_user_sgpr_kernarg_preload_length 0
		.amdhsa_user_sgpr_kernarg_preload_offset 0
		.amdhsa_user_sgpr_private_segment_size 0
		.amdhsa_uses_dynamic_stack 0
		.amdhsa_system_sgpr_private_segment_wavefront_offset 0
		.amdhsa_system_sgpr_workgroup_id_x 1
		.amdhsa_system_sgpr_workgroup_id_y 0
		.amdhsa_system_sgpr_workgroup_id_z 0
		.amdhsa_system_sgpr_workgroup_info 0
		.amdhsa_system_vgpr_workitem_id 0
		.amdhsa_next_free_vgpr 70
		.amdhsa_next_free_sgpr 54
		.amdhsa_accum_offset 72
		.amdhsa_reserve_vcc 1
		.amdhsa_reserve_flat_scratch 0
		.amdhsa_float_round_mode_32 0
		.amdhsa_float_round_mode_16_64 0
		.amdhsa_float_denorm_mode_32 3
		.amdhsa_float_denorm_mode_16_64 3
		.amdhsa_dx10_clamp 1
		.amdhsa_ieee_mode 1
		.amdhsa_fp16_overflow 0
		.amdhsa_tg_split 0
		.amdhsa_exception_fp_ieee_invalid_op 0
		.amdhsa_exception_fp_denorm_src 0
		.amdhsa_exception_fp_ieee_div_zero 0
		.amdhsa_exception_fp_ieee_overflow 0
		.amdhsa_exception_fp_ieee_underflow 0
		.amdhsa_exception_fp_ieee_inexact 0
		.amdhsa_exception_int_div_zero 0
	.end_amdhsa_kernel
	.section	.text._ZN2at6native12_GLOBAL__N_125multi_tensor_apply_kernelINS1_18TensorListMetadataILi1EEENS1_14UnaryOpFunctorIdLi1ELi1ELi0EEEJNS0_4AtanIdEEEEEvT_T0_DpT1_,"axG",@progbits,_ZN2at6native12_GLOBAL__N_125multi_tensor_apply_kernelINS1_18TensorListMetadataILi1EEENS1_14UnaryOpFunctorIdLi1ELi1ELi0EEEJNS0_4AtanIdEEEEEvT_T0_DpT1_,comdat
.Lfunc_end72:
	.size	_ZN2at6native12_GLOBAL__N_125multi_tensor_apply_kernelINS1_18TensorListMetadataILi1EEENS1_14UnaryOpFunctorIdLi1ELi1ELi0EEEJNS0_4AtanIdEEEEEvT_T0_DpT1_, .Lfunc_end72-_ZN2at6native12_GLOBAL__N_125multi_tensor_apply_kernelINS1_18TensorListMetadataILi1EEENS1_14UnaryOpFunctorIdLi1ELi1ELi0EEEJNS0_4AtanIdEEEEEvT_T0_DpT1_
                                        ; -- End function
	.section	.AMDGPU.csdata,"",@progbits
; Kernel info:
; codeLenInByte = 4520
; NumSgprs: 58
; NumVgprs: 70
; NumAgprs: 0
; TotalNumVgprs: 70
; ScratchSize: 0
; MemoryBound: 0
; FloatMode: 240
; IeeeMode: 1
; LDSByteSize: 0 bytes/workgroup (compile time only)
; SGPRBlocks: 7
; VGPRBlocks: 8
; NumSGPRsForWavesPerEU: 58
; NumVGPRsForWavesPerEU: 70
; AccumOffset: 72
; Occupancy: 7
; WaveLimiterHint : 0
; COMPUTE_PGM_RSRC2:SCRATCH_EN: 0
; COMPUTE_PGM_RSRC2:USER_SGPR: 6
; COMPUTE_PGM_RSRC2:TRAP_HANDLER: 0
; COMPUTE_PGM_RSRC2:TGID_X_EN: 1
; COMPUTE_PGM_RSRC2:TGID_Y_EN: 0
; COMPUTE_PGM_RSRC2:TGID_Z_EN: 0
; COMPUTE_PGM_RSRC2:TIDIG_COMP_CNT: 0
; COMPUTE_PGM_RSRC3_GFX90A:ACCUM_OFFSET: 17
; COMPUTE_PGM_RSRC3_GFX90A:TG_SPLIT: 0
	.section	.text._ZN2at6native12_GLOBAL__N_125multi_tensor_apply_kernelINS1_18TensorListMetadataILi1EEENS1_14UnaryOpFunctorIfLi1ELi1ELi0EEEJNS0_4AtanIfEEEEEvT_T0_DpT1_,"axG",@progbits,_ZN2at6native12_GLOBAL__N_125multi_tensor_apply_kernelINS1_18TensorListMetadataILi1EEENS1_14UnaryOpFunctorIfLi1ELi1ELi0EEEJNS0_4AtanIfEEEEEvT_T0_DpT1_,comdat
	.globl	_ZN2at6native12_GLOBAL__N_125multi_tensor_apply_kernelINS1_18TensorListMetadataILi1EEENS1_14UnaryOpFunctorIfLi1ELi1ELi0EEEJNS0_4AtanIfEEEEEvT_T0_DpT1_ ; -- Begin function _ZN2at6native12_GLOBAL__N_125multi_tensor_apply_kernelINS1_18TensorListMetadataILi1EEENS1_14UnaryOpFunctorIfLi1ELi1ELi0EEEJNS0_4AtanIfEEEEEvT_T0_DpT1_
	.p2align	8
	.type	_ZN2at6native12_GLOBAL__N_125multi_tensor_apply_kernelINS1_18TensorListMetadataILi1EEENS1_14UnaryOpFunctorIfLi1ELi1ELi0EEEJNS0_4AtanIfEEEEEvT_T0_DpT1_,@function
_ZN2at6native12_GLOBAL__N_125multi_tensor_apply_kernelINS1_18TensorListMetadataILi1EEENS1_14UnaryOpFunctorIfLi1ELi1ELi0EEEJNS0_4AtanIfEEEEEvT_T0_DpT1_: ; @_ZN2at6native12_GLOBAL__N_125multi_tensor_apply_kernelINS1_18TensorListMetadataILi1EEENS1_14UnaryOpFunctorIfLi1ELi1ELi0EEEJNS0_4AtanIfEEEEEvT_T0_DpT1_
; %bb.0:
	v_mov_b32_e32 v1, s6
	global_load_ubyte v1, v1, s[4:5] offset:1760
	s_add_u32 s0, s4, s6
	s_mul_hi_u32 s1, s6, 3
	s_mul_i32 s6, s6, 3
	s_addc_u32 s2, s5, 0
	s_add_u32 s0, s0, s6
	s_addc_u32 s1, s2, s1
	s_load_dword s0, s[0:1], 0x820
	s_mov_b32 s7, 0
	s_waitcnt vmcnt(0)
	v_readfirstlane_b32 s2, v1
	s_lshl_b32 s1, s2, 3
	s_load_dwordx2 s[2:3], s[4:5], s1 offset:0x370
	s_load_dwordx2 s[12:13], s[4:5], s1 offset:0x0
	s_waitcnt lgkmcnt(0)
	s_ashr_i32 s1, s0, 31
	s_lshl_b64 s[14:15], s[0:1], 18
	s_lshl_b64 s[0:1], s[0:1], 16
	s_and_b32 s6, s12, 15
	s_sub_u32 s10, s2, s0
	s_subb_u32 s11, s3, s1
	s_and_b32 s0, s2, 3
	s_mov_b32 s1, s7
	s_or_b64 s[0:1], s[6:7], s[0:1]
	s_cmp_eq_u64 s[0:1], 0
	s_cbranch_scc1 .LBB73_21
; %bb.1:
	v_cmp_lt_i64_e64 s[0:1], s[10:11], 1
	s_and_b64 vcc, exec, s[0:1]
	s_cbranch_vccnz .LBB73_20
; %bb.2:
	s_load_dword s0, s[4:5], 0xd3c
	v_mov_b32_e32 v2, 0x10000
	v_mov_b32_e32 v3, 0
	v_cmp_lt_u64_e32 vcc, s[10:11], v[2:3]
	v_lshlrev_b32_e32 v1, 2, v0
	s_waitcnt lgkmcnt(0)
	s_and_b32 s3, s0, 0xffff
	s_and_b64 s[0:1], vcc, exec
	s_cselect_b32 s17, s11, 0
	s_cselect_b32 s16, s10, 0x10000
	s_lshl_b32 s6, s3, 1
	s_lshl_b32 s22, s3, 2
	s_add_u32 s7, s12, s14
	s_addc_u32 s8, s13, s15
	v_mov_b32_e32 v3, s8
	v_add_co_u32_e32 v2, vcc, s7, v1
	s_mul_i32 s0, s3, 3
	v_addc_co_u32_e32 v3, vcc, 0, v3, vcc
	v_add_co_u32_e32 v1, vcc, s0, v0
	v_addc_co_u32_e64 v8, s[0:1], 0, 0, vcc
	v_add_co_u32_e32 v9, vcc, s6, v0
	v_addc_co_u32_e64 v10, s[0:1], 0, 0, vcc
	v_add_co_u32_e32 v11, vcc, s3, v0
	v_lshlrev_b32_e32 v4, 2, v11
	s_mov_b32 s2, 0
	v_addc_co_u32_e64 v12, s[0:1], 0, 0, vcc
	v_mov_b32_e32 v5, s8
	v_add_co_u32_e32 v4, vcc, s7, v4
	s_lshl_b32 s23, s3, 4
	s_mul_i32 s24, s3, 12
	s_mov_b32 s25, s2
	s_lshl_b32 s26, s3, 3
	s_mov_b32 s27, s2
	v_addc_co_u32_e32 v5, vcc, 0, v5, vcc
	s_mov_b64 s[18:19], 0
	v_mov_b32_e32 v13, 0x3d29fb3f
	v_mov_b32_e32 v14, 0xbd97d4d7
	;; [unrolled: 1-line block ×6, first 2 shown]
	s_brev_b32 s28, -2
	v_pk_mov_b32 v[6:7], s[10:11], s[10:11] op_sel:[0,1]
	v_mov_b32_e32 v19, s2
	s_branch .LBB73_4
.LBB73_3:                               ;   in Loop: Header=BB73_4 Depth=1
	s_or_b64 exec, exec, s[0:1]
	s_add_u32 s18, s18, s22
	s_waitcnt vmcnt(0)
	v_mov_b32_e32 v20, 0x10000
	s_addc_u32 s19, s19, 0
	v_mov_b32_e32 v21, 0
	v_cmp_lt_i64_e32 vcc, s[18:19], v[6:7]
	v_cmp_lt_u64_e64 s[0:1], s[18:19], v[20:21]
	s_and_b64 s[0:1], vcc, s[0:1]
	v_add_co_u32_e32 v2, vcc, s23, v2
	v_addc_co_u32_e32 v3, vcc, v3, v19, vcc
	v_add_co_u32_e32 v4, vcc, s23, v4
	v_addc_co_u32_e32 v5, vcc, v5, v19, vcc
	s_and_b64 vcc, exec, s[0:1]
	s_cbranch_vccz .LBB73_20
.LBB73_4:                               ; =>This Inner Loop Header: Depth=1
	v_mov_b32_e32 v21, s19
	v_add_co_u32_e32 v20, vcc, s18, v0
	v_addc_co_u32_e32 v21, vcc, 0, v21, vcc
	v_cmp_gt_u64_e64 s[6:7], s[16:17], v[20:21]
	v_mov_b32_e32 v23, 0
	s_and_saveexec_b64 s[0:1], s[6:7]
	s_cbranch_execz .LBB73_6
; %bb.5:                                ;   in Loop: Header=BB73_4 Depth=1
	global_load_dword v23, v[2:3], off
.LBB73_6:                               ;   in Loop: Header=BB73_4 Depth=1
	s_or_b64 exec, exec, s[0:1]
	v_mov_b32_e32 v21, s19
	v_add_co_u32_e32 v20, vcc, s18, v11
	v_addc_co_u32_e32 v21, vcc, v12, v21, vcc
	v_cmp_gt_u64_e64 s[2:3], s[16:17], v[20:21]
	v_mov_b32_e32 v22, 0
	s_and_saveexec_b64 s[0:1], s[2:3]
	s_cbranch_execz .LBB73_8
; %bb.7:                                ;   in Loop: Header=BB73_4 Depth=1
	global_load_dword v22, v[4:5], off
.LBB73_8:                               ;   in Loop: Header=BB73_4 Depth=1
	s_or_b64 exec, exec, s[0:1]
	v_mov_b32_e32 v21, s19
	v_add_co_u32_e32 v20, vcc, s18, v9
	v_addc_co_u32_e32 v21, vcc, v10, v21, vcc
	v_cmp_gt_u64_e64 s[0:1], s[16:17], v[20:21]
	v_mov_b32_e32 v20, 0
	v_mov_b32_e32 v21, 0
	s_and_saveexec_b64 s[8:9], s[0:1]
	s_cbranch_execz .LBB73_10
; %bb.9:                                ;   in Loop: Header=BB73_4 Depth=1
	v_mov_b32_e32 v21, s27
	v_add_co_u32_e32 v24, vcc, s26, v2
	v_addc_co_u32_e32 v25, vcc, v3, v21, vcc
	global_load_dword v21, v[24:25], off
.LBB73_10:                              ;   in Loop: Header=BB73_4 Depth=1
	s_or_b64 exec, exec, s[8:9]
	v_mov_b32_e32 v25, s19
	v_add_co_u32_e32 v24, vcc, s18, v1
	v_addc_co_u32_e32 v25, vcc, v8, v25, vcc
	v_cmp_gt_u64_e32 vcc, s[16:17], v[24:25]
	s_and_saveexec_b64 s[20:21], vcc
	s_cbranch_execnz .LBB73_15
; %bb.11:                               ;   in Loop: Header=BB73_4 Depth=1
	s_or_b64 exec, exec, s[20:21]
	s_and_saveexec_b64 s[8:9], s[6:7]
	s_cbranch_execnz .LBB73_16
.LBB73_12:                              ;   in Loop: Header=BB73_4 Depth=1
	s_or_b64 exec, exec, s[8:9]
	s_and_saveexec_b64 s[6:7], s[2:3]
	s_cbranch_execnz .LBB73_17
.LBB73_13:                              ;   in Loop: Header=BB73_4 Depth=1
	s_or_b64 exec, exec, s[6:7]
	s_and_saveexec_b64 s[2:3], s[0:1]
	s_cbranch_execnz .LBB73_18
.LBB73_14:                              ;   in Loop: Header=BB73_4 Depth=1
	s_or_b64 exec, exec, s[2:3]
	s_and_saveexec_b64 s[0:1], vcc
	s_cbranch_execz .LBB73_3
	s_branch .LBB73_19
.LBB73_15:                              ;   in Loop: Header=BB73_4 Depth=1
	v_mov_b32_e32 v20, s25
	v_add_co_u32_e64 v24, s[8:9], s24, v2
	v_addc_co_u32_e64 v25, s[8:9], v3, v20, s[8:9]
	global_load_dword v20, v[24:25], off
	s_or_b64 exec, exec, s[20:21]
	s_and_saveexec_b64 s[8:9], s[6:7]
	s_cbranch_execz .LBB73_12
.LBB73_16:                              ;   in Loop: Header=BB73_4 Depth=1
	s_waitcnt vmcnt(0)
	v_rcp_f32_e64 v24, |v23|
	v_cmp_gt_f32_e64 s[6:7], |v23|, 1.0
	v_mov_b32_e32 v26, 0xbc7a590c
	v_cndmask_b32_e64 v24, |v23|, v24, s[6:7]
	v_mul_f32_e32 v25, v24, v24
	v_fmac_f32_e32 v26, 0x3b2d2a58, v25
	v_fma_f32 v26, v25, v26, v13
	v_fma_f32 v26, v25, v26, v14
	;; [unrolled: 1-line block ×6, first 2 shown]
	v_mul_f32_e32 v25, v25, v26
	v_fmac_f32_e32 v24, v24, v25
	v_sub_f32_e32 v25, 0x3fc90fdb, v24
	v_cndmask_b32_e64 v24, v24, v25, s[6:7]
	v_bfi_b32 v23, s28, v24, v23
	global_store_dword v[2:3], v23, off
	s_or_b64 exec, exec, s[8:9]
	s_and_saveexec_b64 s[6:7], s[2:3]
	s_cbranch_execz .LBB73_13
.LBB73_17:                              ;   in Loop: Header=BB73_4 Depth=1
	s_waitcnt vmcnt(0)
	v_rcp_f32_e64 v23, |v22|
	v_cmp_gt_f32_e64 s[2:3], |v22|, 1.0
	v_mov_b32_e32 v25, 0xbc7a590c
	v_cndmask_b32_e64 v23, |v22|, v23, s[2:3]
	v_mul_f32_e32 v24, v23, v23
	v_fmac_f32_e32 v25, 0x3b2d2a58, v24
	v_fma_f32 v25, v24, v25, v13
	v_fma_f32 v25, v24, v25, v14
	v_fma_f32 v25, v24, v25, v15
	v_fma_f32 v25, v24, v25, v16
	v_fma_f32 v25, v24, v25, v17
	v_fma_f32 v25, v24, v25, v18
	v_mul_f32_e32 v24, v24, v25
	v_fmac_f32_e32 v23, v23, v24
	v_sub_f32_e32 v24, 0x3fc90fdb, v23
	v_cndmask_b32_e64 v23, v23, v24, s[2:3]
	v_bfi_b32 v22, s28, v23, v22
	global_store_dword v[4:5], v22, off
	s_or_b64 exec, exec, s[6:7]
	s_and_saveexec_b64 s[2:3], s[0:1]
	s_cbranch_execz .LBB73_14
.LBB73_18:                              ;   in Loop: Header=BB73_4 Depth=1
	s_waitcnt vmcnt(0)
	v_rcp_f32_e64 v22, |v21|
	v_cmp_gt_f32_e64 s[0:1], |v21|, 1.0
	v_mov_b32_e32 v23, 0xbc7a590c
	v_mov_b32_e32 v24, s27
	v_cndmask_b32_e64 v22, |v21|, v22, s[0:1]
	v_mul_f32_e32 v25, v22, v22
	v_fmac_f32_e32 v23, 0x3b2d2a58, v25
	v_fma_f32 v23, v25, v23, v13
	v_fma_f32 v23, v25, v23, v14
	;; [unrolled: 1-line block ×6, first 2 shown]
	v_mul_f32_e32 v23, v25, v23
	v_fmac_f32_e32 v22, v22, v23
	v_sub_f32_e32 v23, 0x3fc90fdb, v22
	v_cndmask_b32_e64 v22, v22, v23, s[0:1]
	v_bfi_b32 v21, s28, v22, v21
	v_add_co_u32_e64 v22, s[0:1], s26, v2
	v_addc_co_u32_e64 v23, s[0:1], v3, v24, s[0:1]
	global_store_dword v[22:23], v21, off
	s_or_b64 exec, exec, s[2:3]
	s_and_saveexec_b64 s[0:1], vcc
	s_cbranch_execz .LBB73_3
.LBB73_19:                              ;   in Loop: Header=BB73_4 Depth=1
	s_waitcnt vmcnt(0)
	v_rcp_f32_e64 v21, |v20|
	v_cmp_gt_f32_e64 vcc, |v20|, 1.0
	v_mov_b32_e32 v22, 0xbc7a590c
	v_mov_b32_e32 v23, s25
	v_cndmask_b32_e64 v21, |v20|, v21, vcc
	v_mul_f32_e32 v24, v21, v21
	v_fmac_f32_e32 v22, 0x3b2d2a58, v24
	v_fma_f32 v22, v24, v22, v13
	v_fma_f32 v22, v24, v22, v14
	;; [unrolled: 1-line block ×6, first 2 shown]
	v_mul_f32_e32 v22, v24, v22
	v_fmac_f32_e32 v21, v21, v22
	v_sub_f32_e32 v22, 0x3fc90fdb, v21
	v_cndmask_b32_e32 v21, v21, v22, vcc
	v_bfi_b32 v22, s28, v21, v20
	v_add_co_u32_e32 v20, vcc, s24, v2
	v_addc_co_u32_e32 v21, vcc, v3, v23, vcc
	global_store_dword v[20:21], v22, off
	s_branch .LBB73_3
.LBB73_20:
	s_cbranch_execz .LBB73_22
	s_branch .LBB73_25
.LBB73_21:
.LBB73_22:
	v_mov_b32_e32 v3, 0
	v_lshlrev_b32_e32 v2, 2, v0
	s_mov_b32 s0, 0
	v_cmp_gt_i64_e32 vcc, s[10:11], v[2:3]
	s_and_saveexec_b64 s[2:3], vcc
	s_cbranch_execz .LBB73_25
; %bb.23:
	s_load_dword s1, s[4:5], 0xd3c
	v_lshlrev_b32_e32 v1, 4, v0
	s_mov_b64 s[6:7], 0
	s_mov_b32 s8, 0x3b2d2a58
	s_mov_b32 s16, 0x3dd931b2
	s_waitcnt lgkmcnt(0)
	s_and_b32 s1, s1, 0xffff
	s_add_u32 s2, s12, s14
	s_addc_u32 s3, s13, s15
	v_mov_b32_e32 v2, s3
	v_add_co_u32_e32 v1, vcc, s2, v1
	v_addc_co_u32_e32 v2, vcc, 0, v2, vcc
	v_add_co_u32_e32 v4, vcc, 8, v1
	s_mov_b32 s2, 0xbc7a590c
	v_addc_co_u32_e32 v5, vcc, 0, v2, vcc
	s_lshl_b32 s9, s1, 4
	v_add_lshl_u32 v2, v0, s1, 2
	s_lshl_b32 s13, s1, 2
	v_pk_mov_b32 v[0:1], s[2:3], s[2:3] op_sel:[0,1]
	s_mov_b32 s12, 0x3d29fb3f
	s_mov_b32 s14, 0xbd97d4d7
	s_mov_b32 s18, 0xbe1160e6
	s_mov_b32 s20, 0x3e4cb8bf
	s_mov_b32 s22, 0xbeaaaa62
	s_mov_b32 s24, 0x3fc90fdb
	s_brev_b32 s15, -2
	s_mov_b64 s[26:27], 0xffff
	v_mov_b32_e32 v6, s0
	v_mov_b32_e32 v7, s0
.LBB73_24:                              ; =>This Inner Loop Header: Depth=1
	global_load_dwordx4 v[8:11], v[4:5], off offset:-8
	v_cmp_le_i64_e32 vcc, s[10:11], v[2:3]
	v_cmp_lt_u64_e64 s[0:1], s[26:27], v[2:3]
	s_or_b64 s[0:1], vcc, s[0:1]
	s_and_b64 s[0:1], exec, s[0:1]
	s_or_b64 s[6:7], s[0:1], s[6:7]
	s_waitcnt vmcnt(0)
	v_rcp_f32_e64 v12, |v8|
	v_rcp_f32_e64 v13, |v9|
	;; [unrolled: 1-line block ×4, first 2 shown]
	v_cmp_gt_f32_e64 vcc, |v9|, 1.0
	v_cmp_gt_f32_e64 s[0:1], |v8|, 1.0
	v_cmp_gt_f32_e64 s[2:3], |v11|, 1.0
	;; [unrolled: 1-line block ×3, first 2 shown]
	v_cndmask_b32_e64 v13, |v9|, v13, vcc
	v_cndmask_b32_e64 v12, |v8|, v12, s[0:1]
	v_cndmask_b32_e64 v15, |v11|, v15, s[2:3]
	;; [unrolled: 1-line block ×3, first 2 shown]
	v_pk_mul_f32 v[16:17], v[12:13], v[12:13]
	v_pk_mul_f32 v[18:19], v[14:15], v[14:15]
	v_pk_fma_f32 v[20:21], v[16:17], s[8:9], v[0:1] op_sel_hi:[1,0,0]
	v_pk_fma_f32 v[22:23], v[18:19], s[8:9], v[0:1] op_sel_hi:[1,0,0]
	;; [unrolled: 1-line block ×14, first 2 shown]
	v_pk_mul_f32 v[16:17], v[16:17], v[20:21]
	v_pk_mul_f32 v[18:19], v[18:19], v[22:23]
	v_pk_fma_f32 v[12:13], v[12:13], v[16:17], v[12:13]
	v_pk_fma_f32 v[14:15], v[14:15], v[18:19], v[14:15]
	v_pk_add_f32 v[16:17], v[12:13], s[24:25] op_sel_hi:[1,0] neg_lo:[1,0] neg_hi:[1,0]
	v_pk_add_f32 v[18:19], v[14:15], s[24:25] op_sel_hi:[1,0] neg_lo:[1,0] neg_hi:[1,0]
	v_cndmask_b32_e64 v12, v12, v16, s[0:1]
	v_cndmask_b32_e32 v13, v13, v17, vcc
	v_cndmask_b32_e64 v14, v14, v18, s[4:5]
	v_cndmask_b32_e64 v15, v15, v19, s[2:3]
	v_bfi_b32 v9, s15, v13, v9
	v_bfi_b32 v8, s15, v12, v8
	;; [unrolled: 1-line block ×4, first 2 shown]
	global_store_dwordx4 v[4:5], v[8:11], off offset:-8
	v_add_co_u32_e32 v4, vcc, s9, v4
	v_addc_co_u32_e32 v5, vcc, v5, v6, vcc
	v_add_co_u32_e32 v2, vcc, s13, v2
	v_addc_co_u32_e32 v3, vcc, v3, v7, vcc
	s_andn2_b64 exec, exec, s[6:7]
	s_cbranch_execnz .LBB73_24
.LBB73_25:
	s_endpgm
	.section	.rodata,"a",@progbits
	.p2align	6, 0x0
	.amdhsa_kernel _ZN2at6native12_GLOBAL__N_125multi_tensor_apply_kernelINS1_18TensorListMetadataILi1EEENS1_14UnaryOpFunctorIfLi1ELi1ELi0EEEJNS0_4AtanIfEEEEEvT_T0_DpT1_
		.amdhsa_group_segment_fixed_size 0
		.amdhsa_private_segment_fixed_size 0
		.amdhsa_kernarg_size 3632
		.amdhsa_user_sgpr_count 6
		.amdhsa_user_sgpr_private_segment_buffer 1
		.amdhsa_user_sgpr_dispatch_ptr 0
		.amdhsa_user_sgpr_queue_ptr 0
		.amdhsa_user_sgpr_kernarg_segment_ptr 1
		.amdhsa_user_sgpr_dispatch_id 0
		.amdhsa_user_sgpr_flat_scratch_init 0
		.amdhsa_user_sgpr_kernarg_preload_length 0
		.amdhsa_user_sgpr_kernarg_preload_offset 0
		.amdhsa_user_sgpr_private_segment_size 0
		.amdhsa_uses_dynamic_stack 0
		.amdhsa_system_sgpr_private_segment_wavefront_offset 0
		.amdhsa_system_sgpr_workgroup_id_x 1
		.amdhsa_system_sgpr_workgroup_id_y 0
		.amdhsa_system_sgpr_workgroup_id_z 0
		.amdhsa_system_sgpr_workgroup_info 0
		.amdhsa_system_vgpr_workitem_id 0
		.amdhsa_next_free_vgpr 27
		.amdhsa_next_free_sgpr 29
		.amdhsa_accum_offset 28
		.amdhsa_reserve_vcc 1
		.amdhsa_reserve_flat_scratch 0
		.amdhsa_float_round_mode_32 0
		.amdhsa_float_round_mode_16_64 0
		.amdhsa_float_denorm_mode_32 3
		.amdhsa_float_denorm_mode_16_64 3
		.amdhsa_dx10_clamp 1
		.amdhsa_ieee_mode 1
		.amdhsa_fp16_overflow 0
		.amdhsa_tg_split 0
		.amdhsa_exception_fp_ieee_invalid_op 0
		.amdhsa_exception_fp_denorm_src 0
		.amdhsa_exception_fp_ieee_div_zero 0
		.amdhsa_exception_fp_ieee_overflow 0
		.amdhsa_exception_fp_ieee_underflow 0
		.amdhsa_exception_fp_ieee_inexact 0
		.amdhsa_exception_int_div_zero 0
	.end_amdhsa_kernel
	.section	.text._ZN2at6native12_GLOBAL__N_125multi_tensor_apply_kernelINS1_18TensorListMetadataILi1EEENS1_14UnaryOpFunctorIfLi1ELi1ELi0EEEJNS0_4AtanIfEEEEEvT_T0_DpT1_,"axG",@progbits,_ZN2at6native12_GLOBAL__N_125multi_tensor_apply_kernelINS1_18TensorListMetadataILi1EEENS1_14UnaryOpFunctorIfLi1ELi1ELi0EEEJNS0_4AtanIfEEEEEvT_T0_DpT1_,comdat
.Lfunc_end73:
	.size	_ZN2at6native12_GLOBAL__N_125multi_tensor_apply_kernelINS1_18TensorListMetadataILi1EEENS1_14UnaryOpFunctorIfLi1ELi1ELi0EEEJNS0_4AtanIfEEEEEvT_T0_DpT1_, .Lfunc_end73-_ZN2at6native12_GLOBAL__N_125multi_tensor_apply_kernelINS1_18TensorListMetadataILi1EEENS1_14UnaryOpFunctorIfLi1ELi1ELi0EEEJNS0_4AtanIfEEEEEvT_T0_DpT1_
                                        ; -- End function
	.section	.AMDGPU.csdata,"",@progbits
; Kernel info:
; codeLenInByte = 1928
; NumSgprs: 33
; NumVgprs: 27
; NumAgprs: 0
; TotalNumVgprs: 27
; ScratchSize: 0
; MemoryBound: 0
; FloatMode: 240
; IeeeMode: 1
; LDSByteSize: 0 bytes/workgroup (compile time only)
; SGPRBlocks: 4
; VGPRBlocks: 3
; NumSGPRsForWavesPerEU: 33
; NumVGPRsForWavesPerEU: 27
; AccumOffset: 28
; Occupancy: 8
; WaveLimiterHint : 0
; COMPUTE_PGM_RSRC2:SCRATCH_EN: 0
; COMPUTE_PGM_RSRC2:USER_SGPR: 6
; COMPUTE_PGM_RSRC2:TRAP_HANDLER: 0
; COMPUTE_PGM_RSRC2:TGID_X_EN: 1
; COMPUTE_PGM_RSRC2:TGID_Y_EN: 0
; COMPUTE_PGM_RSRC2:TGID_Z_EN: 0
; COMPUTE_PGM_RSRC2:TIDIG_COMP_CNT: 0
; COMPUTE_PGM_RSRC3_GFX90A:ACCUM_OFFSET: 6
; COMPUTE_PGM_RSRC3_GFX90A:TG_SPLIT: 0
	.section	.text._ZN2at6native12_GLOBAL__N_125multi_tensor_apply_kernelINS1_18TensorListMetadataILi1EEENS1_14UnaryOpFunctorIN3c107complexIdEELi1ELi1ELi0EEEJNS0_4AtanIS8_EEEEEvT_T0_DpT1_,"axG",@progbits,_ZN2at6native12_GLOBAL__N_125multi_tensor_apply_kernelINS1_18TensorListMetadataILi1EEENS1_14UnaryOpFunctorIN3c107complexIdEELi1ELi1ELi0EEEJNS0_4AtanIS8_EEEEEvT_T0_DpT1_,comdat
	.globl	_ZN2at6native12_GLOBAL__N_125multi_tensor_apply_kernelINS1_18TensorListMetadataILi1EEENS1_14UnaryOpFunctorIN3c107complexIdEELi1ELi1ELi0EEEJNS0_4AtanIS8_EEEEEvT_T0_DpT1_ ; -- Begin function _ZN2at6native12_GLOBAL__N_125multi_tensor_apply_kernelINS1_18TensorListMetadataILi1EEENS1_14UnaryOpFunctorIN3c107complexIdEELi1ELi1ELi0EEEJNS0_4AtanIS8_EEEEEvT_T0_DpT1_
	.p2align	8
	.type	_ZN2at6native12_GLOBAL__N_125multi_tensor_apply_kernelINS1_18TensorListMetadataILi1EEENS1_14UnaryOpFunctorIN3c107complexIdEELi1ELi1ELi0EEEJNS0_4AtanIS8_EEEEEvT_T0_DpT1_,@function
_ZN2at6native12_GLOBAL__N_125multi_tensor_apply_kernelINS1_18TensorListMetadataILi1EEENS1_14UnaryOpFunctorIN3c107complexIdEELi1ELi1ELi0EEEJNS0_4AtanIS8_EEEEEvT_T0_DpT1_: ; @_ZN2at6native12_GLOBAL__N_125multi_tensor_apply_kernelINS1_18TensorListMetadataILi1EEENS1_14UnaryOpFunctorIN3c107complexIdEELi1ELi1ELi0EEEJNS0_4AtanIS8_EEEEEvT_T0_DpT1_
; %bb.0:
	v_mov_b32_e32 v1, s6
	global_load_ubyte v1, v1, s[4:5] offset:1760
	s_add_u32 s0, s4, s6
	s_mul_hi_u32 s1, s6, 3
	s_mul_i32 s6, s6, 3
	s_addc_u32 s2, s5, 0
	s_add_u32 s0, s0, s6
	s_addc_u32 s1, s2, s1
	s_load_dword s0, s[0:1], 0x820
	s_mov_b32 s7, 0
	s_waitcnt vmcnt(0)
	v_readfirstlane_b32 s1, v1
	s_lshl_b32 s1, s1, 3
	s_load_dwordx2 s[12:13], s[4:5], s1 offset:0x0
	s_load_dwordx2 s[2:3], s[4:5], s1 offset:0x370
	s_waitcnt lgkmcnt(0)
	s_ashr_i32 s1, s0, 31
	s_lshl_b64 s[14:15], s[0:1], 20
	s_add_u32 s33, s12, s14
	s_addc_u32 s56, s13, s15
	s_lshl_b64 s[0:1], s[0:1], 16
	s_and_b32 s6, s33, 63
	s_sub_u32 s10, s2, s0
	s_subb_u32 s11, s3, s1
	s_and_b32 s0, s2, 3
	s_mov_b32 s1, s7
	s_or_b64 s[0:1], s[6:7], s[0:1]
	s_cmp_eq_u64 s[0:1], 0
	s_cbranch_scc1 .LBB74_21
; %bb.1:
	v_cmp_lt_i64_e64 s[0:1], s[10:11], 1
	s_and_b64 vcc, exec, s[0:1]
	s_cbranch_vccnz .LBB74_20
; %bb.2:
	s_load_dword s0, s[4:5], 0xd3c
	v_mov_b32_e32 v2, 0x10000
	v_mov_b32_e32 v3, 0
	;; [unrolled: 1-line block ×3, first 2 shown]
	v_cmp_lt_u64_e32 vcc, s[10:11], v[2:3]
	s_waitcnt lgkmcnt(0)
	s_and_b32 s2, s0, 0xffff
	s_and_b64 s[0:1], vcc, exec
	s_mul_i32 s6, s2, 3
	v_lshlrev_b32_e32 v20, 4, v0
	v_mov_b32_e32 v21, v18
	v_add_co_u32_e32 v25, vcc, s2, v0
	v_addc_co_u32_e64 v65, s[0:1], 0, 0, vcc
	v_mad_u64_u32 v[22:23], s[0:1], s2, 48, v[20:21]
	v_add_co_u32_e32 v21, vcc, s6, v0
	v_addc_co_u32_e64 v68, s[0:1], 0, 0, vcc
	s_cselect_b32 s17, s11, 0
	s_cselect_b32 s16, s10, 0x10000
	s_lshl_b32 s0, s2, 5
	s_lshl_b32 s3, s2, 1
	v_add_co_u32_e32 v2, vcc, s0, v20
	v_addc_co_u32_e64 v1, s[0:1], 0, 0, vcc
	v_add_co_u32_e32 v69, vcc, s3, v0
	s_mov_b32 s20, 0x54442d18
	s_mov_b32 s24, 0xb5e68a13
	;; [unrolled: 1-line block ×12, first 2 shown]
	s_lshl_b32 s57, s2, 2
	s_lshl_b32 s58, s2, 6
	v_or_b32_e32 v22, 8, v22
	v_or_b32_e32 v24, 8, v2
	v_addc_co_u32_e64 v70, s[0:1], 0, 0, vcc
	s_mov_b64 s[18:19], 0
	s_movk_i32 s59, 0x204
	s_mov_b32 s21, 0x3ff921fb
	s_brev_b32 s60, -2
	s_mov_b32 s23, 0x400921fb
	s_mov_b32 s25, 0x3eeba404
	s_mov_b32 s27, 0x3fe55555
	s_mov_b32 s29, 0x3fe62e42
	s_mov_b32 s31, 0x3c7abc9e
	s_mov_b32 s35, 0x3fc38538
	s_mov_b32 s37, 0x3fc3ab76
	s_mov_b32 s39, 0x3fc7474d
	s_mov_b32 s41, 0x3fcc71c0
	s_mov_b32 s43, 0x3fd24924
	s_mov_b32 s45, 0x3fd99999
	s_mov_b32 s46, 0x55555780
	s_brev_b32 s49, 1
	v_mov_b32_e32 v71, 0x54442d18
	v_mov_b32_e32 v72, 0x7f3321d2
	;; [unrolled: 1-line block ×45, first 2 shown]
	v_lshlrev_b32_e32 v64, 4, v25
	s_branch .LBB74_4
.LBB74_3:                               ;   in Loop: Header=BB74_4 Depth=1
	s_or_b64 exec, exec, s[2:3]
	s_add_u32 s18, s18, s57
	s_addc_u32 s19, s19, 0
	s_waitcnt vmcnt(0)
	v_pk_mov_b32 v[2:3], s[10:11], s[10:11] op_sel:[0,1]
	v_cmp_lt_i64_e32 vcc, s[18:19], v[2:3]
	v_mov_b32_e32 v2, 0x10000
	v_mov_b32_e32 v3, 0
	v_cmp_lt_u64_e64 s[0:1], s[18:19], v[2:3]
	s_and_b64 s[0:1], vcc, s[0:1]
	s_add_u32 s33, s33, s58
	s_addc_u32 s56, s56, 0
	s_and_b64 vcc, exec, s[0:1]
	s_cbranch_vccz .LBB74_20
.LBB74_4:                               ; =>This Inner Loop Header: Depth=1
	v_mov_b32_e32 v3, s19
	v_add_co_u32_e32 v2, vcc, s18, v0
	v_addc_co_u32_e32 v3, vcc, 0, v3, vcc
	v_pk_mov_b32 v[12:13], 0, 0
	v_cmp_gt_u64_e32 vcc, s[16:17], v[2:3]
	v_pk_mov_b32 v[16:17], v[12:13], v[12:13] op_sel:[0,1]
	v_pk_mov_b32 v[14:15], v[12:13], v[12:13] op_sel:[0,1]
	s_and_saveexec_b64 s[2:3], vcc
	s_cbranch_execz .LBB74_6
; %bb.5:                                ;   in Loop: Header=BB74_4 Depth=1
	v_mov_b32_e32 v3, s56
	v_add_co_u32_e64 v2, s[0:1], s33, v20
	v_addc_co_u32_e64 v3, s[0:1], 0, v3, s[0:1]
	global_load_dwordx4 v[14:17], v[2:3], off
.LBB74_6:                               ;   in Loop: Header=BB74_4 Depth=1
	s_or_b64 exec, exec, s[2:3]
	v_mov_b32_e32 v3, s19
	v_add_co_u32_e64 v2, s[0:1], s18, v25
	v_addc_co_u32_e64 v3, s[0:1], v65, v3, s[0:1]
	v_cmp_gt_u64_e64 s[6:7], s[16:17], v[2:3]
	v_pk_mov_b32 v[10:11], v[12:13], v[12:13] op_sel:[0,1]
	s_and_saveexec_b64 s[2:3], s[6:7]
	s_cbranch_execz .LBB74_8
; %bb.7:                                ;   in Loop: Header=BB74_4 Depth=1
	v_mov_b32_e32 v3, s56
	v_add_co_u32_e64 v2, s[0:1], s33, v64
	v_addc_co_u32_e64 v3, s[0:1], 0, v3, s[0:1]
	global_load_dwordx4 v[10:13], v[2:3], off
.LBB74_8:                               ;   in Loop: Header=BB74_4 Depth=1
	s_or_b64 exec, exec, s[2:3]
	v_mov_b32_e32 v3, s19
	v_add_co_u32_e64 v2, s[0:1], s18, v69
	v_addc_co_u32_e64 v3, s[0:1], v70, v3, s[0:1]
	v_pk_mov_b32 v[4:5], 0, 0
	v_cmp_gt_u64_e64 s[2:3], s[16:17], v[2:3]
	v_pk_mov_b32 v[8:9], v[4:5], v[4:5] op_sel:[0,1]
	v_pk_mov_b32 v[6:7], v[4:5], v[4:5] op_sel:[0,1]
	s_and_saveexec_b64 s[8:9], s[2:3]
	s_cbranch_execz .LBB74_10
; %bb.9:                                ;   in Loop: Header=BB74_4 Depth=1
	v_mov_b32_e32 v3, s56
	v_add_co_u32_e64 v2, s[0:1], s33, v24
	v_addc_co_u32_e64 v3, s[0:1], v3, v1, s[0:1]
	global_load_dwordx4 v[6:9], v[2:3], off offset:-8
.LBB74_10:                              ;   in Loop: Header=BB74_4 Depth=1
	s_or_b64 exec, exec, s[8:9]
	v_mov_b32_e32 v3, s19
	v_add_co_u32_e64 v2, s[0:1], s18, v21
	v_addc_co_u32_e64 v3, s[0:1], v68, v3, s[0:1]
	v_cmp_gt_u64_e64 s[0:1], s[16:17], v[2:3]
	v_pk_mov_b32 v[2:3], v[4:5], v[4:5] op_sel:[0,1]
	s_and_saveexec_b64 s[50:51], s[0:1]
	s_cbranch_execnz .LBB74_15
; %bb.11:                               ;   in Loop: Header=BB74_4 Depth=1
	s_or_b64 exec, exec, s[50:51]
	s_and_saveexec_b64 s[50:51], vcc
	s_cbranch_execnz .LBB74_16
.LBB74_12:                              ;   in Loop: Header=BB74_4 Depth=1
	s_or_b64 exec, exec, s[50:51]
	s_and_saveexec_b64 s[8:9], s[6:7]
	s_cbranch_execnz .LBB74_17
.LBB74_13:                              ;   in Loop: Header=BB74_4 Depth=1
	s_or_b64 exec, exec, s[8:9]
	s_and_saveexec_b64 s[6:7], s[2:3]
	s_cbranch_execnz .LBB74_18
.LBB74_14:                              ;   in Loop: Header=BB74_4 Depth=1
	s_or_b64 exec, exec, s[6:7]
	s_and_saveexec_b64 s[2:3], s[0:1]
	s_cbranch_execz .LBB74_3
	s_branch .LBB74_19
.LBB74_15:                              ;   in Loop: Header=BB74_4 Depth=1
	v_mov_b32_e32 v3, s56
	v_add_co_u32_e64 v2, s[8:9], s33, v22
	v_addc_co_u32_e64 v3, s[8:9], v3, v23, s[8:9]
	global_load_dwordx4 v[2:5], v[2:3], off offset:-8
	s_or_b64 exec, exec, s[50:51]
	s_and_saveexec_b64 s[50:51], vcc
	s_cbranch_execz .LBB74_12
.LBB74_16:                              ;   in Loop: Header=BB74_4 Depth=1
	s_waitcnt vmcnt(0)
	v_fma_f64 v[66:67], v[14:15], 0, -v[16:17]
	v_fma_f64 v[78:79], -v[66:67], v[66:67], 1.0
	v_fmac_f64_e32 v[14:15], 0, v[16:17]
	v_fma_f64 v[78:79], -v[14:15], v[14:15], v[78:79]
	v_cmp_gt_i32_e64 s[8:9], 0, v79
	v_mul_f64 v[16:17], v[14:15], v[14:15]
	v_add_f64 v[14:15], v[14:15], v[14:15]
	v_cndmask_b32_e64 v80, v73, v74, s[8:9]
	v_bfi_b32 v92, s60, v80, v15
	v_min_f64 v[80:81], |v[78:79]|, |v[14:15]|
	v_max_f64 v[82:83], |v[78:79]|, |v[14:15]|
	v_div_scale_f64 v[84:85], s[62:63], v[82:83], v[82:83], v[80:81]
	v_rcp_f64_e32 v[86:87], v[84:85]
	v_ashrrev_i32_e32 v88, 31, v79
	v_and_b32_e32 v93, 0x400921fb, v88
	v_and_b32_e32 v94, 0x54442d18, v88
	v_fma_f64 v[88:89], -v[84:85], v[86:87], 1.0
	v_fmac_f64_e32 v[86:87], v[86:87], v[88:89]
	v_fma_f64 v[88:89], -v[84:85], v[86:87], 1.0
	v_fmac_f64_e32 v[86:87], v[86:87], v[88:89]
	v_div_scale_f64 v[88:89], vcc, v[80:81], v[82:83], v[80:81]
	v_mul_f64 v[90:91], v[88:89], v[86:87]
	v_fma_f64 v[84:85], -v[84:85], v[90:91], v[88:89]
	s_mov_b32 s22, s20
	s_nop 0
	v_div_fmas_f64 v[84:85], v[84:85], v[86:87], v[90:91]
	v_div_fixup_f64 v[80:81], v[84:85], v[82:83], v[80:81]
	v_mul_f64 v[82:83], v[80:81], v[80:81]
	v_pk_mov_b32 v[84:85], v[26:27], v[26:27] op_sel:[0,1]
	v_fmac_f64_e32 v[84:85], s[24:25], v[82:83]
	v_pk_mov_b32 v[86:87], v[28:29], v[28:29] op_sel:[0,1]
	v_fmac_f64_e32 v[86:87], v[82:83], v[84:85]
	;; [unrolled: 2-line block ×19, first 2 shown]
	v_mul_f64 v[82:83], v[82:83], v[84:85]
	v_fmac_f64_e32 v[80:81], v[80:81], v[82:83]
	v_add_f64 v[82:83], -v[80:81], s[20:21]
	v_cmp_lt_f64_e64 vcc, |v[78:79]|, |v[14:15]|
	v_cndmask_b32_e32 v81, v81, v83, vcc
	v_cndmask_b32_e32 v80, v80, v82, vcc
	v_add_f64 v[82:83], -v[80:81], s[22:23]
	v_cmp_class_f64_e64 s[52:53], v[14:15], s59
	v_cmp_class_f64_e64 s[54:55], v[78:79], s59
	v_cndmask_b32_e64 v81, v81, v83, s[8:9]
	v_cndmask_b32_e64 v80, v80, v82, s[8:9]
	v_cmp_eq_f64_e32 vcc, 0, v[14:15]
	v_cndmask_b32_e64 v19, v71, v72, s[8:9]
	v_cndmask_b32_e32 v80, v80, v94, vcc
	v_cndmask_b32_e32 v81, v81, v93, vcc
	s_and_b64 vcc, s[52:53], s[54:55]
	v_cndmask_b32_e32 v81, v81, v92, vcc
	v_cndmask_b32_e32 v19, v80, v19, vcc
	v_cmp_o_f64_e32 vcc, v[78:79], v[14:15]
	v_add_f64 v[78:79], v[66:67], 1.0
	v_fma_f64 v[78:79], v[78:79], v[78:79], v[16:17]
	v_cndmask_b32_e32 v14, 0, v19, vcc
	v_cndmask_b32_e32 v19, v75, v81, vcc
	v_frexp_mant_f64_e32 v[80:81], v[78:79]
	v_bfi_b32 v15, s60, v19, v15
	v_frexp_exp_i32_f64_e32 v19, v[78:79]
	v_cmp_gt_f64_e32 vcc, s[26:27], v[80:81]
	v_subbrev_co_u32_e64 v19, s[8:9], 0, v19, vcc
	v_cvt_f64_i32_e32 v[82:83], v19
	v_cndmask_b32_e64 v19, v76, 2.0, vcc
	v_mul_f64 v[80:81], v[80:81], v[18:19]
	v_add_f64 v[86:87], v[80:81], 1.0
	v_rcp_f64_e32 v[88:89], v[86:87]
	v_mul_f64 v[84:85], v[82:83], s[28:29]
	v_fma_f64 v[90:91], v[82:83], s[28:29], -v[84:85]
	v_fmac_f64_e32 v[90:91], s[30:31], v[82:83]
	v_fma_f64 v[92:93], -v[86:87], v[88:89], 1.0
	v_fmac_f64_e32 v[88:89], v[92:93], v[88:89]
	v_fma_f64 v[92:93], -v[86:87], v[88:89], 1.0
	v_add_f64 v[82:83], v[80:81], -1.0
	v_fmac_f64_e32 v[88:89], v[92:93], v[88:89]
	v_mul_f64 v[92:93], v[82:83], v[88:89]
	v_add_f64 v[94:95], v[86:87], -1.0
	v_add_f64 v[80:81], v[80:81], -v[94:95]
	v_mul_f64 v[94:95], v[86:87], v[92:93]
	v_fma_f64 v[86:87], v[92:93], v[86:87], -v[94:95]
	v_fmac_f64_e32 v[86:87], v[92:93], v[80:81]
	v_add_f64 v[80:81], v[94:95], v[86:87]
	v_add_f64 v[94:95], v[80:81], -v[94:95]
	v_add_f64 v[86:87], v[94:95], -v[86:87]
	;; [unrolled: 1-line block ×5, first 2 shown]
	v_add_f64 v[80:81], v[86:87], v[80:81]
	v_add_f64 v[80:81], v[94:95], v[80:81]
	v_mul_f64 v[80:81], v[88:89], v[80:81]
	v_add_f64 v[82:83], v[92:93], v[80:81]
	v_mul_f64 v[86:87], v[82:83], v[82:83]
	v_pk_mov_b32 v[88:89], s[34:35], s[34:35] op_sel:[0,1]
	v_fma_f64 v[94:95], s[36:37], v[86:87], v[88:89]
	v_fma_f64 v[94:95], v[86:87], v[94:95], s[38:39]
	;; [unrolled: 1-line block ×5, first 2 shown]
	s_mov_b32 s47, s27
	v_fma_f64 v[94:95], v[86:87], v[94:95], s[46:47]
	v_mul_f64 v[86:87], v[82:83], v[86:87]
	v_mul_f64 v[86:87], v[86:87], v[94:95]
	v_add_f64 v[92:93], v[82:83], -v[92:93]
	v_ldexp_f64 v[82:83], v[82:83], 1
	v_add_f64 v[80:81], v[80:81], -v[92:93]
	v_add_f64 v[92:93], v[82:83], v[86:87]
	v_add_f64 v[82:83], v[92:93], -v[82:83]
	v_ldexp_f64 v[80:81], v[80:81], 1
	v_add_f64 v[82:83], v[86:87], -v[82:83]
	v_add_f64 v[80:81], v[80:81], v[82:83]
	v_add_f64 v[94:95], v[84:85], v[90:91]
	;; [unrolled: 1-line block ×4, first 2 shown]
	v_add_f64 v[84:85], v[94:95], -v[84:85]
	v_add_f64 v[84:85], v[90:91], -v[84:85]
	;; [unrolled: 1-line block ×7, first 2 shown]
	v_add_f64 v[90:91], v[84:85], v[80:81]
	v_add_f64 v[92:93], v[94:95], -v[92:93]
	v_add_f64 v[82:83], v[82:83], v[92:93]
	v_add_f64 v[94:95], v[90:91], -v[84:85]
	;; [unrolled: 2-line block ×4, first 2 shown]
	v_add_f64 v[84:85], v[84:85], -v[90:91]
	v_add_f64 v[80:81], v[80:81], v[84:85]
	v_add_f64 v[84:85], v[92:93], -v[86:87]
	v_add_f64 v[82:83], v[82:83], -v[84:85]
	v_add_f64 v[80:81], v[80:81], v[82:83]
	v_add_f64 v[66:67], -v[66:67], 1.0
	v_add_f64 v[80:81], v[92:93], v[80:81]
	v_cmp_class_f64_e64 vcc, v[78:79], s59
	v_fmac_f64_e32 v[16:17], v[66:67], v[66:67]
	v_cndmask_b32_e32 v19, v80, v78, vcc
	v_cndmask_b32_e32 v80, v81, v79, vcc
	v_cmp_neq_f64_e32 vcc, 0, v[78:79]
	v_frexp_mant_f64_e32 v[66:67], v[16:17]
	v_cndmask_b32_e32 v79, v77, v80, vcc
	v_cndmask_b32_e32 v78, 0, v19, vcc
	v_frexp_exp_i32_f64_e32 v19, v[16:17]
	v_cmp_gt_f64_e32 vcc, s[26:27], v[66:67]
	v_subbrev_co_u32_e64 v19, s[8:9], 0, v19, vcc
	v_cvt_f64_i32_e32 v[80:81], v19
	v_cndmask_b32_e64 v19, v76, 2.0, vcc
	v_mul_f64 v[66:67], v[66:67], v[18:19]
	v_add_f64 v[84:85], v[66:67], 1.0
	v_rcp_f64_e32 v[86:87], v[84:85]
	v_mul_f64 v[82:83], v[80:81], s[28:29]
	v_fma_f64 v[90:91], v[80:81], s[28:29], -v[82:83]
	v_fmac_f64_e32 v[90:91], s[30:31], v[80:81]
	v_fma_f64 v[92:93], -v[84:85], v[86:87], 1.0
	v_fmac_f64_e32 v[86:87], v[92:93], v[86:87]
	v_fma_f64 v[92:93], -v[84:85], v[86:87], 1.0
	v_add_f64 v[80:81], v[66:67], -1.0
	v_fmac_f64_e32 v[86:87], v[92:93], v[86:87]
	v_mul_f64 v[92:93], v[80:81], v[86:87]
	v_add_f64 v[94:95], v[84:85], -1.0
	v_add_f64 v[66:67], v[66:67], -v[94:95]
	v_mul_f64 v[94:95], v[84:85], v[92:93]
	v_fma_f64 v[84:85], v[92:93], v[84:85], -v[94:95]
	v_fmac_f64_e32 v[84:85], v[92:93], v[66:67]
	v_add_f64 v[66:67], v[94:95], v[84:85]
	v_add_f64 v[94:95], v[66:67], -v[94:95]
	v_add_f64 v[84:85], v[94:95], -v[84:85]
	;; [unrolled: 1-line block ×5, first 2 shown]
	v_add_f64 v[66:67], v[84:85], v[66:67]
	v_add_f64 v[66:67], v[94:95], v[66:67]
	v_mul_f64 v[66:67], v[86:87], v[66:67]
	v_add_f64 v[84:85], v[92:93], v[66:67]
	v_mul_f64 v[94:95], v[84:85], v[84:85]
	v_fmac_f64_e32 v[88:89], s[36:37], v[94:95]
	v_fma_f64 v[88:89], v[94:95], v[88:89], s[38:39]
	v_fma_f64 v[88:89], v[94:95], v[88:89], s[40:41]
	;; [unrolled: 1-line block ×5, first 2 shown]
	v_mul_f64 v[94:95], v[84:85], v[94:95]
	v_ldexp_f64 v[86:87], v[84:85], 1
	v_mul_f64 v[88:89], v[94:95], v[88:89]
	v_add_f64 v[94:95], v[86:87], v[88:89]
	v_add_f64 v[84:85], v[84:85], -v[92:93]
	v_add_f64 v[66:67], v[66:67], -v[84:85]
	;; [unrolled: 1-line block ×3, first 2 shown]
	v_ldexp_f64 v[66:67], v[66:67], 1
	v_add_f64 v[84:85], v[88:89], -v[84:85]
	v_add_f64 v[66:67], v[66:67], v[84:85]
	v_add_f64 v[80:81], v[82:83], v[90:91]
	;; [unrolled: 1-line block ×4, first 2 shown]
	v_add_f64 v[82:83], v[80:81], -v[82:83]
	v_add_f64 v[82:83], v[90:91], -v[82:83]
	v_add_f64 v[88:89], v[84:85], -v[94:95]
	v_add_f64 v[90:91], v[86:87], -v[80:81]
	v_add_f64 v[66:67], v[66:67], -v[88:89]
	v_add_f64 v[84:85], v[84:85], -v[90:91]
	v_add_f64 v[90:91], v[86:87], -v[90:91]
	v_add_f64 v[88:89], v[82:83], v[66:67]
	v_add_f64 v[80:81], v[80:81], -v[90:91]
	v_add_f64 v[80:81], v[84:85], v[80:81]
	v_add_f64 v[90:91], v[88:89], -v[82:83]
	;; [unrolled: 2-line block ×4, first 2 shown]
	v_add_f64 v[82:83], v[82:83], -v[88:89]
	v_add_f64 v[66:67], v[66:67], v[82:83]
	v_add_f64 v[82:83], v[84:85], -v[86:87]
	v_add_f64 v[80:81], v[80:81], -v[82:83]
	v_add_f64 v[66:67], v[66:67], v[80:81]
	v_add_f64 v[66:67], v[84:85], v[66:67]
	v_cmp_class_f64_e64 vcc, v[16:17], s59
	v_cndmask_b32_e32 v19, v66, v16, vcc
	v_cndmask_b32_e32 v66, v67, v17, vcc
	v_cmp_neq_f64_e32 vcc, 0, v[16:17]
	v_cndmask_b32_e32 v17, v77, v66, vcc
	v_cndmask_b32_e32 v16, 0, v19, vcc
	v_add_f64 v[16:17], v[78:79], -v[16:17]
	v_mul_f64 v[14:15], v[14:15], 0.5
	v_ldexp_f64 v[66:67], v[16:17], -2
	v_fma_f64 v[16:17], v[14:15], s[48:49], -v[66:67]
	v_fmac_f64_e32 v[14:15], 0x80000000, v[66:67]
	v_mov_b32_e32 v19, s56
	v_add_co_u32_e32 v66, vcc, s33, v20
	v_addc_co_u32_e32 v67, vcc, 0, v19, vcc
	global_store_dwordx4 v[66:67], v[14:17], off
	s_or_b64 exec, exec, s[50:51]
	s_and_saveexec_b64 s[8:9], s[6:7]
	s_cbranch_execz .LBB74_13
.LBB74_17:                              ;   in Loop: Header=BB74_4 Depth=1
	s_waitcnt vmcnt(0)
	v_fma_f64 v[14:15], v[10:11], 0, -v[12:13]
	v_fmac_f64_e32 v[10:11], 0, v[12:13]
	v_mul_f64 v[12:13], v[10:11], v[10:11]
	v_add_f64 v[16:17], v[14:15], 1.0
	v_fma_f64 v[16:17], v[16:17], v[16:17], v[12:13]
	v_add_f64 v[66:67], -v[14:15], 1.0
	v_fmac_f64_e32 v[12:13], v[66:67], v[66:67]
	v_frexp_mant_f64_e32 v[66:67], v[16:17]
	v_cmp_gt_f64_e32 vcc, s[26:27], v[66:67]
	v_cndmask_b32_e64 v19, v76, 2.0, vcc
	v_frexp_exp_i32_f64_e32 v78, v[16:17]
	v_mul_f64 v[66:67], v[66:67], v[18:19]
	v_subbrev_co_u32_e32 v19, vcc, 0, v78, vcc
	v_add_f64 v[78:79], v[66:67], 1.0
	v_rcp_f64_e32 v[80:81], v[78:79]
	v_add_f64 v[84:85], v[78:79], -1.0
	v_add_f64 v[82:83], v[66:67], -1.0
	v_add_f64 v[66:67], v[66:67], -v[84:85]
	v_fma_f64 v[84:85], -v[78:79], v[80:81], 1.0
	v_fmac_f64_e32 v[80:81], v[84:85], v[80:81]
	v_fma_f64 v[84:85], -v[78:79], v[80:81], 1.0
	v_fmac_f64_e32 v[80:81], v[84:85], v[80:81]
	v_mul_f64 v[84:85], v[82:83], v[80:81]
	v_mul_f64 v[86:87], v[78:79], v[84:85]
	v_fma_f64 v[78:79], v[84:85], v[78:79], -v[86:87]
	v_fmac_f64_e32 v[78:79], v[84:85], v[66:67]
	v_add_f64 v[66:67], v[86:87], v[78:79]
	v_add_f64 v[88:89], v[82:83], -v[66:67]
	v_add_f64 v[86:87], v[66:67], -v[86:87]
	;; [unrolled: 1-line block ×5, first 2 shown]
	v_add_f64 v[66:67], v[78:79], v[66:67]
	v_add_f64 v[66:67], v[88:89], v[66:67]
	v_mul_f64 v[66:67], v[80:81], v[66:67]
	v_add_f64 v[78:79], v[84:85], v[66:67]
	v_add_f64 v[80:81], v[78:79], -v[84:85]
	v_add_f64 v[66:67], v[66:67], -v[80:81]
	v_mul_f64 v[80:81], v[78:79], v[78:79]
	v_pk_mov_b32 v[82:83], s[34:35], s[34:35] op_sel:[0,1]
	v_fma_f64 v[84:85], s[36:37], v[80:81], v[82:83]
	v_fma_f64 v[84:85], v[80:81], v[84:85], s[38:39]
	v_fma_f64 v[84:85], v[80:81], v[84:85], s[40:41]
	v_fma_f64 v[84:85], v[80:81], v[84:85], s[42:43]
	v_fma_f64 v[84:85], v[80:81], v[84:85], s[44:45]
	s_mov_b32 s47, s27
	v_fma_f64 v[84:85], v[80:81], v[84:85], s[46:47]
	v_ldexp_f64 v[86:87], v[78:79], 1
	v_mul_f64 v[78:79], v[78:79], v[80:81]
	v_mul_f64 v[78:79], v[78:79], v[84:85]
	v_add_f64 v[80:81], v[86:87], v[78:79]
	v_add_f64 v[84:85], v[80:81], -v[86:87]
	v_ldexp_f64 v[66:67], v[66:67], 1
	v_add_f64 v[78:79], v[78:79], -v[84:85]
	v_add_f64 v[66:67], v[66:67], v[78:79]
	v_add_f64 v[78:79], v[80:81], v[66:67]
	v_add_f64 v[80:81], v[78:79], -v[80:81]
	v_add_f64 v[66:67], v[66:67], -v[80:81]
	v_cvt_f64_i32_e32 v[80:81], v19
	v_mul_f64 v[84:85], v[80:81], s[28:29]
	v_fma_f64 v[86:87], v[80:81], s[28:29], -v[84:85]
	v_fmac_f64_e32 v[86:87], s[30:31], v[80:81]
	v_add_f64 v[80:81], v[84:85], v[86:87]
	v_add_f64 v[84:85], v[80:81], -v[84:85]
	v_add_f64 v[84:85], v[86:87], -v[84:85]
	v_add_f64 v[86:87], v[80:81], v[78:79]
	v_add_f64 v[88:89], v[86:87], -v[80:81]
	v_add_f64 v[90:91], v[86:87], -v[88:89]
	;; [unrolled: 1-line block ×4, first 2 shown]
	v_add_f64 v[78:79], v[78:79], v[80:81]
	v_add_f64 v[80:81], v[84:85], v[66:67]
	v_add_f64 v[88:89], v[80:81], -v[84:85]
	v_add_f64 v[90:91], v[80:81], -v[88:89]
	v_add_f64 v[78:79], v[80:81], v[78:79]
	v_add_f64 v[84:85], v[84:85], -v[90:91]
	v_add_f64 v[66:67], v[66:67], -v[88:89]
	v_add_f64 v[80:81], v[86:87], v[78:79]
	v_add_f64 v[66:67], v[66:67], v[84:85]
	v_add_f64 v[84:85], v[80:81], -v[86:87]
	v_add_f64 v[78:79], v[78:79], -v[84:85]
	v_add_f64 v[66:67], v[66:67], v[78:79]
	v_add_f64 v[66:67], v[80:81], v[66:67]
	v_cmp_class_f64_e64 vcc, v[16:17], s59
	v_cndmask_b32_e32 v19, v66, v16, vcc
	v_cndmask_b32_e32 v66, v67, v17, vcc
	v_cmp_neq_f64_e32 vcc, 0, v[16:17]
	v_cndmask_b32_e32 v17, v77, v66, vcc
	v_frexp_mant_f64_e32 v[66:67], v[12:13]
	v_cndmask_b32_e32 v16, 0, v19, vcc
	v_cmp_gt_f64_e32 vcc, s[26:27], v[66:67]
	v_cndmask_b32_e64 v19, v76, 2.0, vcc
	v_frexp_exp_i32_f64_e32 v78, v[12:13]
	v_mul_f64 v[66:67], v[66:67], v[18:19]
	v_subbrev_co_u32_e32 v19, vcc, 0, v78, vcc
	v_add_f64 v[78:79], v[66:67], 1.0
	v_rcp_f64_e32 v[80:81], v[78:79]
	v_add_f64 v[86:87], v[78:79], -1.0
	v_add_f64 v[84:85], v[66:67], -1.0
	v_add_f64 v[66:67], v[66:67], -v[86:87]
	v_fma_f64 v[86:87], -v[78:79], v[80:81], 1.0
	v_fmac_f64_e32 v[80:81], v[86:87], v[80:81]
	v_fma_f64 v[86:87], -v[78:79], v[80:81], 1.0
	v_fmac_f64_e32 v[80:81], v[86:87], v[80:81]
	v_mul_f64 v[86:87], v[84:85], v[80:81]
	v_mul_f64 v[88:89], v[78:79], v[86:87]
	v_fma_f64 v[78:79], v[86:87], v[78:79], -v[88:89]
	v_fmac_f64_e32 v[78:79], v[86:87], v[66:67]
	v_add_f64 v[66:67], v[88:89], v[78:79]
	v_add_f64 v[90:91], v[84:85], -v[66:67]
	v_add_f64 v[88:89], v[66:67], -v[88:89]
	;; [unrolled: 1-line block ×5, first 2 shown]
	v_add_f64 v[66:67], v[78:79], v[66:67]
	v_add_f64 v[66:67], v[90:91], v[66:67]
	v_mul_f64 v[66:67], v[80:81], v[66:67]
	v_add_f64 v[78:79], v[86:87], v[66:67]
	v_add_f64 v[80:81], v[78:79], -v[86:87]
	v_add_f64 v[66:67], v[66:67], -v[80:81]
	v_mul_f64 v[80:81], v[78:79], v[78:79]
	v_fmac_f64_e32 v[82:83], s[36:37], v[80:81]
	v_fma_f64 v[82:83], v[80:81], v[82:83], s[38:39]
	v_fma_f64 v[82:83], v[80:81], v[82:83], s[40:41]
	;; [unrolled: 1-line block ×5, first 2 shown]
	v_ldexp_f64 v[84:85], v[78:79], 1
	v_mul_f64 v[78:79], v[78:79], v[80:81]
	v_mul_f64 v[78:79], v[78:79], v[82:83]
	v_add_f64 v[80:81], v[84:85], v[78:79]
	v_add_f64 v[82:83], v[80:81], -v[84:85]
	v_ldexp_f64 v[66:67], v[66:67], 1
	v_add_f64 v[78:79], v[78:79], -v[82:83]
	v_add_f64 v[66:67], v[66:67], v[78:79]
	v_add_f64 v[78:79], v[80:81], v[66:67]
	v_add_f64 v[80:81], v[78:79], -v[80:81]
	v_add_f64 v[66:67], v[66:67], -v[80:81]
	v_cvt_f64_i32_e32 v[80:81], v19
	v_mul_f64 v[82:83], v[80:81], s[28:29]
	v_fma_f64 v[84:85], v[80:81], s[28:29], -v[82:83]
	v_fmac_f64_e32 v[84:85], s[30:31], v[80:81]
	v_add_f64 v[80:81], v[82:83], v[84:85]
	v_add_f64 v[82:83], v[80:81], -v[82:83]
	v_add_f64 v[82:83], v[84:85], -v[82:83]
	v_add_f64 v[84:85], v[80:81], v[78:79]
	v_add_f64 v[86:87], v[84:85], -v[80:81]
	v_add_f64 v[88:89], v[84:85], -v[86:87]
	;; [unrolled: 1-line block ×4, first 2 shown]
	v_add_f64 v[78:79], v[78:79], v[80:81]
	v_add_f64 v[80:81], v[82:83], v[66:67]
	v_add_f64 v[86:87], v[80:81], -v[82:83]
	v_add_f64 v[88:89], v[80:81], -v[86:87]
	v_add_f64 v[78:79], v[80:81], v[78:79]
	v_add_f64 v[82:83], v[82:83], -v[88:89]
	v_add_f64 v[66:67], v[66:67], -v[86:87]
	v_add_f64 v[80:81], v[84:85], v[78:79]
	v_add_f64 v[66:67], v[66:67], v[82:83]
	v_add_f64 v[82:83], v[80:81], -v[84:85]
	v_add_f64 v[78:79], v[78:79], -v[82:83]
	v_add_f64 v[66:67], v[66:67], v[78:79]
	v_add_f64 v[66:67], v[80:81], v[66:67]
	v_cmp_class_f64_e64 vcc, v[12:13], s59
	v_fma_f64 v[14:15], -v[14:15], v[14:15], 1.0
	v_cndmask_b32_e32 v19, v66, v12, vcc
	v_cndmask_b32_e32 v66, v67, v13, vcc
	v_cmp_neq_f64_e32 vcc, 0, v[12:13]
	v_fma_f64 v[14:15], -v[10:11], v[10:11], v[14:15]
	v_add_f64 v[10:11], v[10:11], v[10:11]
	v_cndmask_b32_e32 v13, v77, v66, vcc
	v_max_f64 v[66:67], |v[14:15]|, |v[10:11]|
	v_min_f64 v[78:79], |v[14:15]|, |v[10:11]|
	v_div_scale_f64 v[80:81], s[6:7], v[66:67], v[66:67], v[78:79]
	v_rcp_f64_e32 v[82:83], v[80:81]
	v_cndmask_b32_e32 v12, 0, v19, vcc
	v_add_f64 v[12:13], v[16:17], -v[12:13]
	v_cmp_lt_f64_e64 s[6:7], |v[14:15]|, |v[10:11]|
	v_fma_f64 v[16:17], -v[80:81], v[82:83], 1.0
	v_fmac_f64_e32 v[82:83], v[82:83], v[16:17]
	v_fma_f64 v[16:17], -v[80:81], v[82:83], 1.0
	v_fmac_f64_e32 v[82:83], v[82:83], v[16:17]
	v_div_scale_f64 v[16:17], vcc, v[78:79], v[66:67], v[78:79]
	v_mul_f64 v[84:85], v[16:17], v[82:83]
	v_fma_f64 v[16:17], -v[80:81], v[84:85], v[16:17]
	v_pk_mov_b32 v[80:81], v[28:29], v[28:29] op_sel:[0,1]
	s_nop 0
	v_div_fmas_f64 v[16:17], v[16:17], v[82:83], v[84:85]
	v_div_fixup_f64 v[16:17], v[16:17], v[66:67], v[78:79]
	v_mul_f64 v[66:67], v[16:17], v[16:17]
	v_pk_mov_b32 v[78:79], v[26:27], v[26:27] op_sel:[0,1]
	v_fmac_f64_e32 v[78:79], s[24:25], v[66:67]
	v_fmac_f64_e32 v[80:81], v[66:67], v[78:79]
	v_pk_mov_b32 v[78:79], v[30:31], v[30:31] op_sel:[0,1]
	v_fmac_f64_e32 v[78:79], v[66:67], v[80:81]
	v_pk_mov_b32 v[80:81], v[32:33], v[32:33] op_sel:[0,1]
	;; [unrolled: 2-line block ×17, first 2 shown]
	v_fmac_f64_e32 v[78:79], v[66:67], v[80:81]
	v_mul_f64 v[66:67], v[66:67], v[78:79]
	v_cmp_gt_i32_e32 vcc, 0, v15
	v_fmac_f64_e32 v[16:17], v[16:17], v[66:67]
	v_cndmask_b32_e32 v66, v73, v74, vcc
	v_bfi_b32 v78, s60, v66, v11
	v_ashrrev_i32_e32 v66, 31, v15
	v_and_b32_e32 v79, 0x400921fb, v66
	v_and_b32_e32 v80, 0x54442d18, v66
	v_add_f64 v[66:67], -v[16:17], s[20:21]
	v_cndmask_b32_e64 v17, v17, v67, s[6:7]
	v_cndmask_b32_e64 v16, v16, v66, s[6:7]
	s_mov_b32 s22, s20
	v_add_f64 v[66:67], -v[16:17], s[22:23]
	v_cmp_class_f64_e64 s[50:51], v[10:11], s59
	v_cmp_class_f64_e64 s[52:53], v[14:15], s59
	v_cndmask_b32_e32 v19, v71, v72, vcc
	v_cndmask_b32_e32 v17, v17, v67, vcc
	v_cndmask_b32_e32 v16, v16, v66, vcc
	v_cmp_eq_f64_e32 vcc, 0, v[10:11]
	v_cndmask_b32_e32 v16, v16, v80, vcc
	v_cndmask_b32_e32 v17, v17, v79, vcc
	s_and_b64 vcc, s[50:51], s[52:53]
	v_cndmask_b32_e32 v17, v17, v78, vcc
	v_cndmask_b32_e32 v16, v16, v19, vcc
	v_cmp_o_f64_e32 vcc, v[14:15], v[10:11]
	v_cndmask_b32_e32 v14, v75, v17, vcc
	v_cndmask_b32_e32 v10, 0, v16, vcc
	v_bfi_b32 v11, s60, v14, v11
	v_mul_f64 v[14:15], v[10:11], 0.5
	v_ldexp_f64 v[12:13], v[12:13], -2
	v_pk_mov_b32 v[10:11], v[14:15], v[14:15] op_sel:[0,1]
	v_fmac_f64_e32 v[10:11], 0x80000000, v[12:13]
	v_fma_f64 v[12:13], v[14:15], s[48:49], -v[12:13]
	v_mov_b32_e32 v15, s56
	v_add_co_u32_e32 v14, vcc, s33, v64
	v_addc_co_u32_e32 v15, vcc, 0, v15, vcc
	global_store_dwordx4 v[14:15], v[10:13], off
	s_or_b64 exec, exec, s[8:9]
	s_and_saveexec_b64 s[6:7], s[2:3]
	s_cbranch_execz .LBB74_14
.LBB74_18:                              ;   in Loop: Header=BB74_4 Depth=1
	s_waitcnt vmcnt(0)
	v_fma_f64 v[10:11], v[6:7], 0, -v[8:9]
	v_fmac_f64_e32 v[6:7], 0, v[8:9]
	v_mul_f64 v[8:9], v[6:7], v[6:7]
	v_add_f64 v[12:13], v[10:11], 1.0
	v_fma_f64 v[12:13], v[12:13], v[12:13], v[8:9]
	v_add_f64 v[14:15], -v[10:11], 1.0
	v_fmac_f64_e32 v[8:9], v[14:15], v[14:15]
	v_frexp_mant_f64_e32 v[14:15], v[12:13]
	v_cmp_gt_f64_e32 vcc, s[26:27], v[14:15]
	v_cndmask_b32_e64 v19, v76, 2.0, vcc
	v_frexp_exp_i32_f64_e32 v16, v[12:13]
	v_mul_f64 v[14:15], v[14:15], v[18:19]
	v_subbrev_co_u32_e32 v19, vcc, 0, v16, vcc
	v_add_f64 v[16:17], v[14:15], 1.0
	v_rcp_f64_e32 v[66:67], v[16:17]
	v_add_f64 v[80:81], v[16:17], -1.0
	v_add_f64 v[78:79], v[14:15], -1.0
	v_add_f64 v[14:15], v[14:15], -v[80:81]
	v_fma_f64 v[80:81], -v[16:17], v[66:67], 1.0
	v_fmac_f64_e32 v[66:67], v[80:81], v[66:67]
	v_fma_f64 v[80:81], -v[16:17], v[66:67], 1.0
	v_fmac_f64_e32 v[66:67], v[80:81], v[66:67]
	v_mul_f64 v[80:81], v[78:79], v[66:67]
	v_mul_f64 v[82:83], v[16:17], v[80:81]
	v_fma_f64 v[16:17], v[80:81], v[16:17], -v[82:83]
	v_fmac_f64_e32 v[16:17], v[80:81], v[14:15]
	v_add_f64 v[14:15], v[82:83], v[16:17]
	v_add_f64 v[84:85], v[78:79], -v[14:15]
	v_add_f64 v[82:83], v[14:15], -v[82:83]
	;; [unrolled: 1-line block ×5, first 2 shown]
	v_add_f64 v[14:15], v[16:17], v[14:15]
	v_add_f64 v[14:15], v[84:85], v[14:15]
	v_mul_f64 v[14:15], v[66:67], v[14:15]
	v_add_f64 v[16:17], v[80:81], v[14:15]
	v_add_f64 v[66:67], v[16:17], -v[80:81]
	v_add_f64 v[14:15], v[14:15], -v[66:67]
	v_mul_f64 v[66:67], v[16:17], v[16:17]
	v_pk_mov_b32 v[78:79], s[34:35], s[34:35] op_sel:[0,1]
	v_fma_f64 v[80:81], s[36:37], v[66:67], v[78:79]
	v_fma_f64 v[80:81], v[66:67], v[80:81], s[38:39]
	;; [unrolled: 1-line block ×5, first 2 shown]
	s_mov_b32 s47, s27
	v_fma_f64 v[80:81], v[66:67], v[80:81], s[46:47]
	v_ldexp_f64 v[82:83], v[16:17], 1
	v_mul_f64 v[16:17], v[16:17], v[66:67]
	v_mul_f64 v[16:17], v[16:17], v[80:81]
	v_add_f64 v[66:67], v[82:83], v[16:17]
	v_add_f64 v[80:81], v[66:67], -v[82:83]
	v_ldexp_f64 v[14:15], v[14:15], 1
	v_add_f64 v[16:17], v[16:17], -v[80:81]
	v_add_f64 v[14:15], v[14:15], v[16:17]
	v_add_f64 v[16:17], v[66:67], v[14:15]
	v_add_f64 v[66:67], v[16:17], -v[66:67]
	v_add_f64 v[14:15], v[14:15], -v[66:67]
	v_cvt_f64_i32_e32 v[66:67], v19
	v_mul_f64 v[80:81], v[66:67], s[28:29]
	v_fma_f64 v[82:83], v[66:67], s[28:29], -v[80:81]
	v_fmac_f64_e32 v[82:83], s[30:31], v[66:67]
	v_add_f64 v[66:67], v[80:81], v[82:83]
	v_add_f64 v[80:81], v[66:67], -v[80:81]
	v_add_f64 v[80:81], v[82:83], -v[80:81]
	v_add_f64 v[82:83], v[66:67], v[16:17]
	v_add_f64 v[84:85], v[82:83], -v[66:67]
	v_add_f64 v[86:87], v[82:83], -v[84:85]
	;; [unrolled: 1-line block ×4, first 2 shown]
	v_add_f64 v[16:17], v[16:17], v[66:67]
	v_add_f64 v[66:67], v[80:81], v[14:15]
	v_add_f64 v[84:85], v[66:67], -v[80:81]
	v_add_f64 v[86:87], v[66:67], -v[84:85]
	v_add_f64 v[16:17], v[66:67], v[16:17]
	v_add_f64 v[80:81], v[80:81], -v[86:87]
	v_add_f64 v[14:15], v[14:15], -v[84:85]
	v_add_f64 v[66:67], v[82:83], v[16:17]
	v_add_f64 v[14:15], v[14:15], v[80:81]
	v_add_f64 v[80:81], v[66:67], -v[82:83]
	v_add_f64 v[16:17], v[16:17], -v[80:81]
	v_add_f64 v[14:15], v[14:15], v[16:17]
	v_add_f64 v[14:15], v[66:67], v[14:15]
	v_cmp_class_f64_e64 vcc, v[12:13], s59
	v_cndmask_b32_e32 v14, v14, v12, vcc
	v_cndmask_b32_e32 v15, v15, v13, vcc
	v_cmp_neq_f64_e32 vcc, 0, v[12:13]
	v_cndmask_b32_e32 v13, v77, v15, vcc
	v_cndmask_b32_e32 v12, 0, v14, vcc
	v_frexp_mant_f64_e32 v[14:15], v[8:9]
	v_cmp_gt_f64_e32 vcc, s[26:27], v[14:15]
	v_cndmask_b32_e64 v19, v76, 2.0, vcc
	v_frexp_exp_i32_f64_e32 v16, v[8:9]
	v_mul_f64 v[14:15], v[14:15], v[18:19]
	v_subbrev_co_u32_e32 v19, vcc, 0, v16, vcc
	v_add_f64 v[16:17], v[14:15], 1.0
	v_rcp_f64_e32 v[66:67], v[16:17]
	v_add_f64 v[82:83], v[16:17], -1.0
	v_add_f64 v[80:81], v[14:15], -1.0
	v_add_f64 v[14:15], v[14:15], -v[82:83]
	v_fma_f64 v[82:83], -v[16:17], v[66:67], 1.0
	v_fmac_f64_e32 v[66:67], v[82:83], v[66:67]
	v_fma_f64 v[82:83], -v[16:17], v[66:67], 1.0
	v_fmac_f64_e32 v[66:67], v[82:83], v[66:67]
	v_mul_f64 v[82:83], v[80:81], v[66:67]
	v_mul_f64 v[84:85], v[16:17], v[82:83]
	v_fma_f64 v[16:17], v[82:83], v[16:17], -v[84:85]
	v_fmac_f64_e32 v[16:17], v[82:83], v[14:15]
	v_add_f64 v[14:15], v[84:85], v[16:17]
	v_add_f64 v[86:87], v[80:81], -v[14:15]
	v_add_f64 v[84:85], v[14:15], -v[84:85]
	v_add_f64 v[80:81], v[80:81], -v[86:87]
	v_add_f64 v[14:15], v[80:81], -v[14:15]
	v_add_f64 v[16:17], v[84:85], -v[16:17]
	v_add_f64 v[14:15], v[16:17], v[14:15]
	v_add_f64 v[14:15], v[86:87], v[14:15]
	v_mul_f64 v[14:15], v[66:67], v[14:15]
	v_add_f64 v[16:17], v[82:83], v[14:15]
	v_add_f64 v[66:67], v[16:17], -v[82:83]
	v_add_f64 v[14:15], v[14:15], -v[66:67]
	v_mul_f64 v[66:67], v[16:17], v[16:17]
	v_fmac_f64_e32 v[78:79], s[36:37], v[66:67]
	v_fma_f64 v[78:79], v[66:67], v[78:79], s[38:39]
	v_fma_f64 v[78:79], v[66:67], v[78:79], s[40:41]
	;; [unrolled: 1-line block ×5, first 2 shown]
	v_ldexp_f64 v[80:81], v[16:17], 1
	v_mul_f64 v[16:17], v[16:17], v[66:67]
	v_mul_f64 v[16:17], v[16:17], v[78:79]
	v_add_f64 v[66:67], v[80:81], v[16:17]
	v_add_f64 v[78:79], v[66:67], -v[80:81]
	v_ldexp_f64 v[14:15], v[14:15], 1
	v_add_f64 v[16:17], v[16:17], -v[78:79]
	v_add_f64 v[14:15], v[14:15], v[16:17]
	v_add_f64 v[16:17], v[66:67], v[14:15]
	v_add_f64 v[66:67], v[16:17], -v[66:67]
	v_add_f64 v[14:15], v[14:15], -v[66:67]
	v_cvt_f64_i32_e32 v[66:67], v19
	v_mul_f64 v[78:79], v[66:67], s[28:29]
	v_fma_f64 v[80:81], v[66:67], s[28:29], -v[78:79]
	v_fmac_f64_e32 v[80:81], s[30:31], v[66:67]
	v_add_f64 v[66:67], v[78:79], v[80:81]
	v_add_f64 v[78:79], v[66:67], -v[78:79]
	v_add_f64 v[78:79], v[80:81], -v[78:79]
	v_add_f64 v[80:81], v[66:67], v[16:17]
	v_add_f64 v[82:83], v[80:81], -v[66:67]
	v_add_f64 v[84:85], v[80:81], -v[82:83]
	;; [unrolled: 1-line block ×4, first 2 shown]
	v_add_f64 v[16:17], v[16:17], v[66:67]
	v_add_f64 v[66:67], v[78:79], v[14:15]
	v_add_f64 v[82:83], v[66:67], -v[78:79]
	v_add_f64 v[84:85], v[66:67], -v[82:83]
	v_add_f64 v[16:17], v[66:67], v[16:17]
	v_add_f64 v[78:79], v[78:79], -v[84:85]
	v_add_f64 v[14:15], v[14:15], -v[82:83]
	v_add_f64 v[66:67], v[80:81], v[16:17]
	v_add_f64 v[14:15], v[14:15], v[78:79]
	v_add_f64 v[78:79], v[66:67], -v[80:81]
	v_add_f64 v[16:17], v[16:17], -v[78:79]
	v_add_f64 v[14:15], v[14:15], v[16:17]
	v_add_f64 v[14:15], v[66:67], v[14:15]
	v_cmp_class_f64_e64 vcc, v[8:9], s59
	v_fma_f64 v[10:11], -v[10:11], v[10:11], 1.0
	v_cndmask_b32_e32 v19, v14, v8, vcc
	v_cndmask_b32_e32 v14, v15, v9, vcc
	v_cmp_neq_f64_e32 vcc, 0, v[8:9]
	v_fma_f64 v[10:11], -v[6:7], v[6:7], v[10:11]
	v_add_f64 v[6:7], v[6:7], v[6:7]
	v_cndmask_b32_e32 v9, v77, v14, vcc
	v_max_f64 v[14:15], |v[10:11]|, |v[6:7]|
	v_min_f64 v[16:17], |v[10:11]|, |v[6:7]|
	v_div_scale_f64 v[66:67], s[2:3], v[14:15], v[14:15], v[16:17]
	v_rcp_f64_e32 v[78:79], v[66:67]
	v_cndmask_b32_e32 v8, 0, v19, vcc
	v_add_f64 v[8:9], v[12:13], -v[8:9]
	v_cmp_lt_f64_e64 s[2:3], |v[10:11]|, |v[6:7]|
	v_fma_f64 v[12:13], -v[66:67], v[78:79], 1.0
	v_fmac_f64_e32 v[78:79], v[78:79], v[12:13]
	v_fma_f64 v[12:13], -v[66:67], v[78:79], 1.0
	v_fmac_f64_e32 v[78:79], v[78:79], v[12:13]
	v_div_scale_f64 v[12:13], vcc, v[16:17], v[14:15], v[16:17]
	v_mul_f64 v[80:81], v[12:13], v[78:79]
	v_fma_f64 v[12:13], -v[66:67], v[80:81], v[12:13]
	v_pk_mov_b32 v[66:67], v[28:29], v[28:29] op_sel:[0,1]
	s_nop 0
	v_div_fmas_f64 v[12:13], v[12:13], v[78:79], v[80:81]
	v_div_fixup_f64 v[12:13], v[12:13], v[14:15], v[16:17]
	v_mul_f64 v[14:15], v[12:13], v[12:13]
	v_pk_mov_b32 v[16:17], v[26:27], v[26:27] op_sel:[0,1]
	v_fmac_f64_e32 v[16:17], s[24:25], v[14:15]
	v_fmac_f64_e32 v[66:67], v[14:15], v[16:17]
	v_pk_mov_b32 v[16:17], v[30:31], v[30:31] op_sel:[0,1]
	v_fmac_f64_e32 v[16:17], v[14:15], v[66:67]
	v_pk_mov_b32 v[66:67], v[32:33], v[32:33] op_sel:[0,1]
	;; [unrolled: 2-line block ×17, first 2 shown]
	v_fmac_f64_e32 v[16:17], v[14:15], v[66:67]
	v_mul_f64 v[14:15], v[14:15], v[16:17]
	v_cmp_gt_i32_e32 vcc, 0, v11
	v_fmac_f64_e32 v[12:13], v[12:13], v[14:15]
	v_cndmask_b32_e32 v14, v73, v74, vcc
	v_bfi_b32 v17, s60, v14, v7
	v_ashrrev_i32_e32 v14, 31, v11
	v_and_b32_e32 v19, 0x400921fb, v14
	v_and_b32_e32 v66, 0x54442d18, v14
	v_add_f64 v[14:15], -v[12:13], s[20:21]
	v_cndmask_b32_e64 v13, v13, v15, s[2:3]
	v_cndmask_b32_e64 v12, v12, v14, s[2:3]
	s_mov_b32 s22, s20
	v_add_f64 v[14:15], -v[12:13], s[22:23]
	v_cmp_class_f64_e64 s[8:9], v[6:7], s59
	v_cmp_class_f64_e64 s[50:51], v[10:11], s59
	v_cndmask_b32_e32 v16, v71, v72, vcc
	v_cndmask_b32_e32 v13, v13, v15, vcc
	;; [unrolled: 1-line block ×3, first 2 shown]
	v_cmp_eq_f64_e32 vcc, 0, v[6:7]
	v_cndmask_b32_e32 v12, v12, v66, vcc
	v_cndmask_b32_e32 v13, v13, v19, vcc
	s_and_b64 vcc, s[8:9], s[50:51]
	v_cndmask_b32_e32 v13, v13, v17, vcc
	v_cndmask_b32_e32 v12, v12, v16, vcc
	v_cmp_o_f64_e32 vcc, v[10:11], v[6:7]
	v_cndmask_b32_e32 v10, v75, v13, vcc
	v_cndmask_b32_e32 v6, 0, v12, vcc
	v_bfi_b32 v7, s60, v10, v7
	v_mul_f64 v[10:11], v[6:7], 0.5
	v_ldexp_f64 v[8:9], v[8:9], -2
	v_pk_mov_b32 v[6:7], v[10:11], v[10:11] op_sel:[0,1]
	v_fmac_f64_e32 v[6:7], 0x80000000, v[8:9]
	v_fma_f64 v[8:9], v[10:11], s[48:49], -v[8:9]
	v_mov_b32_e32 v11, s56
	v_add_co_u32_e32 v10, vcc, s33, v24
	v_addc_co_u32_e32 v11, vcc, v11, v1, vcc
	global_store_dwordx4 v[10:11], v[6:9], off offset:-8
	s_or_b64 exec, exec, s[6:7]
	s_and_saveexec_b64 s[2:3], s[0:1]
	s_cbranch_execz .LBB74_3
.LBB74_19:                              ;   in Loop: Header=BB74_4 Depth=1
	s_waitcnt vmcnt(0)
	v_fma_f64 v[6:7], v[2:3], 0, -v[4:5]
	v_fmac_f64_e32 v[2:3], 0, v[4:5]
	v_mul_f64 v[4:5], v[2:3], v[2:3]
	v_add_f64 v[8:9], v[6:7], 1.0
	v_fma_f64 v[8:9], v[8:9], v[8:9], v[4:5]
	v_add_f64 v[10:11], -v[6:7], 1.0
	v_fmac_f64_e32 v[4:5], v[10:11], v[10:11]
	v_frexp_mant_f64_e32 v[10:11], v[8:9]
	v_cmp_gt_f64_e32 vcc, s[26:27], v[10:11]
	v_cndmask_b32_e64 v19, v76, 2.0, vcc
	v_frexp_exp_i32_f64_e32 v12, v[8:9]
	v_mul_f64 v[10:11], v[10:11], v[18:19]
	v_subbrev_co_u32_e32 v19, vcc, 0, v12, vcc
	v_add_f64 v[12:13], v[10:11], 1.0
	v_rcp_f64_e32 v[14:15], v[12:13]
	v_add_f64 v[66:67], v[12:13], -1.0
	v_add_f64 v[16:17], v[10:11], -1.0
	v_add_f64 v[10:11], v[10:11], -v[66:67]
	v_fma_f64 v[66:67], -v[12:13], v[14:15], 1.0
	v_fmac_f64_e32 v[14:15], v[66:67], v[14:15]
	v_fma_f64 v[66:67], -v[12:13], v[14:15], 1.0
	v_fmac_f64_e32 v[14:15], v[66:67], v[14:15]
	v_mul_f64 v[66:67], v[16:17], v[14:15]
	v_mul_f64 v[78:79], v[12:13], v[66:67]
	v_fma_f64 v[12:13], v[66:67], v[12:13], -v[78:79]
	v_fmac_f64_e32 v[12:13], v[66:67], v[10:11]
	v_add_f64 v[10:11], v[78:79], v[12:13]
	v_add_f64 v[80:81], v[16:17], -v[10:11]
	v_add_f64 v[78:79], v[10:11], -v[78:79]
	v_add_f64 v[16:17], v[16:17], -v[80:81]
	v_add_f64 v[10:11], v[16:17], -v[10:11]
	v_add_f64 v[12:13], v[78:79], -v[12:13]
	v_add_f64 v[10:11], v[12:13], v[10:11]
	v_add_f64 v[10:11], v[80:81], v[10:11]
	v_mul_f64 v[10:11], v[14:15], v[10:11]
	v_add_f64 v[12:13], v[66:67], v[10:11]
	v_add_f64 v[14:15], v[12:13], -v[66:67]
	v_add_f64 v[10:11], v[10:11], -v[14:15]
	v_mul_f64 v[14:15], v[12:13], v[12:13]
	v_pk_mov_b32 v[16:17], s[34:35], s[34:35] op_sel:[0,1]
	v_fma_f64 v[66:67], s[36:37], v[14:15], v[16:17]
	v_fma_f64 v[66:67], v[14:15], v[66:67], s[38:39]
	v_fma_f64 v[66:67], v[14:15], v[66:67], s[40:41]
	v_fma_f64 v[66:67], v[14:15], v[66:67], s[42:43]
	v_fma_f64 v[66:67], v[14:15], v[66:67], s[44:45]
	s_mov_b32 s47, s27
	v_fma_f64 v[66:67], v[14:15], v[66:67], s[46:47]
	v_ldexp_f64 v[78:79], v[12:13], 1
	v_mul_f64 v[12:13], v[12:13], v[14:15]
	v_mul_f64 v[12:13], v[12:13], v[66:67]
	v_add_f64 v[14:15], v[78:79], v[12:13]
	v_add_f64 v[66:67], v[14:15], -v[78:79]
	v_ldexp_f64 v[10:11], v[10:11], 1
	v_add_f64 v[12:13], v[12:13], -v[66:67]
	v_add_f64 v[10:11], v[10:11], v[12:13]
	v_add_f64 v[12:13], v[14:15], v[10:11]
	v_add_f64 v[14:15], v[12:13], -v[14:15]
	v_add_f64 v[10:11], v[10:11], -v[14:15]
	v_cvt_f64_i32_e32 v[14:15], v19
	v_mul_f64 v[66:67], v[14:15], s[28:29]
	v_fma_f64 v[78:79], v[14:15], s[28:29], -v[66:67]
	v_fmac_f64_e32 v[78:79], s[30:31], v[14:15]
	v_add_f64 v[14:15], v[66:67], v[78:79]
	v_add_f64 v[66:67], v[14:15], -v[66:67]
	v_add_f64 v[66:67], v[78:79], -v[66:67]
	v_add_f64 v[78:79], v[14:15], v[12:13]
	v_add_f64 v[80:81], v[78:79], -v[14:15]
	v_add_f64 v[82:83], v[78:79], -v[80:81]
	v_add_f64 v[14:15], v[14:15], -v[82:83]
	v_add_f64 v[12:13], v[12:13], -v[80:81]
	v_add_f64 v[12:13], v[12:13], v[14:15]
	v_add_f64 v[14:15], v[66:67], v[10:11]
	v_add_f64 v[80:81], v[14:15], -v[66:67]
	v_add_f64 v[82:83], v[14:15], -v[80:81]
	v_add_f64 v[12:13], v[14:15], v[12:13]
	v_add_f64 v[66:67], v[66:67], -v[82:83]
	v_add_f64 v[10:11], v[10:11], -v[80:81]
	v_add_f64 v[14:15], v[78:79], v[12:13]
	v_add_f64 v[10:11], v[10:11], v[66:67]
	v_add_f64 v[66:67], v[14:15], -v[78:79]
	v_add_f64 v[12:13], v[12:13], -v[66:67]
	v_add_f64 v[10:11], v[10:11], v[12:13]
	v_add_f64 v[10:11], v[14:15], v[10:11]
	v_cmp_class_f64_e64 vcc, v[8:9], s59
	v_cndmask_b32_e32 v10, v10, v8, vcc
	v_cndmask_b32_e32 v11, v11, v9, vcc
	v_cmp_neq_f64_e32 vcc, 0, v[8:9]
	v_cndmask_b32_e32 v9, v77, v11, vcc
	v_cndmask_b32_e32 v8, 0, v10, vcc
	v_frexp_mant_f64_e32 v[10:11], v[4:5]
	v_cmp_gt_f64_e32 vcc, s[26:27], v[10:11]
	v_cndmask_b32_e64 v19, v76, 2.0, vcc
	v_frexp_exp_i32_f64_e32 v12, v[4:5]
	v_mul_f64 v[10:11], v[10:11], v[18:19]
	v_subbrev_co_u32_e32 v19, vcc, 0, v12, vcc
	v_add_f64 v[12:13], v[10:11], 1.0
	v_rcp_f64_e32 v[14:15], v[12:13]
	v_add_f64 v[78:79], v[12:13], -1.0
	v_add_f64 v[66:67], v[10:11], -1.0
	v_add_f64 v[10:11], v[10:11], -v[78:79]
	v_fma_f64 v[78:79], -v[12:13], v[14:15], 1.0
	v_fmac_f64_e32 v[14:15], v[78:79], v[14:15]
	v_fma_f64 v[78:79], -v[12:13], v[14:15], 1.0
	v_fmac_f64_e32 v[14:15], v[78:79], v[14:15]
	v_mul_f64 v[78:79], v[66:67], v[14:15]
	v_mul_f64 v[80:81], v[12:13], v[78:79]
	v_fma_f64 v[12:13], v[78:79], v[12:13], -v[80:81]
	v_fmac_f64_e32 v[12:13], v[78:79], v[10:11]
	v_add_f64 v[10:11], v[80:81], v[12:13]
	v_add_f64 v[82:83], v[66:67], -v[10:11]
	v_add_f64 v[80:81], v[10:11], -v[80:81]
	;; [unrolled: 1-line block ×5, first 2 shown]
	v_add_f64 v[10:11], v[12:13], v[10:11]
	v_add_f64 v[10:11], v[82:83], v[10:11]
	v_mul_f64 v[10:11], v[14:15], v[10:11]
	v_add_f64 v[12:13], v[78:79], v[10:11]
	v_add_f64 v[14:15], v[12:13], -v[78:79]
	v_add_f64 v[10:11], v[10:11], -v[14:15]
	v_mul_f64 v[14:15], v[12:13], v[12:13]
	v_fmac_f64_e32 v[16:17], s[36:37], v[14:15]
	v_fma_f64 v[16:17], v[14:15], v[16:17], s[38:39]
	v_fma_f64 v[16:17], v[14:15], v[16:17], s[40:41]
	;; [unrolled: 1-line block ×5, first 2 shown]
	v_ldexp_f64 v[66:67], v[12:13], 1
	v_mul_f64 v[12:13], v[12:13], v[14:15]
	v_mul_f64 v[12:13], v[12:13], v[16:17]
	v_add_f64 v[14:15], v[66:67], v[12:13]
	v_add_f64 v[16:17], v[14:15], -v[66:67]
	v_ldexp_f64 v[10:11], v[10:11], 1
	v_add_f64 v[12:13], v[12:13], -v[16:17]
	v_add_f64 v[10:11], v[10:11], v[12:13]
	v_add_f64 v[12:13], v[14:15], v[10:11]
	v_add_f64 v[14:15], v[12:13], -v[14:15]
	v_add_f64 v[10:11], v[10:11], -v[14:15]
	v_cvt_f64_i32_e32 v[14:15], v19
	v_mul_f64 v[16:17], v[14:15], s[28:29]
	v_fma_f64 v[66:67], v[14:15], s[28:29], -v[16:17]
	v_fmac_f64_e32 v[66:67], s[30:31], v[14:15]
	v_add_f64 v[14:15], v[16:17], v[66:67]
	v_add_f64 v[16:17], v[14:15], -v[16:17]
	v_add_f64 v[16:17], v[66:67], -v[16:17]
	v_add_f64 v[66:67], v[14:15], v[12:13]
	v_add_f64 v[78:79], v[66:67], -v[14:15]
	v_add_f64 v[80:81], v[66:67], -v[78:79]
	;; [unrolled: 1-line block ×4, first 2 shown]
	v_add_f64 v[12:13], v[12:13], v[14:15]
	v_add_f64 v[14:15], v[16:17], v[10:11]
	v_add_f64 v[78:79], v[14:15], -v[16:17]
	v_add_f64 v[80:81], v[14:15], -v[78:79]
	v_add_f64 v[12:13], v[14:15], v[12:13]
	v_add_f64 v[16:17], v[16:17], -v[80:81]
	v_add_f64 v[10:11], v[10:11], -v[78:79]
	v_add_f64 v[14:15], v[66:67], v[12:13]
	v_add_f64 v[10:11], v[10:11], v[16:17]
	v_add_f64 v[16:17], v[14:15], -v[66:67]
	v_add_f64 v[12:13], v[12:13], -v[16:17]
	v_add_f64 v[10:11], v[10:11], v[12:13]
	v_add_f64 v[10:11], v[14:15], v[10:11]
	v_cmp_class_f64_e64 vcc, v[4:5], s59
	v_fma_f64 v[6:7], -v[6:7], v[6:7], 1.0
	v_cndmask_b32_e32 v19, v10, v4, vcc
	v_cndmask_b32_e32 v10, v11, v5, vcc
	v_cmp_neq_f64_e32 vcc, 0, v[4:5]
	v_fma_f64 v[6:7], -v[2:3], v[2:3], v[6:7]
	v_add_f64 v[2:3], v[2:3], v[2:3]
	v_cndmask_b32_e32 v5, v77, v10, vcc
	v_max_f64 v[10:11], |v[6:7]|, |v[2:3]|
	v_min_f64 v[12:13], |v[6:7]|, |v[2:3]|
	v_div_scale_f64 v[14:15], s[0:1], v[10:11], v[10:11], v[12:13]
	v_rcp_f64_e32 v[16:17], v[14:15]
	v_cndmask_b32_e32 v4, 0, v19, vcc
	v_add_f64 v[4:5], v[8:9], -v[4:5]
	v_cmp_lt_f64_e64 s[0:1], |v[6:7]|, |v[2:3]|
	v_fma_f64 v[8:9], -v[14:15], v[16:17], 1.0
	v_fmac_f64_e32 v[16:17], v[16:17], v[8:9]
	v_fma_f64 v[8:9], -v[14:15], v[16:17], 1.0
	v_fmac_f64_e32 v[16:17], v[16:17], v[8:9]
	v_div_scale_f64 v[8:9], vcc, v[12:13], v[10:11], v[12:13]
	v_mul_f64 v[66:67], v[8:9], v[16:17]
	v_fma_f64 v[8:9], -v[14:15], v[66:67], v[8:9]
	v_pk_mov_b32 v[14:15], v[28:29], v[28:29] op_sel:[0,1]
	s_nop 0
	v_div_fmas_f64 v[8:9], v[8:9], v[16:17], v[66:67]
	v_div_fixup_f64 v[8:9], v[8:9], v[10:11], v[12:13]
	v_mul_f64 v[10:11], v[8:9], v[8:9]
	v_pk_mov_b32 v[12:13], v[26:27], v[26:27] op_sel:[0,1]
	v_fmac_f64_e32 v[12:13], s[24:25], v[10:11]
	v_fmac_f64_e32 v[14:15], v[10:11], v[12:13]
	v_pk_mov_b32 v[12:13], v[30:31], v[30:31] op_sel:[0,1]
	v_fmac_f64_e32 v[12:13], v[10:11], v[14:15]
	v_pk_mov_b32 v[14:15], v[32:33], v[32:33] op_sel:[0,1]
	;; [unrolled: 2-line block ×17, first 2 shown]
	v_fmac_f64_e32 v[12:13], v[10:11], v[14:15]
	v_mul_f64 v[10:11], v[10:11], v[12:13]
	v_cmp_gt_i32_e32 vcc, 0, v7
	v_fmac_f64_e32 v[8:9], v[8:9], v[10:11]
	v_cndmask_b32_e32 v10, v73, v74, vcc
	v_bfi_b32 v13, s60, v10, v3
	v_ashrrev_i32_e32 v10, 31, v7
	v_and_b32_e32 v14, 0x400921fb, v10
	v_and_b32_e32 v15, 0x54442d18, v10
	v_add_f64 v[10:11], -v[8:9], s[20:21]
	v_cndmask_b32_e64 v9, v9, v11, s[0:1]
	v_cndmask_b32_e64 v8, v8, v10, s[0:1]
	s_mov_b32 s22, s20
	v_add_f64 v[10:11], -v[8:9], s[22:23]
	v_cmp_class_f64_e64 s[6:7], v[2:3], s59
	v_cmp_class_f64_e64 s[8:9], v[6:7], s59
	v_cndmask_b32_e32 v12, v71, v72, vcc
	v_cndmask_b32_e32 v9, v9, v11, vcc
	;; [unrolled: 1-line block ×3, first 2 shown]
	v_cmp_eq_f64_e32 vcc, 0, v[2:3]
	v_cndmask_b32_e32 v8, v8, v15, vcc
	v_cndmask_b32_e32 v9, v9, v14, vcc
	s_and_b64 vcc, s[6:7], s[8:9]
	v_cndmask_b32_e32 v9, v9, v13, vcc
	v_cndmask_b32_e32 v8, v8, v12, vcc
	v_cmp_o_f64_e32 vcc, v[6:7], v[2:3]
	v_cndmask_b32_e32 v6, v75, v9, vcc
	v_cndmask_b32_e32 v2, 0, v8, vcc
	v_bfi_b32 v3, s60, v6, v3
	v_mul_f64 v[6:7], v[2:3], 0.5
	v_ldexp_f64 v[4:5], v[4:5], -2
	v_pk_mov_b32 v[2:3], v[6:7], v[6:7] op_sel:[0,1]
	v_fmac_f64_e32 v[2:3], 0x80000000, v[4:5]
	v_fma_f64 v[4:5], v[6:7], s[48:49], -v[4:5]
	v_mov_b32_e32 v7, s56
	v_add_co_u32_e32 v6, vcc, s33, v22
	v_addc_co_u32_e32 v7, vcc, v7, v23, vcc
	global_store_dwordx4 v[6:7], v[2:5], off offset:-8
	s_branch .LBB74_3
.LBB74_20:
	s_cbranch_execz .LBB74_22
	s_branch .LBB74_25
.LBB74_21:
.LBB74_22:
	v_mov_b32_e32 v16, 0
	v_lshlrev_b32_e32 v2, 2, v0
	v_mov_b32_e32 v3, v16
	s_mov_b32 s0, 0
	v_cmp_gt_i64_e32 vcc, s[10:11], v[2:3]
	s_and_saveexec_b64 s[2:3], vcc
	s_cbranch_execz .LBB74_25
; %bb.23:
	s_load_dword s1, s[4:5], 0xd3c
	s_mov_b32 s8, 0x6b47b09a
	s_mov_b32 s26, 0xbd3237f4
	v_lshlrev_b32_e32 v1, 6, v0
	s_mov_b32 s4, 0x55555555
	s_waitcnt lgkmcnt(0)
	s_and_b32 s1, s1, 0xffff
	s_lshl_b32 s33, s1, 2
	s_add_u32 s2, s12, s14
	s_addc_u32 s3, s13, s15
	s_mov_b32 s9, 0x3fc38538
	s_mov_b32 s27, 0xbf23e260
	v_add_lshl_u32 v18, v0, s1, 2
	v_mov_b32_e32 v0, s3
	v_add_co_u32_e32 v20, vcc, s2, v1
	s_mov_b32 s5, 0x3fe55555
	s_mov_b32 s6, 0xbf559e2b
	v_pk_mov_b32 v[22:23], s[8:9], s[8:9] op_sel:[0,1]
	s_mov_b32 s8, 0xd7f4df2e
	s_mov_b32 s12, 0x16291751
	;; [unrolled: 1-line block ×7, first 2 shown]
	v_pk_mov_b32 v[24:25], s[26:27], s[26:27] op_sel:[0,1]
	s_mov_b32 s26, 0x69efb384
	s_mov_b32 s28, 0xaf56de9b
	;; [unrolled: 1-line block ×20, first 2 shown]
	v_mov_b32_e32 v19, v16
	v_addc_co_u32_e32 v21, vcc, 0, v0, vcc
	s_lshl_b32 s72, s1, 6
	s_mov_b64 s[2:3], 0
	v_mov_b32_e32 v26, 0x3ff00000
	s_mov_b32 s7, 0x3fc3ab76
	s_mov_b32 s9, 0x3fc7474d
	;; [unrolled: 1-line block ×9, first 2 shown]
	s_movk_i32 s73, 0x204
	v_mov_b32_e32 v27, 0xfff00000
	s_mov_b32 s25, 0x3eeba404
	s_mov_b32 s27, 0x3f4b2bb0
	;; [unrolled: 1-line block ×20, first 2 shown]
	s_brev_b32 s74, -2
	s_mov_b32 s67, 0x400921fb
	s_mov_b32 s66, s64
	s_brev_b32 s69, 1
	s_mov_b64 s[70:71], 0xffff
	v_mov_b32_e32 v28, 0x54442d18
	v_mov_b32_e32 v29, 0x7f3321d2
	;; [unrolled: 1-line block ×7, first 2 shown]
.LBB74_24:                              ; =>This Inner Loop Header: Depth=1
	global_load_dwordx4 v[4:7], v[20:21], off
	global_load_dwordx4 v[12:15], v[20:21], off offset:16
	global_load_dwordx4 v[0:3], v[20:21], off offset:48
	;; [unrolled: 1-line block ×3, first 2 shown]
	s_waitcnt vmcnt(3)
	v_fma_f64 v[36:37], v[4:5], 0, -v[6:7]
	v_fmac_f64_e32 v[4:5], 0, v[6:7]
	v_mul_f64 v[6:7], v[4:5], v[4:5]
	v_add_f64 v[38:39], v[36:37], 1.0
	v_add_f64 v[40:41], -v[36:37], 1.0
	v_fma_f64 v[38:39], v[38:39], v[38:39], v[6:7]
	v_fmac_f64_e32 v[6:7], v[40:41], v[40:41]
	v_frexp_mant_f64_e32 v[40:41], v[38:39]
	v_frexp_exp_i32_f64_e32 v35, v[38:39]
	v_cmp_gt_f64_e32 vcc, s[4:5], v[40:41]
	v_frexp_mant_f64_e32 v[42:43], v[6:7]
	v_cndmask_b32_e64 v17, v26, 2.0, vcc
	v_subbrev_co_u32_e32 v35, vcc, 0, v35, vcc
	v_cmp_gt_f64_e32 vcc, s[4:5], v[42:43]
	v_mul_f64 v[40:41], v[40:41], v[16:17]
	v_cndmask_b32_e64 v17, v26, 2.0, vcc
	v_add_f64 v[46:47], v[40:41], 1.0
	v_cvt_f64_i32_e32 v[48:49], v35
	v_mul_f64 v[42:43], v[42:43], v[16:17]
	v_frexp_exp_i32_f64_e32 v44, v[6:7]
	v_add_f64 v[50:51], v[46:47], -1.0
	v_rcp_f64_e32 v[52:53], v[46:47]
	v_mul_f64 v[54:55], v[48:49], s[20:21]
	v_add_f64 v[58:59], v[42:43], 1.0
	v_subbrev_co_u32_e32 v70, vcc, 0, v44, vcc
	v_add_f64 v[44:45], v[40:41], -1.0
	v_add_f64 v[40:41], v[40:41], -v[50:51]
	v_fma_f64 v[50:51], v[48:49], s[20:21], -v[54:55]
	v_rcp_f64_e32 v[62:63], v[58:59]
	v_fmac_f64_e32 v[50:51], s[22:23], v[48:49]
	v_add_f64 v[60:61], v[58:59], -1.0
	v_add_f64 v[48:49], v[54:55], v[50:51]
	v_add_f64 v[56:57], v[42:43], -1.0
	v_add_f64 v[42:43], v[42:43], -v[60:61]
	v_fma_f64 v[60:61], -v[46:47], v[52:53], 1.0
	v_add_f64 v[54:55], v[48:49], -v[54:55]
	v_fmac_f64_e32 v[52:53], v[60:61], v[52:53]
	v_add_f64 v[50:51], v[50:51], -v[54:55]
	v_fma_f64 v[54:55], -v[58:59], v[62:63], 1.0
	v_fma_f64 v[60:61], -v[46:47], v[52:53], 1.0
	v_fmac_f64_e32 v[62:63], v[54:55], v[62:63]
	v_fmac_f64_e32 v[52:53], v[60:61], v[52:53]
	v_fma_f64 v[54:55], -v[58:59], v[62:63], 1.0
	v_mul_f64 v[60:61], v[44:45], v[52:53]
	v_fmac_f64_e32 v[62:63], v[54:55], v[62:63]
	v_mul_f64 v[54:55], v[46:47], v[60:61]
	v_mul_f64 v[64:65], v[56:57], v[62:63]
	v_fma_f64 v[46:47], v[60:61], v[46:47], -v[54:55]
	v_mul_f64 v[66:67], v[58:59], v[64:65]
	v_fmac_f64_e32 v[46:47], v[60:61], v[40:41]
	v_fma_f64 v[40:41], v[64:65], v[58:59], -v[66:67]
	v_fmac_f64_e32 v[40:41], v[64:65], v[42:43]
	v_add_f64 v[42:43], v[54:55], v[46:47]
	v_add_f64 v[54:55], v[42:43], -v[54:55]
	v_add_f64 v[58:59], v[44:45], -v[42:43]
	v_add_f64 v[68:69], v[66:67], v[40:41]
	v_add_f64 v[46:47], v[54:55], -v[46:47]
	v_add_f64 v[44:45], v[44:45], -v[58:59]
	v_add_f64 v[54:55], v[68:69], -v[66:67]
	v_add_f64 v[66:67], v[56:57], -v[68:69]
	v_add_f64 v[42:43], v[44:45], -v[42:43]
	v_add_f64 v[44:45], v[56:57], -v[66:67]
	v_add_f64 v[40:41], v[54:55], -v[40:41]
	v_add_f64 v[42:43], v[46:47], v[42:43]
	v_add_f64 v[44:45], v[44:45], -v[68:69]
	v_add_f64 v[42:43], v[58:59], v[42:43]
	v_add_f64 v[40:41], v[40:41], v[44:45]
	v_mul_f64 v[42:43], v[52:53], v[42:43]
	v_add_f64 v[40:41], v[66:67], v[40:41]
	v_add_f64 v[44:45], v[60:61], v[42:43]
	v_mul_f64 v[40:41], v[62:63], v[40:41]
	v_add_f64 v[46:47], v[44:45], -v[60:61]
	v_mul_f64 v[52:53], v[44:45], v[44:45]
	v_add_f64 v[56:57], v[64:65], v[40:41]
	v_add_f64 v[42:43], v[42:43], -v[46:47]
	v_add_f64 v[46:47], v[56:57], -v[64:65]
	v_fma_f64 v[58:59], s[6:7], v[52:53], v[22:23]
	v_mul_f64 v[60:61], v[56:57], v[56:57]
	v_add_f64 v[40:41], v[40:41], -v[46:47]
	v_fma_f64 v[46:47], v[52:53], v[58:59], s[8:9]
	v_fma_f64 v[58:59], s[6:7], v[60:61], v[22:23]
	v_fma_f64 v[46:47], v[52:53], v[46:47], s[12:13]
	v_fma_f64 v[58:59], v[60:61], v[58:59], s[8:9]
	v_fma_f64 v[46:47], v[52:53], v[46:47], s[14:15]
	v_fma_f64 v[58:59], v[60:61], v[58:59], s[12:13]
	v_fma_f64 v[46:47], v[52:53], v[46:47], s[16:17]
	v_ldexp_f64 v[54:55], v[44:45], 1
	v_mul_f64 v[44:45], v[44:45], v[52:53]
	v_fma_f64 v[58:59], v[60:61], v[58:59], s[14:15]
	v_fma_f64 v[46:47], v[52:53], v[46:47], s[18:19]
	;; [unrolled: 1-line block ×3, first 2 shown]
	v_mul_f64 v[44:45], v[44:45], v[46:47]
	v_fma_f64 v[46:47], v[60:61], v[52:53], s[18:19]
	v_add_f64 v[52:53], v[54:55], v[44:45]
	v_add_f64 v[54:55], v[52:53], -v[54:55]
	v_ldexp_f64 v[42:43], v[42:43], 1
	v_add_f64 v[44:45], v[44:45], -v[54:55]
	v_add_f64 v[42:43], v[42:43], v[44:45]
	v_add_f64 v[44:45], v[52:53], v[42:43]
	v_add_f64 v[52:53], v[44:45], -v[52:53]
	v_add_f64 v[54:55], v[48:49], v[44:45]
	v_add_f64 v[42:43], v[42:43], -v[52:53]
	v_add_f64 v[52:53], v[54:55], -v[48:49]
	;; [unrolled: 1-line block ×4, first 2 shown]
	v_add_f64 v[58:59], v[50:51], v[42:43]
	v_add_f64 v[48:49], v[48:49], -v[52:53]
	v_add_f64 v[52:53], v[58:59], -v[50:51]
	v_add_f64 v[44:45], v[44:45], v[48:49]
	v_add_f64 v[48:49], v[58:59], -v[52:53]
	v_add_f64 v[42:43], v[42:43], -v[52:53]
	;; [unrolled: 1-line block ×3, first 2 shown]
	v_add_f64 v[44:45], v[58:59], v[44:45]
	v_add_f64 v[42:43], v[42:43], v[48:49]
	;; [unrolled: 1-line block ×3, first 2 shown]
	v_add_f64 v[50:51], v[48:49], -v[54:55]
	v_add_f64 v[44:45], v[44:45], -v[50:51]
	v_add_f64 v[42:43], v[42:43], v[44:45]
	v_add_f64 v[42:43], v[48:49], v[42:43]
	v_cmp_class_f64_e64 vcc, v[38:39], s73
	v_cndmask_b32_e32 v17, v42, v38, vcc
	v_cndmask_b32_e32 v35, v43, v39, vcc
	v_mul_f64 v[42:43], v[56:57], v[60:61]
	v_ldexp_f64 v[62:63], v[56:57], 1
	v_mul_f64 v[42:43], v[42:43], v[46:47]
	v_add_f64 v[44:45], v[62:63], v[42:43]
	v_add_f64 v[46:47], v[44:45], -v[62:63]
	v_ldexp_f64 v[40:41], v[40:41], 1
	v_add_f64 v[42:43], v[42:43], -v[46:47]
	v_add_f64 v[40:41], v[40:41], v[42:43]
	v_add_f64 v[42:43], v[44:45], v[40:41]
	v_add_f64 v[44:45], v[42:43], -v[44:45]
	v_add_f64 v[40:41], v[40:41], -v[44:45]
	v_cvt_f64_i32_e32 v[44:45], v70
	v_mul_f64 v[46:47], v[44:45], s[20:21]
	v_fma_f64 v[48:49], v[44:45], s[20:21], -v[46:47]
	v_fmac_f64_e32 v[48:49], s[22:23], v[44:45]
	v_add_f64 v[44:45], v[46:47], v[48:49]
	v_add_f64 v[46:47], v[44:45], -v[46:47]
	v_add_f64 v[46:47], v[48:49], -v[46:47]
	v_add_f64 v[48:49], v[44:45], v[42:43]
	v_add_f64 v[50:51], v[48:49], -v[44:45]
	v_add_f64 v[52:53], v[48:49], -v[50:51]
	;; [unrolled: 1-line block ×4, first 2 shown]
	v_add_f64 v[42:43], v[42:43], v[44:45]
	v_add_f64 v[44:45], v[46:47], v[40:41]
	v_add_f64 v[50:51], v[44:45], -v[46:47]
	v_add_f64 v[52:53], v[44:45], -v[50:51]
	v_add_f64 v[42:43], v[44:45], v[42:43]
	v_add_f64 v[46:47], v[46:47], -v[52:53]
	v_add_f64 v[40:41], v[40:41], -v[50:51]
	v_add_f64 v[44:45], v[48:49], v[42:43]
	v_add_f64 v[40:41], v[40:41], v[46:47]
	v_add_f64 v[46:47], v[44:45], -v[48:49]
	v_add_f64 v[42:43], v[42:43], -v[46:47]
	v_cmp_neq_f64_e32 vcc, 0, v[38:39]
	v_add_f64 v[40:41], v[40:41], v[42:43]
	v_fma_f64 v[36:37], -v[36:37], v[36:37], 1.0
	v_cndmask_b32_e32 v39, v27, v35, vcc
	v_cndmask_b32_e32 v38, 0, v17, vcc
	v_add_f64 v[40:41], v[44:45], v[40:41]
	v_cmp_class_f64_e64 vcc, v[6:7], s73
	v_fma_f64 v[36:37], -v[4:5], v[4:5], v[36:37]
	v_add_f64 v[4:5], v[4:5], v[4:5]
	v_cndmask_b32_e32 v17, v40, v6, vcc
	v_cndmask_b32_e32 v35, v41, v7, vcc
	v_max_f64 v[40:41], |v[36:37]|, |v[4:5]|
	v_min_f64 v[42:43], |v[36:37]|, |v[4:5]|
	v_div_scale_f64 v[44:45], s[0:1], v[40:41], v[40:41], v[42:43]
	v_rcp_f64_e32 v[46:47], v[44:45]
	v_cmp_neq_f64_e32 vcc, 0, v[6:7]
	v_cndmask_b32_e32 v7, v27, v35, vcc
	v_cndmask_b32_e32 v6, 0, v17, vcc
	v_add_f64 v[6:7], v[38:39], -v[6:7]
	v_fma_f64 v[38:39], -v[44:45], v[46:47], 1.0
	v_fmac_f64_e32 v[46:47], v[46:47], v[38:39]
	v_fma_f64 v[38:39], -v[44:45], v[46:47], 1.0
	v_fmac_f64_e32 v[46:47], v[46:47], v[38:39]
	v_div_scale_f64 v[38:39], vcc, v[42:43], v[40:41], v[42:43]
	v_mul_f64 v[48:49], v[38:39], v[46:47]
	v_fma_f64 v[38:39], -v[44:45], v[48:49], v[38:39]
	v_cmp_class_f64_e64 s[0:1], v[4:5], s73
	s_nop 0
	v_div_fmas_f64 v[38:39], v[38:39], v[46:47], v[48:49]
	v_div_fixup_f64 v[38:39], v[38:39], v[40:41], v[42:43]
	v_mul_f64 v[40:41], v[38:39], v[38:39]
	v_fma_f64 v[42:43], s[24:25], v[40:41], v[24:25]
	v_fma_f64 v[42:43], v[40:41], v[42:43], s[26:27]
	;; [unrolled: 1-line block ×19, first 2 shown]
	v_mul_f64 v[40:41], v[40:41], v[42:43]
	v_fmac_f64_e32 v[38:39], v[38:39], v[40:41]
	v_add_f64 v[40:41], -v[38:39], s[64:65]
	v_cmp_lt_f64_e64 vcc, |v[36:37]|, |v[4:5]|
	v_cndmask_b32_e32 v39, v39, v41, vcc
	v_cndmask_b32_e32 v38, v38, v40, vcc
	v_ashrrev_i32_e32 v40, 31, v37
	v_cmp_gt_i32_e32 vcc, 0, v37
	v_and_b32_e32 v42, 0x400921fb, v40
	v_and_b32_e32 v43, 0x54442d18, v40
	v_add_f64 v[40:41], -v[38:39], s[66:67]
	v_cndmask_b32_e32 v17, v28, v29, vcc
	v_cndmask_b32_e32 v35, v30, v31, vcc
	;; [unrolled: 1-line block ×4, first 2 shown]
	v_cmp_eq_f64_e32 vcc, 0, v[4:5]
	v_cmp_class_f64_e64 s[76:77], v[36:37], s73
	v_cndmask_b32_e32 v38, v38, v43, vcc
	v_cndmask_b32_e32 v39, v39, v42, vcc
	v_bfi_b32 v35, s74, v35, v5
	s_and_b64 vcc, s[0:1], s[76:77]
	v_cndmask_b32_e32 v35, v39, v35, vcc
	v_cndmask_b32_e32 v17, v38, v17, vcc
	v_cmp_o_f64_e32 vcc, v[36:37], v[4:5]
	v_cndmask_b32_e32 v4, 0, v17, vcc
	v_cndmask_b32_e32 v17, v32, v35, vcc
	v_bfi_b32 v5, s74, v17, v5
	v_mul_f64 v[36:37], v[4:5], 0.5
	v_ldexp_f64 v[6:7], v[6:7], -2
	v_pk_mov_b32 v[4:5], v[36:37], v[36:37] op_sel:[0,1]
	v_fmac_f64_e32 v[4:5], 0x80000000, v[6:7]
	v_fma_f64 v[6:7], v[36:37], s[68:69], -v[6:7]
	s_waitcnt vmcnt(2)
	v_fma_f64 v[36:37], v[12:13], 0, -v[14:15]
	v_fmac_f64_e32 v[12:13], 0, v[14:15]
	v_mul_f64 v[14:15], v[12:13], v[12:13]
	v_add_f64 v[38:39], v[36:37], 1.0
	v_fma_f64 v[38:39], v[38:39], v[38:39], v[14:15]
	v_add_f64 v[40:41], -v[36:37], 1.0
	v_fmac_f64_e32 v[14:15], v[40:41], v[40:41]
	v_frexp_mant_f64_e32 v[40:41], v[38:39]
	v_cmp_gt_f64_e32 vcc, s[4:5], v[40:41]
	v_cndmask_b32_e64 v17, v26, 2.0, vcc
	v_mul_f64 v[40:41], v[40:41], v[16:17]
	v_add_f64 v[42:43], v[40:41], 1.0
	v_rcp_f64_e32 v[44:45], v[42:43]
	v_add_f64 v[48:49], v[42:43], -1.0
	v_add_f64 v[46:47], v[40:41], -1.0
	v_add_f64 v[40:41], v[40:41], -v[48:49]
	v_fma_f64 v[48:49], -v[42:43], v[44:45], 1.0
	v_fmac_f64_e32 v[44:45], v[48:49], v[44:45]
	v_fma_f64 v[48:49], -v[42:43], v[44:45], 1.0
	v_fmac_f64_e32 v[44:45], v[48:49], v[44:45]
	v_mul_f64 v[48:49], v[46:47], v[44:45]
	v_mul_f64 v[50:51], v[42:43], v[48:49]
	v_fma_f64 v[42:43], v[48:49], v[42:43], -v[50:51]
	v_fmac_f64_e32 v[42:43], v[48:49], v[40:41]
	v_add_f64 v[40:41], v[50:51], v[42:43]
	v_add_f64 v[52:53], v[46:47], -v[40:41]
	v_add_f64 v[50:51], v[40:41], -v[50:51]
	;; [unrolled: 1-line block ×5, first 2 shown]
	v_add_f64 v[40:41], v[42:43], v[40:41]
	v_add_f64 v[40:41], v[52:53], v[40:41]
	v_mul_f64 v[40:41], v[44:45], v[40:41]
	v_add_f64 v[42:43], v[48:49], v[40:41]
	v_add_f64 v[44:45], v[42:43], -v[48:49]
	v_add_f64 v[40:41], v[40:41], -v[44:45]
	v_mul_f64 v[44:45], v[42:43], v[42:43]
	v_fma_f64 v[46:47], s[6:7], v[44:45], v[22:23]
	v_fma_f64 v[46:47], v[44:45], v[46:47], s[8:9]
	;; [unrolled: 1-line block ×6, first 2 shown]
	v_ldexp_f64 v[48:49], v[42:43], 1
	v_mul_f64 v[42:43], v[42:43], v[44:45]
	v_mul_f64 v[42:43], v[42:43], v[46:47]
	v_add_f64 v[44:45], v[48:49], v[42:43]
	v_add_f64 v[46:47], v[44:45], -v[48:49]
	v_ldexp_f64 v[40:41], v[40:41], 1
	v_add_f64 v[42:43], v[42:43], -v[46:47]
	v_add_f64 v[40:41], v[40:41], v[42:43]
	v_frexp_exp_i32_f64_e32 v35, v[38:39]
	v_add_f64 v[42:43], v[44:45], v[40:41]
	v_subbrev_co_u32_e32 v17, vcc, 0, v35, vcc
	v_add_f64 v[44:45], v[42:43], -v[44:45]
	v_add_f64 v[40:41], v[40:41], -v[44:45]
	v_cvt_f64_i32_e32 v[44:45], v17
	v_mul_f64 v[46:47], v[44:45], s[20:21]
	v_fma_f64 v[48:49], v[44:45], s[20:21], -v[46:47]
	v_fmac_f64_e32 v[48:49], s[22:23], v[44:45]
	v_add_f64 v[44:45], v[46:47], v[48:49]
	v_add_f64 v[46:47], v[44:45], -v[46:47]
	v_add_f64 v[46:47], v[48:49], -v[46:47]
	v_add_f64 v[48:49], v[44:45], v[42:43]
	v_add_f64 v[50:51], v[48:49], -v[44:45]
	v_add_f64 v[52:53], v[48:49], -v[50:51]
	;; [unrolled: 1-line block ×4, first 2 shown]
	v_add_f64 v[42:43], v[42:43], v[44:45]
	v_add_f64 v[44:45], v[46:47], v[40:41]
	v_add_f64 v[50:51], v[44:45], -v[46:47]
	v_add_f64 v[52:53], v[44:45], -v[50:51]
	v_add_f64 v[42:43], v[44:45], v[42:43]
	v_add_f64 v[46:47], v[46:47], -v[52:53]
	v_add_f64 v[40:41], v[40:41], -v[50:51]
	v_add_f64 v[44:45], v[48:49], v[42:43]
	v_add_f64 v[40:41], v[40:41], v[46:47]
	v_add_f64 v[46:47], v[44:45], -v[48:49]
	v_add_f64 v[42:43], v[42:43], -v[46:47]
	v_add_f64 v[40:41], v[40:41], v[42:43]
	v_add_f64 v[40:41], v[44:45], v[40:41]
	v_cmp_class_f64_e64 vcc, v[38:39], s73
	v_cndmask_b32_e32 v17, v40, v38, vcc
	v_cndmask_b32_e32 v35, v41, v39, vcc
	v_cmp_neq_f64_e32 vcc, 0, v[38:39]
	v_frexp_mant_f64_e32 v[40:41], v[14:15]
	v_cndmask_b32_e32 v39, v27, v35, vcc
	v_cndmask_b32_e32 v38, 0, v17, vcc
	v_cmp_gt_f64_e32 vcc, s[4:5], v[40:41]
	v_cndmask_b32_e64 v17, v26, 2.0, vcc
	v_mul_f64 v[40:41], v[40:41], v[16:17]
	v_add_f64 v[42:43], v[40:41], 1.0
	v_rcp_f64_e32 v[44:45], v[42:43]
	v_add_f64 v[48:49], v[42:43], -1.0
	v_add_f64 v[46:47], v[40:41], -1.0
	v_add_f64 v[40:41], v[40:41], -v[48:49]
	v_fma_f64 v[48:49], -v[42:43], v[44:45], 1.0
	v_fmac_f64_e32 v[44:45], v[48:49], v[44:45]
	v_fma_f64 v[48:49], -v[42:43], v[44:45], 1.0
	v_fmac_f64_e32 v[44:45], v[48:49], v[44:45]
	v_mul_f64 v[48:49], v[46:47], v[44:45]
	v_mul_f64 v[50:51], v[42:43], v[48:49]
	v_fma_f64 v[42:43], v[48:49], v[42:43], -v[50:51]
	v_fmac_f64_e32 v[42:43], v[48:49], v[40:41]
	v_add_f64 v[40:41], v[50:51], v[42:43]
	v_add_f64 v[52:53], v[46:47], -v[40:41]
	v_add_f64 v[50:51], v[40:41], -v[50:51]
	;; [unrolled: 1-line block ×5, first 2 shown]
	v_add_f64 v[40:41], v[42:43], v[40:41]
	v_add_f64 v[40:41], v[52:53], v[40:41]
	v_mul_f64 v[40:41], v[44:45], v[40:41]
	v_add_f64 v[42:43], v[48:49], v[40:41]
	v_add_f64 v[44:45], v[42:43], -v[48:49]
	v_add_f64 v[40:41], v[40:41], -v[44:45]
	v_mul_f64 v[44:45], v[42:43], v[42:43]
	v_fma_f64 v[46:47], s[6:7], v[44:45], v[22:23]
	v_fma_f64 v[46:47], v[44:45], v[46:47], s[8:9]
	;; [unrolled: 1-line block ×6, first 2 shown]
	v_ldexp_f64 v[48:49], v[42:43], 1
	v_mul_f64 v[42:43], v[42:43], v[44:45]
	v_mul_f64 v[42:43], v[42:43], v[46:47]
	v_add_f64 v[44:45], v[48:49], v[42:43]
	v_add_f64 v[46:47], v[44:45], -v[48:49]
	v_ldexp_f64 v[40:41], v[40:41], 1
	v_add_f64 v[42:43], v[42:43], -v[46:47]
	v_add_f64 v[40:41], v[40:41], v[42:43]
	v_frexp_exp_i32_f64_e32 v35, v[14:15]
	v_add_f64 v[42:43], v[44:45], v[40:41]
	v_subbrev_co_u32_e32 v17, vcc, 0, v35, vcc
	v_add_f64 v[44:45], v[42:43], -v[44:45]
	v_add_f64 v[40:41], v[40:41], -v[44:45]
	v_cvt_f64_i32_e32 v[44:45], v17
	v_mul_f64 v[46:47], v[44:45], s[20:21]
	v_fma_f64 v[48:49], v[44:45], s[20:21], -v[46:47]
	v_fmac_f64_e32 v[48:49], s[22:23], v[44:45]
	v_add_f64 v[44:45], v[46:47], v[48:49]
	v_add_f64 v[46:47], v[44:45], -v[46:47]
	v_add_f64 v[46:47], v[48:49], -v[46:47]
	v_add_f64 v[48:49], v[44:45], v[42:43]
	v_add_f64 v[50:51], v[48:49], -v[44:45]
	v_add_f64 v[52:53], v[48:49], -v[50:51]
	;; [unrolled: 1-line block ×4, first 2 shown]
	v_add_f64 v[42:43], v[42:43], v[44:45]
	v_add_f64 v[44:45], v[46:47], v[40:41]
	v_add_f64 v[50:51], v[44:45], -v[46:47]
	v_add_f64 v[52:53], v[44:45], -v[50:51]
	v_add_f64 v[42:43], v[44:45], v[42:43]
	v_add_f64 v[46:47], v[46:47], -v[52:53]
	v_add_f64 v[40:41], v[40:41], -v[50:51]
	v_add_f64 v[44:45], v[48:49], v[42:43]
	v_add_f64 v[40:41], v[40:41], v[46:47]
	v_add_f64 v[46:47], v[44:45], -v[48:49]
	v_add_f64 v[42:43], v[42:43], -v[46:47]
	v_add_f64 v[40:41], v[40:41], v[42:43]
	v_fma_f64 v[36:37], -v[36:37], v[36:37], 1.0
	v_add_f64 v[40:41], v[44:45], v[40:41]
	v_cmp_class_f64_e64 vcc, v[14:15], s73
	v_fma_f64 v[36:37], -v[12:13], v[12:13], v[36:37]
	v_add_f64 v[12:13], v[12:13], v[12:13]
	v_cndmask_b32_e32 v17, v40, v14, vcc
	v_cndmask_b32_e32 v35, v41, v15, vcc
	v_max_f64 v[40:41], |v[36:37]|, |v[12:13]|
	v_min_f64 v[42:43], |v[36:37]|, |v[12:13]|
	v_div_scale_f64 v[44:45], s[0:1], v[40:41], v[40:41], v[42:43]
	v_rcp_f64_e32 v[46:47], v[44:45]
	v_cmp_neq_f64_e32 vcc, 0, v[14:15]
	v_cndmask_b32_e32 v15, v27, v35, vcc
	v_cndmask_b32_e32 v14, 0, v17, vcc
	v_add_f64 v[14:15], v[38:39], -v[14:15]
	v_fma_f64 v[38:39], -v[44:45], v[46:47], 1.0
	v_fmac_f64_e32 v[46:47], v[46:47], v[38:39]
	v_fma_f64 v[38:39], -v[44:45], v[46:47], 1.0
	v_fmac_f64_e32 v[46:47], v[46:47], v[38:39]
	v_div_scale_f64 v[38:39], vcc, v[42:43], v[40:41], v[42:43]
	v_mul_f64 v[48:49], v[38:39], v[46:47]
	v_fma_f64 v[38:39], -v[44:45], v[48:49], v[38:39]
	v_cmp_class_f64_e64 s[0:1], v[12:13], s73
	s_nop 0
	v_div_fmas_f64 v[38:39], v[38:39], v[46:47], v[48:49]
	v_div_fixup_f64 v[38:39], v[38:39], v[40:41], v[42:43]
	v_mul_f64 v[40:41], v[38:39], v[38:39]
	v_fma_f64 v[42:43], s[24:25], v[40:41], v[24:25]
	v_fma_f64 v[42:43], v[40:41], v[42:43], s[26:27]
	;; [unrolled: 1-line block ×19, first 2 shown]
	v_mul_f64 v[40:41], v[40:41], v[42:43]
	v_fmac_f64_e32 v[38:39], v[38:39], v[40:41]
	v_add_f64 v[40:41], -v[38:39], s[64:65]
	v_cmp_lt_f64_e64 vcc, |v[36:37]|, |v[12:13]|
	v_cndmask_b32_e32 v39, v39, v41, vcc
	v_cndmask_b32_e32 v38, v38, v40, vcc
	v_ashrrev_i32_e32 v40, 31, v37
	v_cmp_gt_i32_e32 vcc, 0, v37
	v_and_b32_e32 v42, 0x400921fb, v40
	v_and_b32_e32 v43, 0x54442d18, v40
	v_add_f64 v[40:41], -v[38:39], s[66:67]
	v_cndmask_b32_e32 v17, v28, v29, vcc
	v_cndmask_b32_e32 v35, v30, v31, vcc
	;; [unrolled: 1-line block ×4, first 2 shown]
	v_cmp_eq_f64_e32 vcc, 0, v[12:13]
	v_cmp_class_f64_e64 s[76:77], v[36:37], s73
	v_cndmask_b32_e32 v38, v38, v43, vcc
	v_cndmask_b32_e32 v39, v39, v42, vcc
	v_bfi_b32 v35, s74, v35, v13
	s_and_b64 vcc, s[0:1], s[76:77]
	v_cndmask_b32_e32 v35, v39, v35, vcc
	v_cndmask_b32_e32 v17, v38, v17, vcc
	v_cmp_o_f64_e32 vcc, v[36:37], v[12:13]
	v_cndmask_b32_e32 v12, 0, v17, vcc
	v_cndmask_b32_e32 v17, v32, v35, vcc
	v_bfi_b32 v13, s74, v17, v13
	v_mul_f64 v[36:37], v[12:13], 0.5
	v_ldexp_f64 v[14:15], v[14:15], -2
	v_pk_mov_b32 v[12:13], v[36:37], v[36:37] op_sel:[0,1]
	v_fmac_f64_e32 v[12:13], 0x80000000, v[14:15]
	v_fma_f64 v[14:15], v[36:37], s[68:69], -v[14:15]
	s_waitcnt vmcnt(0)
	v_fma_f64 v[36:37], v[8:9], 0, -v[10:11]
	v_fmac_f64_e32 v[8:9], 0, v[10:11]
	v_mul_f64 v[10:11], v[8:9], v[8:9]
	v_add_f64 v[38:39], v[36:37], 1.0
	v_fma_f64 v[38:39], v[38:39], v[38:39], v[10:11]
	v_add_f64 v[40:41], -v[36:37], 1.0
	v_fmac_f64_e32 v[10:11], v[40:41], v[40:41]
	v_frexp_mant_f64_e32 v[40:41], v[38:39]
	v_cmp_gt_f64_e32 vcc, s[4:5], v[40:41]
	v_cndmask_b32_e64 v17, v26, 2.0, vcc
	v_mul_f64 v[40:41], v[40:41], v[16:17]
	v_add_f64 v[42:43], v[40:41], 1.0
	v_rcp_f64_e32 v[44:45], v[42:43]
	v_add_f64 v[48:49], v[42:43], -1.0
	v_add_f64 v[46:47], v[40:41], -1.0
	v_add_f64 v[40:41], v[40:41], -v[48:49]
	v_fma_f64 v[48:49], -v[42:43], v[44:45], 1.0
	v_fmac_f64_e32 v[44:45], v[48:49], v[44:45]
	v_fma_f64 v[48:49], -v[42:43], v[44:45], 1.0
	v_fmac_f64_e32 v[44:45], v[48:49], v[44:45]
	v_mul_f64 v[48:49], v[46:47], v[44:45]
	v_mul_f64 v[50:51], v[42:43], v[48:49]
	v_fma_f64 v[42:43], v[48:49], v[42:43], -v[50:51]
	v_fmac_f64_e32 v[42:43], v[48:49], v[40:41]
	v_add_f64 v[40:41], v[50:51], v[42:43]
	v_add_f64 v[52:53], v[46:47], -v[40:41]
	v_add_f64 v[50:51], v[40:41], -v[50:51]
	;; [unrolled: 1-line block ×5, first 2 shown]
	v_add_f64 v[40:41], v[42:43], v[40:41]
	v_add_f64 v[40:41], v[52:53], v[40:41]
	v_mul_f64 v[40:41], v[44:45], v[40:41]
	v_add_f64 v[42:43], v[48:49], v[40:41]
	v_add_f64 v[44:45], v[42:43], -v[48:49]
	v_add_f64 v[40:41], v[40:41], -v[44:45]
	v_mul_f64 v[44:45], v[42:43], v[42:43]
	v_fma_f64 v[46:47], s[6:7], v[44:45], v[22:23]
	v_fma_f64 v[46:47], v[44:45], v[46:47], s[8:9]
	v_fma_f64 v[46:47], v[44:45], v[46:47], s[12:13]
	v_fma_f64 v[46:47], v[44:45], v[46:47], s[14:15]
	v_fma_f64 v[46:47], v[44:45], v[46:47], s[16:17]
	v_fma_f64 v[46:47], v[44:45], v[46:47], s[18:19]
	v_ldexp_f64 v[48:49], v[42:43], 1
	v_mul_f64 v[42:43], v[42:43], v[44:45]
	v_mul_f64 v[42:43], v[42:43], v[46:47]
	v_add_f64 v[44:45], v[48:49], v[42:43]
	v_add_f64 v[46:47], v[44:45], -v[48:49]
	v_ldexp_f64 v[40:41], v[40:41], 1
	v_add_f64 v[42:43], v[42:43], -v[46:47]
	v_add_f64 v[40:41], v[40:41], v[42:43]
	v_frexp_exp_i32_f64_e32 v35, v[38:39]
	v_add_f64 v[42:43], v[44:45], v[40:41]
	v_subbrev_co_u32_e32 v17, vcc, 0, v35, vcc
	v_add_f64 v[44:45], v[42:43], -v[44:45]
	v_add_f64 v[40:41], v[40:41], -v[44:45]
	v_cvt_f64_i32_e32 v[44:45], v17
	v_mul_f64 v[46:47], v[44:45], s[20:21]
	v_fma_f64 v[48:49], v[44:45], s[20:21], -v[46:47]
	v_fmac_f64_e32 v[48:49], s[22:23], v[44:45]
	v_add_f64 v[44:45], v[46:47], v[48:49]
	v_add_f64 v[46:47], v[44:45], -v[46:47]
	v_add_f64 v[46:47], v[48:49], -v[46:47]
	v_add_f64 v[48:49], v[44:45], v[42:43]
	v_add_f64 v[50:51], v[48:49], -v[44:45]
	v_add_f64 v[52:53], v[48:49], -v[50:51]
	;; [unrolled: 1-line block ×4, first 2 shown]
	v_add_f64 v[42:43], v[42:43], v[44:45]
	v_add_f64 v[44:45], v[46:47], v[40:41]
	v_add_f64 v[50:51], v[44:45], -v[46:47]
	v_add_f64 v[52:53], v[44:45], -v[50:51]
	v_add_f64 v[42:43], v[44:45], v[42:43]
	v_add_f64 v[46:47], v[46:47], -v[52:53]
	v_add_f64 v[40:41], v[40:41], -v[50:51]
	v_add_f64 v[44:45], v[48:49], v[42:43]
	v_add_f64 v[40:41], v[40:41], v[46:47]
	v_add_f64 v[46:47], v[44:45], -v[48:49]
	v_add_f64 v[42:43], v[42:43], -v[46:47]
	v_add_f64 v[40:41], v[40:41], v[42:43]
	v_add_f64 v[40:41], v[44:45], v[40:41]
	v_cmp_class_f64_e64 vcc, v[38:39], s73
	v_cndmask_b32_e32 v17, v40, v38, vcc
	v_cndmask_b32_e32 v35, v41, v39, vcc
	v_cmp_neq_f64_e32 vcc, 0, v[38:39]
	v_frexp_mant_f64_e32 v[40:41], v[10:11]
	v_cndmask_b32_e32 v39, v27, v35, vcc
	v_cndmask_b32_e32 v38, 0, v17, vcc
	v_cmp_gt_f64_e32 vcc, s[4:5], v[40:41]
	v_cndmask_b32_e64 v17, v26, 2.0, vcc
	v_mul_f64 v[40:41], v[40:41], v[16:17]
	v_add_f64 v[42:43], v[40:41], 1.0
	v_rcp_f64_e32 v[44:45], v[42:43]
	v_add_f64 v[48:49], v[42:43], -1.0
	v_add_f64 v[46:47], v[40:41], -1.0
	v_add_f64 v[40:41], v[40:41], -v[48:49]
	v_fma_f64 v[48:49], -v[42:43], v[44:45], 1.0
	v_fmac_f64_e32 v[44:45], v[48:49], v[44:45]
	v_fma_f64 v[48:49], -v[42:43], v[44:45], 1.0
	v_fmac_f64_e32 v[44:45], v[48:49], v[44:45]
	v_mul_f64 v[48:49], v[46:47], v[44:45]
	v_mul_f64 v[50:51], v[42:43], v[48:49]
	v_fma_f64 v[42:43], v[48:49], v[42:43], -v[50:51]
	v_fmac_f64_e32 v[42:43], v[48:49], v[40:41]
	v_add_f64 v[40:41], v[50:51], v[42:43]
	v_add_f64 v[52:53], v[46:47], -v[40:41]
	v_add_f64 v[50:51], v[40:41], -v[50:51]
	;; [unrolled: 1-line block ×5, first 2 shown]
	v_add_f64 v[40:41], v[42:43], v[40:41]
	v_add_f64 v[40:41], v[52:53], v[40:41]
	v_mul_f64 v[40:41], v[44:45], v[40:41]
	v_add_f64 v[42:43], v[48:49], v[40:41]
	v_add_f64 v[44:45], v[42:43], -v[48:49]
	v_add_f64 v[40:41], v[40:41], -v[44:45]
	v_mul_f64 v[44:45], v[42:43], v[42:43]
	v_fma_f64 v[46:47], s[6:7], v[44:45], v[22:23]
	v_fma_f64 v[46:47], v[44:45], v[46:47], s[8:9]
	;; [unrolled: 1-line block ×6, first 2 shown]
	v_ldexp_f64 v[48:49], v[42:43], 1
	v_mul_f64 v[42:43], v[42:43], v[44:45]
	v_mul_f64 v[42:43], v[42:43], v[46:47]
	v_add_f64 v[44:45], v[48:49], v[42:43]
	v_add_f64 v[46:47], v[44:45], -v[48:49]
	v_ldexp_f64 v[40:41], v[40:41], 1
	v_add_f64 v[42:43], v[42:43], -v[46:47]
	v_add_f64 v[40:41], v[40:41], v[42:43]
	v_frexp_exp_i32_f64_e32 v35, v[10:11]
	v_add_f64 v[42:43], v[44:45], v[40:41]
	v_subbrev_co_u32_e32 v17, vcc, 0, v35, vcc
	v_add_f64 v[44:45], v[42:43], -v[44:45]
	v_add_f64 v[40:41], v[40:41], -v[44:45]
	v_cvt_f64_i32_e32 v[44:45], v17
	v_mul_f64 v[46:47], v[44:45], s[20:21]
	v_fma_f64 v[48:49], v[44:45], s[20:21], -v[46:47]
	v_fmac_f64_e32 v[48:49], s[22:23], v[44:45]
	v_add_f64 v[44:45], v[46:47], v[48:49]
	v_add_f64 v[46:47], v[44:45], -v[46:47]
	v_add_f64 v[46:47], v[48:49], -v[46:47]
	v_add_f64 v[48:49], v[44:45], v[42:43]
	v_add_f64 v[50:51], v[48:49], -v[44:45]
	v_add_f64 v[52:53], v[48:49], -v[50:51]
	;; [unrolled: 1-line block ×4, first 2 shown]
	v_add_f64 v[42:43], v[42:43], v[44:45]
	v_add_f64 v[44:45], v[46:47], v[40:41]
	v_add_f64 v[50:51], v[44:45], -v[46:47]
	v_add_f64 v[52:53], v[44:45], -v[50:51]
	v_add_f64 v[42:43], v[44:45], v[42:43]
	v_add_f64 v[46:47], v[46:47], -v[52:53]
	v_add_f64 v[40:41], v[40:41], -v[50:51]
	v_add_f64 v[44:45], v[48:49], v[42:43]
	v_add_f64 v[40:41], v[40:41], v[46:47]
	v_add_f64 v[46:47], v[44:45], -v[48:49]
	v_add_f64 v[42:43], v[42:43], -v[46:47]
	v_add_f64 v[40:41], v[40:41], v[42:43]
	v_fma_f64 v[36:37], -v[36:37], v[36:37], 1.0
	v_add_f64 v[40:41], v[44:45], v[40:41]
	v_cmp_class_f64_e64 vcc, v[10:11], s73
	v_fma_f64 v[36:37], -v[8:9], v[8:9], v[36:37]
	v_add_f64 v[8:9], v[8:9], v[8:9]
	v_cndmask_b32_e32 v17, v40, v10, vcc
	v_cndmask_b32_e32 v35, v41, v11, vcc
	v_max_f64 v[40:41], |v[36:37]|, |v[8:9]|
	v_min_f64 v[42:43], |v[36:37]|, |v[8:9]|
	v_div_scale_f64 v[44:45], s[0:1], v[40:41], v[40:41], v[42:43]
	v_rcp_f64_e32 v[46:47], v[44:45]
	v_cmp_neq_f64_e32 vcc, 0, v[10:11]
	v_cndmask_b32_e32 v11, v27, v35, vcc
	v_cndmask_b32_e32 v10, 0, v17, vcc
	v_add_f64 v[10:11], v[38:39], -v[10:11]
	v_fma_f64 v[38:39], -v[44:45], v[46:47], 1.0
	v_fmac_f64_e32 v[46:47], v[46:47], v[38:39]
	v_fma_f64 v[38:39], -v[44:45], v[46:47], 1.0
	v_fmac_f64_e32 v[46:47], v[46:47], v[38:39]
	v_div_scale_f64 v[38:39], vcc, v[42:43], v[40:41], v[42:43]
	v_mul_f64 v[48:49], v[38:39], v[46:47]
	v_fma_f64 v[38:39], -v[44:45], v[48:49], v[38:39]
	v_cmp_class_f64_e64 s[0:1], v[8:9], s73
	s_nop 0
	v_div_fmas_f64 v[38:39], v[38:39], v[46:47], v[48:49]
	v_div_fixup_f64 v[38:39], v[38:39], v[40:41], v[42:43]
	v_mul_f64 v[40:41], v[38:39], v[38:39]
	v_fma_f64 v[42:43], s[24:25], v[40:41], v[24:25]
	v_fma_f64 v[42:43], v[40:41], v[42:43], s[26:27]
	;; [unrolled: 1-line block ×19, first 2 shown]
	v_mul_f64 v[40:41], v[40:41], v[42:43]
	v_fmac_f64_e32 v[38:39], v[38:39], v[40:41]
	v_add_f64 v[40:41], -v[38:39], s[64:65]
	v_cmp_lt_f64_e64 vcc, |v[36:37]|, |v[8:9]|
	v_cndmask_b32_e32 v39, v39, v41, vcc
	v_cndmask_b32_e32 v38, v38, v40, vcc
	v_ashrrev_i32_e32 v40, 31, v37
	v_cmp_gt_i32_e32 vcc, 0, v37
	v_and_b32_e32 v42, 0x400921fb, v40
	v_and_b32_e32 v43, 0x54442d18, v40
	v_add_f64 v[40:41], -v[38:39], s[66:67]
	v_cndmask_b32_e32 v17, v28, v29, vcc
	v_cndmask_b32_e32 v35, v30, v31, vcc
	;; [unrolled: 1-line block ×4, first 2 shown]
	v_cmp_eq_f64_e32 vcc, 0, v[8:9]
	v_cmp_class_f64_e64 s[76:77], v[36:37], s73
	v_cndmask_b32_e32 v38, v38, v43, vcc
	v_cndmask_b32_e32 v39, v39, v42, vcc
	v_bfi_b32 v35, s74, v35, v9
	s_and_b64 vcc, s[0:1], s[76:77]
	v_cndmask_b32_e32 v35, v39, v35, vcc
	v_cndmask_b32_e32 v17, v38, v17, vcc
	v_cmp_o_f64_e32 vcc, v[36:37], v[8:9]
	v_cndmask_b32_e32 v8, 0, v17, vcc
	v_cndmask_b32_e32 v17, v32, v35, vcc
	v_bfi_b32 v9, s74, v17, v9
	v_mul_f64 v[36:37], v[8:9], 0.5
	v_ldexp_f64 v[10:11], v[10:11], -2
	v_pk_mov_b32 v[8:9], v[36:37], v[36:37] op_sel:[0,1]
	v_fmac_f64_e32 v[8:9], 0x80000000, v[10:11]
	v_fma_f64 v[10:11], v[36:37], s[68:69], -v[10:11]
	v_fma_f64 v[36:37], v[0:1], 0, -v[2:3]
	v_fmac_f64_e32 v[0:1], 0, v[2:3]
	v_mul_f64 v[2:3], v[0:1], v[0:1]
	v_add_f64 v[38:39], v[36:37], 1.0
	v_fma_f64 v[38:39], v[38:39], v[38:39], v[2:3]
	v_add_f64 v[40:41], -v[36:37], 1.0
	v_fmac_f64_e32 v[2:3], v[40:41], v[40:41]
	v_frexp_mant_f64_e32 v[40:41], v[38:39]
	v_cmp_gt_f64_e32 vcc, s[4:5], v[40:41]
	v_cndmask_b32_e64 v17, v26, 2.0, vcc
	v_mul_f64 v[40:41], v[40:41], v[16:17]
	v_add_f64 v[42:43], v[40:41], 1.0
	v_rcp_f64_e32 v[44:45], v[42:43]
	v_add_f64 v[48:49], v[42:43], -1.0
	v_add_f64 v[46:47], v[40:41], -1.0
	v_add_f64 v[40:41], v[40:41], -v[48:49]
	v_fma_f64 v[48:49], -v[42:43], v[44:45], 1.0
	v_fmac_f64_e32 v[44:45], v[48:49], v[44:45]
	v_fma_f64 v[48:49], -v[42:43], v[44:45], 1.0
	v_fmac_f64_e32 v[44:45], v[48:49], v[44:45]
	v_mul_f64 v[48:49], v[46:47], v[44:45]
	v_mul_f64 v[50:51], v[42:43], v[48:49]
	v_fma_f64 v[42:43], v[48:49], v[42:43], -v[50:51]
	v_fmac_f64_e32 v[42:43], v[48:49], v[40:41]
	v_add_f64 v[40:41], v[50:51], v[42:43]
	v_add_f64 v[52:53], v[46:47], -v[40:41]
	v_add_f64 v[50:51], v[40:41], -v[50:51]
	;; [unrolled: 1-line block ×5, first 2 shown]
	v_add_f64 v[40:41], v[42:43], v[40:41]
	v_add_f64 v[40:41], v[52:53], v[40:41]
	v_mul_f64 v[40:41], v[44:45], v[40:41]
	v_add_f64 v[42:43], v[48:49], v[40:41]
	v_add_f64 v[44:45], v[42:43], -v[48:49]
	v_add_f64 v[40:41], v[40:41], -v[44:45]
	v_mul_f64 v[44:45], v[42:43], v[42:43]
	v_fma_f64 v[46:47], s[6:7], v[44:45], v[22:23]
	v_fma_f64 v[46:47], v[44:45], v[46:47], s[8:9]
	;; [unrolled: 1-line block ×6, first 2 shown]
	v_ldexp_f64 v[48:49], v[42:43], 1
	v_mul_f64 v[42:43], v[42:43], v[44:45]
	v_mul_f64 v[42:43], v[42:43], v[46:47]
	v_add_f64 v[44:45], v[48:49], v[42:43]
	v_add_f64 v[46:47], v[44:45], -v[48:49]
	v_ldexp_f64 v[40:41], v[40:41], 1
	v_add_f64 v[42:43], v[42:43], -v[46:47]
	v_add_f64 v[40:41], v[40:41], v[42:43]
	v_frexp_exp_i32_f64_e32 v35, v[38:39]
	v_add_f64 v[42:43], v[44:45], v[40:41]
	v_subbrev_co_u32_e32 v17, vcc, 0, v35, vcc
	v_add_f64 v[44:45], v[42:43], -v[44:45]
	v_add_f64 v[40:41], v[40:41], -v[44:45]
	v_cvt_f64_i32_e32 v[44:45], v17
	v_mul_f64 v[46:47], v[44:45], s[20:21]
	v_fma_f64 v[48:49], v[44:45], s[20:21], -v[46:47]
	v_fmac_f64_e32 v[48:49], s[22:23], v[44:45]
	v_add_f64 v[44:45], v[46:47], v[48:49]
	v_add_f64 v[46:47], v[44:45], -v[46:47]
	v_add_f64 v[46:47], v[48:49], -v[46:47]
	v_add_f64 v[48:49], v[44:45], v[42:43]
	v_add_f64 v[50:51], v[48:49], -v[44:45]
	v_add_f64 v[52:53], v[48:49], -v[50:51]
	;; [unrolled: 1-line block ×4, first 2 shown]
	v_add_f64 v[42:43], v[42:43], v[44:45]
	v_add_f64 v[44:45], v[46:47], v[40:41]
	v_add_f64 v[50:51], v[44:45], -v[46:47]
	v_add_f64 v[52:53], v[44:45], -v[50:51]
	v_add_f64 v[42:43], v[44:45], v[42:43]
	v_add_f64 v[46:47], v[46:47], -v[52:53]
	v_add_f64 v[40:41], v[40:41], -v[50:51]
	v_add_f64 v[44:45], v[48:49], v[42:43]
	v_add_f64 v[40:41], v[40:41], v[46:47]
	v_add_f64 v[46:47], v[44:45], -v[48:49]
	v_add_f64 v[42:43], v[42:43], -v[46:47]
	v_add_f64 v[40:41], v[40:41], v[42:43]
	v_add_f64 v[40:41], v[44:45], v[40:41]
	v_cmp_class_f64_e64 vcc, v[38:39], s73
	v_cndmask_b32_e32 v17, v40, v38, vcc
	v_cndmask_b32_e32 v35, v41, v39, vcc
	v_cmp_neq_f64_e32 vcc, 0, v[38:39]
	v_frexp_mant_f64_e32 v[40:41], v[2:3]
	v_cndmask_b32_e32 v39, v27, v35, vcc
	v_cndmask_b32_e32 v38, 0, v17, vcc
	v_cmp_gt_f64_e32 vcc, s[4:5], v[40:41]
	v_cndmask_b32_e64 v17, v26, 2.0, vcc
	v_mul_f64 v[40:41], v[40:41], v[16:17]
	v_add_f64 v[42:43], v[40:41], 1.0
	v_rcp_f64_e32 v[44:45], v[42:43]
	v_add_f64 v[48:49], v[42:43], -1.0
	v_add_f64 v[46:47], v[40:41], -1.0
	v_add_f64 v[40:41], v[40:41], -v[48:49]
	v_fma_f64 v[48:49], -v[42:43], v[44:45], 1.0
	v_fmac_f64_e32 v[44:45], v[48:49], v[44:45]
	v_fma_f64 v[48:49], -v[42:43], v[44:45], 1.0
	v_fmac_f64_e32 v[44:45], v[48:49], v[44:45]
	v_mul_f64 v[48:49], v[46:47], v[44:45]
	v_mul_f64 v[50:51], v[42:43], v[48:49]
	v_fma_f64 v[42:43], v[48:49], v[42:43], -v[50:51]
	v_fmac_f64_e32 v[42:43], v[48:49], v[40:41]
	v_add_f64 v[40:41], v[50:51], v[42:43]
	v_add_f64 v[52:53], v[46:47], -v[40:41]
	v_add_f64 v[50:51], v[40:41], -v[50:51]
	;; [unrolled: 1-line block ×5, first 2 shown]
	v_add_f64 v[40:41], v[42:43], v[40:41]
	v_add_f64 v[40:41], v[52:53], v[40:41]
	v_mul_f64 v[40:41], v[44:45], v[40:41]
	v_add_f64 v[42:43], v[48:49], v[40:41]
	v_add_f64 v[44:45], v[42:43], -v[48:49]
	v_add_f64 v[40:41], v[40:41], -v[44:45]
	v_mul_f64 v[44:45], v[42:43], v[42:43]
	v_fma_f64 v[46:47], s[6:7], v[44:45], v[22:23]
	v_fma_f64 v[46:47], v[44:45], v[46:47], s[8:9]
	v_fma_f64 v[46:47], v[44:45], v[46:47], s[12:13]
	v_fma_f64 v[46:47], v[44:45], v[46:47], s[14:15]
	v_fma_f64 v[46:47], v[44:45], v[46:47], s[16:17]
	v_fma_f64 v[46:47], v[44:45], v[46:47], s[18:19]
	v_ldexp_f64 v[48:49], v[42:43], 1
	v_mul_f64 v[42:43], v[42:43], v[44:45]
	v_mul_f64 v[42:43], v[42:43], v[46:47]
	v_add_f64 v[44:45], v[48:49], v[42:43]
	v_add_f64 v[46:47], v[44:45], -v[48:49]
	v_ldexp_f64 v[40:41], v[40:41], 1
	v_add_f64 v[42:43], v[42:43], -v[46:47]
	v_add_f64 v[40:41], v[40:41], v[42:43]
	v_frexp_exp_i32_f64_e32 v35, v[2:3]
	v_add_f64 v[42:43], v[44:45], v[40:41]
	v_subbrev_co_u32_e32 v17, vcc, 0, v35, vcc
	v_add_f64 v[44:45], v[42:43], -v[44:45]
	v_add_f64 v[40:41], v[40:41], -v[44:45]
	v_cvt_f64_i32_e32 v[44:45], v17
	v_mul_f64 v[46:47], v[44:45], s[20:21]
	v_fma_f64 v[48:49], v[44:45], s[20:21], -v[46:47]
	v_fmac_f64_e32 v[48:49], s[22:23], v[44:45]
	v_add_f64 v[44:45], v[46:47], v[48:49]
	v_add_f64 v[46:47], v[44:45], -v[46:47]
	v_add_f64 v[46:47], v[48:49], -v[46:47]
	v_add_f64 v[48:49], v[44:45], v[42:43]
	v_add_f64 v[50:51], v[48:49], -v[44:45]
	v_add_f64 v[52:53], v[48:49], -v[50:51]
	;; [unrolled: 1-line block ×4, first 2 shown]
	v_add_f64 v[42:43], v[42:43], v[44:45]
	v_add_f64 v[44:45], v[46:47], v[40:41]
	v_add_f64 v[50:51], v[44:45], -v[46:47]
	v_add_f64 v[52:53], v[44:45], -v[50:51]
	v_add_f64 v[42:43], v[44:45], v[42:43]
	v_add_f64 v[46:47], v[46:47], -v[52:53]
	v_add_f64 v[40:41], v[40:41], -v[50:51]
	v_add_f64 v[44:45], v[48:49], v[42:43]
	v_add_f64 v[40:41], v[40:41], v[46:47]
	v_add_f64 v[46:47], v[44:45], -v[48:49]
	v_add_f64 v[42:43], v[42:43], -v[46:47]
	v_add_f64 v[40:41], v[40:41], v[42:43]
	v_fma_f64 v[36:37], -v[36:37], v[36:37], 1.0
	v_add_f64 v[40:41], v[44:45], v[40:41]
	v_cmp_class_f64_e64 vcc, v[2:3], s73
	v_fma_f64 v[36:37], -v[0:1], v[0:1], v[36:37]
	v_add_f64 v[0:1], v[0:1], v[0:1]
	v_cndmask_b32_e32 v17, v40, v2, vcc
	v_cndmask_b32_e32 v35, v41, v3, vcc
	v_max_f64 v[40:41], |v[36:37]|, |v[0:1]|
	v_min_f64 v[42:43], |v[36:37]|, |v[0:1]|
	v_div_scale_f64 v[44:45], s[0:1], v[40:41], v[40:41], v[42:43]
	v_rcp_f64_e32 v[46:47], v[44:45]
	v_cmp_neq_f64_e32 vcc, 0, v[2:3]
	v_cndmask_b32_e32 v3, v27, v35, vcc
	v_cndmask_b32_e32 v2, 0, v17, vcc
	v_add_f64 v[2:3], v[38:39], -v[2:3]
	v_fma_f64 v[38:39], -v[44:45], v[46:47], 1.0
	v_fmac_f64_e32 v[46:47], v[46:47], v[38:39]
	v_fma_f64 v[38:39], -v[44:45], v[46:47], 1.0
	v_fmac_f64_e32 v[46:47], v[46:47], v[38:39]
	v_div_scale_f64 v[38:39], vcc, v[42:43], v[40:41], v[42:43]
	v_mul_f64 v[48:49], v[38:39], v[46:47]
	v_fma_f64 v[38:39], -v[44:45], v[48:49], v[38:39]
	v_cmp_class_f64_e64 s[0:1], v[0:1], s73
	s_nop 0
	v_div_fmas_f64 v[38:39], v[38:39], v[46:47], v[48:49]
	v_div_fixup_f64 v[38:39], v[38:39], v[40:41], v[42:43]
	v_mul_f64 v[40:41], v[38:39], v[38:39]
	v_fma_f64 v[42:43], s[24:25], v[40:41], v[24:25]
	v_fma_f64 v[42:43], v[40:41], v[42:43], s[26:27]
	;; [unrolled: 1-line block ×19, first 2 shown]
	v_mul_f64 v[40:41], v[40:41], v[42:43]
	v_fmac_f64_e32 v[38:39], v[38:39], v[40:41]
	v_add_f64 v[40:41], -v[38:39], s[64:65]
	v_cmp_lt_f64_e64 vcc, |v[36:37]|, |v[0:1]|
	v_cndmask_b32_e32 v39, v39, v41, vcc
	v_cndmask_b32_e32 v38, v38, v40, vcc
	v_ashrrev_i32_e32 v40, 31, v37
	v_cmp_gt_i32_e32 vcc, 0, v37
	v_and_b32_e32 v42, 0x400921fb, v40
	v_and_b32_e32 v43, 0x54442d18, v40
	v_add_f64 v[40:41], -v[38:39], s[66:67]
	v_cndmask_b32_e32 v17, v28, v29, vcc
	v_cndmask_b32_e32 v35, v30, v31, vcc
	;; [unrolled: 1-line block ×4, first 2 shown]
	v_cmp_eq_f64_e32 vcc, 0, v[0:1]
	v_cmp_class_f64_e64 s[76:77], v[36:37], s73
	v_cndmask_b32_e32 v38, v38, v43, vcc
	v_cndmask_b32_e32 v39, v39, v42, vcc
	v_bfi_b32 v35, s74, v35, v1
	s_and_b64 vcc, s[0:1], s[76:77]
	v_cndmask_b32_e32 v35, v39, v35, vcc
	v_cndmask_b32_e32 v17, v38, v17, vcc
	v_cmp_o_f64_e32 vcc, v[36:37], v[0:1]
	v_cndmask_b32_e32 v0, 0, v17, vcc
	v_cndmask_b32_e32 v17, v32, v35, vcc
	v_bfi_b32 v1, s74, v17, v1
	v_cmp_le_i64_e32 vcc, s[10:11], v[18:19]
	v_cmp_lt_u64_e64 s[0:1], s[70:71], v[18:19]
	v_mul_f64 v[36:37], v[0:1], 0.5
	s_or_b64 s[0:1], vcc, s[0:1]
	v_add_co_u32_e32 v18, vcc, s33, v18
	v_ldexp_f64 v[2:3], v[2:3], -2
	v_pk_mov_b32 v[0:1], v[36:37], v[36:37] op_sel:[0,1]
	v_addc_co_u32_e32 v19, vcc, v19, v33, vcc
	v_fmac_f64_e32 v[0:1], 0x80000000, v[2:3]
	v_fma_f64 v[2:3], v[36:37], s[68:69], -v[2:3]
	global_store_dwordx4 v[20:21], v[4:7], off
	global_store_dwordx4 v[20:21], v[12:15], off offset:16
	global_store_dwordx4 v[20:21], v[8:11], off offset:32
	;; [unrolled: 1-line block ×3, first 2 shown]
	s_and_b64 s[0:1], exec, s[0:1]
	v_add_co_u32_e32 v20, vcc, s72, v20
	s_or_b64 s[2:3], s[0:1], s[2:3]
	v_addc_co_u32_e32 v21, vcc, v21, v34, vcc
	s_andn2_b64 exec, exec, s[2:3]
	s_cbranch_execnz .LBB74_24
.LBB74_25:
	s_endpgm
	.section	.rodata,"a",@progbits
	.p2align	6, 0x0
	.amdhsa_kernel _ZN2at6native12_GLOBAL__N_125multi_tensor_apply_kernelINS1_18TensorListMetadataILi1EEENS1_14UnaryOpFunctorIN3c107complexIdEELi1ELi1ELi0EEEJNS0_4AtanIS8_EEEEEvT_T0_DpT1_
		.amdhsa_group_segment_fixed_size 0
		.amdhsa_private_segment_fixed_size 0
		.amdhsa_kernarg_size 3632
		.amdhsa_user_sgpr_count 6
		.amdhsa_user_sgpr_private_segment_buffer 1
		.amdhsa_user_sgpr_dispatch_ptr 0
		.amdhsa_user_sgpr_queue_ptr 0
		.amdhsa_user_sgpr_kernarg_segment_ptr 1
		.amdhsa_user_sgpr_dispatch_id 0
		.amdhsa_user_sgpr_flat_scratch_init 0
		.amdhsa_user_sgpr_kernarg_preload_length 0
		.amdhsa_user_sgpr_kernarg_preload_offset 0
		.amdhsa_user_sgpr_private_segment_size 0
		.amdhsa_uses_dynamic_stack 0
		.amdhsa_system_sgpr_private_segment_wavefront_offset 0
		.amdhsa_system_sgpr_workgroup_id_x 1
		.amdhsa_system_sgpr_workgroup_id_y 0
		.amdhsa_system_sgpr_workgroup_id_z 0
		.amdhsa_system_sgpr_workgroup_info 0
		.amdhsa_system_vgpr_workitem_id 0
		.amdhsa_next_free_vgpr 96
		.amdhsa_next_free_sgpr 78
		.amdhsa_accum_offset 96
		.amdhsa_reserve_vcc 1
		.amdhsa_reserve_flat_scratch 0
		.amdhsa_float_round_mode_32 0
		.amdhsa_float_round_mode_16_64 0
		.amdhsa_float_denorm_mode_32 3
		.amdhsa_float_denorm_mode_16_64 3
		.amdhsa_dx10_clamp 1
		.amdhsa_ieee_mode 1
		.amdhsa_fp16_overflow 0
		.amdhsa_tg_split 0
		.amdhsa_exception_fp_ieee_invalid_op 0
		.amdhsa_exception_fp_denorm_src 0
		.amdhsa_exception_fp_ieee_div_zero 0
		.amdhsa_exception_fp_ieee_overflow 0
		.amdhsa_exception_fp_ieee_underflow 0
		.amdhsa_exception_fp_ieee_inexact 0
		.amdhsa_exception_int_div_zero 0
	.end_amdhsa_kernel
	.section	.text._ZN2at6native12_GLOBAL__N_125multi_tensor_apply_kernelINS1_18TensorListMetadataILi1EEENS1_14UnaryOpFunctorIN3c107complexIdEELi1ELi1ELi0EEEJNS0_4AtanIS8_EEEEEvT_T0_DpT1_,"axG",@progbits,_ZN2at6native12_GLOBAL__N_125multi_tensor_apply_kernelINS1_18TensorListMetadataILi1EEENS1_14UnaryOpFunctorIN3c107complexIdEELi1ELi1ELi0EEEJNS0_4AtanIS8_EEEEEvT_T0_DpT1_,comdat
.Lfunc_end74:
	.size	_ZN2at6native12_GLOBAL__N_125multi_tensor_apply_kernelINS1_18TensorListMetadataILi1EEENS1_14UnaryOpFunctorIN3c107complexIdEELi1ELi1ELi0EEEJNS0_4AtanIS8_EEEEEvT_T0_DpT1_, .Lfunc_end74-_ZN2at6native12_GLOBAL__N_125multi_tensor_apply_kernelINS1_18TensorListMetadataILi1EEENS1_14UnaryOpFunctorIN3c107complexIdEELi1ELi1ELi0EEEJNS0_4AtanIS8_EEEEEvT_T0_DpT1_
                                        ; -- End function
	.section	.AMDGPU.csdata,"",@progbits
; Kernel info:
; codeLenInByte = 16204
; NumSgprs: 82
; NumVgprs: 96
; NumAgprs: 0
; TotalNumVgprs: 96
; ScratchSize: 0
; MemoryBound: 1
; FloatMode: 240
; IeeeMode: 1
; LDSByteSize: 0 bytes/workgroup (compile time only)
; SGPRBlocks: 10
; VGPRBlocks: 11
; NumSGPRsForWavesPerEU: 82
; NumVGPRsForWavesPerEU: 96
; AccumOffset: 96
; Occupancy: 5
; WaveLimiterHint : 0
; COMPUTE_PGM_RSRC2:SCRATCH_EN: 0
; COMPUTE_PGM_RSRC2:USER_SGPR: 6
; COMPUTE_PGM_RSRC2:TRAP_HANDLER: 0
; COMPUTE_PGM_RSRC2:TGID_X_EN: 1
; COMPUTE_PGM_RSRC2:TGID_Y_EN: 0
; COMPUTE_PGM_RSRC2:TGID_Z_EN: 0
; COMPUTE_PGM_RSRC2:TIDIG_COMP_CNT: 0
; COMPUTE_PGM_RSRC3_GFX90A:ACCUM_OFFSET: 23
; COMPUTE_PGM_RSRC3_GFX90A:TG_SPLIT: 0
	.section	.text._ZN2at6native12_GLOBAL__N_125multi_tensor_apply_kernelINS1_18TensorListMetadataILi1EEENS1_14UnaryOpFunctorIN3c107complexIfEELi1ELi1ELi0EEEJNS0_4AtanIS8_EEEEEvT_T0_DpT1_,"axG",@progbits,_ZN2at6native12_GLOBAL__N_125multi_tensor_apply_kernelINS1_18TensorListMetadataILi1EEENS1_14UnaryOpFunctorIN3c107complexIfEELi1ELi1ELi0EEEJNS0_4AtanIS8_EEEEEvT_T0_DpT1_,comdat
	.globl	_ZN2at6native12_GLOBAL__N_125multi_tensor_apply_kernelINS1_18TensorListMetadataILi1EEENS1_14UnaryOpFunctorIN3c107complexIfEELi1ELi1ELi0EEEJNS0_4AtanIS8_EEEEEvT_T0_DpT1_ ; -- Begin function _ZN2at6native12_GLOBAL__N_125multi_tensor_apply_kernelINS1_18TensorListMetadataILi1EEENS1_14UnaryOpFunctorIN3c107complexIfEELi1ELi1ELi0EEEJNS0_4AtanIS8_EEEEEvT_T0_DpT1_
	.p2align	8
	.type	_ZN2at6native12_GLOBAL__N_125multi_tensor_apply_kernelINS1_18TensorListMetadataILi1EEENS1_14UnaryOpFunctorIN3c107complexIfEELi1ELi1ELi0EEEJNS0_4AtanIS8_EEEEEvT_T0_DpT1_,@function
_ZN2at6native12_GLOBAL__N_125multi_tensor_apply_kernelINS1_18TensorListMetadataILi1EEENS1_14UnaryOpFunctorIN3c107complexIfEELi1ELi1ELi0EEEJNS0_4AtanIS8_EEEEEvT_T0_DpT1_: ; @_ZN2at6native12_GLOBAL__N_125multi_tensor_apply_kernelINS1_18TensorListMetadataILi1EEENS1_14UnaryOpFunctorIN3c107complexIfEELi1ELi1ELi0EEEJNS0_4AtanIS8_EEEEEvT_T0_DpT1_
; %bb.0:
	v_mov_b32_e32 v1, s8
	global_load_ubyte v1, v1, s[4:5] offset:1760
	s_add_u32 flat_scratch_lo, s6, s9
	s_addc_u32 flat_scratch_hi, s7, 0
	s_add_u32 s0, s0, s9
	s_addc_u32 s1, s1, 0
	s_add_u32 s6, s4, s8
	s_mul_hi_u32 s7, s8, 3
	s_mul_i32 s8, s8, 3
	s_addc_u32 s9, s5, 0
	s_add_u32 s6, s6, s8
	s_addc_u32 s7, s9, s7
	s_load_dword s10, s[6:7], 0x820
	s_mov_b32 s15, 0
	s_waitcnt lgkmcnt(0)
	s_ashr_i32 s11, s10, 31
	s_waitcnt vmcnt(0)
	v_readfirstlane_b32 s6, v1
	s_lshl_b32 s8, s6, 3
	s_load_dwordx2 s[6:7], s[4:5], s8 offset:0x0
	s_load_dwordx2 s[12:13], s[4:5], s8 offset:0x370
	s_lshl_b64 s[8:9], s[10:11], 19
	s_waitcnt lgkmcnt(0)
	s_add_u32 s33, s6, s8
	s_addc_u32 s46, s7, s9
	s_lshl_b64 s[10:11], s[10:11], 16
	s_and_b32 s14, s33, 31
	s_sub_u32 s16, s12, s10
	s_subb_u32 s17, s13, s11
	s_and_b32 s10, s12, 3
	s_mov_b32 s11, s15
	s_or_b64 s[10:11], s[14:15], s[10:11]
	s_cmp_eq_u64 s[10:11], 0
	s_cbranch_scc1 .LBB75_229
; %bb.1:
	v_cmp_lt_i64_e64 s[10:11], s[16:17], 1
	s_and_b64 vcc, exec, s[10:11]
	s_cbranch_vccnz .LBB75_228
; %bb.2:
	s_load_dword s10, s[4:5], 0xd3c
	v_mov_b32_e32 v2, 0x10000
	v_mov_b32_e32 v3, 0
	v_cmp_lt_u64_e32 vcc, s[16:17], v[2:3]
	v_lshlrev_b32_e32 v1, 3, v0
	s_waitcnt lgkmcnt(0)
	s_and_b32 s12, s10, 0xffff
	s_and_b64 s[10:11], vcc, exec
	s_cselect_b32 s19, s17, 0
	s_cselect_b32 s18, s16, 0x10000
	s_lshl_b32 s10, s12, 1
	s_lshl_b32 s48, s12, 2
	s_add_u32 s8, s6, s8
	s_addc_u32 s9, s7, s9
	v_mov_b32_e32 v3, s9
	v_add_co_u32_e32 v2, vcc, s8, v1
	s_mul_i32 s11, s12, 3
	v_addc_co_u32_e32 v3, vcc, 0, v3, vcc
	v_add_co_u32_e32 v1, vcc, s11, v0
	v_addc_co_u32_e64 v22, s[6:7], 0, 0, vcc
	v_add_co_u32_e32 v23, vcc, s10, v0
	v_addc_co_u32_e64 v24, s[6:7], 0, 0, vcc
	v_add_co_u32_e32 v25, vcc, s12, v0
	s_mov_b64 s[20:21], src_private_base
	v_lshlrev_b32_e32 v4, 3, v25
	s_mov_b32 s47, 0
	s_mov_b32 s20, 8
	v_addc_co_u32_e64 v26, s[6:7], 0, 0, vcc
	v_mov_b32_e32 v5, s9
	v_add_co_u32_e32 v4, vcc, s8, v4
	s_mov_b32 s22, 0
	s_mov_b32 s23, s21
	;; [unrolled: 1-line block ×4, first 2 shown]
	s_lshl_b32 s49, s12, 5
	s_mul_i32 s50, s12, 24
	s_mov_b32 s51, s47
	s_lshl_b32 s52, s12, 4
	s_mov_b32 s53, s47
	v_addc_co_u32_e32 v5, vcc, 0, v5, vcc
	s_mov_b64 s[26:27], 0
	v_mov_b32_e32 v27, 0x248d3132
	s_mov_b32 s54, 0x4b000000
	s_mov_b32 s55, 0x399cc471
	s_brev_b32 s56, 44
	s_brev_b32 s57, 4
	s_mov_b32 s58, 0x3f2aaaab
	v_mov_b32_e32 v28, 0x3f2aaada
	s_mov_b32 s59, 0x3f317218
	s_mov_b32 s60, 0x7f800000
	;; [unrolled: 1-line block ×5, first 2 shown]
	v_mov_b32_e32 v29, 0x3d29fb3f
	v_mov_b32_e32 v30, 0xbd97d4d7
	;; [unrolled: 1-line block ×6, first 2 shown]
	s_movk_i32 s64, 0x204
	s_brev_b32 s65, -2
	v_mov_b32_e32 v35, 0xd800000
	s_mov_b32 s66, 0x6800000
	s_mov_b32 s67, 0x59000000
	;; [unrolled: 1-line block ×3, first 2 shown]
	v_pk_mov_b32 v[6:7], s[20:21], s[20:21] op_sel:[0,1]
	v_mov_b32_e32 v8, 0x3f317218
	v_mov_b32_e32 v36, 0x7fc00000
	;; [unrolled: 1-line block ×8, first 2 shown]
	v_mov_b32_e32 v10, -1.0
	v_mov_b32_e32 v43, 0x7f800000
	s_branch .LBB75_4
.LBB75_3:                               ;   in Loop: Header=BB75_4 Depth=1
	s_or_b64 exec, exec, s[6:7]
	s_add_u32 s26, s26, s48
	s_addc_u32 s27, s27, 0
	v_pk_mov_b32 v[12:13], s[16:17], s[16:17] op_sel:[0,1]
	v_cmp_ge_i64_e32 vcc, s[26:27], v[12:13]
	v_mov_b32_e32 v12, 0xffff
	v_mov_b32_e32 v13, 0
	v_cmp_gt_u64_e64 s[6:7], s[26:27], v[12:13]
	s_or_b64 s[6:7], vcc, s[6:7]
	s_waitcnt lgkmcnt(0)
	v_mov_b32_e32 v9, s47
	v_add_co_u32_e32 v2, vcc, s49, v2
	v_addc_co_u32_e32 v3, vcc, v3, v9, vcc
	v_add_co_u32_e32 v4, vcc, s49, v4
	v_addc_co_u32_e32 v5, vcc, v5, v9, vcc
	s_and_b64 vcc, exec, s[6:7]
	s_cbranch_vccnz .LBB75_228
.LBB75_4:                               ; =>This Inner Loop Header: Depth=1
	v_mov_b32_e32 v9, s27
	v_add_co_u32_e32 v12, vcc, s26, v0
	v_addc_co_u32_e32 v13, vcc, 0, v9, vcc
	v_cmp_gt_u64_e64 s[6:7], s[18:19], v[12:13]
	v_mov_b32_e32 v18, 0
	v_mov_b32_e32 v19, 0
	s_and_saveexec_b64 s[8:9], s[6:7]
	s_cbranch_execz .LBB75_6
; %bb.5:                                ;   in Loop: Header=BB75_4 Depth=1
	global_load_dwordx2 v[18:19], v[2:3], off
.LBB75_6:                               ;   in Loop: Header=BB75_4 Depth=1
	s_or_b64 exec, exec, s[8:9]
	v_mov_b32_e32 v9, s27
	v_add_co_u32_e32 v12, vcc, s26, v25
	v_addc_co_u32_e32 v13, vcc, v26, v9, vcc
	v_cmp_gt_u64_e64 s[8:9], s[18:19], v[12:13]
	v_mov_b32_e32 v16, 0
	v_mov_b32_e32 v20, 0
	;; [unrolled: 1-line block ×3, first 2 shown]
	s_and_saveexec_b64 s[10:11], s[8:9]
	s_cbranch_execz .LBB75_8
; %bb.7:                                ;   in Loop: Header=BB75_4 Depth=1
	global_load_dwordx2 v[20:21], v[4:5], off
.LBB75_8:                               ;   in Loop: Header=BB75_4 Depth=1
	s_or_b64 exec, exec, s[10:11]
	v_mov_b32_e32 v9, s27
	v_add_co_u32_e32 v12, vcc, s26, v23
	v_addc_co_u32_e32 v13, vcc, v24, v9, vcc
	v_cmp_gt_u64_e64 s[10:11], s[18:19], v[12:13]
	v_mov_b32_e32 v17, 0
	s_and_saveexec_b64 s[12:13], s[10:11]
	s_cbranch_execz .LBB75_10
; %bb.9:                                ;   in Loop: Header=BB75_4 Depth=1
	v_mov_b32_e32 v9, s53
	v_add_co_u32_e32 v12, vcc, s52, v2
	v_addc_co_u32_e32 v13, vcc, v3, v9, vcc
	global_load_dwordx2 v[16:17], v[12:13], off
.LBB75_10:                              ;   in Loop: Header=BB75_4 Depth=1
	s_or_b64 exec, exec, s[12:13]
	v_mov_b32_e32 v9, s27
	v_add_co_u32_e32 v12, vcc, s26, v1
	v_addc_co_u32_e32 v13, vcc, v22, v9, vcc
	v_cmp_gt_u64_e64 s[12:13], s[18:19], v[12:13]
	v_mov_b32_e32 v12, 0
	v_mov_b32_e32 v13, v12
	s_and_saveexec_b64 s[14:15], s[12:13]
	s_cbranch_execz .LBB75_12
; %bb.11:                               ;   in Loop: Header=BB75_4 Depth=1
	v_mov_b32_e32 v9, s51
	v_add_co_u32_e32 v12, vcc, s50, v2
	v_addc_co_u32_e32 v13, vcc, v3, v9, vcc
	global_load_dwordx2 v[12:13], v[12:13], off
.LBB75_12:                              ;   in Loop: Header=BB75_4 Depth=1
	s_or_b64 exec, exec, s[14:15]
	s_waitcnt vmcnt(0)
	v_cmp_neq_f32_e32 vcc, 0, v18
	v_cmp_nle_f32_e64 s[14:15], |v19|, 1.0
	s_or_b64 s[14:15], vcc, s[14:15]
	flat_store_dword v[6:7], v27
	s_waitcnt vmcnt(0)
                                        ; implicit-def: $vgpr15
	s_and_saveexec_b64 s[28:29], s[14:15]
	s_xor_b64 s[28:29], exec, s[28:29]
	s_cbranch_execz .LBB75_62
; %bb.13:                               ;   in Loop: Header=BB75_4 Depth=1
	v_cmp_neq_f32_e32 vcc, 0, v19
                                        ; implicit-def: $vgpr15
	s_and_saveexec_b64 s[14:15], vcc
	s_xor_b64 s[30:31], exec, s[14:15]
	s_cbranch_execz .LBB75_59
; %bb.14:                               ;   in Loop: Header=BB75_4 Depth=1
	v_cmp_o_f32_e32 vcc, v19, v18
                                        ; implicit-def: $vgpr15
	s_and_saveexec_b64 s[14:15], vcc
	s_xor_b64 s[34:35], exec, s[14:15]
	s_cbranch_execz .LBB75_48
; %bb.15:                               ;   in Loop: Header=BB75_4 Depth=1
	v_max_f32_e64 v11, |v18|, |v18|
	v_max_f32_e64 v9, |v19|, |v19|
	v_max_f32_e32 v9, v9, v11
	v_cmp_nlt_f32_e32 vcc, s54, v9
                                        ; implicit-def: $vgpr15
	s_and_saveexec_b64 s[14:15], vcc
	s_xor_b64 s[36:37], exec, s[14:15]
	s_cbranch_execz .LBB75_33
; %bb.16:                               ;   in Loop: Header=BB75_4 Depth=1
	v_cmp_nlt_f32_e64 s[14:15], |v19|, s55
	v_cmp_nlt_f32_e64 s[38:39], |v18|, s55
	s_or_b64 s[14:15], s[14:15], s[38:39]
                                        ; implicit-def: $vgpr15
	s_and_saveexec_b64 s[38:39], s[14:15]
	s_xor_b64 s[38:39], exec, s[38:39]
	s_cbranch_execz .LBB75_30
; %bb.17:                               ;   in Loop: Header=BB75_4 Depth=1
	v_cmp_neq_f32_e64 s[42:43], |v19|, 1.0
	v_cmp_nlt_f32_e64 s[40:41], |v18|, s56
	s_or_b64 s[14:15], s[42:43], s[40:41]
                                        ; implicit-def: $vgpr9
	s_and_saveexec_b64 s[44:45], s[14:15]
	s_xor_b64 s[14:15], exec, s[44:45]
	s_cbranch_execz .LBB75_19
; %bb.18:                               ;   in Loop: Header=BB75_4 Depth=1
	v_add_f32_e64 v14, |v19|, -1.0
	v_mul_f32_e32 v44, v18, v18
	v_mul_f32_e32 v15, v14, v14
	v_fmac_f32_e32 v44, v14, v14
	v_cmp_lt_f32_e64 vcc, |v18|, s57
	v_mul_f32_e64 v9, |v19|, 4.0
	v_cndmask_b32_e32 v14, v44, v15, vcc
	v_div_scale_f32 v15, s[44:45], v14, v14, v9
	v_rcp_f32_e32 v44, v15
	v_fma_f32 v45, -v15, v44, 1.0
	v_fmac_f32_e32 v44, v45, v44
	v_div_scale_f32 v45, vcc, v9, v14, v9
	v_mul_f32_e32 v46, v45, v44
	v_fma_f32 v47, -v15, v46, v45
	v_fmac_f32_e32 v46, v47, v44
	v_fma_f32 v15, -v15, v46, v45
	v_div_fmas_f32 v15, v15, v44, v46
	v_div_fixup_f32 v14, v15, v14, v9
	v_add_f32_e32 v45, 1.0, v14
	v_add_f32_e32 v15, -1.0, v45
	v_mov_b32_e32 v44, v15
	v_pk_add_f32 v[46:47], v[14:15], v[44:45] neg_lo:[0,1] neg_hi:[0,1]
	v_add_f32_e32 v9, 1.0, v47
	v_add_f32_e32 v9, v46, v9
	v_frexp_mant_f32_e32 v15, v45
	v_cvt_f64_f32_e32 v[46:47], v45
	v_frexp_exp_i32_f64_e32 v44, v[46:47]
	v_cmp_gt_f32_e32 vcc, s58, v15
	v_subbrev_co_u32_e32 v15, vcc, 0, v44, vcc
	v_sub_u32_e32 v44, 0, v15
	v_ldexp_f32 v45, v45, v44
	v_ldexp_f32 v9, v9, v44
	v_add_f32_e32 v44, -1.0, v45
	v_add_f32_e32 v47, 1.0, v45
	v_add_f32_e32 v46, 1.0, v44
	v_add_f32_e32 v48, -1.0, v47
	v_sub_f32_e32 v46, v45, v46
	v_sub_f32_e32 v45, v45, v48
	v_add_f32_e32 v46, v9, v46
	v_add_f32_e32 v9, v9, v45
	;; [unrolled: 1-line block ×3, first 2 shown]
	v_rcp_f32_e32 v53, v52
	v_sub_f32_e32 v45, v52, v47
	v_sub_f32_e32 v9, v9, v45
	v_add_f32_e32 v45, v44, v46
	v_sub_f32_e32 v44, v45, v44
	v_mul_f32_e32 v55, v45, v53
	v_sub_f32_e32 v54, v46, v44
	v_mul_f32_e32 v46, v52, v55
	v_fma_f32 v48, v55, v52, -v46
	v_fmac_f32_e32 v48, v55, v9
	v_add_f32_e32 v44, v46, v48
	v_sub_f32_e32 v47, v45, v44
	v_pk_add_f32 v[50:51], v[44:45], v[46:47] neg_lo:[0,1] neg_hi:[0,1]
	v_mov_b32_e32 v49, v44
	v_pk_add_f32 v[44:45], v[50:51], v[48:49] neg_lo:[0,1] neg_hi:[0,1]
	v_add_f32_e32 v45, v54, v45
	v_add_f32_e32 v44, v44, v45
	;; [unrolled: 1-line block ×3, first 2 shown]
	v_mul_f32_e32 v54, v53, v45
	v_mul_f32_e32 v46, v52, v54
	v_fma_f32 v48, v54, v52, -v46
	v_fmac_f32_e32 v48, v54, v9
	v_sub_f32_e32 v9, v47, v45
	v_add_f32_e32 v9, v44, v9
	v_add_f32_e32 v44, v46, v48
	v_sub_f32_e32 v47, v45, v44
	v_pk_add_f32 v[50:51], v[44:45], v[46:47] neg_lo:[0,1] neg_hi:[0,1]
	v_mov_b32_e32 v49, v44
	v_pk_add_f32 v[44:45], v[50:51], v[48:49] neg_lo:[0,1] neg_hi:[0,1]
	v_add_f32_e32 v9, v9, v45
	v_add_f32_e32 v9, v44, v9
	;; [unrolled: 1-line block ×4, first 2 shown]
	v_sub_f32_e32 v44, v45, v55
	v_mul_f32_e32 v9, v53, v9
	v_sub_f32_e32 v44, v54, v44
	v_add_f32_e32 v46, v44, v9
	v_add_f32_e32 v48, v45, v46
	v_cvt_f32_i32_e32 v44, v15
	v_mul_f32_e32 v49, v48, v48
	v_mov_b32_e32 v9, 0x3ecc95a3
	v_fmac_f32_e32 v9, 0x3e9b6dac, v49
	v_fma_f32 v9, v49, v9, v28
	v_sub_f32_e32 v15, v48, v45
	v_mul_f32_e32 v45, v48, v49
	v_ldexp_f32 v47, v48, 1
	v_pk_mul_f32 v[48:49], v[44:45], v[8:9]
	v_sub_f32_e32 v15, v46, v15
	v_fma_f32 v46, v44, s59, -v48
	v_fmac_f32_e32 v46, 0xb102e308, v44
	v_pk_add_f32 v[44:45], v[48:49], v[46:47]
	v_sub_f32_e32 v9, v45, v47
	v_ldexp_f32 v15, v15, 1
	v_sub_f32_e32 v9, v49, v9
	v_add_f32_e32 v51, v15, v9
	v_mov_b32_e32 v50, v48
	v_pk_add_f32 v[48:49], v[44:45], v[48:49] neg_lo:[0,1] neg_hi:[0,1]
	v_pk_add_f32 v[52:53], v[44:45], v[50:51]
	v_mov_b32_e32 v49, v53
	v_mov_b32_e32 v47, v44
	v_pk_add_f32 v[54:55], v[46:47], v[48:49] neg_lo:[0,1] neg_hi:[0,1]
	v_pk_add_f32 v[46:47], v[46:47], v[48:49]
	v_mov_b32_e32 v48, v47
	v_pk_add_f32 v[56:57], v[48:49], v[44:45] neg_lo:[0,1] neg_hi:[0,1]
	v_mov_b32_e32 v9, v56
	v_pk_add_f32 v[58:59], v[52:53], v[8:9] neg_lo:[0,1] neg_hi:[0,1]
	v_mov_b32_e32 v46, v53
	v_mov_b32_e32 v52, v45
	;; [unrolled: 1-line block ×4, first 2 shown]
	v_pk_add_f32 v[46:47], v[46:47], v[52:53] neg_lo:[0,1] neg_hi:[0,1]
	v_mov_b32_e32 v50, v51
	v_mov_b32_e32 v51, v44
	v_pk_add_f32 v[44:45], v[50:51], v[46:47] neg_lo:[0,1] neg_hi:[0,1]
	v_mov_b32_e32 v58, v54
	v_pk_add_f32 v[46:47], v[58:59], v[44:45]
	v_mov_b32_e32 v50, v47
	v_pk_add_f32 v[50:51], v[46:47], v[50:51]
	v_pk_add_f32 v[48:49], v[48:49], v[50:51]
	v_mov_b32_e32 v47, v48
	v_pk_add_f32 v[52:53], v[46:47], v[54:55] neg_lo:[0,1] neg_hi:[0,1]
	v_mov_b32_e32 v45, v50
	v_sub_f32_e32 v9, v46, v52
	v_pk_add_f32 v[44:45], v[44:45], v[52:53] neg_lo:[0,1] neg_hi:[0,1]
	v_sub_f32_e32 v9, v54, v9
	v_add_f32_e32 v9, v44, v9
	v_add_f32_e32 v9, v9, v45
	;; [unrolled: 1-line block ×3, first 2 shown]
	v_cmp_eq_f32_e32 vcc, s60, v14
	v_cndmask_b32_e32 v9, v9, v14, vcc
	v_cmp_ngt_f32_e32 vcc, -1.0, v14
	v_cndmask_b32_e32 v9, v36, v9, vcc
	v_cmp_neq_f32_e32 vcc, -1.0, v14
	v_cndmask_b32_e32 v9, v37, v9, vcc
	v_cmp_lt_f32_e64 vcc, |v14|, s61
	v_cndmask_b32_e32 v9, v9, v14, vcc
	v_mul_f32_e32 v9, 0x3e800000, v9
	s_andn2_saveexec_b64 s[44:45], s[14:15]
	s_cbranch_execz .LBB75_21
	s_branch .LBB75_20
.LBB75_19:                              ;   in Loop: Header=BB75_4 Depth=1
	s_andn2_saveexec_b64 s[44:45], s[14:15]
	s_cbranch_execz .LBB75_21
.LBB75_20:                              ;   in Loop: Header=BB75_4 Depth=1
	v_cmp_lt_f32_e64 vcc, |v18|, s62
	v_cndmask_b32_e32 v9, 1.0, v38, vcc
	v_mul_f32_e64 v9, |v18|, v9
	v_log_f32_e32 v9, v9
	v_mul_f32_e32 v14, 0x3f317217, v9
	v_fma_f32 v15, v9, s63, -v14
	v_fmac_f32_e32 v15, 0x3377d1cf, v9
	v_add_f32_e32 v14, v14, v15
	v_cmp_lt_f32_e64 s[14:15], |v9|, s60
	v_cndmask_b32_e64 v9, v9, v14, s[14:15]
	v_cndmask_b32_e32 v14, 0, v39, vcc
	v_sub_f32_e32 v9, v9, v14
	v_sub_f32_e32 v9, 0x3f317218, v9
	v_mul_f32_e32 v9, 0.5, v9
.LBB75_21:                              ;   in Loop: Header=BB75_4 Depth=1
	s_or_b64 exec, exec, s[44:45]
                                        ; implicit-def: $vgpr15
	s_and_saveexec_b64 s[14:15], s[42:43]
	s_xor_b64 s[42:43], exec, s[14:15]
	s_cbranch_execz .LBB75_27
; %bb.22:                               ;   in Loop: Header=BB75_4 Depth=1
	v_sub_f32_e64 v14, 1.0, |v19|
	v_add_f32_e64 v15, |v19|, 1.0
	v_add_f32_e64 v11, |v18|, |v18|
	v_mul_f32_e32 v14, v14, v15
                                        ; implicit-def: $vgpr15
	s_and_saveexec_b64 s[14:15], s[40:41]
	s_xor_b64 s[40:41], exec, s[14:15]
	s_cbranch_execz .LBB75_24
; %bb.23:                               ;   in Loop: Header=BB75_4 Depth=1
	v_fma_f32 v14, -v18, v18, v14
	v_max_f32_e64 v15, |v11|, |v11|
	v_min_f32_e64 v44, |v14|, v15
	v_max_f32_e64 v15, |v14|, v15
	v_frexp_mant_f32_e32 v45, v15
	v_rcp_f32_e32 v45, v45
	v_frexp_exp_i32_f32_e32 v15, v15
	v_frexp_exp_i32_f32_e32 v46, v44
	v_frexp_mant_f32_e32 v44, v44
	v_mul_f32_e32 v44, v44, v45
	v_sub_u32_e32 v15, v46, v15
	v_ldexp_f32 v15, v44, v15
	v_mul_f32_e32 v44, v15, v15
	v_mov_b32_e32 v45, 0xbc7a590c
	v_fmac_f32_e32 v45, 0x3b2d2a58, v44
	v_fma_f32 v45, v44, v45, v29
	v_fma_f32 v45, v44, v45, v30
	;; [unrolled: 1-line block ×6, first 2 shown]
	v_mul_f32_e32 v44, v44, v45
	v_fmac_f32_e32 v15, v15, v44
	v_sub_f32_e32 v44, 0x3fc90fdb, v15
	v_cmp_gt_f32_e64 vcc, |v11|, |v14|
	v_cndmask_b32_e32 v15, v15, v44, vcc
	v_sub_f32_e32 v44, 0x40490fdb, v15
	v_cmp_gt_f32_e32 vcc, 0, v14
	v_cmp_gt_i32_e64 s[14:15], 0, v14
	v_cndmask_b32_e32 v15, v15, v44, vcc
	v_cndmask_b32_e64 v44, 0, v40, s[14:15]
	v_cmp_eq_f32_e64 s[14:15], 0, v11
	v_cndmask_b32_e64 v15, v15, v44, s[14:15]
	v_cmp_class_f32_e64 s[14:15], v14, s64
	v_cmp_class_f32_e64 s[44:45], v11, s64
	v_cndmask_b32_e32 v44, v41, v42, vcc
	s_and_b64 vcc, s[44:45], s[14:15]
	v_cndmask_b32_e32 v15, v15, v44, vcc
	v_cmp_o_f32_e32 vcc, v14, v11
	v_cndmask_b32_e32 v14, v36, v15, vcc
	v_bfi_b32 v15, s65, v14, v11
                                        ; implicit-def: $vgpr11
                                        ; implicit-def: $vgpr14
.LBB75_24:                              ;   in Loop: Header=BB75_4 Depth=1
	s_andn2_saveexec_b64 s[40:41], s[40:41]
	s_cbranch_execz .LBB75_26
; %bb.25:                               ;   in Loop: Header=BB75_4 Depth=1
	v_max_f32_e32 v15, v11, v11
	v_max_f32_e64 v44, |v14|, |v14|
	v_min_f32_e32 v45, v44, v15
	v_max_f32_e32 v15, v44, v15
	v_frexp_mant_f32_e32 v44, v15
	v_rcp_f32_e32 v44, v44
	v_frexp_exp_i32_f32_e32 v15, v15
	v_frexp_exp_i32_f32_e32 v46, v45
	v_frexp_mant_f32_e32 v45, v45
	v_mul_f32_e32 v44, v45, v44
	v_sub_u32_e32 v15, v46, v15
	v_ldexp_f32 v15, v44, v15
	v_mul_f32_e32 v44, v15, v15
	v_mov_b32_e32 v45, 0xbc7a590c
	v_fmac_f32_e32 v45, 0x3b2d2a58, v44
	v_fma_f32 v45, v44, v45, v29
	v_fma_f32 v45, v44, v45, v30
	;; [unrolled: 1-line block ×6, first 2 shown]
	v_mul_f32_e32 v44, v44, v45
	v_fmac_f32_e32 v15, v15, v44
	v_sub_f32_e32 v44, 0x3fc90fdb, v15
	v_cmp_gt_f32_e64 vcc, v11, |v14|
	v_cndmask_b32_e32 v15, v15, v44, vcc
	v_sub_f32_e32 v44, 0x40490fdb, v15
	v_cmp_gt_f32_e32 vcc, 0, v14
	v_cmp_gt_i32_e64 s[14:15], 0, v14
	v_cndmask_b32_e32 v15, v15, v44, vcc
	v_cndmask_b32_e64 v44, 0, v40, s[14:15]
	v_cmp_eq_f32_e64 s[14:15], 0, v11
	v_cndmask_b32_e64 v15, v15, v44, s[14:15]
	v_cndmask_b32_e32 v44, v41, v42, vcc
	v_cmp_class_f32_e64 s[14:15], v14, s64
	v_cmp_eq_f32_e32 vcc, s60, v11
	s_and_b64 vcc, vcc, s[14:15]
	v_cndmask_b32_e32 v11, v15, v44, vcc
	v_cmp_o_f32_e32 vcc, v14, v14
	v_cndmask_b32_e64 v15, v36, |v11|, vcc
.LBB75_26:                              ;   in Loop: Header=BB75_4 Depth=1
	s_or_b64 exec, exec, s[40:41]
                                        ; implicit-def: $vgpr11
	s_andn2_saveexec_b64 s[14:15], s[42:43]
	s_cbranch_execnz .LBB75_28
	s_branch .LBB75_29
.LBB75_27:                              ;   in Loop: Header=BB75_4 Depth=1
	s_andn2_saveexec_b64 s[14:15], s[42:43]
	s_cbranch_execz .LBB75_29
.LBB75_28:                              ;   in Loop: Header=BB75_4 Depth=1
	v_min_f32_e32 v14, 2.0, v11
	v_max_f32_e32 v11, 2.0, v11
	v_frexp_mant_f32_e32 v15, v11
	v_rcp_f32_e32 v15, v15
	v_frexp_exp_i32_f32_e32 v11, v11
	v_frexp_exp_i32_f32_e32 v44, v14
	v_frexp_mant_f32_e32 v14, v14
	v_mul_f32_e32 v14, v14, v15
	v_sub_u32_e32 v11, v44, v11
	v_ldexp_f32 v11, v14, v11
	v_mul_f32_e32 v14, v11, v11
	v_mov_b32_e32 v15, 0xbc7a590c
	v_fmac_f32_e32 v15, 0x3b2d2a58, v14
	v_fma_f32 v15, v14, v15, v29
	v_fma_f32 v15, v14, v15, v30
	;; [unrolled: 1-line block ×6, first 2 shown]
	v_mul_f32_e32 v14, v14, v15
	v_fmac_f32_e32 v11, v11, v14
	v_sub_f32_e32 v14, 0x3fc90fdb, v11
	v_cmp_lt_f32_e64 vcc, |v18|, 2.0
	v_cndmask_b32_e32 v11, v11, v14, vcc
	v_sub_f32_e32 v14, 0x40490fdb, v11
	v_cmp_lg_f32_e32 vcc, 0, v18
	v_cndmask_b32_e32 v11, v11, v14, vcc
	v_and_b32_e32 v15, 0x7fffffff, v11
.LBB75_29:                              ;   in Loop: Header=BB75_4 Depth=1
	s_or_b64 exec, exec, s[14:15]
	v_mul_f32_e32 v11, 0.5, v15
	v_bfi_b32 v15, s65, v9, v19
	v_bfi_b32 v14, s65, v11, v18
                                        ; implicit-def: $vgpr19
.LBB75_30:                              ;   in Loop: Header=BB75_4 Depth=1
	s_andn2_saveexec_b64 s[14:15], s[38:39]
	s_cbranch_execz .LBB75_32
; %bb.31:                               ;   in Loop: Header=BB75_4 Depth=1
	v_pk_mov_b32 v[14:15], s[22:23], s[22:23] op_sel:[0,1]
	flat_store_dword v[14:15], v35
	s_waitcnt vmcnt(0)
	flat_load_dword v9, v[14:15] glc
	s_waitcnt vmcnt(0)
	v_pk_mov_b32 v[14:15], s[24:25], s[24:25] op_sel:[0,1]
	s_waitcnt lgkmcnt(0)
	v_add_f32_e32 v9, 1.0, v9
	flat_store_dword v[14:15], v9
	s_waitcnt vmcnt(0)
	flat_load_dword v9, v[14:15] glc
	s_waitcnt vmcnt(0)
	v_mov_b32_e32 v15, v19
	v_mov_b32_e32 v14, v18
.LBB75_32:                              ;   in Loop: Header=BB75_4 Depth=1
	s_or_b64 exec, exec, s[14:15]
                                        ; implicit-def: $vgpr18
.LBB75_33:                              ;   in Loop: Header=BB75_4 Depth=1
	s_andn2_saveexec_b64 s[14:15], s[36:37]
	s_cbranch_execz .LBB75_47
; %bb.34:                               ;   in Loop: Header=BB75_4 Depth=1
	v_and_b32_e32 v11, 0x7f800000, v18
	s_waitcnt lgkmcnt(0)
	v_and_b32_e32 v9, 0x7f800000, v19
	v_sub_u32_e32 v14, v9, v11
	v_cmp_gt_i32_e32 vcc, s66, v14
	v_cmp_neq_f32_e64 s[36:37], |v19|, s60
	s_and_b64 s[36:37], s[36:37], vcc
                                        ; implicit-def: $vgpr15
	s_and_saveexec_b64 s[38:39], s[36:37]
	s_xor_b64 s[36:37], exec, s[38:39]
	s_cbranch_execz .LBB75_44
; %bb.35:                               ;   in Loop: Header=BB75_4 Depth=1
	v_sub_u32_e32 v11, v11, v9
	v_cmp_gt_i32_e32 vcc, s66, v11
                                        ; implicit-def: $vgpr15
	s_and_saveexec_b64 s[38:39], vcc
	s_xor_b64 s[38:39], exec, s[38:39]
	s_cbranch_execz .LBB75_41
; %bb.36:                               ;   in Loop: Header=BB75_4 Depth=1
	v_cmp_lt_u32_e32 vcc, s67, v9
                                        ; implicit-def: $vgpr15
	s_and_saveexec_b64 s[40:41], vcc
	s_xor_b64 s[40:41], exec, s[40:41]
	s_cbranch_execz .LBB75_38
; %bb.37:                               ;   in Loop: Header=BB75_4 Depth=1
	v_sub_u32_e32 v9, 0x7f800000, v9
	v_mul_f32_e32 v14, v18, v9
	v_mul_f32_e32 v11, v19, v9
	;; [unrolled: 1-line block ×3, first 2 shown]
	v_fmac_f32_e32 v14, v11, v11
	v_div_scale_f32 v15, s[42:43], v14, v14, v11
	v_rcp_f32_e32 v19, v15
	v_fma_f32 v44, -v15, v19, 1.0
	v_fmac_f32_e32 v19, v44, v19
	v_div_scale_f32 v44, vcc, v11, v14, v11
	v_mul_f32_e32 v45, v44, v19
	v_fma_f32 v46, -v15, v45, v44
	v_fmac_f32_e32 v45, v46, v19
	v_fma_f32 v15, -v15, v45, v44
	v_div_fmas_f32 v15, v15, v19, v45
	v_div_fixup_f32 v11, v15, v14, v11
	v_mul_f32_e32 v15, v11, v9
.LBB75_38:                              ;   in Loop: Header=BB75_4 Depth=1
	s_andn2_saveexec_b64 s[40:41], s[40:41]
	s_cbranch_execz .LBB75_40
; %bb.39:                               ;   in Loop: Header=BB75_4 Depth=1
	v_pk_mul_f32 v[14:15], v[18:19], v[18:19]
	v_add_f32_e32 v9, v15, v14
	v_div_scale_f32 v11, s[42:43], v9, v9, v19
	v_rcp_f32_e32 v14, v11
	v_div_scale_f32 v15, vcc, v19, v9, v19
	v_fma_f32 v44, -v11, v14, 1.0
	v_fmac_f32_e32 v14, v44, v14
	v_mul_f32_e32 v44, v15, v14
	v_fma_f32 v45, -v11, v44, v15
	v_fmac_f32_e32 v44, v45, v14
	v_fma_f32 v11, -v11, v44, v15
	v_div_fmas_f32 v11, v11, v14, v44
	v_div_fixup_f32 v15, v11, v9, v19
.LBB75_40:                              ;   in Loop: Header=BB75_4 Depth=1
	s_or_b64 exec, exec, s[40:41]
.LBB75_41:                              ;   in Loop: Header=BB75_4 Depth=1
	s_andn2_saveexec_b64 s[38:39], s[38:39]
	s_cbranch_execz .LBB75_43
; %bb.42:                               ;   in Loop: Header=BB75_4 Depth=1
	v_div_scale_f32 v9, s[40:41], v18, v18, v19
	v_rcp_f32_e32 v11, v9
	v_div_scale_f32 v14, vcc, v19, v18, v19
	v_fma_f32 v15, -v9, v11, 1.0
	v_fmac_f32_e32 v11, v15, v11
	v_mul_f32_e32 v15, v14, v11
	v_fma_f32 v44, -v9, v15, v14
	v_fmac_f32_e32 v15, v44, v11
	v_fma_f32 v9, -v9, v15, v14
	v_div_fmas_f32 v9, v9, v11, v15
	v_div_fixup_f32 v9, v9, v18, v19
	v_div_scale_f32 v11, s[40:41], v18, v18, v9
	v_rcp_f32_e32 v14, v11
	v_fma_f32 v15, -v11, v14, 1.0
	v_fmac_f32_e32 v14, v15, v14
	v_div_scale_f32 v15, vcc, v9, v18, v9
	v_mul_f32_e32 v19, v15, v14
	v_fma_f32 v44, -v11, v19, v15
	v_fmac_f32_e32 v19, v44, v14
	v_fma_f32 v11, -v11, v19, v15
	v_div_fmas_f32 v11, v11, v14, v19
	v_div_fixup_f32 v15, v11, v18, v9
.LBB75_43:                              ;   in Loop: Header=BB75_4 Depth=1
	s_or_b64 exec, exec, s[38:39]
.LBB75_44:                              ;   in Loop: Header=BB75_4 Depth=1
	s_andn2_saveexec_b64 s[36:37], s[36:37]
; %bb.45:                               ;   in Loop: Header=BB75_4 Depth=1
	v_div_scale_f32 v9, s[38:39], v19, v19, 1.0
	v_rcp_f32_e32 v11, v9
	v_div_scale_f32 v14, vcc, 1.0, v19, 1.0
	v_fma_f32 v15, -v9, v11, 1.0
	v_fmac_f32_e32 v11, v15, v11
	v_mul_f32_e32 v15, v14, v11
	v_fma_f32 v44, -v9, v15, v14
	v_fmac_f32_e32 v15, v44, v11
	v_fma_f32 v9, -v9, v15, v14
	v_div_fmas_f32 v9, v9, v11, v15
	v_div_fixup_f32 v15, v9, v19, 1.0
; %bb.46:                               ;   in Loop: Header=BB75_4 Depth=1
	s_or_b64 exec, exec, s[36:37]
	v_pk_mov_b32 v[44:45], s[20:21], s[20:21] op_sel:[0,1]
	flat_load_dword v9, v[44:45] glc
	s_waitcnt vmcnt(0) lgkmcnt(0)
	v_add_f32_e32 v9, 0x3fc90fdb, v9
	v_bfi_b32 v14, s65, v9, v18
.LBB75_47:                              ;   in Loop: Header=BB75_4 Depth=1
	s_or_b64 exec, exec, s[14:15]
                                        ; implicit-def: $vgpr19
.LBB75_48:                              ;   in Loop: Header=BB75_4 Depth=1
	s_andn2_saveexec_b64 s[14:15], s[34:35]
	s_cbranch_execz .LBB75_58
; %bb.49:                               ;   in Loop: Header=BB75_4 Depth=1
	v_cmp_neq_f32_e64 s[34:35], |v19|, s60
                                        ; implicit-def: $vgpr15
	s_and_saveexec_b64 s[36:37], s[34:35]
	s_xor_b64 s[34:35], exec, s[36:37]
	s_cbranch_execz .LBB75_55
; %bb.50:                               ;   in Loop: Header=BB75_4 Depth=1
	v_cmp_neq_f32_e64 s[36:37], |v18|, s60
                                        ; implicit-def: $vgpr15
	s_and_saveexec_b64 s[38:39], s[36:37]
	s_xor_b64 s[36:37], exec, s[38:39]
	s_cbranch_execz .LBB75_52
; %bb.51:                               ;   in Loop: Header=BB75_4 Depth=1
	s_waitcnt lgkmcnt(0)
	v_add_f32_e32 v9, 0, v18
	v_add_f32_e32 v15, v19, v9
                                        ; implicit-def: $vgpr18_vgpr19
.LBB75_52:                              ;   in Loop: Header=BB75_4 Depth=1
	s_or_saveexec_b64 s[36:37], s[36:37]
	v_mov_b32_e32 v14, v15
	s_xor_b64 exec, exec, s[36:37]
	s_cbranch_execz .LBB75_54
; %bb.53:                               ;   in Loop: Header=BB75_4 Depth=1
	v_pk_mov_b32 v[14:15], s[20:21], s[20:21] op_sel:[0,1]
	s_waitcnt lgkmcnt(0)
	flat_load_dword v9, v[14:15] glc
	s_waitcnt vmcnt(0)
	v_bfi_b32 v15, s65, 0, v19
	s_waitcnt lgkmcnt(0)
	v_add_f32_e32 v9, 0x3fc90fdb, v9
	v_bfi_b32 v14, s65, v9, v18
.LBB75_54:                              ;   in Loop: Header=BB75_4 Depth=1
	s_or_b64 exec, exec, s[36:37]
                                        ; implicit-def: $vgpr19
.LBB75_55:                              ;   in Loop: Header=BB75_4 Depth=1
	s_andn2_saveexec_b64 s[34:35], s[34:35]
; %bb.56:                               ;   in Loop: Header=BB75_4 Depth=1
	v_bfi_b32 v15, s65, 0, v19
	v_add_f32_e32 v14, v18, v18
; %bb.57:                               ;   in Loop: Header=BB75_4 Depth=1
	s_or_b64 exec, exec, s[34:35]
.LBB75_58:                              ;   in Loop: Header=BB75_4 Depth=1
	s_or_b64 exec, exec, s[14:15]
                                        ; implicit-def: $vgpr18
.LBB75_59:                              ;   in Loop: Header=BB75_4 Depth=1
	s_andn2_saveexec_b64 s[14:15], s[30:31]
	s_cbranch_execz .LBB75_61
; %bb.60:                               ;   in Loop: Header=BB75_4 Depth=1
	s_waitcnt lgkmcnt(0)
	v_rcp_f32_e64 v9, |v18|
	v_cmp_gt_f32_e64 vcc, |v18|, 1.0
	v_mov_b32_e32 v11, 0xbc7a590c
	v_mov_b32_e32 v15, v19
	v_cndmask_b32_e64 v9, |v18|, v9, vcc
	v_mul_f32_e32 v14, v9, v9
	v_fmac_f32_e32 v11, 0x3b2d2a58, v14
	v_fma_f32 v11, v14, v11, v29
	v_fma_f32 v11, v14, v11, v30
	;; [unrolled: 1-line block ×6, first 2 shown]
	v_mul_f32_e32 v11, v14, v11
	v_fmac_f32_e32 v9, v9, v11
	v_sub_f32_e32 v11, 0x3fc90fdb, v9
	v_cndmask_b32_e32 v9, v9, v11, vcc
	v_bfi_b32 v14, s65, v9, v18
.LBB75_61:                              ;   in Loop: Header=BB75_4 Depth=1
	s_or_b64 exec, exec, s[14:15]
                                        ; implicit-def: $vgpr19
.LBB75_62:                              ;   in Loop: Header=BB75_4 Depth=1
	s_andn2_saveexec_b64 s[14:15], s[28:29]
	s_cbranch_execz .LBB75_64
; %bb.63:                               ;   in Loop: Header=BB75_4 Depth=1
	s_waitcnt lgkmcnt(0)
	v_sub_f32_e64 v9, 1.0, |v19|
	v_rcp_f32_e32 v48, v9
	v_add_f32_e64 v44, |v19|, 1.0
	v_sub_f32_e32 v11, 1.0, v9
	v_sub_f32_e64 v15, v11, |v19|
	v_mul_f32_e32 v49, v44, v48
	v_mul_f32_e32 v45, v9, v49
	v_fma_f32 v11, v49, v9, -v45
	v_fmac_f32_e32 v11, v49, v15
	v_pk_add_f32 v[46:47], v[44:45], v[10:11]
	v_sub_f32_e32 v9, v47, v45
	v_sub_f32_e32 v45, v44, v47
	v_and_b32_e32 v14, 0x7fffffff, v19
	v_sub_f32_e32 v15, v44, v45
	v_pk_add_f32 v[14:15], v[14:15], v[46:47] neg_lo:[0,1] neg_hi:[0,1]
	v_sub_f32_e32 v9, v9, v11
	v_add_f32_e32 v9, v9, v15
	v_add_f32_e32 v9, v14, v9
	;; [unrolled: 1-line block ×3, first 2 shown]
	v_mul_f32_e32 v9, v48, v9
	v_add_f32_e32 v11, v49, v9
	v_sub_f32_e32 v14, v11, v49
	v_sub_f32_e32 v9, v9, v14
	v_frexp_mant_f32_e32 v44, v11
	v_cvt_f64_f32_e32 v[14:15], v11
	v_frexp_exp_i32_f64_e32 v14, v[14:15]
	v_cmp_gt_f32_e32 vcc, s58, v44
	v_subbrev_co_u32_e32 v50, vcc, 0, v14, vcc
	v_sub_u32_e32 v14, 0, v50
	v_ldexp_f32 v11, v11, v14
	v_ldexp_f32 v9, v9, v14
	v_add_f32_e32 v14, -1.0, v11
	v_add_f32_e32 v15, 1.0, v14
	v_sub_f32_e32 v15, v11, v15
	v_add_f32_e32 v44, v9, v15
	v_add_f32_e32 v15, 1.0, v11
	v_add_f32_e32 v45, -1.0, v15
	v_sub_f32_e32 v11, v11, v45
	v_add_f32_e32 v9, v9, v11
	v_add_f32_e32 v11, v15, v9
	v_rcp_f32_e32 v51, v11
	v_sub_f32_e32 v15, v11, v15
	v_sub_f32_e32 v9, v9, v15
	v_add_f32_e32 v15, v14, v44
	v_sub_f32_e32 v14, v15, v14
	v_mul_f32_e32 v53, v15, v51
	v_sub_f32_e32 v52, v44, v14
	v_mul_f32_e32 v44, v11, v53
	v_fma_f32 v46, v53, v11, -v44
	v_fmac_f32_e32 v46, v53, v9
	v_add_f32_e32 v14, v44, v46
	v_sub_f32_e32 v45, v15, v14
	v_pk_add_f32 v[48:49], v[14:15], v[44:45] neg_lo:[0,1] neg_hi:[0,1]
	v_mov_b32_e32 v47, v14
	v_pk_add_f32 v[14:15], v[48:49], v[46:47] neg_lo:[0,1] neg_hi:[0,1]
	v_add_f32_e32 v15, v52, v15
	v_add_f32_e32 v14, v14, v15
	;; [unrolled: 1-line block ×3, first 2 shown]
	v_mul_f32_e32 v52, v51, v15
	v_mul_f32_e32 v44, v11, v52
	v_fma_f32 v46, v52, v11, -v44
	v_fmac_f32_e32 v46, v52, v9
	v_sub_f32_e32 v9, v45, v15
	v_add_f32_e32 v9, v14, v9
	v_add_f32_e32 v14, v44, v46
	v_sub_f32_e32 v45, v15, v14
	v_pk_add_f32 v[48:49], v[14:15], v[44:45] neg_lo:[0,1] neg_hi:[0,1]
	v_mov_b32_e32 v47, v14
	v_pk_add_f32 v[14:15], v[48:49], v[46:47] neg_lo:[0,1] neg_hi:[0,1]
	v_add_f32_e32 v9, v9, v15
	v_add_f32_e32 v9, v14, v9
	;; [unrolled: 1-line block ×4, first 2 shown]
	v_sub_f32_e32 v14, v11, v53
	v_mul_f32_e32 v9, v51, v9
	v_sub_f32_e32 v14, v52, v14
	v_add_f32_e32 v15, v14, v9
	v_add_f32_e32 v44, v11, v15
	v_cvt_f32_i32_e32 v14, v50
	v_mul_f32_e32 v46, v44, v44
	v_mov_b32_e32 v9, 0x3ecc95a3
	v_fmac_f32_e32 v9, 0x3e9b6dac, v46
	v_sub_f32_e32 v11, v44, v11
	v_fma_f32 v9, v46, v9, v28
	v_sub_f32_e32 v11, v15, v11
	v_mul_f32_e32 v15, v44, v46
	v_pk_mul_f32 v[46:47], v[14:15], v[8:9]
	v_ldexp_f32 v45, v44, 1
	v_fma_f32 v44, v14, s59, -v46
	v_fmac_f32_e32 v44, 0xb102e308, v14
	v_pk_add_f32 v[14:15], v[46:47], v[44:45]
	v_sub_f32_e32 v9, v15, v45
	v_ldexp_f32 v11, v11, 1
	v_sub_f32_e32 v9, v47, v9
	v_add_f32_e32 v49, v11, v9
	v_mov_b32_e32 v48, v46
	v_pk_add_f32 v[46:47], v[14:15], v[46:47] neg_lo:[0,1] neg_hi:[0,1]
	v_pk_add_f32 v[50:51], v[14:15], v[48:49]
	v_mov_b32_e32 v47, v51
	v_mov_b32_e32 v45, v14
	v_pk_add_f32 v[52:53], v[44:45], v[46:47] neg_lo:[0,1] neg_hi:[0,1]
	v_pk_add_f32 v[44:45], v[44:45], v[46:47]
	v_mov_b32_e32 v46, v45
	v_pk_add_f32 v[54:55], v[46:47], v[14:15] neg_lo:[0,1] neg_hi:[0,1]
	v_mov_b32_e32 v9, v54
	v_pk_add_f32 v[56:57], v[50:51], v[8:9] neg_lo:[0,1] neg_hi:[0,1]
	v_mov_b32_e32 v44, v51
	v_mov_b32_e32 v50, v15
	;; [unrolled: 1-line block ×4, first 2 shown]
	v_pk_add_f32 v[44:45], v[44:45], v[50:51] neg_lo:[0,1] neg_hi:[0,1]
	v_mov_b32_e32 v48, v49
	v_mov_b32_e32 v49, v14
	v_pk_add_f32 v[14:15], v[48:49], v[44:45] neg_lo:[0,1] neg_hi:[0,1]
	v_mov_b32_e32 v56, v52
	v_pk_add_f32 v[44:45], v[56:57], v[14:15]
	v_mov_b32_e32 v48, v45
	v_pk_add_f32 v[48:49], v[44:45], v[48:49]
	v_pk_add_f32 v[46:47], v[46:47], v[48:49]
	v_mov_b32_e32 v45, v46
	v_pk_add_f32 v[50:51], v[44:45], v[52:53] neg_lo:[0,1] neg_hi:[0,1]
	v_mov_b32_e32 v15, v48
	v_sub_f32_e32 v9, v44, v50
	v_pk_add_f32 v[14:15], v[14:15], v[50:51] neg_lo:[0,1] neg_hi:[0,1]
	v_sub_f32_e32 v9, v52, v9
	v_add_f32_e32 v9, v14, v9
	v_add_f32_e32 v9, v9, v15
	;; [unrolled: 1-line block ×3, first 2 shown]
	v_mul_f32_e32 v9, 0.5, v9
	v_cmp_lt_f32_e64 s[28:29], |v19|, s68
	v_cndmask_b32_e64 v9, v9, |v19|, s[28:29]
	v_cmp_ngt_f32_e64 vcc, |v19|, 1.0
	v_cndmask_b32_e32 v9, v36, v9, vcc
	v_cmp_neq_f32_e64 vcc, |v19|, 1.0
	v_cndmask_b32_e32 v9, v43, v9, vcc
	v_bfi_b32 v15, s65, v9, v19
	v_mov_b32_e32 v14, v18
.LBB75_64:                              ;   in Loop: Header=BB75_4 Depth=1
	s_or_b64 exec, exec, s[14:15]
	v_cmp_neq_f32_e32 vcc, 0, v20
	v_cmp_nle_f32_e64 s[14:15], |v21|, 1.0
	v_pk_mov_b32 v[18:19], s[20:21], s[20:21] op_sel:[0,1]
	s_or_b64 s[14:15], vcc, s[14:15]
	flat_store_dword v[18:19], v27
	s_waitcnt vmcnt(0)
                                        ; implicit-def: $vgpr19
	s_and_saveexec_b64 s[28:29], s[14:15]
	s_xor_b64 s[28:29], exec, s[28:29]
	s_cbranch_execz .LBB75_114
; %bb.65:                               ;   in Loop: Header=BB75_4 Depth=1
	v_cmp_neq_f32_e32 vcc, 0, v21
                                        ; implicit-def: $vgpr19
	s_and_saveexec_b64 s[14:15], vcc
	s_xor_b64 s[30:31], exec, s[14:15]
	s_cbranch_execz .LBB75_111
; %bb.66:                               ;   in Loop: Header=BB75_4 Depth=1
	v_cmp_o_f32_e32 vcc, v21, v20
                                        ; implicit-def: $vgpr19
	s_and_saveexec_b64 s[14:15], vcc
	s_xor_b64 s[34:35], exec, s[14:15]
	s_cbranch_execz .LBB75_100
; %bb.67:                               ;   in Loop: Header=BB75_4 Depth=1
	v_max_f32_e64 v11, |v20|, |v20|
	s_waitcnt lgkmcnt(0)
	v_max_f32_e64 v9, |v21|, |v21|
	v_max_f32_e32 v9, v9, v11
	v_cmp_nlt_f32_e32 vcc, s54, v9
                                        ; implicit-def: $vgpr19
	s_and_saveexec_b64 s[14:15], vcc
	s_xor_b64 s[36:37], exec, s[14:15]
	s_cbranch_execz .LBB75_85
; %bb.68:                               ;   in Loop: Header=BB75_4 Depth=1
	v_cmp_nlt_f32_e64 s[14:15], |v21|, s55
	v_cmp_nlt_f32_e64 s[38:39], |v20|, s55
	s_or_b64 s[14:15], s[14:15], s[38:39]
                                        ; implicit-def: $vgpr19
	s_and_saveexec_b64 s[38:39], s[14:15]
	s_xor_b64 s[38:39], exec, s[38:39]
	s_cbranch_execz .LBB75_82
; %bb.69:                               ;   in Loop: Header=BB75_4 Depth=1
	v_cmp_neq_f32_e64 s[42:43], |v21|, 1.0
	v_cmp_nlt_f32_e64 s[40:41], |v20|, s56
	s_or_b64 s[14:15], s[42:43], s[40:41]
                                        ; implicit-def: $vgpr9
	s_and_saveexec_b64 s[44:45], s[14:15]
	s_xor_b64 s[14:15], exec, s[44:45]
	s_cbranch_execz .LBB75_71
; %bb.70:                               ;   in Loop: Header=BB75_4 Depth=1
	v_add_f32_e64 v18, |v21|, -1.0
	v_mul_f32_e32 v44, v20, v20
	v_mul_f32_e32 v19, v18, v18
	v_fmac_f32_e32 v44, v18, v18
	v_cmp_lt_f32_e64 vcc, |v20|, s57
	v_mul_f32_e64 v9, |v21|, 4.0
	v_cndmask_b32_e32 v18, v44, v19, vcc
	v_div_scale_f32 v19, s[44:45], v18, v18, v9
	v_rcp_f32_e32 v44, v19
	v_fma_f32 v45, -v19, v44, 1.0
	v_fmac_f32_e32 v44, v45, v44
	v_div_scale_f32 v45, vcc, v9, v18, v9
	v_mul_f32_e32 v46, v45, v44
	v_fma_f32 v47, -v19, v46, v45
	v_fmac_f32_e32 v46, v47, v44
	v_fma_f32 v19, -v19, v46, v45
	v_div_fmas_f32 v19, v19, v44, v46
	v_div_fixup_f32 v18, v19, v18, v9
	v_add_f32_e32 v45, 1.0, v18
	v_add_f32_e32 v19, -1.0, v45
	v_mov_b32_e32 v44, v19
	v_pk_add_f32 v[46:47], v[18:19], v[44:45] neg_lo:[0,1] neg_hi:[0,1]
	v_add_f32_e32 v9, 1.0, v47
	v_add_f32_e32 v9, v46, v9
	v_frexp_mant_f32_e32 v19, v45
	v_cvt_f64_f32_e32 v[46:47], v45
	v_frexp_exp_i32_f64_e32 v44, v[46:47]
	v_cmp_gt_f32_e32 vcc, s58, v19
	v_subbrev_co_u32_e32 v19, vcc, 0, v44, vcc
	v_sub_u32_e32 v44, 0, v19
	v_ldexp_f32 v45, v45, v44
	v_ldexp_f32 v9, v9, v44
	v_add_f32_e32 v44, -1.0, v45
	v_add_f32_e32 v47, 1.0, v45
	v_add_f32_e32 v46, 1.0, v44
	v_add_f32_e32 v48, -1.0, v47
	v_sub_f32_e32 v46, v45, v46
	v_sub_f32_e32 v45, v45, v48
	v_add_f32_e32 v46, v9, v46
	v_add_f32_e32 v9, v9, v45
	;; [unrolled: 1-line block ×3, first 2 shown]
	v_rcp_f32_e32 v53, v52
	v_sub_f32_e32 v45, v52, v47
	v_sub_f32_e32 v9, v9, v45
	v_add_f32_e32 v45, v44, v46
	v_sub_f32_e32 v44, v45, v44
	v_mul_f32_e32 v55, v45, v53
	v_sub_f32_e32 v54, v46, v44
	v_mul_f32_e32 v46, v52, v55
	v_fma_f32 v48, v55, v52, -v46
	v_fmac_f32_e32 v48, v55, v9
	v_add_f32_e32 v44, v46, v48
	v_sub_f32_e32 v47, v45, v44
	v_pk_add_f32 v[50:51], v[44:45], v[46:47] neg_lo:[0,1] neg_hi:[0,1]
	v_mov_b32_e32 v49, v44
	v_pk_add_f32 v[44:45], v[50:51], v[48:49] neg_lo:[0,1] neg_hi:[0,1]
	v_add_f32_e32 v45, v54, v45
	v_add_f32_e32 v44, v44, v45
	;; [unrolled: 1-line block ×3, first 2 shown]
	v_mul_f32_e32 v54, v53, v45
	v_mul_f32_e32 v46, v52, v54
	v_fma_f32 v48, v54, v52, -v46
	v_fmac_f32_e32 v48, v54, v9
	v_sub_f32_e32 v9, v47, v45
	v_add_f32_e32 v9, v44, v9
	v_add_f32_e32 v44, v46, v48
	v_sub_f32_e32 v47, v45, v44
	v_pk_add_f32 v[50:51], v[44:45], v[46:47] neg_lo:[0,1] neg_hi:[0,1]
	v_mov_b32_e32 v49, v44
	v_pk_add_f32 v[44:45], v[50:51], v[48:49] neg_lo:[0,1] neg_hi:[0,1]
	v_add_f32_e32 v9, v9, v45
	v_add_f32_e32 v9, v44, v9
	;; [unrolled: 1-line block ×4, first 2 shown]
	v_sub_f32_e32 v44, v45, v55
	v_mul_f32_e32 v9, v53, v9
	v_sub_f32_e32 v44, v54, v44
	v_add_f32_e32 v46, v44, v9
	v_add_f32_e32 v48, v45, v46
	v_cvt_f32_i32_e32 v44, v19
	v_mul_f32_e32 v49, v48, v48
	v_mov_b32_e32 v9, 0x3ecc95a3
	v_fmac_f32_e32 v9, 0x3e9b6dac, v49
	v_fma_f32 v9, v49, v9, v28
	v_sub_f32_e32 v19, v48, v45
	v_mul_f32_e32 v45, v48, v49
	v_ldexp_f32 v47, v48, 1
	v_pk_mul_f32 v[48:49], v[44:45], v[8:9]
	v_sub_f32_e32 v19, v46, v19
	v_fma_f32 v46, v44, s59, -v48
	v_fmac_f32_e32 v46, 0xb102e308, v44
	v_pk_add_f32 v[44:45], v[48:49], v[46:47]
	v_sub_f32_e32 v9, v45, v47
	v_ldexp_f32 v19, v19, 1
	v_sub_f32_e32 v9, v49, v9
	v_add_f32_e32 v51, v19, v9
	v_mov_b32_e32 v50, v48
	v_pk_add_f32 v[48:49], v[44:45], v[48:49] neg_lo:[0,1] neg_hi:[0,1]
	v_pk_add_f32 v[52:53], v[44:45], v[50:51]
	v_mov_b32_e32 v49, v53
	v_mov_b32_e32 v47, v44
	v_pk_add_f32 v[54:55], v[46:47], v[48:49] neg_lo:[0,1] neg_hi:[0,1]
	v_pk_add_f32 v[46:47], v[46:47], v[48:49]
	v_mov_b32_e32 v48, v47
	v_pk_add_f32 v[56:57], v[48:49], v[44:45] neg_lo:[0,1] neg_hi:[0,1]
	v_mov_b32_e32 v9, v56
	v_pk_add_f32 v[58:59], v[52:53], v[8:9] neg_lo:[0,1] neg_hi:[0,1]
	v_mov_b32_e32 v46, v53
	v_mov_b32_e32 v52, v45
	;; [unrolled: 1-line block ×4, first 2 shown]
	v_pk_add_f32 v[46:47], v[46:47], v[52:53] neg_lo:[0,1] neg_hi:[0,1]
	v_mov_b32_e32 v50, v51
	v_mov_b32_e32 v51, v44
	v_pk_add_f32 v[44:45], v[50:51], v[46:47] neg_lo:[0,1] neg_hi:[0,1]
	v_mov_b32_e32 v58, v54
	v_pk_add_f32 v[46:47], v[58:59], v[44:45]
	v_mov_b32_e32 v50, v47
	v_pk_add_f32 v[50:51], v[46:47], v[50:51]
	v_pk_add_f32 v[48:49], v[48:49], v[50:51]
	v_mov_b32_e32 v47, v48
	v_pk_add_f32 v[52:53], v[46:47], v[54:55] neg_lo:[0,1] neg_hi:[0,1]
	v_mov_b32_e32 v45, v50
	v_sub_f32_e32 v9, v46, v52
	v_pk_add_f32 v[44:45], v[44:45], v[52:53] neg_lo:[0,1] neg_hi:[0,1]
	v_sub_f32_e32 v9, v54, v9
	v_add_f32_e32 v9, v44, v9
	v_add_f32_e32 v9, v9, v45
	;; [unrolled: 1-line block ×3, first 2 shown]
	v_cmp_eq_f32_e32 vcc, s60, v18
	v_cndmask_b32_e32 v9, v9, v18, vcc
	v_cmp_ngt_f32_e32 vcc, -1.0, v18
	v_cndmask_b32_e32 v9, v36, v9, vcc
	v_cmp_neq_f32_e32 vcc, -1.0, v18
	v_cndmask_b32_e32 v9, v37, v9, vcc
	v_cmp_lt_f32_e64 vcc, |v18|, s61
	v_cndmask_b32_e32 v9, v9, v18, vcc
	v_mul_f32_e32 v9, 0x3e800000, v9
	s_andn2_saveexec_b64 s[44:45], s[14:15]
	s_cbranch_execz .LBB75_73
	s_branch .LBB75_72
.LBB75_71:                              ;   in Loop: Header=BB75_4 Depth=1
	s_andn2_saveexec_b64 s[44:45], s[14:15]
	s_cbranch_execz .LBB75_73
.LBB75_72:                              ;   in Loop: Header=BB75_4 Depth=1
	v_cmp_lt_f32_e64 vcc, |v20|, s62
	v_cndmask_b32_e32 v9, 1.0, v38, vcc
	v_mul_f32_e64 v9, |v20|, v9
	v_log_f32_e32 v9, v9
	v_mul_f32_e32 v18, 0x3f317217, v9
	v_fma_f32 v19, v9, s63, -v18
	v_fmac_f32_e32 v19, 0x3377d1cf, v9
	v_add_f32_e32 v18, v18, v19
	v_cmp_lt_f32_e64 s[14:15], |v9|, s60
	v_cndmask_b32_e64 v9, v9, v18, s[14:15]
	v_cndmask_b32_e32 v18, 0, v39, vcc
	v_sub_f32_e32 v9, v9, v18
	v_sub_f32_e32 v9, 0x3f317218, v9
	v_mul_f32_e32 v9, 0.5, v9
.LBB75_73:                              ;   in Loop: Header=BB75_4 Depth=1
	s_or_b64 exec, exec, s[44:45]
                                        ; implicit-def: $vgpr19
	s_and_saveexec_b64 s[14:15], s[42:43]
	s_xor_b64 s[42:43], exec, s[14:15]
	s_cbranch_execz .LBB75_79
; %bb.74:                               ;   in Loop: Header=BB75_4 Depth=1
	v_sub_f32_e64 v18, 1.0, |v21|
	v_add_f32_e64 v19, |v21|, 1.0
	v_add_f32_e64 v11, |v20|, |v20|
	v_mul_f32_e32 v18, v18, v19
                                        ; implicit-def: $vgpr19
	s_and_saveexec_b64 s[14:15], s[40:41]
	s_xor_b64 s[40:41], exec, s[14:15]
	s_cbranch_execz .LBB75_76
; %bb.75:                               ;   in Loop: Header=BB75_4 Depth=1
	v_fma_f32 v18, -v20, v20, v18
	v_max_f32_e64 v19, |v11|, |v11|
	v_min_f32_e64 v44, |v18|, v19
	v_max_f32_e64 v19, |v18|, v19
	v_frexp_mant_f32_e32 v45, v19
	v_rcp_f32_e32 v45, v45
	v_frexp_exp_i32_f32_e32 v19, v19
	v_frexp_exp_i32_f32_e32 v46, v44
	v_frexp_mant_f32_e32 v44, v44
	v_mul_f32_e32 v44, v44, v45
	v_sub_u32_e32 v19, v46, v19
	v_ldexp_f32 v19, v44, v19
	v_mul_f32_e32 v44, v19, v19
	v_mov_b32_e32 v45, 0xbc7a590c
	v_fmac_f32_e32 v45, 0x3b2d2a58, v44
	v_fma_f32 v45, v44, v45, v29
	v_fma_f32 v45, v44, v45, v30
	;; [unrolled: 1-line block ×6, first 2 shown]
	v_mul_f32_e32 v44, v44, v45
	v_fmac_f32_e32 v19, v19, v44
	v_sub_f32_e32 v44, 0x3fc90fdb, v19
	v_cmp_gt_f32_e64 vcc, |v11|, |v18|
	v_cndmask_b32_e32 v19, v19, v44, vcc
	v_sub_f32_e32 v44, 0x40490fdb, v19
	v_cmp_gt_f32_e32 vcc, 0, v18
	v_cmp_gt_i32_e64 s[14:15], 0, v18
	v_cndmask_b32_e32 v19, v19, v44, vcc
	v_cndmask_b32_e64 v44, 0, v40, s[14:15]
	v_cmp_eq_f32_e64 s[14:15], 0, v11
	v_cndmask_b32_e64 v19, v19, v44, s[14:15]
	v_cmp_class_f32_e64 s[14:15], v18, s64
	v_cmp_class_f32_e64 s[44:45], v11, s64
	v_cndmask_b32_e32 v44, v41, v42, vcc
	s_and_b64 vcc, s[44:45], s[14:15]
	v_cndmask_b32_e32 v19, v19, v44, vcc
	v_cmp_o_f32_e32 vcc, v18, v11
	v_cndmask_b32_e32 v18, v36, v19, vcc
	v_bfi_b32 v19, s65, v18, v11
                                        ; implicit-def: $vgpr11
                                        ; implicit-def: $vgpr18
.LBB75_76:                              ;   in Loop: Header=BB75_4 Depth=1
	s_andn2_saveexec_b64 s[40:41], s[40:41]
	s_cbranch_execz .LBB75_78
; %bb.77:                               ;   in Loop: Header=BB75_4 Depth=1
	v_max_f32_e32 v19, v11, v11
	v_max_f32_e64 v44, |v18|, |v18|
	v_min_f32_e32 v45, v44, v19
	v_max_f32_e32 v19, v44, v19
	v_frexp_mant_f32_e32 v44, v19
	v_rcp_f32_e32 v44, v44
	v_frexp_exp_i32_f32_e32 v19, v19
	v_frexp_exp_i32_f32_e32 v46, v45
	v_frexp_mant_f32_e32 v45, v45
	v_mul_f32_e32 v44, v45, v44
	v_sub_u32_e32 v19, v46, v19
	v_ldexp_f32 v19, v44, v19
	v_mul_f32_e32 v44, v19, v19
	v_mov_b32_e32 v45, 0xbc7a590c
	v_fmac_f32_e32 v45, 0x3b2d2a58, v44
	v_fma_f32 v45, v44, v45, v29
	v_fma_f32 v45, v44, v45, v30
	;; [unrolled: 1-line block ×6, first 2 shown]
	v_mul_f32_e32 v44, v44, v45
	v_fmac_f32_e32 v19, v19, v44
	v_sub_f32_e32 v44, 0x3fc90fdb, v19
	v_cmp_gt_f32_e64 vcc, v11, |v18|
	v_cndmask_b32_e32 v19, v19, v44, vcc
	v_sub_f32_e32 v44, 0x40490fdb, v19
	v_cmp_gt_f32_e32 vcc, 0, v18
	v_cmp_gt_i32_e64 s[14:15], 0, v18
	v_cndmask_b32_e32 v19, v19, v44, vcc
	v_cndmask_b32_e64 v44, 0, v40, s[14:15]
	v_cmp_eq_f32_e64 s[14:15], 0, v11
	v_cndmask_b32_e64 v19, v19, v44, s[14:15]
	v_cndmask_b32_e32 v44, v41, v42, vcc
	v_cmp_class_f32_e64 s[14:15], v18, s64
	v_cmp_eq_f32_e32 vcc, s60, v11
	s_and_b64 vcc, vcc, s[14:15]
	v_cndmask_b32_e32 v11, v19, v44, vcc
	v_cmp_o_f32_e32 vcc, v18, v18
	v_cndmask_b32_e64 v19, v36, |v11|, vcc
.LBB75_78:                              ;   in Loop: Header=BB75_4 Depth=1
	s_or_b64 exec, exec, s[40:41]
                                        ; implicit-def: $vgpr11
	s_andn2_saveexec_b64 s[14:15], s[42:43]
	s_cbranch_execnz .LBB75_80
	s_branch .LBB75_81
.LBB75_79:                              ;   in Loop: Header=BB75_4 Depth=1
	s_andn2_saveexec_b64 s[14:15], s[42:43]
	s_cbranch_execz .LBB75_81
.LBB75_80:                              ;   in Loop: Header=BB75_4 Depth=1
	v_min_f32_e32 v18, 2.0, v11
	v_max_f32_e32 v11, 2.0, v11
	v_frexp_mant_f32_e32 v19, v11
	v_rcp_f32_e32 v19, v19
	v_frexp_exp_i32_f32_e32 v11, v11
	v_frexp_exp_i32_f32_e32 v44, v18
	v_frexp_mant_f32_e32 v18, v18
	v_mul_f32_e32 v18, v18, v19
	v_sub_u32_e32 v11, v44, v11
	v_ldexp_f32 v11, v18, v11
	v_mul_f32_e32 v18, v11, v11
	v_mov_b32_e32 v19, 0xbc7a590c
	v_fmac_f32_e32 v19, 0x3b2d2a58, v18
	v_fma_f32 v19, v18, v19, v29
	v_fma_f32 v19, v18, v19, v30
	;; [unrolled: 1-line block ×6, first 2 shown]
	v_mul_f32_e32 v18, v18, v19
	v_fmac_f32_e32 v11, v11, v18
	v_sub_f32_e32 v18, 0x3fc90fdb, v11
	v_cmp_lt_f32_e64 vcc, |v20|, 2.0
	v_cndmask_b32_e32 v11, v11, v18, vcc
	v_sub_f32_e32 v18, 0x40490fdb, v11
	v_cmp_lg_f32_e32 vcc, 0, v20
	v_cndmask_b32_e32 v11, v11, v18, vcc
	v_and_b32_e32 v19, 0x7fffffff, v11
.LBB75_81:                              ;   in Loop: Header=BB75_4 Depth=1
	s_or_b64 exec, exec, s[14:15]
	v_mul_f32_e32 v11, 0.5, v19
	v_bfi_b32 v19, s65, v9, v21
	v_bfi_b32 v18, s65, v11, v20
                                        ; implicit-def: $vgpr21
.LBB75_82:                              ;   in Loop: Header=BB75_4 Depth=1
	s_andn2_saveexec_b64 s[14:15], s[38:39]
	s_cbranch_execz .LBB75_84
; %bb.83:                               ;   in Loop: Header=BB75_4 Depth=1
	v_pk_mov_b32 v[18:19], s[22:23], s[22:23] op_sel:[0,1]
	flat_store_dword v[18:19], v35
	s_waitcnt vmcnt(0)
	flat_load_dword v9, v[18:19] glc
	s_waitcnt vmcnt(0)
	v_pk_mov_b32 v[18:19], s[24:25], s[24:25] op_sel:[0,1]
	s_waitcnt lgkmcnt(0)
	v_add_f32_e32 v9, 1.0, v9
	flat_store_dword v[18:19], v9
	s_waitcnt vmcnt(0)
	flat_load_dword v9, v[18:19] glc
	s_waitcnt vmcnt(0)
	v_mov_b32_e32 v19, v21
	v_mov_b32_e32 v18, v20
.LBB75_84:                              ;   in Loop: Header=BB75_4 Depth=1
	s_or_b64 exec, exec, s[14:15]
                                        ; implicit-def: $vgpr20
.LBB75_85:                              ;   in Loop: Header=BB75_4 Depth=1
	s_andn2_saveexec_b64 s[14:15], s[36:37]
	s_cbranch_execz .LBB75_99
; %bb.86:                               ;   in Loop: Header=BB75_4 Depth=1
	v_and_b32_e32 v11, 0x7f800000, v20
	s_waitcnt lgkmcnt(0)
	v_and_b32_e32 v9, 0x7f800000, v21
	v_sub_u32_e32 v18, v9, v11
	v_cmp_gt_i32_e32 vcc, s66, v18
	v_cmp_neq_f32_e64 s[36:37], |v21|, s60
	s_and_b64 s[36:37], s[36:37], vcc
                                        ; implicit-def: $vgpr19
	s_and_saveexec_b64 s[38:39], s[36:37]
	s_xor_b64 s[36:37], exec, s[38:39]
	s_cbranch_execz .LBB75_96
; %bb.87:                               ;   in Loop: Header=BB75_4 Depth=1
	v_sub_u32_e32 v11, v11, v9
	v_cmp_gt_i32_e32 vcc, s66, v11
                                        ; implicit-def: $vgpr19
	s_and_saveexec_b64 s[38:39], vcc
	s_xor_b64 s[38:39], exec, s[38:39]
	s_cbranch_execz .LBB75_93
; %bb.88:                               ;   in Loop: Header=BB75_4 Depth=1
	v_cmp_lt_u32_e32 vcc, s67, v9
                                        ; implicit-def: $vgpr19
	s_and_saveexec_b64 s[40:41], vcc
	s_xor_b64 s[40:41], exec, s[40:41]
	s_cbranch_execz .LBB75_90
; %bb.89:                               ;   in Loop: Header=BB75_4 Depth=1
	v_sub_u32_e32 v9, 0x7f800000, v9
	v_mul_f32_e32 v18, v20, v9
	v_mul_f32_e32 v11, v21, v9
	;; [unrolled: 1-line block ×3, first 2 shown]
	v_fmac_f32_e32 v18, v11, v11
	v_div_scale_f32 v19, s[42:43], v18, v18, v11
	v_rcp_f32_e32 v21, v19
	v_fma_f32 v44, -v19, v21, 1.0
	v_fmac_f32_e32 v21, v44, v21
	v_div_scale_f32 v44, vcc, v11, v18, v11
	v_mul_f32_e32 v45, v44, v21
	v_fma_f32 v46, -v19, v45, v44
	v_fmac_f32_e32 v45, v46, v21
	v_fma_f32 v19, -v19, v45, v44
	v_div_fmas_f32 v19, v19, v21, v45
	v_div_fixup_f32 v11, v19, v18, v11
	v_mul_f32_e32 v19, v11, v9
.LBB75_90:                              ;   in Loop: Header=BB75_4 Depth=1
	s_andn2_saveexec_b64 s[40:41], s[40:41]
	s_cbranch_execz .LBB75_92
; %bb.91:                               ;   in Loop: Header=BB75_4 Depth=1
	v_pk_mul_f32 v[18:19], v[20:21], v[20:21]
	v_add_f32_e32 v9, v19, v18
	v_div_scale_f32 v11, s[42:43], v9, v9, v21
	v_rcp_f32_e32 v18, v11
	v_div_scale_f32 v19, vcc, v21, v9, v21
	v_fma_f32 v44, -v11, v18, 1.0
	v_fmac_f32_e32 v18, v44, v18
	v_mul_f32_e32 v44, v19, v18
	v_fma_f32 v45, -v11, v44, v19
	v_fmac_f32_e32 v44, v45, v18
	v_fma_f32 v11, -v11, v44, v19
	v_div_fmas_f32 v11, v11, v18, v44
	v_div_fixup_f32 v19, v11, v9, v21
.LBB75_92:                              ;   in Loop: Header=BB75_4 Depth=1
	s_or_b64 exec, exec, s[40:41]
.LBB75_93:                              ;   in Loop: Header=BB75_4 Depth=1
	s_andn2_saveexec_b64 s[38:39], s[38:39]
	s_cbranch_execz .LBB75_95
; %bb.94:                               ;   in Loop: Header=BB75_4 Depth=1
	v_div_scale_f32 v9, s[40:41], v20, v20, v21
	v_rcp_f32_e32 v11, v9
	v_div_scale_f32 v18, vcc, v21, v20, v21
	v_fma_f32 v19, -v9, v11, 1.0
	v_fmac_f32_e32 v11, v19, v11
	v_mul_f32_e32 v19, v18, v11
	v_fma_f32 v44, -v9, v19, v18
	v_fmac_f32_e32 v19, v44, v11
	v_fma_f32 v9, -v9, v19, v18
	v_div_fmas_f32 v9, v9, v11, v19
	v_div_fixup_f32 v9, v9, v20, v21
	v_div_scale_f32 v11, s[40:41], v20, v20, v9
	v_rcp_f32_e32 v18, v11
	v_fma_f32 v19, -v11, v18, 1.0
	v_fmac_f32_e32 v18, v19, v18
	v_div_scale_f32 v19, vcc, v9, v20, v9
	v_mul_f32_e32 v21, v19, v18
	v_fma_f32 v44, -v11, v21, v19
	v_fmac_f32_e32 v21, v44, v18
	v_fma_f32 v11, -v11, v21, v19
	v_div_fmas_f32 v11, v11, v18, v21
	v_div_fixup_f32 v19, v11, v20, v9
.LBB75_95:                              ;   in Loop: Header=BB75_4 Depth=1
	s_or_b64 exec, exec, s[38:39]
.LBB75_96:                              ;   in Loop: Header=BB75_4 Depth=1
	s_andn2_saveexec_b64 s[36:37], s[36:37]
; %bb.97:                               ;   in Loop: Header=BB75_4 Depth=1
	v_div_scale_f32 v9, s[38:39], v21, v21, 1.0
	v_rcp_f32_e32 v11, v9
	v_div_scale_f32 v18, vcc, 1.0, v21, 1.0
	v_fma_f32 v19, -v9, v11, 1.0
	v_fmac_f32_e32 v11, v19, v11
	v_mul_f32_e32 v19, v18, v11
	v_fma_f32 v44, -v9, v19, v18
	v_fmac_f32_e32 v19, v44, v11
	v_fma_f32 v9, -v9, v19, v18
	v_div_fmas_f32 v9, v9, v11, v19
	v_div_fixup_f32 v19, v9, v21, 1.0
; %bb.98:                               ;   in Loop: Header=BB75_4 Depth=1
	s_or_b64 exec, exec, s[36:37]
	v_pk_mov_b32 v[44:45], s[20:21], s[20:21] op_sel:[0,1]
	flat_load_dword v9, v[44:45] glc
	s_waitcnt vmcnt(0) lgkmcnt(0)
	v_add_f32_e32 v9, 0x3fc90fdb, v9
	v_bfi_b32 v18, s65, v9, v20
.LBB75_99:                              ;   in Loop: Header=BB75_4 Depth=1
	s_or_b64 exec, exec, s[14:15]
                                        ; implicit-def: $vgpr21
.LBB75_100:                             ;   in Loop: Header=BB75_4 Depth=1
	s_andn2_saveexec_b64 s[14:15], s[34:35]
	s_cbranch_execz .LBB75_110
; %bb.101:                              ;   in Loop: Header=BB75_4 Depth=1
	v_cmp_neq_f32_e64 s[34:35], |v21|, s60
                                        ; implicit-def: $vgpr19
	s_and_saveexec_b64 s[36:37], s[34:35]
	s_xor_b64 s[34:35], exec, s[36:37]
	s_cbranch_execz .LBB75_107
; %bb.102:                              ;   in Loop: Header=BB75_4 Depth=1
	v_cmp_neq_f32_e64 s[36:37], |v20|, s60
                                        ; implicit-def: $vgpr19
	s_and_saveexec_b64 s[38:39], s[36:37]
	s_xor_b64 s[36:37], exec, s[38:39]
	s_cbranch_execz .LBB75_104
; %bb.103:                              ;   in Loop: Header=BB75_4 Depth=1
	s_waitcnt lgkmcnt(0)
	v_add_f32_e32 v9, 0, v20
	v_add_f32_e32 v19, v21, v9
                                        ; implicit-def: $vgpr20_vgpr21
.LBB75_104:                             ;   in Loop: Header=BB75_4 Depth=1
	s_or_saveexec_b64 s[36:37], s[36:37]
	v_mov_b32_e32 v18, v19
	s_xor_b64 exec, exec, s[36:37]
	s_cbranch_execz .LBB75_106
; %bb.105:                              ;   in Loop: Header=BB75_4 Depth=1
	v_pk_mov_b32 v[18:19], s[20:21], s[20:21] op_sel:[0,1]
	s_waitcnt lgkmcnt(0)
	flat_load_dword v9, v[18:19] glc
	s_waitcnt vmcnt(0)
	v_bfi_b32 v19, s65, 0, v21
	s_waitcnt lgkmcnt(0)
	v_add_f32_e32 v9, 0x3fc90fdb, v9
	v_bfi_b32 v18, s65, v9, v20
.LBB75_106:                             ;   in Loop: Header=BB75_4 Depth=1
	s_or_b64 exec, exec, s[36:37]
                                        ; implicit-def: $vgpr21
.LBB75_107:                             ;   in Loop: Header=BB75_4 Depth=1
	s_andn2_saveexec_b64 s[34:35], s[34:35]
; %bb.108:                              ;   in Loop: Header=BB75_4 Depth=1
	v_bfi_b32 v19, s65, 0, v21
	v_add_f32_e32 v18, v20, v20
; %bb.109:                              ;   in Loop: Header=BB75_4 Depth=1
	s_or_b64 exec, exec, s[34:35]
.LBB75_110:                             ;   in Loop: Header=BB75_4 Depth=1
	s_or_b64 exec, exec, s[14:15]
                                        ; implicit-def: $vgpr20
.LBB75_111:                             ;   in Loop: Header=BB75_4 Depth=1
	s_andn2_saveexec_b64 s[14:15], s[30:31]
	s_cbranch_execz .LBB75_113
; %bb.112:                              ;   in Loop: Header=BB75_4 Depth=1
	s_waitcnt lgkmcnt(0)
	v_rcp_f32_e64 v9, |v20|
	v_cmp_gt_f32_e64 vcc, |v20|, 1.0
	v_mov_b32_e32 v11, 0xbc7a590c
	v_mov_b32_e32 v19, v21
	v_cndmask_b32_e64 v9, |v20|, v9, vcc
	v_mul_f32_e32 v18, v9, v9
	v_fmac_f32_e32 v11, 0x3b2d2a58, v18
	v_fma_f32 v11, v18, v11, v29
	v_fma_f32 v11, v18, v11, v30
	;; [unrolled: 1-line block ×6, first 2 shown]
	v_mul_f32_e32 v11, v18, v11
	v_fmac_f32_e32 v9, v9, v11
	v_sub_f32_e32 v11, 0x3fc90fdb, v9
	v_cndmask_b32_e32 v9, v9, v11, vcc
	v_bfi_b32 v18, s65, v9, v20
.LBB75_113:                             ;   in Loop: Header=BB75_4 Depth=1
	s_or_b64 exec, exec, s[14:15]
                                        ; implicit-def: $vgpr21
.LBB75_114:                             ;   in Loop: Header=BB75_4 Depth=1
	s_andn2_saveexec_b64 s[14:15], s[28:29]
	s_cbranch_execz .LBB75_116
; %bb.115:                              ;   in Loop: Header=BB75_4 Depth=1
	s_waitcnt lgkmcnt(0)
	v_sub_f32_e64 v9, 1.0, |v21|
	v_rcp_f32_e32 v48, v9
	v_add_f32_e64 v44, |v21|, 1.0
	v_sub_f32_e32 v11, 1.0, v9
	v_sub_f32_e64 v19, v11, |v21|
	v_mul_f32_e32 v49, v44, v48
	v_mul_f32_e32 v45, v9, v49
	v_fma_f32 v11, v49, v9, -v45
	v_fmac_f32_e32 v11, v49, v19
	v_pk_add_f32 v[46:47], v[44:45], v[10:11]
	v_sub_f32_e32 v9, v47, v45
	v_sub_f32_e32 v45, v44, v47
	v_and_b32_e32 v18, 0x7fffffff, v21
	v_sub_f32_e32 v19, v44, v45
	v_pk_add_f32 v[18:19], v[18:19], v[46:47] neg_lo:[0,1] neg_hi:[0,1]
	v_sub_f32_e32 v9, v9, v11
	v_add_f32_e32 v9, v9, v19
	v_add_f32_e32 v9, v18, v9
	;; [unrolled: 1-line block ×3, first 2 shown]
	v_mul_f32_e32 v9, v48, v9
	v_add_f32_e32 v11, v49, v9
	v_sub_f32_e32 v18, v11, v49
	v_sub_f32_e32 v9, v9, v18
	v_frexp_mant_f32_e32 v44, v11
	v_cvt_f64_f32_e32 v[18:19], v11
	v_frexp_exp_i32_f64_e32 v18, v[18:19]
	v_cmp_gt_f32_e32 vcc, s58, v44
	v_subbrev_co_u32_e32 v50, vcc, 0, v18, vcc
	v_sub_u32_e32 v18, 0, v50
	v_ldexp_f32 v11, v11, v18
	v_ldexp_f32 v9, v9, v18
	v_add_f32_e32 v18, -1.0, v11
	v_add_f32_e32 v19, 1.0, v18
	v_sub_f32_e32 v19, v11, v19
	v_add_f32_e32 v44, v9, v19
	v_add_f32_e32 v19, 1.0, v11
	v_add_f32_e32 v45, -1.0, v19
	v_sub_f32_e32 v11, v11, v45
	v_add_f32_e32 v9, v9, v11
	v_add_f32_e32 v11, v19, v9
	v_rcp_f32_e32 v51, v11
	v_sub_f32_e32 v19, v11, v19
	v_sub_f32_e32 v9, v9, v19
	v_add_f32_e32 v19, v18, v44
	v_sub_f32_e32 v18, v19, v18
	v_mul_f32_e32 v53, v19, v51
	v_sub_f32_e32 v52, v44, v18
	v_mul_f32_e32 v44, v11, v53
	v_fma_f32 v46, v53, v11, -v44
	v_fmac_f32_e32 v46, v53, v9
	v_add_f32_e32 v18, v44, v46
	v_sub_f32_e32 v45, v19, v18
	v_pk_add_f32 v[48:49], v[18:19], v[44:45] neg_lo:[0,1] neg_hi:[0,1]
	v_mov_b32_e32 v47, v18
	v_pk_add_f32 v[18:19], v[48:49], v[46:47] neg_lo:[0,1] neg_hi:[0,1]
	v_add_f32_e32 v19, v52, v19
	v_add_f32_e32 v18, v18, v19
	;; [unrolled: 1-line block ×3, first 2 shown]
	v_mul_f32_e32 v52, v51, v19
	v_mul_f32_e32 v44, v11, v52
	v_fma_f32 v46, v52, v11, -v44
	v_fmac_f32_e32 v46, v52, v9
	v_sub_f32_e32 v9, v45, v19
	v_add_f32_e32 v9, v18, v9
	v_add_f32_e32 v18, v44, v46
	v_sub_f32_e32 v45, v19, v18
	v_pk_add_f32 v[48:49], v[18:19], v[44:45] neg_lo:[0,1] neg_hi:[0,1]
	v_mov_b32_e32 v47, v18
	v_pk_add_f32 v[18:19], v[48:49], v[46:47] neg_lo:[0,1] neg_hi:[0,1]
	v_add_f32_e32 v9, v9, v19
	v_add_f32_e32 v9, v18, v9
	;; [unrolled: 1-line block ×4, first 2 shown]
	v_sub_f32_e32 v18, v11, v53
	v_mul_f32_e32 v9, v51, v9
	v_sub_f32_e32 v18, v52, v18
	v_add_f32_e32 v19, v18, v9
	v_add_f32_e32 v44, v11, v19
	v_cvt_f32_i32_e32 v18, v50
	v_mul_f32_e32 v46, v44, v44
	v_mov_b32_e32 v9, 0x3ecc95a3
	v_fmac_f32_e32 v9, 0x3e9b6dac, v46
	v_sub_f32_e32 v11, v44, v11
	v_fma_f32 v9, v46, v9, v28
	v_sub_f32_e32 v11, v19, v11
	v_mul_f32_e32 v19, v44, v46
	v_pk_mul_f32 v[46:47], v[18:19], v[8:9]
	v_ldexp_f32 v45, v44, 1
	v_fma_f32 v44, v18, s59, -v46
	v_fmac_f32_e32 v44, 0xb102e308, v18
	v_pk_add_f32 v[18:19], v[46:47], v[44:45]
	v_sub_f32_e32 v9, v19, v45
	v_ldexp_f32 v11, v11, 1
	v_sub_f32_e32 v9, v47, v9
	v_add_f32_e32 v49, v11, v9
	v_mov_b32_e32 v48, v46
	v_pk_add_f32 v[46:47], v[18:19], v[46:47] neg_lo:[0,1] neg_hi:[0,1]
	v_pk_add_f32 v[50:51], v[18:19], v[48:49]
	v_mov_b32_e32 v47, v51
	v_mov_b32_e32 v45, v18
	v_pk_add_f32 v[52:53], v[44:45], v[46:47] neg_lo:[0,1] neg_hi:[0,1]
	v_pk_add_f32 v[44:45], v[44:45], v[46:47]
	v_mov_b32_e32 v46, v45
	v_pk_add_f32 v[54:55], v[46:47], v[18:19] neg_lo:[0,1] neg_hi:[0,1]
	v_mov_b32_e32 v9, v54
	v_pk_add_f32 v[56:57], v[50:51], v[8:9] neg_lo:[0,1] neg_hi:[0,1]
	v_mov_b32_e32 v44, v51
	v_mov_b32_e32 v50, v19
	;; [unrolled: 1-line block ×4, first 2 shown]
	v_pk_add_f32 v[44:45], v[44:45], v[50:51] neg_lo:[0,1] neg_hi:[0,1]
	v_mov_b32_e32 v48, v49
	v_mov_b32_e32 v49, v18
	v_pk_add_f32 v[18:19], v[48:49], v[44:45] neg_lo:[0,1] neg_hi:[0,1]
	v_mov_b32_e32 v56, v52
	v_pk_add_f32 v[44:45], v[56:57], v[18:19]
	v_mov_b32_e32 v48, v45
	v_pk_add_f32 v[48:49], v[44:45], v[48:49]
	v_pk_add_f32 v[46:47], v[46:47], v[48:49]
	v_mov_b32_e32 v45, v46
	v_pk_add_f32 v[50:51], v[44:45], v[52:53] neg_lo:[0,1] neg_hi:[0,1]
	v_mov_b32_e32 v19, v48
	v_sub_f32_e32 v9, v44, v50
	v_pk_add_f32 v[18:19], v[18:19], v[50:51] neg_lo:[0,1] neg_hi:[0,1]
	v_sub_f32_e32 v9, v52, v9
	v_add_f32_e32 v9, v18, v9
	v_add_f32_e32 v9, v9, v19
	;; [unrolled: 1-line block ×3, first 2 shown]
	v_mul_f32_e32 v9, 0.5, v9
	v_cmp_lt_f32_e64 s[28:29], |v21|, s68
	v_cndmask_b32_e64 v9, v9, |v21|, s[28:29]
	v_cmp_ngt_f32_e64 vcc, |v21|, 1.0
	v_cndmask_b32_e32 v9, v36, v9, vcc
	v_cmp_neq_f32_e64 vcc, |v21|, 1.0
	v_cndmask_b32_e32 v9, v43, v9, vcc
	v_bfi_b32 v19, s65, v9, v21
	v_mov_b32_e32 v18, v20
.LBB75_116:                             ;   in Loop: Header=BB75_4 Depth=1
	s_or_b64 exec, exec, s[14:15]
	v_cmp_neq_f32_e32 vcc, 0, v16
	v_cmp_nle_f32_e64 s[14:15], |v17|, 1.0
	v_pk_mov_b32 v[20:21], s[20:21], s[20:21] op_sel:[0,1]
	s_or_b64 s[14:15], vcc, s[14:15]
	flat_store_dword v[20:21], v27
	s_waitcnt vmcnt(0)
                                        ; implicit-def: $vgpr21
	s_and_saveexec_b64 s[28:29], s[14:15]
	s_xor_b64 s[28:29], exec, s[28:29]
	s_cbranch_execz .LBB75_166
; %bb.117:                              ;   in Loop: Header=BB75_4 Depth=1
	v_cmp_neq_f32_e32 vcc, 0, v17
                                        ; implicit-def: $vgpr21
	s_and_saveexec_b64 s[14:15], vcc
	s_xor_b64 s[30:31], exec, s[14:15]
	s_cbranch_execz .LBB75_163
; %bb.118:                              ;   in Loop: Header=BB75_4 Depth=1
	v_cmp_o_f32_e32 vcc, v17, v16
                                        ; implicit-def: $vgpr21
	s_and_saveexec_b64 s[14:15], vcc
	s_xor_b64 s[34:35], exec, s[14:15]
	s_cbranch_execz .LBB75_152
; %bb.119:                              ;   in Loop: Header=BB75_4 Depth=1
	v_max_f32_e64 v11, |v16|, |v16|
	s_waitcnt lgkmcnt(0)
	v_max_f32_e64 v9, |v17|, |v17|
	v_max_f32_e32 v9, v9, v11
	v_cmp_nlt_f32_e32 vcc, s54, v9
                                        ; implicit-def: $vgpr21
	s_and_saveexec_b64 s[14:15], vcc
	s_xor_b64 s[36:37], exec, s[14:15]
	s_cbranch_execz .LBB75_137
; %bb.120:                              ;   in Loop: Header=BB75_4 Depth=1
	v_cmp_nlt_f32_e64 s[14:15], |v17|, s55
	v_cmp_nlt_f32_e64 s[38:39], |v16|, s55
	s_or_b64 s[14:15], s[14:15], s[38:39]
                                        ; implicit-def: $vgpr21
	s_and_saveexec_b64 s[38:39], s[14:15]
	s_xor_b64 s[38:39], exec, s[38:39]
	s_cbranch_execz .LBB75_134
; %bb.121:                              ;   in Loop: Header=BB75_4 Depth=1
	v_cmp_neq_f32_e64 s[42:43], |v17|, 1.0
	v_cmp_nlt_f32_e64 s[40:41], |v16|, s56
	s_or_b64 s[14:15], s[42:43], s[40:41]
                                        ; implicit-def: $vgpr9
	s_and_saveexec_b64 s[44:45], s[14:15]
	s_xor_b64 s[14:15], exec, s[44:45]
	s_cbranch_execz .LBB75_123
; %bb.122:                              ;   in Loop: Header=BB75_4 Depth=1
	v_add_f32_e64 v20, |v17|, -1.0
	v_mul_f32_e32 v44, v16, v16
	v_mul_f32_e32 v21, v20, v20
	v_fmac_f32_e32 v44, v20, v20
	v_cmp_lt_f32_e64 vcc, |v16|, s57
	v_mul_f32_e64 v9, |v17|, 4.0
	v_cndmask_b32_e32 v20, v44, v21, vcc
	v_div_scale_f32 v21, s[44:45], v20, v20, v9
	v_rcp_f32_e32 v44, v21
	v_fma_f32 v45, -v21, v44, 1.0
	v_fmac_f32_e32 v44, v45, v44
	v_div_scale_f32 v45, vcc, v9, v20, v9
	v_mul_f32_e32 v46, v45, v44
	v_fma_f32 v47, -v21, v46, v45
	v_fmac_f32_e32 v46, v47, v44
	v_fma_f32 v21, -v21, v46, v45
	v_div_fmas_f32 v21, v21, v44, v46
	v_div_fixup_f32 v20, v21, v20, v9
	v_add_f32_e32 v45, 1.0, v20
	v_add_f32_e32 v21, -1.0, v45
	v_mov_b32_e32 v44, v21
	v_pk_add_f32 v[46:47], v[20:21], v[44:45] neg_lo:[0,1] neg_hi:[0,1]
	v_add_f32_e32 v9, 1.0, v47
	v_add_f32_e32 v9, v46, v9
	v_frexp_mant_f32_e32 v21, v45
	v_cvt_f64_f32_e32 v[46:47], v45
	v_frexp_exp_i32_f64_e32 v44, v[46:47]
	v_cmp_gt_f32_e32 vcc, s58, v21
	v_subbrev_co_u32_e32 v21, vcc, 0, v44, vcc
	v_sub_u32_e32 v44, 0, v21
	v_ldexp_f32 v45, v45, v44
	v_ldexp_f32 v9, v9, v44
	v_add_f32_e32 v44, -1.0, v45
	v_add_f32_e32 v47, 1.0, v45
	v_add_f32_e32 v46, 1.0, v44
	v_add_f32_e32 v48, -1.0, v47
	v_sub_f32_e32 v46, v45, v46
	v_sub_f32_e32 v45, v45, v48
	v_add_f32_e32 v46, v9, v46
	v_add_f32_e32 v9, v9, v45
	;; [unrolled: 1-line block ×3, first 2 shown]
	v_rcp_f32_e32 v53, v52
	v_sub_f32_e32 v45, v52, v47
	v_sub_f32_e32 v9, v9, v45
	v_add_f32_e32 v45, v44, v46
	v_sub_f32_e32 v44, v45, v44
	v_mul_f32_e32 v55, v45, v53
	v_sub_f32_e32 v54, v46, v44
	v_mul_f32_e32 v46, v52, v55
	v_fma_f32 v48, v55, v52, -v46
	v_fmac_f32_e32 v48, v55, v9
	v_add_f32_e32 v44, v46, v48
	v_sub_f32_e32 v47, v45, v44
	v_pk_add_f32 v[50:51], v[44:45], v[46:47] neg_lo:[0,1] neg_hi:[0,1]
	v_mov_b32_e32 v49, v44
	v_pk_add_f32 v[44:45], v[50:51], v[48:49] neg_lo:[0,1] neg_hi:[0,1]
	v_add_f32_e32 v45, v54, v45
	v_add_f32_e32 v44, v44, v45
	;; [unrolled: 1-line block ×3, first 2 shown]
	v_mul_f32_e32 v54, v53, v45
	v_mul_f32_e32 v46, v52, v54
	v_fma_f32 v48, v54, v52, -v46
	v_fmac_f32_e32 v48, v54, v9
	v_sub_f32_e32 v9, v47, v45
	v_add_f32_e32 v9, v44, v9
	v_add_f32_e32 v44, v46, v48
	v_sub_f32_e32 v47, v45, v44
	v_pk_add_f32 v[50:51], v[44:45], v[46:47] neg_lo:[0,1] neg_hi:[0,1]
	v_mov_b32_e32 v49, v44
	v_pk_add_f32 v[44:45], v[50:51], v[48:49] neg_lo:[0,1] neg_hi:[0,1]
	v_add_f32_e32 v9, v9, v45
	v_add_f32_e32 v9, v44, v9
	;; [unrolled: 1-line block ×4, first 2 shown]
	v_sub_f32_e32 v44, v45, v55
	v_mul_f32_e32 v9, v53, v9
	v_sub_f32_e32 v44, v54, v44
	v_add_f32_e32 v46, v44, v9
	v_add_f32_e32 v48, v45, v46
	v_cvt_f32_i32_e32 v44, v21
	v_mul_f32_e32 v49, v48, v48
	v_mov_b32_e32 v9, 0x3ecc95a3
	v_fmac_f32_e32 v9, 0x3e9b6dac, v49
	v_fma_f32 v9, v49, v9, v28
	v_sub_f32_e32 v21, v48, v45
	v_mul_f32_e32 v45, v48, v49
	v_ldexp_f32 v47, v48, 1
	v_pk_mul_f32 v[48:49], v[44:45], v[8:9]
	v_sub_f32_e32 v21, v46, v21
	v_fma_f32 v46, v44, s59, -v48
	v_fmac_f32_e32 v46, 0xb102e308, v44
	v_pk_add_f32 v[44:45], v[48:49], v[46:47]
	v_sub_f32_e32 v9, v45, v47
	v_ldexp_f32 v21, v21, 1
	v_sub_f32_e32 v9, v49, v9
	v_add_f32_e32 v51, v21, v9
	v_mov_b32_e32 v50, v48
	v_pk_add_f32 v[48:49], v[44:45], v[48:49] neg_lo:[0,1] neg_hi:[0,1]
	v_pk_add_f32 v[52:53], v[44:45], v[50:51]
	v_mov_b32_e32 v49, v53
	v_mov_b32_e32 v47, v44
	v_pk_add_f32 v[54:55], v[46:47], v[48:49] neg_lo:[0,1] neg_hi:[0,1]
	v_pk_add_f32 v[46:47], v[46:47], v[48:49]
	v_mov_b32_e32 v48, v47
	v_pk_add_f32 v[56:57], v[48:49], v[44:45] neg_lo:[0,1] neg_hi:[0,1]
	v_mov_b32_e32 v9, v56
	v_pk_add_f32 v[58:59], v[52:53], v[8:9] neg_lo:[0,1] neg_hi:[0,1]
	v_mov_b32_e32 v46, v53
	v_mov_b32_e32 v52, v45
	;; [unrolled: 1-line block ×4, first 2 shown]
	v_pk_add_f32 v[46:47], v[46:47], v[52:53] neg_lo:[0,1] neg_hi:[0,1]
	v_mov_b32_e32 v50, v51
	v_mov_b32_e32 v51, v44
	v_pk_add_f32 v[44:45], v[50:51], v[46:47] neg_lo:[0,1] neg_hi:[0,1]
	v_mov_b32_e32 v58, v54
	v_pk_add_f32 v[46:47], v[58:59], v[44:45]
	v_mov_b32_e32 v50, v47
	v_pk_add_f32 v[50:51], v[46:47], v[50:51]
	v_pk_add_f32 v[48:49], v[48:49], v[50:51]
	v_mov_b32_e32 v47, v48
	v_pk_add_f32 v[52:53], v[46:47], v[54:55] neg_lo:[0,1] neg_hi:[0,1]
	v_mov_b32_e32 v45, v50
	v_sub_f32_e32 v9, v46, v52
	v_pk_add_f32 v[44:45], v[44:45], v[52:53] neg_lo:[0,1] neg_hi:[0,1]
	v_sub_f32_e32 v9, v54, v9
	v_add_f32_e32 v9, v44, v9
	v_add_f32_e32 v9, v9, v45
	;; [unrolled: 1-line block ×3, first 2 shown]
	v_cmp_eq_f32_e32 vcc, s60, v20
	v_cndmask_b32_e32 v9, v9, v20, vcc
	v_cmp_ngt_f32_e32 vcc, -1.0, v20
	v_cndmask_b32_e32 v9, v36, v9, vcc
	v_cmp_neq_f32_e32 vcc, -1.0, v20
	v_cndmask_b32_e32 v9, v37, v9, vcc
	v_cmp_lt_f32_e64 vcc, |v20|, s61
	v_cndmask_b32_e32 v9, v9, v20, vcc
	v_mul_f32_e32 v9, 0x3e800000, v9
	s_andn2_saveexec_b64 s[44:45], s[14:15]
	s_cbranch_execz .LBB75_125
	s_branch .LBB75_124
.LBB75_123:                             ;   in Loop: Header=BB75_4 Depth=1
	s_andn2_saveexec_b64 s[44:45], s[14:15]
	s_cbranch_execz .LBB75_125
.LBB75_124:                             ;   in Loop: Header=BB75_4 Depth=1
	v_cmp_lt_f32_e64 vcc, |v16|, s62
	v_cndmask_b32_e32 v9, 1.0, v38, vcc
	v_mul_f32_e64 v9, |v16|, v9
	v_log_f32_e32 v9, v9
	v_mul_f32_e32 v20, 0x3f317217, v9
	v_fma_f32 v21, v9, s63, -v20
	v_fmac_f32_e32 v21, 0x3377d1cf, v9
	v_add_f32_e32 v20, v20, v21
	v_cmp_lt_f32_e64 s[14:15], |v9|, s60
	v_cndmask_b32_e64 v9, v9, v20, s[14:15]
	v_cndmask_b32_e32 v20, 0, v39, vcc
	v_sub_f32_e32 v9, v9, v20
	v_sub_f32_e32 v9, 0x3f317218, v9
	v_mul_f32_e32 v9, 0.5, v9
.LBB75_125:                             ;   in Loop: Header=BB75_4 Depth=1
	s_or_b64 exec, exec, s[44:45]
                                        ; implicit-def: $vgpr21
	s_and_saveexec_b64 s[14:15], s[42:43]
	s_xor_b64 s[42:43], exec, s[14:15]
	s_cbranch_execz .LBB75_131
; %bb.126:                              ;   in Loop: Header=BB75_4 Depth=1
	v_sub_f32_e64 v20, 1.0, |v17|
	v_add_f32_e64 v21, |v17|, 1.0
	v_add_f32_e64 v11, |v16|, |v16|
	v_mul_f32_e32 v20, v20, v21
                                        ; implicit-def: $vgpr21
	s_and_saveexec_b64 s[14:15], s[40:41]
	s_xor_b64 s[40:41], exec, s[14:15]
	s_cbranch_execz .LBB75_128
; %bb.127:                              ;   in Loop: Header=BB75_4 Depth=1
	v_fma_f32 v20, -v16, v16, v20
	v_max_f32_e64 v21, |v11|, |v11|
	v_min_f32_e64 v44, |v20|, v21
	v_max_f32_e64 v21, |v20|, v21
	v_frexp_mant_f32_e32 v45, v21
	v_rcp_f32_e32 v45, v45
	v_frexp_exp_i32_f32_e32 v21, v21
	v_frexp_exp_i32_f32_e32 v46, v44
	v_frexp_mant_f32_e32 v44, v44
	v_mul_f32_e32 v44, v44, v45
	v_sub_u32_e32 v21, v46, v21
	v_ldexp_f32 v21, v44, v21
	v_mul_f32_e32 v44, v21, v21
	v_mov_b32_e32 v45, 0xbc7a590c
	v_fmac_f32_e32 v45, 0x3b2d2a58, v44
	v_fma_f32 v45, v44, v45, v29
	v_fma_f32 v45, v44, v45, v30
	v_fma_f32 v45, v44, v45, v31
	v_fma_f32 v45, v44, v45, v32
	v_fma_f32 v45, v44, v45, v33
	v_fma_f32 v45, v44, v45, v34
	v_mul_f32_e32 v44, v44, v45
	v_fmac_f32_e32 v21, v21, v44
	v_sub_f32_e32 v44, 0x3fc90fdb, v21
	v_cmp_gt_f32_e64 vcc, |v11|, |v20|
	v_cndmask_b32_e32 v21, v21, v44, vcc
	v_sub_f32_e32 v44, 0x40490fdb, v21
	v_cmp_gt_f32_e32 vcc, 0, v20
	v_cmp_gt_i32_e64 s[14:15], 0, v20
	v_cndmask_b32_e32 v21, v21, v44, vcc
	v_cndmask_b32_e64 v44, 0, v40, s[14:15]
	v_cmp_eq_f32_e64 s[14:15], 0, v11
	v_cndmask_b32_e64 v21, v21, v44, s[14:15]
	v_cmp_class_f32_e64 s[14:15], v20, s64
	v_cmp_class_f32_e64 s[44:45], v11, s64
	v_cndmask_b32_e32 v44, v41, v42, vcc
	s_and_b64 vcc, s[44:45], s[14:15]
	v_cndmask_b32_e32 v21, v21, v44, vcc
	v_cmp_o_f32_e32 vcc, v20, v11
	v_cndmask_b32_e32 v20, v36, v21, vcc
	v_bfi_b32 v21, s65, v20, v11
                                        ; implicit-def: $vgpr11
                                        ; implicit-def: $vgpr20
.LBB75_128:                             ;   in Loop: Header=BB75_4 Depth=1
	s_andn2_saveexec_b64 s[40:41], s[40:41]
	s_cbranch_execz .LBB75_130
; %bb.129:                              ;   in Loop: Header=BB75_4 Depth=1
	v_max_f32_e32 v21, v11, v11
	v_max_f32_e64 v44, |v20|, |v20|
	v_min_f32_e32 v45, v44, v21
	v_max_f32_e32 v21, v44, v21
	v_frexp_mant_f32_e32 v44, v21
	v_rcp_f32_e32 v44, v44
	v_frexp_exp_i32_f32_e32 v21, v21
	v_frexp_exp_i32_f32_e32 v46, v45
	v_frexp_mant_f32_e32 v45, v45
	v_mul_f32_e32 v44, v45, v44
	v_sub_u32_e32 v21, v46, v21
	v_ldexp_f32 v21, v44, v21
	v_mul_f32_e32 v44, v21, v21
	v_mov_b32_e32 v45, 0xbc7a590c
	v_fmac_f32_e32 v45, 0x3b2d2a58, v44
	v_fma_f32 v45, v44, v45, v29
	v_fma_f32 v45, v44, v45, v30
	;; [unrolled: 1-line block ×6, first 2 shown]
	v_mul_f32_e32 v44, v44, v45
	v_fmac_f32_e32 v21, v21, v44
	v_sub_f32_e32 v44, 0x3fc90fdb, v21
	v_cmp_gt_f32_e64 vcc, v11, |v20|
	v_cndmask_b32_e32 v21, v21, v44, vcc
	v_sub_f32_e32 v44, 0x40490fdb, v21
	v_cmp_gt_f32_e32 vcc, 0, v20
	v_cmp_gt_i32_e64 s[14:15], 0, v20
	v_cndmask_b32_e32 v21, v21, v44, vcc
	v_cndmask_b32_e64 v44, 0, v40, s[14:15]
	v_cmp_eq_f32_e64 s[14:15], 0, v11
	v_cndmask_b32_e64 v21, v21, v44, s[14:15]
	v_cndmask_b32_e32 v44, v41, v42, vcc
	v_cmp_class_f32_e64 s[14:15], v20, s64
	v_cmp_eq_f32_e32 vcc, s60, v11
	s_and_b64 vcc, vcc, s[14:15]
	v_cndmask_b32_e32 v11, v21, v44, vcc
	v_cmp_o_f32_e32 vcc, v20, v20
	v_cndmask_b32_e64 v21, v36, |v11|, vcc
.LBB75_130:                             ;   in Loop: Header=BB75_4 Depth=1
	s_or_b64 exec, exec, s[40:41]
                                        ; implicit-def: $vgpr11
	s_andn2_saveexec_b64 s[14:15], s[42:43]
	s_cbranch_execnz .LBB75_132
	s_branch .LBB75_133
.LBB75_131:                             ;   in Loop: Header=BB75_4 Depth=1
	s_andn2_saveexec_b64 s[14:15], s[42:43]
	s_cbranch_execz .LBB75_133
.LBB75_132:                             ;   in Loop: Header=BB75_4 Depth=1
	v_min_f32_e32 v20, 2.0, v11
	v_max_f32_e32 v11, 2.0, v11
	v_frexp_mant_f32_e32 v21, v11
	v_rcp_f32_e32 v21, v21
	v_frexp_exp_i32_f32_e32 v11, v11
	v_frexp_exp_i32_f32_e32 v44, v20
	v_frexp_mant_f32_e32 v20, v20
	v_mul_f32_e32 v20, v20, v21
	v_sub_u32_e32 v11, v44, v11
	v_ldexp_f32 v11, v20, v11
	v_mul_f32_e32 v20, v11, v11
	v_mov_b32_e32 v21, 0xbc7a590c
	v_fmac_f32_e32 v21, 0x3b2d2a58, v20
	v_fma_f32 v21, v20, v21, v29
	v_fma_f32 v21, v20, v21, v30
	;; [unrolled: 1-line block ×6, first 2 shown]
	v_mul_f32_e32 v20, v20, v21
	v_fmac_f32_e32 v11, v11, v20
	v_sub_f32_e32 v20, 0x3fc90fdb, v11
	v_cmp_lt_f32_e64 vcc, |v16|, 2.0
	v_cndmask_b32_e32 v11, v11, v20, vcc
	v_sub_f32_e32 v20, 0x40490fdb, v11
	v_cmp_lg_f32_e32 vcc, 0, v16
	v_cndmask_b32_e32 v11, v11, v20, vcc
	v_and_b32_e32 v21, 0x7fffffff, v11
.LBB75_133:                             ;   in Loop: Header=BB75_4 Depth=1
	s_or_b64 exec, exec, s[14:15]
	v_mul_f32_e32 v11, 0.5, v21
	v_bfi_b32 v21, s65, v9, v17
	v_bfi_b32 v20, s65, v11, v16
                                        ; implicit-def: $vgpr17
.LBB75_134:                             ;   in Loop: Header=BB75_4 Depth=1
	s_andn2_saveexec_b64 s[14:15], s[38:39]
	s_cbranch_execz .LBB75_136
; %bb.135:                              ;   in Loop: Header=BB75_4 Depth=1
	v_pk_mov_b32 v[20:21], s[22:23], s[22:23] op_sel:[0,1]
	flat_store_dword v[20:21], v35
	s_waitcnt vmcnt(0)
	flat_load_dword v9, v[20:21] glc
	s_waitcnt vmcnt(0)
	v_pk_mov_b32 v[20:21], s[24:25], s[24:25] op_sel:[0,1]
	s_waitcnt lgkmcnt(0)
	v_add_f32_e32 v9, 1.0, v9
	flat_store_dword v[20:21], v9
	s_waitcnt vmcnt(0)
	flat_load_dword v9, v[20:21] glc
	s_waitcnt vmcnt(0)
	v_mov_b32_e32 v21, v17
	v_mov_b32_e32 v20, v16
.LBB75_136:                             ;   in Loop: Header=BB75_4 Depth=1
	s_or_b64 exec, exec, s[14:15]
                                        ; implicit-def: $vgpr16
.LBB75_137:                             ;   in Loop: Header=BB75_4 Depth=1
	s_andn2_saveexec_b64 s[14:15], s[36:37]
	s_cbranch_execz .LBB75_151
; %bb.138:                              ;   in Loop: Header=BB75_4 Depth=1
	v_and_b32_e32 v11, 0x7f800000, v16
	s_waitcnt lgkmcnt(0)
	v_and_b32_e32 v9, 0x7f800000, v17
	v_sub_u32_e32 v20, v9, v11
	v_cmp_gt_i32_e32 vcc, s66, v20
	v_cmp_neq_f32_e64 s[36:37], |v17|, s60
	s_and_b64 s[36:37], s[36:37], vcc
                                        ; implicit-def: $vgpr21
	s_and_saveexec_b64 s[38:39], s[36:37]
	s_xor_b64 s[36:37], exec, s[38:39]
	s_cbranch_execz .LBB75_148
; %bb.139:                              ;   in Loop: Header=BB75_4 Depth=1
	v_sub_u32_e32 v11, v11, v9
	v_cmp_gt_i32_e32 vcc, s66, v11
                                        ; implicit-def: $vgpr21
	s_and_saveexec_b64 s[38:39], vcc
	s_xor_b64 s[38:39], exec, s[38:39]
	s_cbranch_execz .LBB75_145
; %bb.140:                              ;   in Loop: Header=BB75_4 Depth=1
	v_cmp_lt_u32_e32 vcc, s67, v9
                                        ; implicit-def: $vgpr21
	s_and_saveexec_b64 s[40:41], vcc
	s_xor_b64 s[40:41], exec, s[40:41]
	s_cbranch_execz .LBB75_142
; %bb.141:                              ;   in Loop: Header=BB75_4 Depth=1
	v_sub_u32_e32 v9, 0x7f800000, v9
	v_mul_f32_e32 v11, v17, v9
	v_mul_f32_e32 v17, v16, v9
	;; [unrolled: 1-line block ×3, first 2 shown]
	v_fmac_f32_e32 v17, v11, v11
	v_div_scale_f32 v20, s[42:43], v17, v17, v11
	v_rcp_f32_e32 v21, v20
	v_fma_f32 v44, -v20, v21, 1.0
	v_fmac_f32_e32 v21, v44, v21
	v_div_scale_f32 v44, vcc, v11, v17, v11
	v_mul_f32_e32 v45, v44, v21
	v_fma_f32 v46, -v20, v45, v44
	v_fmac_f32_e32 v45, v46, v21
	v_fma_f32 v20, -v20, v45, v44
	v_div_fmas_f32 v20, v20, v21, v45
	v_div_fixup_f32 v11, v20, v17, v11
	v_mul_f32_e32 v21, v11, v9
.LBB75_142:                             ;   in Loop: Header=BB75_4 Depth=1
	s_andn2_saveexec_b64 s[40:41], s[40:41]
	s_cbranch_execz .LBB75_144
; %bb.143:                              ;   in Loop: Header=BB75_4 Depth=1
	v_pk_mul_f32 v[20:21], v[16:17], v[16:17]
	v_add_f32_e32 v9, v21, v20
	v_div_scale_f32 v11, s[42:43], v9, v9, v17
	v_rcp_f32_e32 v20, v11
	v_div_scale_f32 v21, vcc, v17, v9, v17
	v_fma_f32 v44, -v11, v20, 1.0
	v_fmac_f32_e32 v20, v44, v20
	v_mul_f32_e32 v44, v21, v20
	v_fma_f32 v45, -v11, v44, v21
	v_fmac_f32_e32 v44, v45, v20
	v_fma_f32 v11, -v11, v44, v21
	v_div_fmas_f32 v11, v11, v20, v44
	v_div_fixup_f32 v21, v11, v9, v17
.LBB75_144:                             ;   in Loop: Header=BB75_4 Depth=1
	s_or_b64 exec, exec, s[40:41]
.LBB75_145:                             ;   in Loop: Header=BB75_4 Depth=1
	s_andn2_saveexec_b64 s[38:39], s[38:39]
	s_cbranch_execz .LBB75_147
; %bb.146:                              ;   in Loop: Header=BB75_4 Depth=1
	v_div_scale_f32 v9, s[40:41], v16, v16, v17
	v_rcp_f32_e32 v11, v9
	v_div_scale_f32 v20, vcc, v17, v16, v17
	v_fma_f32 v21, -v9, v11, 1.0
	v_fmac_f32_e32 v11, v21, v11
	v_mul_f32_e32 v21, v20, v11
	v_fma_f32 v44, -v9, v21, v20
	v_fmac_f32_e32 v21, v44, v11
	v_fma_f32 v9, -v9, v21, v20
	v_div_fmas_f32 v9, v9, v11, v21
	v_div_fixup_f32 v9, v9, v16, v17
	v_div_scale_f32 v11, s[40:41], v16, v16, v9
	v_rcp_f32_e32 v17, v11
	v_fma_f32 v20, -v11, v17, 1.0
	v_fmac_f32_e32 v17, v20, v17
	v_div_scale_f32 v20, vcc, v9, v16, v9
	v_mul_f32_e32 v21, v20, v17
	v_fma_f32 v44, -v11, v21, v20
	v_fmac_f32_e32 v21, v44, v17
	v_fma_f32 v11, -v11, v21, v20
	v_div_fmas_f32 v11, v11, v17, v21
	v_div_fixup_f32 v21, v11, v16, v9
.LBB75_147:                             ;   in Loop: Header=BB75_4 Depth=1
	s_or_b64 exec, exec, s[38:39]
.LBB75_148:                             ;   in Loop: Header=BB75_4 Depth=1
	s_andn2_saveexec_b64 s[36:37], s[36:37]
; %bb.149:                              ;   in Loop: Header=BB75_4 Depth=1
	v_div_scale_f32 v9, s[38:39], v17, v17, 1.0
	v_rcp_f32_e32 v11, v9
	v_div_scale_f32 v20, vcc, 1.0, v17, 1.0
	v_fma_f32 v21, -v9, v11, 1.0
	v_fmac_f32_e32 v11, v21, v11
	v_mul_f32_e32 v21, v20, v11
	v_fma_f32 v44, -v9, v21, v20
	v_fmac_f32_e32 v21, v44, v11
	v_fma_f32 v9, -v9, v21, v20
	v_div_fmas_f32 v9, v9, v11, v21
	v_div_fixup_f32 v21, v9, v17, 1.0
; %bb.150:                              ;   in Loop: Header=BB75_4 Depth=1
	s_or_b64 exec, exec, s[36:37]
	v_pk_mov_b32 v[44:45], s[20:21], s[20:21] op_sel:[0,1]
	flat_load_dword v9, v[44:45] glc
	s_waitcnt vmcnt(0) lgkmcnt(0)
	v_add_f32_e32 v9, 0x3fc90fdb, v9
	v_bfi_b32 v20, s65, v9, v16
.LBB75_151:                             ;   in Loop: Header=BB75_4 Depth=1
	s_or_b64 exec, exec, s[14:15]
                                        ; implicit-def: $vgpr17
.LBB75_152:                             ;   in Loop: Header=BB75_4 Depth=1
	s_andn2_saveexec_b64 s[14:15], s[34:35]
	s_cbranch_execz .LBB75_162
; %bb.153:                              ;   in Loop: Header=BB75_4 Depth=1
	v_cmp_neq_f32_e64 s[34:35], |v17|, s60
                                        ; implicit-def: $vgpr21
	s_and_saveexec_b64 s[36:37], s[34:35]
	s_xor_b64 s[34:35], exec, s[36:37]
	s_cbranch_execz .LBB75_159
; %bb.154:                              ;   in Loop: Header=BB75_4 Depth=1
	v_cmp_neq_f32_e64 s[36:37], |v16|, s60
                                        ; implicit-def: $vgpr21
	s_and_saveexec_b64 s[38:39], s[36:37]
	s_xor_b64 s[36:37], exec, s[38:39]
	s_cbranch_execz .LBB75_156
; %bb.155:                              ;   in Loop: Header=BB75_4 Depth=1
	s_waitcnt lgkmcnt(0)
	v_add_f32_e32 v9, 0, v16
	v_add_f32_e32 v21, v17, v9
                                        ; implicit-def: $vgpr16_vgpr17
.LBB75_156:                             ;   in Loop: Header=BB75_4 Depth=1
	s_or_saveexec_b64 s[36:37], s[36:37]
	v_mov_b32_e32 v20, v21
	s_xor_b64 exec, exec, s[36:37]
	s_cbranch_execz .LBB75_158
; %bb.157:                              ;   in Loop: Header=BB75_4 Depth=1
	v_pk_mov_b32 v[20:21], s[20:21], s[20:21] op_sel:[0,1]
	s_waitcnt lgkmcnt(0)
	flat_load_dword v9, v[20:21] glc
	s_waitcnt vmcnt(0)
	v_bfi_b32 v21, s65, 0, v17
	s_waitcnt lgkmcnt(0)
	v_add_f32_e32 v9, 0x3fc90fdb, v9
	v_bfi_b32 v20, s65, v9, v16
.LBB75_158:                             ;   in Loop: Header=BB75_4 Depth=1
	s_or_b64 exec, exec, s[36:37]
                                        ; implicit-def: $vgpr17
.LBB75_159:                             ;   in Loop: Header=BB75_4 Depth=1
	s_andn2_saveexec_b64 s[34:35], s[34:35]
; %bb.160:                              ;   in Loop: Header=BB75_4 Depth=1
	v_bfi_b32 v21, s65, 0, v17
	v_add_f32_e32 v20, v16, v16
; %bb.161:                              ;   in Loop: Header=BB75_4 Depth=1
	s_or_b64 exec, exec, s[34:35]
.LBB75_162:                             ;   in Loop: Header=BB75_4 Depth=1
	s_or_b64 exec, exec, s[14:15]
                                        ; implicit-def: $vgpr16
.LBB75_163:                             ;   in Loop: Header=BB75_4 Depth=1
	s_andn2_saveexec_b64 s[14:15], s[30:31]
	s_cbranch_execz .LBB75_165
; %bb.164:                              ;   in Loop: Header=BB75_4 Depth=1
	s_waitcnt lgkmcnt(0)
	v_rcp_f32_e64 v9, |v16|
	v_cmp_gt_f32_e64 vcc, |v16|, 1.0
	v_mov_b32_e32 v11, 0xbc7a590c
	v_mov_b32_e32 v21, v17
	v_cndmask_b32_e64 v9, |v16|, v9, vcc
	v_mul_f32_e32 v20, v9, v9
	v_fmac_f32_e32 v11, 0x3b2d2a58, v20
	v_fma_f32 v11, v20, v11, v29
	v_fma_f32 v11, v20, v11, v30
	;; [unrolled: 1-line block ×6, first 2 shown]
	v_mul_f32_e32 v11, v20, v11
	v_fmac_f32_e32 v9, v9, v11
	v_sub_f32_e32 v11, 0x3fc90fdb, v9
	v_cndmask_b32_e32 v9, v9, v11, vcc
	v_bfi_b32 v20, s65, v9, v16
.LBB75_165:                             ;   in Loop: Header=BB75_4 Depth=1
	s_or_b64 exec, exec, s[14:15]
                                        ; implicit-def: $vgpr17
.LBB75_166:                             ;   in Loop: Header=BB75_4 Depth=1
	s_andn2_saveexec_b64 s[14:15], s[28:29]
	s_cbranch_execz .LBB75_168
; %bb.167:                              ;   in Loop: Header=BB75_4 Depth=1
	s_waitcnt lgkmcnt(0)
	v_sub_f32_e64 v9, 1.0, |v17|
	v_rcp_f32_e32 v48, v9
	v_add_f32_e64 v44, |v17|, 1.0
	v_sub_f32_e32 v11, 1.0, v9
	v_sub_f32_e64 v21, v11, |v17|
	v_mul_f32_e32 v49, v44, v48
	v_mul_f32_e32 v45, v9, v49
	v_fma_f32 v11, v49, v9, -v45
	v_fmac_f32_e32 v11, v49, v21
	v_pk_add_f32 v[46:47], v[44:45], v[10:11]
	v_sub_f32_e32 v9, v47, v45
	v_sub_f32_e32 v45, v44, v47
	v_and_b32_e32 v20, 0x7fffffff, v17
	v_sub_f32_e32 v21, v44, v45
	v_pk_add_f32 v[20:21], v[20:21], v[46:47] neg_lo:[0,1] neg_hi:[0,1]
	v_sub_f32_e32 v9, v9, v11
	v_add_f32_e32 v9, v9, v21
	v_add_f32_e32 v9, v20, v9
	;; [unrolled: 1-line block ×3, first 2 shown]
	v_mul_f32_e32 v9, v48, v9
	v_add_f32_e32 v11, v49, v9
	v_sub_f32_e32 v20, v11, v49
	v_sub_f32_e32 v9, v9, v20
	v_frexp_mant_f32_e32 v44, v11
	v_cvt_f64_f32_e32 v[20:21], v11
	v_frexp_exp_i32_f64_e32 v20, v[20:21]
	v_cmp_gt_f32_e32 vcc, s58, v44
	v_subbrev_co_u32_e32 v50, vcc, 0, v20, vcc
	v_sub_u32_e32 v20, 0, v50
	v_ldexp_f32 v11, v11, v20
	v_ldexp_f32 v9, v9, v20
	v_add_f32_e32 v20, -1.0, v11
	v_add_f32_e32 v21, 1.0, v20
	v_sub_f32_e32 v21, v11, v21
	v_add_f32_e32 v44, v9, v21
	v_add_f32_e32 v21, 1.0, v11
	v_add_f32_e32 v45, -1.0, v21
	v_sub_f32_e32 v11, v11, v45
	v_add_f32_e32 v9, v9, v11
	v_add_f32_e32 v11, v21, v9
	v_rcp_f32_e32 v51, v11
	v_sub_f32_e32 v21, v11, v21
	v_sub_f32_e32 v9, v9, v21
	v_add_f32_e32 v21, v20, v44
	v_sub_f32_e32 v20, v21, v20
	v_mul_f32_e32 v53, v21, v51
	v_sub_f32_e32 v52, v44, v20
	v_mul_f32_e32 v44, v11, v53
	v_fma_f32 v46, v53, v11, -v44
	v_fmac_f32_e32 v46, v53, v9
	v_add_f32_e32 v20, v44, v46
	v_sub_f32_e32 v45, v21, v20
	v_pk_add_f32 v[48:49], v[20:21], v[44:45] neg_lo:[0,1] neg_hi:[0,1]
	v_mov_b32_e32 v47, v20
	v_pk_add_f32 v[20:21], v[48:49], v[46:47] neg_lo:[0,1] neg_hi:[0,1]
	v_add_f32_e32 v21, v52, v21
	v_add_f32_e32 v20, v20, v21
	;; [unrolled: 1-line block ×3, first 2 shown]
	v_mul_f32_e32 v52, v51, v21
	v_mul_f32_e32 v44, v11, v52
	v_fma_f32 v46, v52, v11, -v44
	v_fmac_f32_e32 v46, v52, v9
	v_sub_f32_e32 v9, v45, v21
	v_add_f32_e32 v9, v20, v9
	v_add_f32_e32 v20, v44, v46
	v_sub_f32_e32 v45, v21, v20
	v_pk_add_f32 v[48:49], v[20:21], v[44:45] neg_lo:[0,1] neg_hi:[0,1]
	v_mov_b32_e32 v47, v20
	v_pk_add_f32 v[20:21], v[48:49], v[46:47] neg_lo:[0,1] neg_hi:[0,1]
	v_add_f32_e32 v9, v9, v21
	v_add_f32_e32 v9, v20, v9
	v_add_f32_e32 v11, v53, v52
	v_add_f32_e32 v9, v45, v9
	v_sub_f32_e32 v20, v11, v53
	v_mul_f32_e32 v9, v51, v9
	v_sub_f32_e32 v20, v52, v20
	v_add_f32_e32 v21, v20, v9
	v_add_f32_e32 v44, v11, v21
	v_cvt_f32_i32_e32 v20, v50
	v_mul_f32_e32 v46, v44, v44
	v_mov_b32_e32 v9, 0x3ecc95a3
	v_fmac_f32_e32 v9, 0x3e9b6dac, v46
	v_sub_f32_e32 v11, v44, v11
	v_fma_f32 v9, v46, v9, v28
	v_sub_f32_e32 v11, v21, v11
	v_mul_f32_e32 v21, v44, v46
	v_pk_mul_f32 v[46:47], v[20:21], v[8:9]
	v_ldexp_f32 v45, v44, 1
	v_fma_f32 v44, v20, s59, -v46
	v_fmac_f32_e32 v44, 0xb102e308, v20
	v_pk_add_f32 v[20:21], v[46:47], v[44:45]
	v_sub_f32_e32 v9, v21, v45
	v_ldexp_f32 v11, v11, 1
	v_sub_f32_e32 v9, v47, v9
	v_add_f32_e32 v49, v11, v9
	v_mov_b32_e32 v48, v46
	v_pk_add_f32 v[46:47], v[20:21], v[46:47] neg_lo:[0,1] neg_hi:[0,1]
	v_pk_add_f32 v[50:51], v[20:21], v[48:49]
	v_mov_b32_e32 v47, v51
	v_mov_b32_e32 v45, v20
	v_pk_add_f32 v[52:53], v[44:45], v[46:47] neg_lo:[0,1] neg_hi:[0,1]
	v_pk_add_f32 v[44:45], v[44:45], v[46:47]
	v_mov_b32_e32 v46, v45
	v_pk_add_f32 v[54:55], v[46:47], v[20:21] neg_lo:[0,1] neg_hi:[0,1]
	v_mov_b32_e32 v9, v54
	v_pk_add_f32 v[56:57], v[50:51], v[8:9] neg_lo:[0,1] neg_hi:[0,1]
	v_mov_b32_e32 v44, v51
	v_mov_b32_e32 v50, v21
	;; [unrolled: 1-line block ×4, first 2 shown]
	v_pk_add_f32 v[44:45], v[44:45], v[50:51] neg_lo:[0,1] neg_hi:[0,1]
	v_mov_b32_e32 v48, v49
	v_mov_b32_e32 v49, v20
	v_pk_add_f32 v[20:21], v[48:49], v[44:45] neg_lo:[0,1] neg_hi:[0,1]
	v_mov_b32_e32 v56, v52
	v_pk_add_f32 v[44:45], v[56:57], v[20:21]
	v_mov_b32_e32 v48, v45
	v_pk_add_f32 v[48:49], v[44:45], v[48:49]
	v_pk_add_f32 v[46:47], v[46:47], v[48:49]
	v_mov_b32_e32 v45, v46
	v_pk_add_f32 v[50:51], v[44:45], v[52:53] neg_lo:[0,1] neg_hi:[0,1]
	v_mov_b32_e32 v21, v48
	v_sub_f32_e32 v9, v44, v50
	v_pk_add_f32 v[20:21], v[20:21], v[50:51] neg_lo:[0,1] neg_hi:[0,1]
	v_sub_f32_e32 v9, v52, v9
	v_add_f32_e32 v9, v20, v9
	v_add_f32_e32 v9, v9, v21
	;; [unrolled: 1-line block ×3, first 2 shown]
	v_mul_f32_e32 v9, 0.5, v9
	v_cmp_lt_f32_e64 s[28:29], |v17|, s68
	v_cndmask_b32_e64 v9, v9, |v17|, s[28:29]
	v_cmp_ngt_f32_e64 vcc, |v17|, 1.0
	v_cndmask_b32_e32 v9, v36, v9, vcc
	v_cmp_neq_f32_e64 vcc, |v17|, 1.0
	v_cndmask_b32_e32 v9, v43, v9, vcc
	v_bfi_b32 v21, s65, v9, v17
	v_mov_b32_e32 v20, v16
.LBB75_168:                             ;   in Loop: Header=BB75_4 Depth=1
	s_or_b64 exec, exec, s[14:15]
	v_cmp_neq_f32_e32 vcc, 0, v12
	v_cmp_nle_f32_e64 s[14:15], |v13|, 1.0
	v_pk_mov_b32 v[16:17], s[20:21], s[20:21] op_sel:[0,1]
	s_or_b64 s[14:15], vcc, s[14:15]
	flat_store_dword v[16:17], v27
	s_waitcnt vmcnt(0)
                                        ; implicit-def: $vgpr17
	s_and_saveexec_b64 s[28:29], s[14:15]
	s_xor_b64 s[28:29], exec, s[28:29]
	s_cbranch_execz .LBB75_175
; %bb.169:                              ;   in Loop: Header=BB75_4 Depth=1
	v_cmp_neq_f32_e32 vcc, 0, v13
                                        ; implicit-def: $vgpr17
	s_and_saveexec_b64 s[14:15], vcc
	s_xor_b64 s[30:31], exec, s[14:15]
	s_cbranch_execz .LBB75_220
; %bb.170:                              ;   in Loop: Header=BB75_4 Depth=1
	v_cmp_o_f32_e32 vcc, v13, v12
                                        ; implicit-def: $vgpr17
	s_and_saveexec_b64 s[14:15], vcc
	s_xor_b64 s[34:35], exec, s[14:15]
	s_cbranch_execz .LBB75_209
; %bb.171:                              ;   in Loop: Header=BB75_4 Depth=1
	v_max_f32_e64 v11, |v12|, |v12|
	s_waitcnt lgkmcnt(0)
	v_max_f32_e64 v9, |v13|, |v13|
	v_max_f32_e32 v9, v9, v11
	v_cmp_nlt_f32_e32 vcc, s54, v9
                                        ; implicit-def: $vgpr17
	s_and_saveexec_b64 s[14:15], vcc
	s_xor_b64 s[36:37], exec, s[14:15]
	s_cbranch_execz .LBB75_194
; %bb.172:                              ;   in Loop: Header=BB75_4 Depth=1
	v_cmp_nlt_f32_e64 s[14:15], |v13|, s55
	v_cmp_nlt_f32_e64 s[38:39], |v12|, s55
	s_or_b64 s[14:15], s[14:15], s[38:39]
                                        ; implicit-def: $vgpr17
	s_and_saveexec_b64 s[38:39], s[14:15]
	s_xor_b64 s[38:39], exec, s[38:39]
	s_cbranch_execz .LBB75_191
; %bb.173:                              ;   in Loop: Header=BB75_4 Depth=1
	v_cmp_neq_f32_e64 s[42:43], |v13|, 1.0
	v_cmp_nlt_f32_e64 s[40:41], |v12|, s56
	s_or_b64 s[14:15], s[42:43], s[40:41]
                                        ; implicit-def: $vgpr9
	s_and_saveexec_b64 s[44:45], s[14:15]
	s_xor_b64 s[14:15], exec, s[44:45]
	s_cbranch_execz .LBB75_180
; %bb.174:                              ;   in Loop: Header=BB75_4 Depth=1
	v_add_f32_e64 v16, |v13|, -1.0
	v_mul_f32_e32 v44, v12, v12
	v_mul_f32_e32 v17, v16, v16
	v_fmac_f32_e32 v44, v16, v16
	v_cmp_lt_f32_e64 vcc, |v12|, s57
	v_mul_f32_e64 v9, |v13|, 4.0
	v_cndmask_b32_e32 v16, v44, v17, vcc
	v_div_scale_f32 v17, s[44:45], v16, v16, v9
	v_rcp_f32_e32 v44, v17
	v_fma_f32 v45, -v17, v44, 1.0
	v_fmac_f32_e32 v44, v45, v44
	v_div_scale_f32 v45, vcc, v9, v16, v9
	v_mul_f32_e32 v46, v45, v44
	v_fma_f32 v47, -v17, v46, v45
	v_fmac_f32_e32 v46, v47, v44
	v_fma_f32 v17, -v17, v46, v45
	v_div_fmas_f32 v17, v17, v44, v46
	v_div_fixup_f32 v16, v17, v16, v9
	v_add_f32_e32 v45, 1.0, v16
	v_add_f32_e32 v17, -1.0, v45
	v_mov_b32_e32 v44, v17
	v_pk_add_f32 v[46:47], v[16:17], v[44:45] neg_lo:[0,1] neg_hi:[0,1]
	v_add_f32_e32 v9, 1.0, v47
	v_add_f32_e32 v9, v46, v9
	v_frexp_mant_f32_e32 v17, v45
	v_cvt_f64_f32_e32 v[46:47], v45
	v_frexp_exp_i32_f64_e32 v44, v[46:47]
	v_cmp_gt_f32_e32 vcc, s58, v17
	v_subbrev_co_u32_e32 v17, vcc, 0, v44, vcc
	v_sub_u32_e32 v44, 0, v17
	v_ldexp_f32 v45, v45, v44
	v_ldexp_f32 v9, v9, v44
	v_add_f32_e32 v44, -1.0, v45
	v_add_f32_e32 v47, 1.0, v45
	v_add_f32_e32 v46, 1.0, v44
	v_add_f32_e32 v48, -1.0, v47
	v_sub_f32_e32 v46, v45, v46
	v_sub_f32_e32 v45, v45, v48
	v_add_f32_e32 v46, v9, v46
	v_add_f32_e32 v9, v9, v45
	;; [unrolled: 1-line block ×3, first 2 shown]
	v_rcp_f32_e32 v53, v52
	v_sub_f32_e32 v45, v52, v47
	v_sub_f32_e32 v9, v9, v45
	v_add_f32_e32 v45, v44, v46
	v_sub_f32_e32 v44, v45, v44
	v_mul_f32_e32 v55, v45, v53
	v_sub_f32_e32 v54, v46, v44
	v_mul_f32_e32 v46, v52, v55
	v_fma_f32 v48, v55, v52, -v46
	v_fmac_f32_e32 v48, v55, v9
	v_add_f32_e32 v44, v46, v48
	v_sub_f32_e32 v47, v45, v44
	v_pk_add_f32 v[50:51], v[44:45], v[46:47] neg_lo:[0,1] neg_hi:[0,1]
	v_mov_b32_e32 v49, v44
	v_pk_add_f32 v[44:45], v[50:51], v[48:49] neg_lo:[0,1] neg_hi:[0,1]
	v_add_f32_e32 v45, v54, v45
	v_add_f32_e32 v44, v44, v45
	;; [unrolled: 1-line block ×3, first 2 shown]
	v_mul_f32_e32 v54, v53, v45
	v_mul_f32_e32 v46, v52, v54
	v_fma_f32 v48, v54, v52, -v46
	v_fmac_f32_e32 v48, v54, v9
	v_sub_f32_e32 v9, v47, v45
	v_add_f32_e32 v9, v44, v9
	v_add_f32_e32 v44, v46, v48
	v_sub_f32_e32 v47, v45, v44
	v_pk_add_f32 v[50:51], v[44:45], v[46:47] neg_lo:[0,1] neg_hi:[0,1]
	v_mov_b32_e32 v49, v44
	v_pk_add_f32 v[44:45], v[50:51], v[48:49] neg_lo:[0,1] neg_hi:[0,1]
	v_add_f32_e32 v9, v9, v45
	v_add_f32_e32 v9, v44, v9
	;; [unrolled: 1-line block ×4, first 2 shown]
	v_sub_f32_e32 v44, v45, v55
	v_mul_f32_e32 v9, v53, v9
	v_sub_f32_e32 v44, v54, v44
	v_add_f32_e32 v46, v44, v9
	v_add_f32_e32 v48, v45, v46
	v_cvt_f32_i32_e32 v44, v17
	v_mul_f32_e32 v49, v48, v48
	v_mov_b32_e32 v9, 0x3ecc95a3
	v_fmac_f32_e32 v9, 0x3e9b6dac, v49
	v_fma_f32 v9, v49, v9, v28
	v_sub_f32_e32 v17, v48, v45
	v_mul_f32_e32 v45, v48, v49
	v_ldexp_f32 v47, v48, 1
	v_pk_mul_f32 v[48:49], v[44:45], v[8:9]
	v_sub_f32_e32 v17, v46, v17
	v_fma_f32 v46, v44, s59, -v48
	v_fmac_f32_e32 v46, 0xb102e308, v44
	v_pk_add_f32 v[44:45], v[48:49], v[46:47]
	v_sub_f32_e32 v9, v45, v47
	v_ldexp_f32 v17, v17, 1
	v_sub_f32_e32 v9, v49, v9
	v_add_f32_e32 v51, v17, v9
	v_mov_b32_e32 v50, v48
	v_pk_add_f32 v[48:49], v[44:45], v[48:49] neg_lo:[0,1] neg_hi:[0,1]
	v_pk_add_f32 v[52:53], v[44:45], v[50:51]
	v_mov_b32_e32 v49, v53
	v_mov_b32_e32 v47, v44
	v_pk_add_f32 v[54:55], v[46:47], v[48:49] neg_lo:[0,1] neg_hi:[0,1]
	v_pk_add_f32 v[46:47], v[46:47], v[48:49]
	v_mov_b32_e32 v48, v47
	v_pk_add_f32 v[56:57], v[48:49], v[44:45] neg_lo:[0,1] neg_hi:[0,1]
	v_mov_b32_e32 v9, v56
	v_pk_add_f32 v[58:59], v[52:53], v[8:9] neg_lo:[0,1] neg_hi:[0,1]
	v_mov_b32_e32 v46, v53
	v_mov_b32_e32 v52, v45
	v_mov_b32_e32 v53, v56
	v_mov_b32_e32 v55, v47
	v_pk_add_f32 v[46:47], v[46:47], v[52:53] neg_lo:[0,1] neg_hi:[0,1]
	v_mov_b32_e32 v50, v51
	v_mov_b32_e32 v51, v44
	v_pk_add_f32 v[44:45], v[50:51], v[46:47] neg_lo:[0,1] neg_hi:[0,1]
	v_mov_b32_e32 v58, v54
	v_pk_add_f32 v[46:47], v[58:59], v[44:45]
	v_mov_b32_e32 v50, v47
	v_pk_add_f32 v[50:51], v[46:47], v[50:51]
	v_pk_add_f32 v[48:49], v[48:49], v[50:51]
	v_mov_b32_e32 v47, v48
	v_pk_add_f32 v[52:53], v[46:47], v[54:55] neg_lo:[0,1] neg_hi:[0,1]
	v_mov_b32_e32 v45, v50
	v_sub_f32_e32 v9, v46, v52
	v_pk_add_f32 v[44:45], v[44:45], v[52:53] neg_lo:[0,1] neg_hi:[0,1]
	v_sub_f32_e32 v9, v54, v9
	v_add_f32_e32 v9, v44, v9
	v_add_f32_e32 v9, v9, v45
	;; [unrolled: 1-line block ×3, first 2 shown]
	v_cmp_eq_f32_e32 vcc, s60, v16
	v_cndmask_b32_e32 v9, v9, v16, vcc
	v_cmp_ngt_f32_e32 vcc, -1.0, v16
	v_cndmask_b32_e32 v9, v36, v9, vcc
	v_cmp_neq_f32_e32 vcc, -1.0, v16
	v_cndmask_b32_e32 v9, v37, v9, vcc
	v_cmp_lt_f32_e64 vcc, |v16|, s61
	v_cndmask_b32_e32 v9, v9, v16, vcc
	v_mul_f32_e32 v9, 0x3e800000, v9
	s_andn2_saveexec_b64 s[44:45], s[14:15]
	s_cbranch_execz .LBB75_182
	s_branch .LBB75_181
.LBB75_175:                             ;   in Loop: Header=BB75_4 Depth=1
	s_andn2_saveexec_b64 s[14:15], s[28:29]
	s_cbranch_execz .LBB75_223
.LBB75_176:                             ;   in Loop: Header=BB75_4 Depth=1
	s_waitcnt lgkmcnt(0)
	v_sub_f32_e64 v9, 1.0, |v13|
	v_rcp_f32_e32 v48, v9
	v_add_f32_e64 v44, |v13|, 1.0
	v_sub_f32_e32 v11, 1.0, v9
	v_sub_f32_e64 v17, v11, |v13|
	v_mul_f32_e32 v49, v44, v48
	v_mul_f32_e32 v45, v9, v49
	v_fma_f32 v11, v49, v9, -v45
	v_fmac_f32_e32 v11, v49, v17
	v_pk_add_f32 v[46:47], v[44:45], v[10:11]
	v_sub_f32_e32 v9, v47, v45
	v_sub_f32_e32 v45, v44, v47
	v_and_b32_e32 v16, 0x7fffffff, v13
	v_sub_f32_e32 v17, v44, v45
	v_pk_add_f32 v[16:17], v[16:17], v[46:47] neg_lo:[0,1] neg_hi:[0,1]
	v_sub_f32_e32 v9, v9, v11
	v_add_f32_e32 v9, v9, v17
	v_add_f32_e32 v9, v16, v9
	;; [unrolled: 1-line block ×3, first 2 shown]
	v_mul_f32_e32 v9, v48, v9
	v_add_f32_e32 v11, v49, v9
	v_sub_f32_e32 v16, v11, v49
	v_sub_f32_e32 v9, v9, v16
	v_frexp_mant_f32_e32 v44, v11
	v_cvt_f64_f32_e32 v[16:17], v11
	v_frexp_exp_i32_f64_e32 v16, v[16:17]
	v_cmp_gt_f32_e32 vcc, s58, v44
	v_subbrev_co_u32_e32 v50, vcc, 0, v16, vcc
	v_sub_u32_e32 v16, 0, v50
	v_ldexp_f32 v11, v11, v16
	v_ldexp_f32 v9, v9, v16
	v_add_f32_e32 v16, -1.0, v11
	v_add_f32_e32 v17, 1.0, v16
	v_sub_f32_e32 v17, v11, v17
	v_add_f32_e32 v44, v9, v17
	v_add_f32_e32 v17, 1.0, v11
	v_add_f32_e32 v45, -1.0, v17
	v_sub_f32_e32 v11, v11, v45
	v_add_f32_e32 v9, v9, v11
	v_add_f32_e32 v11, v17, v9
	v_rcp_f32_e32 v51, v11
	v_sub_f32_e32 v17, v11, v17
	v_sub_f32_e32 v9, v9, v17
	v_add_f32_e32 v17, v16, v44
	v_sub_f32_e32 v16, v17, v16
	v_mul_f32_e32 v53, v17, v51
	v_sub_f32_e32 v52, v44, v16
	v_mul_f32_e32 v44, v11, v53
	v_fma_f32 v46, v53, v11, -v44
	v_fmac_f32_e32 v46, v53, v9
	v_add_f32_e32 v16, v44, v46
	v_sub_f32_e32 v45, v17, v16
	v_pk_add_f32 v[48:49], v[16:17], v[44:45] neg_lo:[0,1] neg_hi:[0,1]
	v_mov_b32_e32 v47, v16
	v_pk_add_f32 v[16:17], v[48:49], v[46:47] neg_lo:[0,1] neg_hi:[0,1]
	v_add_f32_e32 v17, v52, v17
	v_add_f32_e32 v16, v16, v17
	;; [unrolled: 1-line block ×3, first 2 shown]
	v_mul_f32_e32 v52, v51, v17
	v_mul_f32_e32 v44, v11, v52
	v_fma_f32 v46, v52, v11, -v44
	v_fmac_f32_e32 v46, v52, v9
	v_sub_f32_e32 v9, v45, v17
	v_add_f32_e32 v9, v16, v9
	v_add_f32_e32 v16, v44, v46
	v_sub_f32_e32 v45, v17, v16
	v_pk_add_f32 v[48:49], v[16:17], v[44:45] neg_lo:[0,1] neg_hi:[0,1]
	v_mov_b32_e32 v47, v16
	v_pk_add_f32 v[16:17], v[48:49], v[46:47] neg_lo:[0,1] neg_hi:[0,1]
	v_add_f32_e32 v9, v9, v17
	v_add_f32_e32 v9, v16, v9
	;; [unrolled: 1-line block ×4, first 2 shown]
	v_sub_f32_e32 v16, v11, v53
	v_mul_f32_e32 v9, v51, v9
	v_sub_f32_e32 v16, v52, v16
	v_add_f32_e32 v17, v16, v9
	v_add_f32_e32 v44, v11, v17
	v_cvt_f32_i32_e32 v16, v50
	v_mul_f32_e32 v46, v44, v44
	v_mov_b32_e32 v9, 0x3ecc95a3
	v_fmac_f32_e32 v9, 0x3e9b6dac, v46
	v_sub_f32_e32 v11, v44, v11
	v_fma_f32 v9, v46, v9, v28
	v_sub_f32_e32 v11, v17, v11
	v_mul_f32_e32 v17, v44, v46
	v_pk_mul_f32 v[46:47], v[16:17], v[8:9]
	v_ldexp_f32 v45, v44, 1
	v_fma_f32 v44, v16, s59, -v46
	v_fmac_f32_e32 v44, 0xb102e308, v16
	v_pk_add_f32 v[16:17], v[46:47], v[44:45]
	v_sub_f32_e32 v9, v17, v45
	v_ldexp_f32 v11, v11, 1
	v_sub_f32_e32 v9, v47, v9
	v_add_f32_e32 v49, v11, v9
	v_mov_b32_e32 v48, v46
	v_pk_add_f32 v[46:47], v[16:17], v[46:47] neg_lo:[0,1] neg_hi:[0,1]
	v_pk_add_f32 v[50:51], v[16:17], v[48:49]
	v_mov_b32_e32 v47, v51
	v_mov_b32_e32 v45, v16
	v_pk_add_f32 v[52:53], v[44:45], v[46:47] neg_lo:[0,1] neg_hi:[0,1]
	v_pk_add_f32 v[44:45], v[44:45], v[46:47]
	v_mov_b32_e32 v46, v45
	v_pk_add_f32 v[54:55], v[46:47], v[16:17] neg_lo:[0,1] neg_hi:[0,1]
	v_mov_b32_e32 v9, v54
	v_pk_add_f32 v[56:57], v[50:51], v[8:9] neg_lo:[0,1] neg_hi:[0,1]
	v_mov_b32_e32 v44, v51
	v_mov_b32_e32 v50, v17
	;; [unrolled: 1-line block ×4, first 2 shown]
	v_pk_add_f32 v[44:45], v[44:45], v[50:51] neg_lo:[0,1] neg_hi:[0,1]
	v_mov_b32_e32 v48, v49
	v_mov_b32_e32 v49, v16
	v_pk_add_f32 v[16:17], v[48:49], v[44:45] neg_lo:[0,1] neg_hi:[0,1]
	v_mov_b32_e32 v56, v52
	v_pk_add_f32 v[44:45], v[56:57], v[16:17]
	v_mov_b32_e32 v48, v45
	v_pk_add_f32 v[48:49], v[44:45], v[48:49]
	v_pk_add_f32 v[46:47], v[46:47], v[48:49]
	v_mov_b32_e32 v45, v46
	v_pk_add_f32 v[50:51], v[44:45], v[52:53] neg_lo:[0,1] neg_hi:[0,1]
	v_mov_b32_e32 v17, v48
	v_sub_f32_e32 v9, v44, v50
	v_pk_add_f32 v[16:17], v[16:17], v[50:51] neg_lo:[0,1] neg_hi:[0,1]
	v_sub_f32_e32 v9, v52, v9
	v_add_f32_e32 v9, v16, v9
	v_add_f32_e32 v9, v9, v17
	;; [unrolled: 1-line block ×3, first 2 shown]
	v_mul_f32_e32 v9, 0.5, v9
	v_cmp_lt_f32_e64 s[28:29], |v13|, s68
	v_cndmask_b32_e64 v9, v9, |v13|, s[28:29]
	v_cmp_ngt_f32_e64 vcc, |v13|, 1.0
	v_cndmask_b32_e32 v9, v36, v9, vcc
	v_cmp_neq_f32_e64 vcc, |v13|, 1.0
	v_cndmask_b32_e32 v9, v43, v9, vcc
	v_bfi_b32 v17, s65, v9, v13
	v_mov_b32_e32 v16, v12
	s_or_b64 exec, exec, s[14:15]
	s_and_saveexec_b64 s[14:15], s[6:7]
	s_xor_b64 s[6:7], exec, s[14:15]
	s_cbranch_execnz .LBB75_224
.LBB75_177:                             ;   in Loop: Header=BB75_4 Depth=1
	s_or_b64 exec, exec, s[6:7]
	s_and_saveexec_b64 s[6:7], s[8:9]
	s_cbranch_execz .LBB75_225
.LBB75_178:                             ;   in Loop: Header=BB75_4 Depth=1
	global_store_dwordx2 v[4:5], v[18:19], off
	s_or_b64 exec, exec, s[6:7]
	s_and_saveexec_b64 s[6:7], s[10:11]
	s_cbranch_execnz .LBB75_226
.LBB75_179:                             ;   in Loop: Header=BB75_4 Depth=1
	s_or_b64 exec, exec, s[6:7]
	s_and_saveexec_b64 s[6:7], s[12:13]
	s_cbranch_execz .LBB75_3
	s_branch .LBB75_227
.LBB75_180:                             ;   in Loop: Header=BB75_4 Depth=1
	s_andn2_saveexec_b64 s[44:45], s[14:15]
	s_cbranch_execz .LBB75_182
.LBB75_181:                             ;   in Loop: Header=BB75_4 Depth=1
	v_cmp_lt_f32_e64 vcc, |v12|, s62
	v_cndmask_b32_e32 v9, 1.0, v38, vcc
	v_mul_f32_e64 v9, |v12|, v9
	v_log_f32_e32 v9, v9
	v_mul_f32_e32 v16, 0x3f317217, v9
	v_fma_f32 v17, v9, s63, -v16
	v_fmac_f32_e32 v17, 0x3377d1cf, v9
	v_add_f32_e32 v16, v16, v17
	v_cmp_lt_f32_e64 s[14:15], |v9|, s60
	v_cndmask_b32_e64 v9, v9, v16, s[14:15]
	v_cndmask_b32_e32 v16, 0, v39, vcc
	v_sub_f32_e32 v9, v9, v16
	v_sub_f32_e32 v9, 0x3f317218, v9
	v_mul_f32_e32 v9, 0.5, v9
.LBB75_182:                             ;   in Loop: Header=BB75_4 Depth=1
	s_or_b64 exec, exec, s[44:45]
                                        ; implicit-def: $vgpr17
	s_and_saveexec_b64 s[14:15], s[42:43]
	s_xor_b64 s[42:43], exec, s[14:15]
	s_cbranch_execz .LBB75_188
; %bb.183:                              ;   in Loop: Header=BB75_4 Depth=1
	v_sub_f32_e64 v16, 1.0, |v13|
	v_add_f32_e64 v17, |v13|, 1.0
	v_add_f32_e64 v11, |v12|, |v12|
	v_mul_f32_e32 v16, v16, v17
                                        ; implicit-def: $vgpr17
	s_and_saveexec_b64 s[14:15], s[40:41]
	s_xor_b64 s[40:41], exec, s[14:15]
	s_cbranch_execz .LBB75_185
; %bb.184:                              ;   in Loop: Header=BB75_4 Depth=1
	v_fma_f32 v16, -v12, v12, v16
	v_max_f32_e64 v17, |v11|, |v11|
	v_min_f32_e64 v44, |v16|, v17
	v_max_f32_e64 v17, |v16|, v17
	v_frexp_mant_f32_e32 v45, v17
	v_rcp_f32_e32 v45, v45
	v_frexp_exp_i32_f32_e32 v17, v17
	v_frexp_exp_i32_f32_e32 v46, v44
	v_frexp_mant_f32_e32 v44, v44
	v_mul_f32_e32 v44, v44, v45
	v_sub_u32_e32 v17, v46, v17
	v_ldexp_f32 v17, v44, v17
	v_mul_f32_e32 v44, v17, v17
	v_mov_b32_e32 v45, 0xbc7a590c
	v_fmac_f32_e32 v45, 0x3b2d2a58, v44
	v_fma_f32 v45, v44, v45, v29
	v_fma_f32 v45, v44, v45, v30
	;; [unrolled: 1-line block ×6, first 2 shown]
	v_mul_f32_e32 v44, v44, v45
	v_fmac_f32_e32 v17, v17, v44
	v_sub_f32_e32 v44, 0x3fc90fdb, v17
	v_cmp_gt_f32_e64 vcc, |v11|, |v16|
	v_cndmask_b32_e32 v17, v17, v44, vcc
	v_sub_f32_e32 v44, 0x40490fdb, v17
	v_cmp_gt_f32_e32 vcc, 0, v16
	v_cmp_gt_i32_e64 s[14:15], 0, v16
	v_cndmask_b32_e32 v17, v17, v44, vcc
	v_cndmask_b32_e64 v44, 0, v40, s[14:15]
	v_cmp_eq_f32_e64 s[14:15], 0, v11
	v_cndmask_b32_e64 v17, v17, v44, s[14:15]
	v_cmp_class_f32_e64 s[14:15], v16, s64
	v_cmp_class_f32_e64 s[44:45], v11, s64
	v_cndmask_b32_e32 v44, v41, v42, vcc
	s_and_b64 vcc, s[44:45], s[14:15]
	v_cndmask_b32_e32 v17, v17, v44, vcc
	v_cmp_o_f32_e32 vcc, v16, v11
	v_cndmask_b32_e32 v16, v36, v17, vcc
	v_bfi_b32 v17, s65, v16, v11
                                        ; implicit-def: $vgpr11
                                        ; implicit-def: $vgpr16
.LBB75_185:                             ;   in Loop: Header=BB75_4 Depth=1
	s_andn2_saveexec_b64 s[40:41], s[40:41]
	s_cbranch_execz .LBB75_187
; %bb.186:                              ;   in Loop: Header=BB75_4 Depth=1
	v_max_f32_e32 v17, v11, v11
	v_max_f32_e64 v44, |v16|, |v16|
	v_min_f32_e32 v45, v44, v17
	v_max_f32_e32 v17, v44, v17
	v_frexp_mant_f32_e32 v44, v17
	v_rcp_f32_e32 v44, v44
	v_frexp_exp_i32_f32_e32 v17, v17
	v_frexp_exp_i32_f32_e32 v46, v45
	v_frexp_mant_f32_e32 v45, v45
	v_mul_f32_e32 v44, v45, v44
	v_sub_u32_e32 v17, v46, v17
	v_ldexp_f32 v17, v44, v17
	v_mul_f32_e32 v44, v17, v17
	v_mov_b32_e32 v45, 0xbc7a590c
	v_fmac_f32_e32 v45, 0x3b2d2a58, v44
	v_fma_f32 v45, v44, v45, v29
	v_fma_f32 v45, v44, v45, v30
	;; [unrolled: 1-line block ×6, first 2 shown]
	v_mul_f32_e32 v44, v44, v45
	v_fmac_f32_e32 v17, v17, v44
	v_sub_f32_e32 v44, 0x3fc90fdb, v17
	v_cmp_gt_f32_e64 vcc, v11, |v16|
	v_cndmask_b32_e32 v17, v17, v44, vcc
	v_sub_f32_e32 v44, 0x40490fdb, v17
	v_cmp_gt_f32_e32 vcc, 0, v16
	v_cmp_gt_i32_e64 s[14:15], 0, v16
	v_cndmask_b32_e32 v17, v17, v44, vcc
	v_cndmask_b32_e64 v44, 0, v40, s[14:15]
	v_cmp_eq_f32_e64 s[14:15], 0, v11
	v_cndmask_b32_e64 v17, v17, v44, s[14:15]
	v_cndmask_b32_e32 v44, v41, v42, vcc
	v_cmp_class_f32_e64 s[14:15], v16, s64
	v_cmp_eq_f32_e32 vcc, s60, v11
	s_and_b64 vcc, vcc, s[14:15]
	v_cndmask_b32_e32 v11, v17, v44, vcc
	v_cmp_o_f32_e32 vcc, v16, v16
	v_cndmask_b32_e64 v17, v36, |v11|, vcc
.LBB75_187:                             ;   in Loop: Header=BB75_4 Depth=1
	s_or_b64 exec, exec, s[40:41]
                                        ; implicit-def: $vgpr11
	s_andn2_saveexec_b64 s[14:15], s[42:43]
	s_cbranch_execnz .LBB75_189
	s_branch .LBB75_190
.LBB75_188:                             ;   in Loop: Header=BB75_4 Depth=1
	s_andn2_saveexec_b64 s[14:15], s[42:43]
	s_cbranch_execz .LBB75_190
.LBB75_189:                             ;   in Loop: Header=BB75_4 Depth=1
	v_min_f32_e32 v16, 2.0, v11
	v_max_f32_e32 v11, 2.0, v11
	v_frexp_mant_f32_e32 v17, v11
	v_rcp_f32_e32 v17, v17
	v_frexp_exp_i32_f32_e32 v11, v11
	v_frexp_exp_i32_f32_e32 v44, v16
	v_frexp_mant_f32_e32 v16, v16
	v_mul_f32_e32 v16, v16, v17
	v_sub_u32_e32 v11, v44, v11
	v_ldexp_f32 v11, v16, v11
	v_mul_f32_e32 v16, v11, v11
	v_mov_b32_e32 v17, 0xbc7a590c
	v_fmac_f32_e32 v17, 0x3b2d2a58, v16
	v_fma_f32 v17, v16, v17, v29
	v_fma_f32 v17, v16, v17, v30
	;; [unrolled: 1-line block ×6, first 2 shown]
	v_mul_f32_e32 v16, v16, v17
	v_fmac_f32_e32 v11, v11, v16
	v_sub_f32_e32 v16, 0x3fc90fdb, v11
	v_cmp_lt_f32_e64 vcc, |v12|, 2.0
	v_cndmask_b32_e32 v11, v11, v16, vcc
	v_sub_f32_e32 v16, 0x40490fdb, v11
	v_cmp_lg_f32_e32 vcc, 0, v12
	v_cndmask_b32_e32 v11, v11, v16, vcc
	v_and_b32_e32 v17, 0x7fffffff, v11
.LBB75_190:                             ;   in Loop: Header=BB75_4 Depth=1
	s_or_b64 exec, exec, s[14:15]
	v_mul_f32_e32 v11, 0.5, v17
	v_bfi_b32 v17, s65, v9, v13
	v_bfi_b32 v16, s65, v11, v12
                                        ; implicit-def: $vgpr13
.LBB75_191:                             ;   in Loop: Header=BB75_4 Depth=1
	s_andn2_saveexec_b64 s[14:15], s[38:39]
	s_cbranch_execz .LBB75_193
; %bb.192:                              ;   in Loop: Header=BB75_4 Depth=1
	v_pk_mov_b32 v[16:17], s[22:23], s[22:23] op_sel:[0,1]
	flat_store_dword v[16:17], v35
	s_waitcnt vmcnt(0)
	flat_load_dword v9, v[16:17] glc
	s_waitcnt vmcnt(0)
	v_pk_mov_b32 v[16:17], s[24:25], s[24:25] op_sel:[0,1]
	s_waitcnt lgkmcnt(0)
	v_add_f32_e32 v9, 1.0, v9
	flat_store_dword v[16:17], v9
	s_waitcnt vmcnt(0)
	flat_load_dword v9, v[16:17] glc
	s_waitcnt vmcnt(0)
	v_mov_b32_e32 v17, v13
	v_mov_b32_e32 v16, v12
.LBB75_193:                             ;   in Loop: Header=BB75_4 Depth=1
	s_or_b64 exec, exec, s[14:15]
                                        ; implicit-def: $vgpr12
.LBB75_194:                             ;   in Loop: Header=BB75_4 Depth=1
	s_andn2_saveexec_b64 s[14:15], s[36:37]
	s_cbranch_execz .LBB75_208
; %bb.195:                              ;   in Loop: Header=BB75_4 Depth=1
	v_and_b32_e32 v11, 0x7f800000, v12
	s_waitcnt lgkmcnt(0)
	v_and_b32_e32 v9, 0x7f800000, v13
	v_sub_u32_e32 v16, v9, v11
	v_cmp_gt_i32_e32 vcc, s66, v16
	v_cmp_neq_f32_e64 s[36:37], |v13|, s60
	s_and_b64 s[36:37], s[36:37], vcc
                                        ; implicit-def: $vgpr17
	s_and_saveexec_b64 s[38:39], s[36:37]
	s_xor_b64 s[36:37], exec, s[38:39]
	s_cbranch_execz .LBB75_205
; %bb.196:                              ;   in Loop: Header=BB75_4 Depth=1
	v_sub_u32_e32 v11, v11, v9
	v_cmp_gt_i32_e32 vcc, s66, v11
                                        ; implicit-def: $vgpr17
	s_and_saveexec_b64 s[38:39], vcc
	s_xor_b64 s[38:39], exec, s[38:39]
	s_cbranch_execz .LBB75_202
; %bb.197:                              ;   in Loop: Header=BB75_4 Depth=1
	v_cmp_lt_u32_e32 vcc, s67, v9
                                        ; implicit-def: $vgpr17
	s_and_saveexec_b64 s[40:41], vcc
	s_xor_b64 s[40:41], exec, s[40:41]
	s_cbranch_execz .LBB75_199
; %bb.198:                              ;   in Loop: Header=BB75_4 Depth=1
	v_sub_u32_e32 v9, 0x7f800000, v9
	v_mul_f32_e32 v11, v13, v9
	v_mul_f32_e32 v13, v12, v9
	;; [unrolled: 1-line block ×3, first 2 shown]
	v_fmac_f32_e32 v13, v11, v11
	v_div_scale_f32 v16, s[42:43], v13, v13, v11
	v_rcp_f32_e32 v17, v16
	v_fma_f32 v44, -v16, v17, 1.0
	v_fmac_f32_e32 v17, v44, v17
	v_div_scale_f32 v44, vcc, v11, v13, v11
	v_mul_f32_e32 v45, v44, v17
	v_fma_f32 v46, -v16, v45, v44
	v_fmac_f32_e32 v45, v46, v17
	v_fma_f32 v16, -v16, v45, v44
	v_div_fmas_f32 v16, v16, v17, v45
	v_div_fixup_f32 v11, v16, v13, v11
	v_mul_f32_e32 v17, v11, v9
.LBB75_199:                             ;   in Loop: Header=BB75_4 Depth=1
	s_andn2_saveexec_b64 s[40:41], s[40:41]
	s_cbranch_execz .LBB75_201
; %bb.200:                              ;   in Loop: Header=BB75_4 Depth=1
	v_pk_mul_f32 v[16:17], v[12:13], v[12:13]
	v_add_f32_e32 v9, v17, v16
	v_div_scale_f32 v11, s[42:43], v9, v9, v13
	v_rcp_f32_e32 v16, v11
	v_div_scale_f32 v17, vcc, v13, v9, v13
	v_fma_f32 v44, -v11, v16, 1.0
	v_fmac_f32_e32 v16, v44, v16
	v_mul_f32_e32 v44, v17, v16
	v_fma_f32 v45, -v11, v44, v17
	v_fmac_f32_e32 v44, v45, v16
	v_fma_f32 v11, -v11, v44, v17
	v_div_fmas_f32 v11, v11, v16, v44
	v_div_fixup_f32 v17, v11, v9, v13
.LBB75_201:                             ;   in Loop: Header=BB75_4 Depth=1
	s_or_b64 exec, exec, s[40:41]
.LBB75_202:                             ;   in Loop: Header=BB75_4 Depth=1
	s_andn2_saveexec_b64 s[38:39], s[38:39]
	s_cbranch_execz .LBB75_204
; %bb.203:                              ;   in Loop: Header=BB75_4 Depth=1
	v_div_scale_f32 v9, s[40:41], v12, v12, v13
	v_rcp_f32_e32 v11, v9
	v_div_scale_f32 v16, vcc, v13, v12, v13
	v_fma_f32 v17, -v9, v11, 1.0
	v_fmac_f32_e32 v11, v17, v11
	v_mul_f32_e32 v17, v16, v11
	v_fma_f32 v44, -v9, v17, v16
	v_fmac_f32_e32 v17, v44, v11
	v_fma_f32 v9, -v9, v17, v16
	v_div_fmas_f32 v9, v9, v11, v17
	v_div_fixup_f32 v9, v9, v12, v13
	v_div_scale_f32 v11, s[40:41], v12, v12, v9
	v_rcp_f32_e32 v13, v11
	v_fma_f32 v16, -v11, v13, 1.0
	v_fmac_f32_e32 v13, v16, v13
	v_div_scale_f32 v16, vcc, v9, v12, v9
	v_mul_f32_e32 v17, v16, v13
	v_fma_f32 v44, -v11, v17, v16
	v_fmac_f32_e32 v17, v44, v13
	v_fma_f32 v11, -v11, v17, v16
	v_div_fmas_f32 v11, v11, v13, v17
	v_div_fixup_f32 v17, v11, v12, v9
.LBB75_204:                             ;   in Loop: Header=BB75_4 Depth=1
	s_or_b64 exec, exec, s[38:39]
.LBB75_205:                             ;   in Loop: Header=BB75_4 Depth=1
	s_andn2_saveexec_b64 s[36:37], s[36:37]
; %bb.206:                              ;   in Loop: Header=BB75_4 Depth=1
	v_div_scale_f32 v9, s[38:39], v13, v13, 1.0
	v_rcp_f32_e32 v11, v9
	v_div_scale_f32 v16, vcc, 1.0, v13, 1.0
	v_fma_f32 v17, -v9, v11, 1.0
	v_fmac_f32_e32 v11, v17, v11
	v_mul_f32_e32 v17, v16, v11
	v_fma_f32 v44, -v9, v17, v16
	v_fmac_f32_e32 v17, v44, v11
	v_fma_f32 v9, -v9, v17, v16
	v_div_fmas_f32 v9, v9, v11, v17
	v_div_fixup_f32 v17, v9, v13, 1.0
; %bb.207:                              ;   in Loop: Header=BB75_4 Depth=1
	s_or_b64 exec, exec, s[36:37]
	v_pk_mov_b32 v[44:45], s[20:21], s[20:21] op_sel:[0,1]
	flat_load_dword v9, v[44:45] glc
	s_waitcnt vmcnt(0) lgkmcnt(0)
	v_add_f32_e32 v9, 0x3fc90fdb, v9
	v_bfi_b32 v16, s65, v9, v12
.LBB75_208:                             ;   in Loop: Header=BB75_4 Depth=1
	s_or_b64 exec, exec, s[14:15]
                                        ; implicit-def: $vgpr13
.LBB75_209:                             ;   in Loop: Header=BB75_4 Depth=1
	s_andn2_saveexec_b64 s[14:15], s[34:35]
	s_cbranch_execz .LBB75_219
; %bb.210:                              ;   in Loop: Header=BB75_4 Depth=1
	v_cmp_neq_f32_e64 s[34:35], |v13|, s60
                                        ; implicit-def: $vgpr17
	s_and_saveexec_b64 s[36:37], s[34:35]
	s_xor_b64 s[34:35], exec, s[36:37]
	s_cbranch_execz .LBB75_216
; %bb.211:                              ;   in Loop: Header=BB75_4 Depth=1
	v_cmp_neq_f32_e64 s[36:37], |v12|, s60
                                        ; implicit-def: $vgpr17
	s_and_saveexec_b64 s[38:39], s[36:37]
	s_xor_b64 s[36:37], exec, s[38:39]
	s_cbranch_execz .LBB75_213
; %bb.212:                              ;   in Loop: Header=BB75_4 Depth=1
	s_waitcnt lgkmcnt(0)
	v_add_f32_e32 v9, 0, v12
	v_add_f32_e32 v17, v13, v9
                                        ; implicit-def: $vgpr12_vgpr13
.LBB75_213:                             ;   in Loop: Header=BB75_4 Depth=1
	s_or_saveexec_b64 s[36:37], s[36:37]
	v_mov_b32_e32 v16, v17
	s_xor_b64 exec, exec, s[36:37]
	s_cbranch_execz .LBB75_215
; %bb.214:                              ;   in Loop: Header=BB75_4 Depth=1
	v_pk_mov_b32 v[16:17], s[20:21], s[20:21] op_sel:[0,1]
	s_waitcnt lgkmcnt(0)
	flat_load_dword v9, v[16:17] glc
	s_waitcnt vmcnt(0)
	v_bfi_b32 v17, s65, 0, v13
	s_waitcnt lgkmcnt(0)
	v_add_f32_e32 v9, 0x3fc90fdb, v9
	v_bfi_b32 v16, s65, v9, v12
.LBB75_215:                             ;   in Loop: Header=BB75_4 Depth=1
	s_or_b64 exec, exec, s[36:37]
                                        ; implicit-def: $vgpr13
.LBB75_216:                             ;   in Loop: Header=BB75_4 Depth=1
	s_andn2_saveexec_b64 s[34:35], s[34:35]
; %bb.217:                              ;   in Loop: Header=BB75_4 Depth=1
	v_bfi_b32 v17, s65, 0, v13
	v_add_f32_e32 v16, v12, v12
; %bb.218:                              ;   in Loop: Header=BB75_4 Depth=1
	s_or_b64 exec, exec, s[34:35]
.LBB75_219:                             ;   in Loop: Header=BB75_4 Depth=1
	s_or_b64 exec, exec, s[14:15]
                                        ; implicit-def: $vgpr12
.LBB75_220:                             ;   in Loop: Header=BB75_4 Depth=1
	s_andn2_saveexec_b64 s[14:15], s[30:31]
	s_cbranch_execz .LBB75_222
; %bb.221:                              ;   in Loop: Header=BB75_4 Depth=1
	s_waitcnt lgkmcnt(0)
	v_rcp_f32_e64 v9, |v12|
	v_cmp_gt_f32_e64 vcc, |v12|, 1.0
	v_mov_b32_e32 v11, 0xbc7a590c
	v_mov_b32_e32 v17, v13
	v_cndmask_b32_e64 v9, |v12|, v9, vcc
	v_mul_f32_e32 v16, v9, v9
	v_fmac_f32_e32 v11, 0x3b2d2a58, v16
	v_fma_f32 v11, v16, v11, v29
	v_fma_f32 v11, v16, v11, v30
	;; [unrolled: 1-line block ×6, first 2 shown]
	v_mul_f32_e32 v11, v16, v11
	v_fmac_f32_e32 v9, v9, v11
	v_sub_f32_e32 v11, 0x3fc90fdb, v9
	v_cndmask_b32_e32 v9, v9, v11, vcc
	v_bfi_b32 v16, s65, v9, v12
.LBB75_222:                             ;   in Loop: Header=BB75_4 Depth=1
	s_or_b64 exec, exec, s[14:15]
                                        ; implicit-def: $vgpr13
	s_andn2_saveexec_b64 s[14:15], s[28:29]
	s_cbranch_execnz .LBB75_176
.LBB75_223:                             ;   in Loop: Header=BB75_4 Depth=1
	s_or_b64 exec, exec, s[14:15]
	s_and_saveexec_b64 s[14:15], s[6:7]
	s_xor_b64 s[6:7], exec, s[14:15]
	s_cbranch_execz .LBB75_177
.LBB75_224:                             ;   in Loop: Header=BB75_4 Depth=1
	global_store_dwordx2 v[2:3], v[14:15], off
	s_or_b64 exec, exec, s[6:7]
	s_and_saveexec_b64 s[6:7], s[8:9]
	s_cbranch_execnz .LBB75_178
.LBB75_225:                             ;   in Loop: Header=BB75_4 Depth=1
	s_or_b64 exec, exec, s[6:7]
	s_and_saveexec_b64 s[6:7], s[10:11]
	s_cbranch_execz .LBB75_179
.LBB75_226:                             ;   in Loop: Header=BB75_4 Depth=1
	s_waitcnt lgkmcnt(0)
	v_mov_b32_e32 v9, s53
	v_add_co_u32_e32 v12, vcc, s52, v2
	v_addc_co_u32_e32 v13, vcc, v3, v9, vcc
	global_store_dwordx2 v[12:13], v[20:21], off
	s_or_b64 exec, exec, s[6:7]
	s_and_saveexec_b64 s[6:7], s[12:13]
	s_cbranch_execz .LBB75_3
.LBB75_227:                             ;   in Loop: Header=BB75_4 Depth=1
	s_waitcnt lgkmcnt(0)
	v_mov_b32_e32 v9, s51
	v_add_co_u32_e32 v12, vcc, s50, v2
	v_addc_co_u32_e32 v13, vcc, v3, v9, vcc
	global_store_dwordx2 v[12:13], v[16:17], off
	s_branch .LBB75_3
.LBB75_228:
	s_cbranch_execz .LBB75_230
	s_branch .LBB75_441
.LBB75_229:
.LBB75_230:
	v_mov_b32_e32 v3, 0
	v_lshlrev_b32_e32 v2, 2, v0
	v_cmp_gt_i64_e32 vcc, s[16:17], v[2:3]
	s_and_saveexec_b64 s[6:7], vcc
	s_cbranch_execz .LBB75_441
; %bb.231:
	s_mov_b64 s[8:9], src_private_base
	s_add_u32 s6, s4, 0xd30
	s_mov_b32 s8, 8
	v_mov_b32_e32 v1, v3
	s_addc_u32 s7, s5, 0
	s_mov_b32 s10, 0
	s_mov_b32 s11, s9
	;; [unrolled: 1-line block ×4, first 2 shown]
	s_mov_b64 s[14:15], 0
	v_mov_b32_e32 v22, s46
	v_mov_b32_e32 v23, 0x248d3132
	v_pk_mov_b32 v[14:15], s[8:9], s[8:9] op_sel:[0,1]
	s_mov_b32 s38, 0x4b000000
	s_mov_b32 s39, 0x399cc471
	s_brev_b32 s40, 44
	s_brev_b32 s41, 4
	s_mov_b32 s42, 0x3f2aaaab
	v_mov_b32_e32 v24, 0x3f2aaada
	s_mov_b32 s43, 0x3f317218
	s_mov_b32 s44, 0x7f800000
	;; [unrolled: 1-line block ×5, first 2 shown]
	v_mov_b32_e32 v25, 0x3d29fb3f
	v_mov_b32_e32 v26, 0xbd97d4d7
	v_mov_b32_e32 v27, 0x3dd931b2
	v_mov_b32_e32 v28, 0xbe1160e6
	v_mov_b32_e32 v29, 0x3e4cb8bf
	v_mov_b32_e32 v30, 0xbeaaaa62
	s_movk_i32 s48, 0x204
	s_brev_b32 s49, -2
	v_mov_b32_e32 v31, 0xd800000
	s_mov_b32 s50, 0x6800000
	s_mov_b32 s51, 0x59000000
	;; [unrolled: 1-line block ×3, first 2 shown]
	s_mov_b64 s[18:19], 0xffff
	v_mov_b32_e32 v16, 0x3f317218
	v_mov_b32_e32 v32, 0x7fc00000
	;; [unrolled: 1-line block ×8, first 2 shown]
	v_mov_b32_e32 v18, -1.0
	v_mov_b32_e32 v39, 0x7f800000
	s_branch .LBB75_233
.LBB75_232:                             ;   in Loop: Header=BB75_233 Depth=1
	s_or_b64 exec, exec, s[4:5]
	global_store_dwordx4 v[20:21], v[6:9], off
	global_store_dwordx4 v[20:21], v[10:13], off offset:16
	s_load_dword s4, s[6:7], 0xc
	s_waitcnt lgkmcnt(0)
	s_and_b32 s4, s4, 0xffff
	v_add_co_u32_e32 v0, vcc, s4, v0
	v_addc_co_u32_e32 v1, vcc, 0, v1, vcc
	v_lshlrev_b64 v[2:3], 2, v[0:1]
	v_cmp_le_i64_e32 vcc, s[16:17], v[2:3]
	v_cmp_lt_u64_e64 s[4:5], s[18:19], v[2:3]
	s_or_b64 s[4:5], vcc, s[4:5]
	s_and_b64 s[4:5], exec, s[4:5]
	s_or_b64 s[14:15], s[4:5], s[14:15]
	s_andn2_b64 exec, exec, s[14:15]
	s_cbranch_execz .LBB75_441
.LBB75_233:                             ; =>This Inner Loop Header: Depth=1
	v_lshlrev_b64 v[2:3], 5, v[0:1]
	v_add_co_u32_e32 v20, vcc, s33, v2
	v_addc_co_u32_e32 v21, vcc, v22, v3, vcc
	global_load_dwordx4 v[10:13], v[20:21], off
	global_load_dwordx4 v[2:5], v[20:21], off offset:16
                                        ; implicit-def: $vgpr7
	s_waitcnt vmcnt(0)
	v_cmp_neq_f32_e32 vcc, 0, v10
	v_cmp_nle_f32_e64 s[4:5], |v11|, 1.0
	s_or_b64 s[4:5], vcc, s[4:5]
	flat_store_dword v[14:15], v23
	s_waitcnt vmcnt(0)
	s_and_saveexec_b64 s[20:21], s[4:5]
	s_xor_b64 s[20:21], exec, s[20:21]
	s_cbranch_execz .LBB75_283
; %bb.234:                              ;   in Loop: Header=BB75_233 Depth=1
	v_cmp_neq_f32_e32 vcc, 0, v11
                                        ; implicit-def: $vgpr7
	s_and_saveexec_b64 s[4:5], vcc
	s_xor_b64 s[22:23], exec, s[4:5]
	s_cbranch_execz .LBB75_280
; %bb.235:                              ;   in Loop: Header=BB75_233 Depth=1
	v_cmp_o_f32_e32 vcc, v11, v10
                                        ; implicit-def: $vgpr7
	s_and_saveexec_b64 s[4:5], vcc
	s_xor_b64 s[24:25], exec, s[4:5]
	s_cbranch_execz .LBB75_269
; %bb.236:                              ;   in Loop: Header=BB75_233 Depth=1
	v_max_f32_e64 v7, |v11|, |v11|
	v_max_f32_e64 v6, |v10|, |v10|
	v_max_f32_e32 v7, v6, v7
	v_cmp_nlt_f32_e32 vcc, s38, v7
                                        ; implicit-def: $vgpr7
	s_and_saveexec_b64 s[4:5], vcc
	s_xor_b64 s[26:27], exec, s[4:5]
	s_cbranch_execz .LBB75_254
; %bb.237:                              ;   in Loop: Header=BB75_233 Depth=1
	v_cmp_nlt_f32_e64 s[4:5], |v11|, s39
	v_cmp_nlt_f32_e64 s[28:29], |v10|, s39
	s_or_b64 s[4:5], s[28:29], s[4:5]
                                        ; implicit-def: $vgpr7
	s_and_saveexec_b64 s[28:29], s[4:5]
	s_xor_b64 s[28:29], exec, s[28:29]
	s_cbranch_execz .LBB75_251
; %bb.238:                              ;   in Loop: Header=BB75_233 Depth=1
	v_cmp_neq_f32_e64 s[34:35], |v11|, 1.0
	v_cmp_nlt_f32_e64 s[30:31], |v10|, s40
	s_or_b64 s[4:5], s[30:31], s[34:35]
                                        ; implicit-def: $vgpr7
	s_and_saveexec_b64 s[36:37], s[4:5]
	s_xor_b64 s[4:5], exec, s[36:37]
	s_cbranch_execz .LBB75_240
; %bb.239:                              ;   in Loop: Header=BB75_233 Depth=1
	v_add_f32_e64 v8, |v11|, -1.0
	v_mul_f32_e32 v17, v10, v10
	v_mul_f32_e32 v9, v8, v8
	v_fmac_f32_e32 v17, v8, v8
	v_cmp_lt_f32_e64 vcc, |v10|, s41
	v_mul_f32_e64 v7, |v11|, 4.0
	v_cndmask_b32_e32 v8, v17, v9, vcc
	v_div_scale_f32 v9, s[36:37], v8, v8, v7
	v_rcp_f32_e32 v17, v9
	v_fma_f32 v19, -v9, v17, 1.0
	v_fmac_f32_e32 v17, v19, v17
	v_div_scale_f32 v19, vcc, v7, v8, v7
	v_mul_f32_e32 v40, v19, v17
	v_fma_f32 v41, -v9, v40, v19
	v_fmac_f32_e32 v40, v41, v17
	v_fma_f32 v9, -v9, v40, v19
	v_div_fmas_f32 v9, v9, v17, v40
	v_div_fixup_f32 v8, v9, v8, v7
	v_add_f32_e32 v41, 1.0, v8
	v_add_f32_e32 v9, -1.0, v41
	v_mov_b32_e32 v40, v9
	v_pk_add_f32 v[42:43], v[8:9], v[40:41] neg_lo:[0,1] neg_hi:[0,1]
	v_add_f32_e32 v7, 1.0, v43
	v_add_f32_e32 v7, v42, v7
	v_frexp_mant_f32_e32 v9, v41
	v_cvt_f64_f32_e32 v[42:43], v41
	v_frexp_exp_i32_f64_e32 v17, v[42:43]
	v_cmp_gt_f32_e32 vcc, s42, v9
	v_subbrev_co_u32_e32 v9, vcc, 0, v17, vcc
	v_sub_u32_e32 v17, 0, v9
	v_ldexp_f32 v19, v41, v17
	v_ldexp_f32 v7, v7, v17
	v_add_f32_e32 v17, -1.0, v19
	v_add_f32_e32 v41, 1.0, v19
	v_add_f32_e32 v40, 1.0, v17
	v_add_f32_e32 v42, -1.0, v41
	v_sub_f32_e32 v40, v19, v40
	v_sub_f32_e32 v19, v19, v42
	v_add_f32_e32 v40, v7, v40
	v_add_f32_e32 v7, v7, v19
	;; [unrolled: 1-line block ×3, first 2 shown]
	v_rcp_f32_e32 v48, v19
	v_sub_f32_e32 v41, v19, v41
	v_sub_f32_e32 v7, v7, v41
	v_add_f32_e32 v41, v17, v40
	v_mul_f32_e32 v49, v41, v48
	v_mul_f32_e32 v42, v19, v49
	v_fma_f32 v44, v49, v19, -v42
	v_sub_f32_e32 v17, v41, v17
	v_fmac_f32_e32 v44, v49, v7
	v_sub_f32_e32 v17, v40, v17
	v_add_f32_e32 v40, v42, v44
	v_sub_f32_e32 v43, v41, v40
	v_pk_add_f32 v[46:47], v[40:41], v[42:43] neg_lo:[0,1] neg_hi:[0,1]
	v_mov_b32_e32 v45, v40
	v_pk_add_f32 v[40:41], v[46:47], v[44:45] neg_lo:[0,1] neg_hi:[0,1]
	v_add_f32_e32 v17, v17, v41
	v_add_f32_e32 v17, v40, v17
	;; [unrolled: 1-line block ×3, first 2 shown]
	v_mul_f32_e32 v50, v48, v41
	v_mul_f32_e32 v42, v19, v50
	v_fma_f32 v44, v50, v19, -v42
	v_fmac_f32_e32 v44, v50, v7
	v_add_f32_e32 v40, v42, v44
	v_sub_f32_e32 v7, v43, v41
	v_sub_f32_e32 v43, v41, v40
	v_pk_add_f32 v[46:47], v[40:41], v[42:43] neg_lo:[0,1] neg_hi:[0,1]
	v_mov_b32_e32 v45, v40
	v_add_f32_e32 v7, v17, v7
	v_pk_add_f32 v[40:41], v[46:47], v[44:45] neg_lo:[0,1] neg_hi:[0,1]
	v_add_f32_e32 v7, v7, v41
	v_add_f32_e32 v7, v40, v7
	;; [unrolled: 1-line block ×4, first 2 shown]
	v_sub_f32_e32 v17, v19, v49
	v_mul_f32_e32 v7, v48, v7
	v_sub_f32_e32 v17, v50, v17
	v_add_f32_e32 v7, v17, v7
	v_add_f32_e32 v41, v19, v7
	v_cvt_f32_i32_e32 v40, v9
	v_mul_f32_e32 v42, v41, v41
	v_mov_b32_e32 v17, 0x3ecc95a3
	v_fmac_f32_e32 v17, 0x3e9b6dac, v42
	v_fma_f32 v17, v42, v17, v24
	v_sub_f32_e32 v9, v41, v19
	v_ldexp_f32 v43, v41, 1
	v_mul_f32_e32 v41, v41, v42
	v_pk_mul_f32 v[44:45], v[40:41], v[16:17]
	v_fma_f32 v42, v40, s43, -v44
	v_fmac_f32_e32 v42, 0xb102e308, v40
	v_pk_add_f32 v[40:41], v[44:45], v[42:43]
	v_sub_f32_e32 v7, v7, v9
	v_sub_f32_e32 v9, v41, v43
	v_ldexp_f32 v7, v7, 1
	v_sub_f32_e32 v9, v45, v9
	v_add_f32_e32 v47, v7, v9
	v_mov_b32_e32 v46, v44
	v_pk_add_f32 v[44:45], v[40:41], v[44:45] neg_lo:[0,1] neg_hi:[0,1]
	v_pk_add_f32 v[48:49], v[40:41], v[46:47]
	v_mov_b32_e32 v45, v49
	v_mov_b32_e32 v43, v40
	v_pk_add_f32 v[50:51], v[42:43], v[44:45] neg_lo:[0,1] neg_hi:[0,1]
	v_pk_add_f32 v[42:43], v[42:43], v[44:45]
	v_mov_b32_e32 v44, v43
	v_pk_add_f32 v[52:53], v[44:45], v[40:41] neg_lo:[0,1] neg_hi:[0,1]
	v_mov_b32_e32 v7, v52
	v_pk_add_f32 v[54:55], v[48:49], v[6:7] neg_lo:[0,1] neg_hi:[0,1]
	v_mov_b32_e32 v42, v49
	v_mov_b32_e32 v48, v41
	;; [unrolled: 1-line block ×4, first 2 shown]
	v_pk_add_f32 v[42:43], v[42:43], v[48:49] neg_lo:[0,1] neg_hi:[0,1]
	v_mov_b32_e32 v46, v47
	v_mov_b32_e32 v47, v40
	v_pk_add_f32 v[40:41], v[46:47], v[42:43] neg_lo:[0,1] neg_hi:[0,1]
	v_mov_b32_e32 v54, v50
	v_pk_add_f32 v[42:43], v[54:55], v[40:41]
	v_mov_b32_e32 v46, v43
	v_pk_add_f32 v[46:47], v[42:43], v[46:47]
	v_pk_add_f32 v[44:45], v[44:45], v[46:47]
	v_mov_b32_e32 v43, v44
	v_pk_add_f32 v[48:49], v[42:43], v[50:51] neg_lo:[0,1] neg_hi:[0,1]
	v_mov_b32_e32 v41, v46
	v_sub_f32_e32 v7, v42, v48
	v_pk_add_f32 v[40:41], v[40:41], v[48:49] neg_lo:[0,1] neg_hi:[0,1]
	v_sub_f32_e32 v7, v50, v7
	v_add_f32_e32 v7, v40, v7
	v_add_f32_e32 v7, v7, v41
	;; [unrolled: 1-line block ×3, first 2 shown]
	v_cmp_eq_f32_e32 vcc, s44, v8
	v_cndmask_b32_e32 v7, v7, v8, vcc
	v_cmp_ngt_f32_e32 vcc, -1.0, v8
	v_cndmask_b32_e32 v7, v32, v7, vcc
	v_cmp_neq_f32_e32 vcc, -1.0, v8
	v_cndmask_b32_e32 v7, v33, v7, vcc
	v_cmp_lt_f32_e64 vcc, |v8|, s45
	v_cndmask_b32_e32 v7, v7, v8, vcc
	v_mul_f32_e32 v7, 0x3e800000, v7
	s_andn2_saveexec_b64 s[36:37], s[4:5]
	s_cbranch_execz .LBB75_242
	s_branch .LBB75_241
.LBB75_240:                             ;   in Loop: Header=BB75_233 Depth=1
	s_andn2_saveexec_b64 s[36:37], s[4:5]
	s_cbranch_execz .LBB75_242
.LBB75_241:                             ;   in Loop: Header=BB75_233 Depth=1
	v_cmp_lt_f32_e64 vcc, |v10|, s46
	v_cndmask_b32_e32 v7, 1.0, v34, vcc
	v_mul_f32_e64 v7, |v10|, v7
	v_log_f32_e32 v7, v7
	v_mul_f32_e32 v8, 0x3f317217, v7
	v_fma_f32 v9, v7, s47, -v8
	v_fmac_f32_e32 v9, 0x3377d1cf, v7
	v_add_f32_e32 v8, v8, v9
	v_cmp_lt_f32_e64 s[4:5], |v7|, s44
	v_cndmask_b32_e64 v7, v7, v8, s[4:5]
	v_cndmask_b32_e32 v8, 0, v35, vcc
	v_sub_f32_e32 v7, v7, v8
	v_sub_f32_e32 v7, 0x3f317218, v7
	v_mul_f32_e32 v7, 0.5, v7
.LBB75_242:                             ;   in Loop: Header=BB75_233 Depth=1
	s_or_b64 exec, exec, s[36:37]
                                        ; implicit-def: $vgpr9
	s_and_saveexec_b64 s[4:5], s[34:35]
	s_xor_b64 s[34:35], exec, s[4:5]
	s_cbranch_execz .LBB75_248
; %bb.243:                              ;   in Loop: Header=BB75_233 Depth=1
	v_sub_f32_e64 v8, 1.0, |v11|
	v_add_f32_e64 v9, |v11|, 1.0
	v_add_f32_e64 v6, |v10|, |v10|
	v_mul_f32_e32 v8, v8, v9
                                        ; implicit-def: $vgpr9
	s_and_saveexec_b64 s[4:5], s[30:31]
	s_xor_b64 s[30:31], exec, s[4:5]
	s_cbranch_execz .LBB75_245
; %bb.244:                              ;   in Loop: Header=BB75_233 Depth=1
	v_fma_f32 v8, -v10, v10, v8
	v_max_f32_e64 v9, |v6|, |v6|
	v_min_f32_e64 v17, |v8|, v9
	v_max_f32_e64 v9, |v8|, v9
	v_frexp_mant_f32_e32 v19, v9
	v_rcp_f32_e32 v19, v19
	v_frexp_exp_i32_f32_e32 v9, v9
	v_frexp_exp_i32_f32_e32 v40, v17
	v_frexp_mant_f32_e32 v17, v17
	v_mul_f32_e32 v17, v17, v19
	v_sub_u32_e32 v9, v40, v9
	v_ldexp_f32 v9, v17, v9
	v_mul_f32_e32 v17, v9, v9
	v_mov_b32_e32 v19, 0xbc7a590c
	v_fmac_f32_e32 v19, 0x3b2d2a58, v17
	v_fma_f32 v19, v17, v19, v25
	v_fma_f32 v19, v17, v19, v26
	;; [unrolled: 1-line block ×6, first 2 shown]
	v_mul_f32_e32 v17, v17, v19
	v_fmac_f32_e32 v9, v9, v17
	v_sub_f32_e32 v17, 0x3fc90fdb, v9
	v_cmp_gt_f32_e64 vcc, |v6|, |v8|
	v_cndmask_b32_e32 v9, v9, v17, vcc
	v_sub_f32_e32 v17, 0x40490fdb, v9
	v_cmp_gt_f32_e32 vcc, 0, v8
	v_cmp_gt_i32_e64 s[4:5], 0, v8
	v_cndmask_b32_e32 v9, v9, v17, vcc
	v_cndmask_b32_e64 v17, 0, v36, s[4:5]
	v_cmp_eq_f32_e64 s[4:5], 0, v6
	v_cndmask_b32_e64 v9, v9, v17, s[4:5]
	v_cmp_class_f32_e64 s[4:5], v8, s48
	v_cmp_class_f32_e64 s[36:37], v6, s48
	v_cndmask_b32_e32 v17, v37, v38, vcc
	s_and_b64 vcc, s[36:37], s[4:5]
	v_cndmask_b32_e32 v9, v9, v17, vcc
	v_cmp_o_f32_e32 vcc, v8, v6
	v_cndmask_b32_e32 v8, v32, v9, vcc
	v_bfi_b32 v9, s49, v8, v6
                                        ; implicit-def: $vgpr6
                                        ; implicit-def: $vgpr8
.LBB75_245:                             ;   in Loop: Header=BB75_233 Depth=1
	s_andn2_saveexec_b64 s[30:31], s[30:31]
	s_cbranch_execz .LBB75_247
; %bb.246:                              ;   in Loop: Header=BB75_233 Depth=1
	v_max_f32_e32 v9, v6, v6
	v_max_f32_e64 v17, |v8|, |v8|
	v_min_f32_e32 v19, v17, v9
	v_max_f32_e32 v9, v17, v9
	v_frexp_mant_f32_e32 v17, v9
	v_rcp_f32_e32 v17, v17
	v_frexp_exp_i32_f32_e32 v9, v9
	v_frexp_exp_i32_f32_e32 v40, v19
	v_frexp_mant_f32_e32 v19, v19
	v_mul_f32_e32 v17, v19, v17
	v_sub_u32_e32 v9, v40, v9
	v_ldexp_f32 v9, v17, v9
	v_mul_f32_e32 v17, v9, v9
	v_mov_b32_e32 v19, 0xbc7a590c
	v_fmac_f32_e32 v19, 0x3b2d2a58, v17
	v_fma_f32 v19, v17, v19, v25
	v_fma_f32 v19, v17, v19, v26
	;; [unrolled: 1-line block ×6, first 2 shown]
	v_mul_f32_e32 v17, v17, v19
	v_fmac_f32_e32 v9, v9, v17
	v_sub_f32_e32 v17, 0x3fc90fdb, v9
	v_cmp_gt_f32_e64 vcc, v6, |v8|
	v_cndmask_b32_e32 v9, v9, v17, vcc
	v_sub_f32_e32 v17, 0x40490fdb, v9
	v_cmp_gt_f32_e32 vcc, 0, v8
	v_cmp_gt_i32_e64 s[4:5], 0, v8
	v_cndmask_b32_e32 v9, v9, v17, vcc
	v_cndmask_b32_e64 v17, 0, v36, s[4:5]
	v_cmp_eq_f32_e64 s[4:5], 0, v6
	v_cndmask_b32_e64 v9, v9, v17, s[4:5]
	v_cndmask_b32_e32 v17, v37, v38, vcc
	v_cmp_class_f32_e64 s[4:5], v8, s48
	v_cmp_eq_f32_e32 vcc, s44, v6
	s_and_b64 vcc, vcc, s[4:5]
	v_cndmask_b32_e32 v6, v9, v17, vcc
	v_cmp_o_f32_e32 vcc, v8, v8
	v_cndmask_b32_e64 v9, v32, |v6|, vcc
.LBB75_247:                             ;   in Loop: Header=BB75_233 Depth=1
	s_or_b64 exec, exec, s[30:31]
                                        ; implicit-def: $vgpr6
	s_andn2_saveexec_b64 s[4:5], s[34:35]
	s_cbranch_execnz .LBB75_249
	s_branch .LBB75_250
.LBB75_248:                             ;   in Loop: Header=BB75_233 Depth=1
	s_andn2_saveexec_b64 s[4:5], s[34:35]
	s_cbranch_execz .LBB75_250
.LBB75_249:                             ;   in Loop: Header=BB75_233 Depth=1
	v_min_f32_e32 v8, 2.0, v6
	v_max_f32_e32 v6, 2.0, v6
	v_frexp_mant_f32_e32 v9, v6
	v_rcp_f32_e32 v9, v9
	v_frexp_exp_i32_f32_e32 v6, v6
	v_frexp_exp_i32_f32_e32 v17, v8
	v_frexp_mant_f32_e32 v8, v8
	v_mul_f32_e32 v8, v8, v9
	v_sub_u32_e32 v6, v17, v6
	v_ldexp_f32 v6, v8, v6
	v_mul_f32_e32 v8, v6, v6
	v_mov_b32_e32 v9, 0xbc7a590c
	v_fmac_f32_e32 v9, 0x3b2d2a58, v8
	v_fma_f32 v9, v8, v9, v25
	v_fma_f32 v9, v8, v9, v26
	;; [unrolled: 1-line block ×6, first 2 shown]
	v_mul_f32_e32 v8, v8, v9
	v_fmac_f32_e32 v6, v6, v8
	v_sub_f32_e32 v8, 0x3fc90fdb, v6
	v_cmp_lt_f32_e64 vcc, |v10|, 2.0
	v_cndmask_b32_e32 v6, v6, v8, vcc
	v_sub_f32_e32 v8, 0x40490fdb, v6
	v_cmp_lg_f32_e32 vcc, 0, v10
	v_cndmask_b32_e32 v6, v6, v8, vcc
	v_and_b32_e32 v9, 0x7fffffff, v6
.LBB75_250:                             ;   in Loop: Header=BB75_233 Depth=1
	s_or_b64 exec, exec, s[4:5]
	v_mul_f32_e32 v6, 0.5, v9
	v_bfi_b32 v7, s49, v7, v11
	v_bfi_b32 v6, s49, v6, v10
.LBB75_251:                             ;   in Loop: Header=BB75_233 Depth=1
	s_andn2_saveexec_b64 s[4:5], s[28:29]
	s_cbranch_execz .LBB75_253
; %bb.252:                              ;   in Loop: Header=BB75_233 Depth=1
	v_pk_mov_b32 v[6:7], s[10:11], s[10:11] op_sel:[0,1]
	flat_store_dword v[6:7], v31
	s_waitcnt vmcnt(0)
	flat_load_dword v6, v[6:7] glc
	s_waitcnt vmcnt(0) lgkmcnt(0)
	v_add_f32_e32 v8, 1.0, v6
	v_pk_mov_b32 v[6:7], s[12:13], s[12:13] op_sel:[0,1]
	flat_store_dword v[6:7], v8
	s_waitcnt vmcnt(0)
	flat_load_dword v6, v[6:7] glc
	s_waitcnt vmcnt(0)
	v_mov_b32_e32 v7, v11
	s_waitcnt lgkmcnt(0)
	v_mov_b32_e32 v6, v10
.LBB75_253:                             ;   in Loop: Header=BB75_233 Depth=1
	s_or_b64 exec, exec, s[4:5]
.LBB75_254:                             ;   in Loop: Header=BB75_233 Depth=1
	s_andn2_saveexec_b64 s[4:5], s[26:27]
	s_cbranch_execz .LBB75_268
; %bb.255:                              ;   in Loop: Header=BB75_233 Depth=1
	v_and_b32_e32 v8, 0x7f800000, v10
	v_and_b32_e32 v6, 0x7f800000, v11
	v_sub_u32_e32 v7, v6, v8
	v_cmp_gt_i32_e32 vcc, s50, v7
	v_cmp_neq_f32_e64 s[26:27], |v11|, s44
	s_and_b64 s[26:27], s[26:27], vcc
                                        ; implicit-def: $vgpr7
	s_and_saveexec_b64 s[28:29], s[26:27]
	s_xor_b64 s[26:27], exec, s[28:29]
	s_cbranch_execz .LBB75_265
; %bb.256:                              ;   in Loop: Header=BB75_233 Depth=1
	v_sub_u32_e32 v7, v8, v6
	v_cmp_gt_i32_e32 vcc, s50, v7
                                        ; implicit-def: $vgpr7
	s_and_saveexec_b64 s[28:29], vcc
	s_xor_b64 s[28:29], exec, s[28:29]
	s_cbranch_execz .LBB75_262
; %bb.257:                              ;   in Loop: Header=BB75_233 Depth=1
	v_cmp_lt_u32_e32 vcc, s51, v6
                                        ; implicit-def: $vgpr7
	s_and_saveexec_b64 s[30:31], vcc
	s_xor_b64 s[30:31], exec, s[30:31]
	s_cbranch_execz .LBB75_259
; %bb.258:                              ;   in Loop: Header=BB75_233 Depth=1
	v_sub_u32_e32 v6, 0x7f800000, v6
	v_mul_f32_e32 v8, v10, v6
	v_mul_f32_e32 v7, v11, v6
	;; [unrolled: 1-line block ×3, first 2 shown]
	v_fmac_f32_e32 v8, v7, v7
	v_div_scale_f32 v9, s[34:35], v8, v8, v7
	v_rcp_f32_e32 v17, v9
	v_fma_f32 v19, -v9, v17, 1.0
	v_fmac_f32_e32 v17, v19, v17
	v_div_scale_f32 v19, vcc, v7, v8, v7
	v_mul_f32_e32 v40, v19, v17
	v_fma_f32 v41, -v9, v40, v19
	v_fmac_f32_e32 v40, v41, v17
	v_fma_f32 v9, -v9, v40, v19
	v_div_fmas_f32 v9, v9, v17, v40
	v_div_fixup_f32 v7, v9, v8, v7
	v_mul_f32_e32 v7, v7, v6
.LBB75_259:                             ;   in Loop: Header=BB75_233 Depth=1
	s_andn2_saveexec_b64 s[30:31], s[30:31]
	s_cbranch_execz .LBB75_261
; %bb.260:                              ;   in Loop: Header=BB75_233 Depth=1
	v_pk_mul_f32 v[6:7], v[10:11], v[10:11]
	v_add_f32_e32 v6, v6, v7
	v_div_scale_f32 v7, s[34:35], v6, v6, v11
	v_rcp_f32_e32 v8, v7
	v_div_scale_f32 v9, vcc, v11, v6, v11
	v_fma_f32 v17, -v7, v8, 1.0
	v_fmac_f32_e32 v8, v17, v8
	v_mul_f32_e32 v17, v9, v8
	v_fma_f32 v19, -v7, v17, v9
	v_fmac_f32_e32 v17, v19, v8
	v_fma_f32 v7, -v7, v17, v9
	v_div_fmas_f32 v7, v7, v8, v17
	v_div_fixup_f32 v7, v7, v6, v11
.LBB75_261:                             ;   in Loop: Header=BB75_233 Depth=1
	s_or_b64 exec, exec, s[30:31]
.LBB75_262:                             ;   in Loop: Header=BB75_233 Depth=1
	s_andn2_saveexec_b64 s[28:29], s[28:29]
	s_cbranch_execz .LBB75_264
; %bb.263:                              ;   in Loop: Header=BB75_233 Depth=1
	v_div_scale_f32 v6, s[30:31], v10, v10, v11
	v_rcp_f32_e32 v7, v6
	v_div_scale_f32 v8, vcc, v11, v10, v11
	v_fma_f32 v9, -v6, v7, 1.0
	v_fmac_f32_e32 v7, v9, v7
	v_mul_f32_e32 v9, v8, v7
	v_fma_f32 v17, -v6, v9, v8
	v_fmac_f32_e32 v9, v17, v7
	v_fma_f32 v6, -v6, v9, v8
	v_div_fmas_f32 v6, v6, v7, v9
	v_div_fixup_f32 v6, v6, v10, v11
	v_div_scale_f32 v7, s[30:31], v10, v10, v6
	v_rcp_f32_e32 v8, v7
	v_fma_f32 v9, -v7, v8, 1.0
	v_fmac_f32_e32 v8, v9, v8
	v_div_scale_f32 v9, vcc, v6, v10, v6
	v_mul_f32_e32 v17, v9, v8
	v_fma_f32 v19, -v7, v17, v9
	v_fmac_f32_e32 v17, v19, v8
	v_fma_f32 v7, -v7, v17, v9
	v_div_fmas_f32 v7, v7, v8, v17
	v_div_fixup_f32 v7, v7, v10, v6
.LBB75_264:                             ;   in Loop: Header=BB75_233 Depth=1
	s_or_b64 exec, exec, s[28:29]
.LBB75_265:                             ;   in Loop: Header=BB75_233 Depth=1
	s_andn2_saveexec_b64 s[26:27], s[26:27]
; %bb.266:                              ;   in Loop: Header=BB75_233 Depth=1
	v_div_scale_f32 v6, s[28:29], v11, v11, 1.0
	v_rcp_f32_e32 v7, v6
	v_div_scale_f32 v8, vcc, 1.0, v11, 1.0
	v_fma_f32 v9, -v6, v7, 1.0
	v_fmac_f32_e32 v7, v9, v7
	v_mul_f32_e32 v9, v8, v7
	v_fma_f32 v17, -v6, v9, v8
	v_fmac_f32_e32 v9, v17, v7
	v_fma_f32 v6, -v6, v9, v8
	v_div_fmas_f32 v6, v6, v7, v9
	v_div_fixup_f32 v7, v6, v11, 1.0
; %bb.267:                              ;   in Loop: Header=BB75_233 Depth=1
	s_or_b64 exec, exec, s[26:27]
	v_pk_mov_b32 v[8:9], s[8:9], s[8:9] op_sel:[0,1]
	flat_load_dword v6, v[8:9] glc
	s_waitcnt vmcnt(0) lgkmcnt(0)
	v_add_f32_e32 v6, 0x3fc90fdb, v6
	v_bfi_b32 v6, s49, v6, v10
.LBB75_268:                             ;   in Loop: Header=BB75_233 Depth=1
	s_or_b64 exec, exec, s[4:5]
.LBB75_269:                             ;   in Loop: Header=BB75_233 Depth=1
	s_andn2_saveexec_b64 s[4:5], s[24:25]
	s_cbranch_execz .LBB75_279
; %bb.270:                              ;   in Loop: Header=BB75_233 Depth=1
	v_cmp_neq_f32_e64 s[24:25], |v11|, s44
                                        ; implicit-def: $vgpr7
	s_and_saveexec_b64 s[26:27], s[24:25]
	s_xor_b64 s[24:25], exec, s[26:27]
	s_cbranch_execz .LBB75_276
; %bb.271:                              ;   in Loop: Header=BB75_233 Depth=1
	v_cmp_neq_f32_e64 s[26:27], |v10|, s44
                                        ; implicit-def: $vgpr7
	s_and_saveexec_b64 s[28:29], s[26:27]
	s_xor_b64 s[26:27], exec, s[28:29]
; %bb.272:                              ;   in Loop: Header=BB75_233 Depth=1
	v_add_f32_e32 v6, 0, v10
	v_add_f32_e32 v7, v6, v11
; %bb.273:                              ;   in Loop: Header=BB75_233 Depth=1
	s_or_saveexec_b64 s[26:27], s[26:27]
	v_mov_b32_e32 v6, v7
	s_xor_b64 exec, exec, s[26:27]
	s_cbranch_execz .LBB75_275
; %bb.274:                              ;   in Loop: Header=BB75_233 Depth=1
	v_pk_mov_b32 v[6:7], s[8:9], s[8:9] op_sel:[0,1]
	flat_load_dword v6, v[6:7] glc
	s_waitcnt vmcnt(0)
	v_bfi_b32 v7, s49, 0, v11
	s_waitcnt lgkmcnt(0)
	v_add_f32_e32 v6, 0x3fc90fdb, v6
	v_bfi_b32 v6, s49, v6, v10
.LBB75_275:                             ;   in Loop: Header=BB75_233 Depth=1
	s_or_b64 exec, exec, s[26:27]
.LBB75_276:                             ;   in Loop: Header=BB75_233 Depth=1
	s_andn2_saveexec_b64 s[24:25], s[24:25]
; %bb.277:                              ;   in Loop: Header=BB75_233 Depth=1
	v_bfi_b32 v7, s49, 0, v11
	v_add_f32_e32 v6, v10, v10
; %bb.278:                              ;   in Loop: Header=BB75_233 Depth=1
	s_or_b64 exec, exec, s[24:25]
.LBB75_279:                             ;   in Loop: Header=BB75_233 Depth=1
	s_or_b64 exec, exec, s[4:5]
.LBB75_280:                             ;   in Loop: Header=BB75_233 Depth=1
	s_andn2_saveexec_b64 s[4:5], s[22:23]
	s_cbranch_execz .LBB75_282
; %bb.281:                              ;   in Loop: Header=BB75_233 Depth=1
	v_rcp_f32_e64 v6, |v10|
	v_cmp_gt_f32_e64 vcc, |v10|, 1.0
	v_mov_b32_e32 v7, 0xbc7a590c
	v_cndmask_b32_e64 v6, |v10|, v6, vcc
	v_mul_f32_e32 v8, v6, v6
	v_fmac_f32_e32 v7, 0x3b2d2a58, v8
	v_fma_f32 v7, v8, v7, v25
	v_fma_f32 v7, v8, v7, v26
	;; [unrolled: 1-line block ×6, first 2 shown]
	v_mul_f32_e32 v7, v8, v7
	v_fmac_f32_e32 v6, v6, v7
	v_sub_f32_e32 v7, 0x3fc90fdb, v6
	v_cndmask_b32_e32 v6, v6, v7, vcc
	v_bfi_b32 v6, s49, v6, v10
	v_mov_b32_e32 v7, v11
.LBB75_282:                             ;   in Loop: Header=BB75_233 Depth=1
	s_or_b64 exec, exec, s[4:5]
.LBB75_283:                             ;   in Loop: Header=BB75_233 Depth=1
	s_andn2_saveexec_b64 s[4:5], s[20:21]
	s_cbranch_execz .LBB75_285
; %bb.284:                              ;   in Loop: Header=BB75_233 Depth=1
	v_sub_f32_e64 v7, 1.0, |v11|
	v_rcp_f32_e32 v17, v7
	v_add_f32_e64 v8, |v11|, 1.0
	v_sub_f32_e32 v9, 1.0, v7
	v_sub_f32_e64 v40, v9, |v11|
	v_mul_f32_e32 v42, v8, v17
	v_mul_f32_e32 v9, v7, v42
	v_fma_f32 v19, v42, v7, -v9
	v_fmac_f32_e32 v19, v42, v40
	v_pk_add_f32 v[40:41], v[8:9], v[18:19]
	v_sub_f32_e32 v43, v8, v41
	v_and_b32_e32 v6, 0x7fffffff, v11
	v_sub_f32_e32 v9, v41, v9
	v_sub_f32_e32 v7, v8, v43
	v_pk_add_f32 v[6:7], v[6:7], v[40:41] neg_lo:[0,1] neg_hi:[0,1]
	v_sub_f32_e32 v8, v9, v19
	v_add_f32_e32 v7, v8, v7
	v_add_f32_e32 v6, v6, v7
	;; [unrolled: 1-line block ×3, first 2 shown]
	v_mul_f32_e32 v6, v17, v6
	v_add_f32_e32 v8, v42, v6
	v_sub_f32_e32 v7, v8, v42
	v_sub_f32_e32 v9, v6, v7
	v_frexp_mant_f32_e32 v17, v8
	v_cvt_f64_f32_e32 v[6:7], v8
	v_frexp_exp_i32_f64_e32 v6, v[6:7]
	v_cmp_gt_f32_e32 vcc, s42, v17
	v_subbrev_co_u32_e32 v19, vcc, 0, v6, vcc
	v_sub_u32_e32 v6, 0, v19
	v_ldexp_f32 v7, v8, v6
	v_add_f32_e32 v8, -1.0, v7
	v_add_f32_e32 v17, 1.0, v7
	v_ldexp_f32 v6, v9, v6
	v_add_f32_e32 v9, 1.0, v8
	v_add_f32_e32 v40, -1.0, v17
	v_sub_f32_e32 v9, v7, v9
	v_sub_f32_e32 v7, v7, v40
	v_add_f32_e32 v9, v6, v9
	v_add_f32_e32 v6, v6, v7
	;; [unrolled: 1-line block ×3, first 2 shown]
	v_rcp_f32_e32 v45, v44
	v_sub_f32_e32 v7, v44, v17
	v_sub_f32_e32 v17, v6, v7
	v_add_f32_e32 v7, v8, v9
	v_mul_f32_e32 v47, v7, v45
	v_sub_f32_e32 v6, v7, v8
	v_mul_f32_e32 v8, v44, v47
	v_fma_f32 v40, v47, v44, -v8
	v_fmac_f32_e32 v40, v47, v17
	v_sub_f32_e32 v46, v9, v6
	v_add_f32_e32 v6, v8, v40
	v_sub_f32_e32 v9, v7, v6
	v_pk_add_f32 v[42:43], v[6:7], v[8:9] neg_lo:[0,1] neg_hi:[0,1]
	v_mov_b32_e32 v41, v6
	v_pk_add_f32 v[6:7], v[42:43], v[40:41] neg_lo:[0,1] neg_hi:[0,1]
	v_add_f32_e32 v7, v46, v7
	v_add_f32_e32 v6, v6, v7
	;; [unrolled: 1-line block ×3, first 2 shown]
	v_mul_f32_e32 v46, v45, v7
	v_mul_f32_e32 v8, v44, v46
	v_fma_f32 v40, v46, v44, -v8
	v_fmac_f32_e32 v40, v46, v17
	v_sub_f32_e32 v9, v9, v7
	v_add_f32_e32 v17, v6, v9
	v_add_f32_e32 v6, v8, v40
	v_sub_f32_e32 v9, v7, v6
	v_pk_add_f32 v[42:43], v[6:7], v[8:9] neg_lo:[0,1] neg_hi:[0,1]
	v_mov_b32_e32 v41, v6
	v_pk_add_f32 v[6:7], v[42:43], v[40:41] neg_lo:[0,1] neg_hi:[0,1]
	v_add_f32_e32 v7, v17, v7
	v_add_f32_e32 v6, v6, v7
	;; [unrolled: 1-line block ×4, first 2 shown]
	v_sub_f32_e32 v8, v7, v47
	v_mul_f32_e32 v6, v45, v6
	v_sub_f32_e32 v8, v46, v8
	v_add_f32_e32 v8, v8, v6
	v_add_f32_e32 v40, v7, v8
	v_mul_f32_e32 v41, v40, v40
	v_mov_b32_e32 v6, 0x3ecc95a3
	v_fmac_f32_e32 v6, 0x3e9b6dac, v41
	v_fma_f32 v17, v41, v6, v24
	v_cvt_f32_i32_e32 v6, v19
	v_sub_f32_e32 v7, v40, v7
	v_sub_f32_e32 v7, v8, v7
	v_ldexp_f32 v19, v7, 1
	v_mul_f32_e32 v7, v40, v41
	v_ldexp_f32 v9, v40, 1
	v_pk_mul_f32 v[40:41], v[6:7], v[16:17]
	v_fma_f32 v8, v6, s43, -v40
	v_fmac_f32_e32 v8, 0xb102e308, v6
	v_pk_add_f32 v[6:7], v[40:41], v[8:9]
	v_sub_f32_e32 v9, v7, v9
	v_sub_f32_e32 v9, v41, v9
	v_add_f32_e32 v43, v19, v9
	v_mov_b32_e32 v42, v40
	v_pk_add_f32 v[40:41], v[6:7], v[40:41] neg_lo:[0,1] neg_hi:[0,1]
	v_pk_add_f32 v[44:45], v[6:7], v[42:43]
	v_mov_b32_e32 v41, v45
	v_mov_b32_e32 v9, v6
	v_pk_add_f32 v[46:47], v[8:9], v[40:41] neg_lo:[0,1] neg_hi:[0,1]
	v_pk_add_f32 v[8:9], v[8:9], v[40:41]
	v_mov_b32_e32 v40, v9
	v_pk_add_f32 v[48:49], v[40:41], v[6:7] neg_lo:[0,1] neg_hi:[0,1]
	v_mov_b32_e32 v17, v48
	v_pk_add_f32 v[50:51], v[44:45], v[16:17] neg_lo:[0,1] neg_hi:[0,1]
	v_mov_b32_e32 v8, v45
	v_mov_b32_e32 v44, v7
	;; [unrolled: 1-line block ×4, first 2 shown]
	v_pk_add_f32 v[8:9], v[8:9], v[44:45] neg_lo:[0,1] neg_hi:[0,1]
	v_mov_b32_e32 v42, v43
	v_mov_b32_e32 v43, v6
	v_pk_add_f32 v[6:7], v[42:43], v[8:9] neg_lo:[0,1] neg_hi:[0,1]
	v_mov_b32_e32 v50, v46
	v_pk_add_f32 v[8:9], v[50:51], v[6:7]
	v_mov_b32_e32 v42, v9
	v_pk_add_f32 v[42:43], v[8:9], v[42:43]
	v_pk_add_f32 v[40:41], v[40:41], v[42:43]
	v_mov_b32_e32 v9, v40
	v_pk_add_f32 v[44:45], v[8:9], v[46:47] neg_lo:[0,1] neg_hi:[0,1]
	v_mov_b32_e32 v7, v42
	v_sub_f32_e32 v8, v8, v44
	v_pk_add_f32 v[6:7], v[6:7], v[44:45] neg_lo:[0,1] neg_hi:[0,1]
	v_sub_f32_e32 v8, v46, v8
	v_add_f32_e32 v6, v6, v8
	v_add_f32_e32 v6, v6, v7
	;; [unrolled: 1-line block ×3, first 2 shown]
	v_mul_f32_e32 v6, 0.5, v6
	v_cmp_lt_f32_e64 s[20:21], |v11|, s52
	v_cndmask_b32_e64 v6, v6, |v11|, s[20:21]
	v_cmp_ngt_f32_e64 vcc, |v11|, 1.0
	v_cndmask_b32_e32 v6, v32, v6, vcc
	v_cmp_neq_f32_e64 vcc, |v11|, 1.0
	v_cndmask_b32_e32 v6, v39, v6, vcc
	v_bfi_b32 v7, s49, v6, v11
	v_mov_b32_e32 v6, v10
.LBB75_285:                             ;   in Loop: Header=BB75_233 Depth=1
	s_or_b64 exec, exec, s[4:5]
	v_cmp_neq_f32_e32 vcc, 0, v12
	v_cmp_nle_f32_e64 s[4:5], |v13|, 1.0
	v_pk_mov_b32 v[8:9], s[8:9], s[8:9] op_sel:[0,1]
	s_or_b64 s[4:5], vcc, s[4:5]
	flat_store_dword v[8:9], v23
	s_waitcnt vmcnt(0)
	s_and_saveexec_b64 s[20:21], s[4:5]
	s_xor_b64 s[20:21], exec, s[20:21]
	s_cbranch_execz .LBB75_335
; %bb.286:                              ;   in Loop: Header=BB75_233 Depth=1
	v_cmp_neq_f32_e32 vcc, 0, v13
	s_and_saveexec_b64 s[4:5], vcc
	s_xor_b64 s[22:23], exec, s[4:5]
	s_cbranch_execz .LBB75_332
; %bb.287:                              ;   in Loop: Header=BB75_233 Depth=1
	v_cmp_o_f32_e32 vcc, v13, v12
	s_and_saveexec_b64 s[4:5], vcc
	s_xor_b64 s[24:25], exec, s[4:5]
	s_cbranch_execz .LBB75_321
; %bb.288:                              ;   in Loop: Header=BB75_233 Depth=1
	v_max_f32_e64 v9, |v13|, |v13|
	v_max_f32_e64 v8, |v12|, |v12|
	v_max_f32_e32 v9, v8, v9
	v_cmp_nlt_f32_e32 vcc, s38, v9
	s_and_saveexec_b64 s[4:5], vcc
	s_xor_b64 s[26:27], exec, s[4:5]
	s_cbranch_execz .LBB75_306
; %bb.289:                              ;   in Loop: Header=BB75_233 Depth=1
	v_cmp_nlt_f32_e64 s[4:5], |v13|, s39
	v_cmp_nlt_f32_e64 s[28:29], |v12|, s39
	s_or_b64 s[4:5], s[28:29], s[4:5]
	s_and_saveexec_b64 s[28:29], s[4:5]
	s_xor_b64 s[28:29], exec, s[28:29]
	s_cbranch_execz .LBB75_303
; %bb.290:                              ;   in Loop: Header=BB75_233 Depth=1
	v_cmp_neq_f32_e64 s[34:35], |v13|, 1.0
	v_cmp_nlt_f32_e64 s[30:31], |v12|, s40
	s_or_b64 s[4:5], s[30:31], s[34:35]
                                        ; implicit-def: $vgpr9
	s_and_saveexec_b64 s[36:37], s[4:5]
	s_xor_b64 s[4:5], exec, s[36:37]
	s_cbranch_execz .LBB75_292
; %bb.291:                              ;   in Loop: Header=BB75_233 Depth=1
	v_add_f32_e64 v10, |v13|, -1.0
	v_mul_f32_e32 v17, v12, v12
	v_mul_f32_e32 v11, v10, v10
	v_fmac_f32_e32 v17, v10, v10
	v_cmp_lt_f32_e64 vcc, |v12|, s41
	v_mul_f32_e64 v9, |v13|, 4.0
	v_cndmask_b32_e32 v10, v17, v11, vcc
	v_div_scale_f32 v11, s[36:37], v10, v10, v9
	v_rcp_f32_e32 v17, v11
	v_fma_f32 v19, -v11, v17, 1.0
	v_fmac_f32_e32 v17, v19, v17
	v_div_scale_f32 v19, vcc, v9, v10, v9
	v_mul_f32_e32 v40, v19, v17
	v_fma_f32 v41, -v11, v40, v19
	v_fmac_f32_e32 v40, v41, v17
	v_fma_f32 v11, -v11, v40, v19
	v_div_fmas_f32 v11, v11, v17, v40
	v_div_fixup_f32 v10, v11, v10, v9
	v_add_f32_e32 v41, 1.0, v10
	v_add_f32_e32 v11, -1.0, v41
	v_mov_b32_e32 v40, v11
	v_pk_add_f32 v[42:43], v[10:11], v[40:41] neg_lo:[0,1] neg_hi:[0,1]
	v_add_f32_e32 v9, 1.0, v43
	v_add_f32_e32 v9, v42, v9
	v_frexp_mant_f32_e32 v11, v41
	v_cvt_f64_f32_e32 v[42:43], v41
	v_frexp_exp_i32_f64_e32 v17, v[42:43]
	v_cmp_gt_f32_e32 vcc, s42, v11
	v_subbrev_co_u32_e32 v11, vcc, 0, v17, vcc
	v_sub_u32_e32 v17, 0, v11
	v_ldexp_f32 v19, v41, v17
	v_ldexp_f32 v9, v9, v17
	v_add_f32_e32 v17, -1.0, v19
	v_add_f32_e32 v41, 1.0, v19
	v_add_f32_e32 v40, 1.0, v17
	v_add_f32_e32 v42, -1.0, v41
	v_sub_f32_e32 v40, v19, v40
	v_sub_f32_e32 v19, v19, v42
	v_add_f32_e32 v40, v9, v40
	v_add_f32_e32 v9, v9, v19
	;; [unrolled: 1-line block ×3, first 2 shown]
	v_rcp_f32_e32 v48, v19
	v_sub_f32_e32 v41, v19, v41
	v_sub_f32_e32 v9, v9, v41
	v_add_f32_e32 v41, v17, v40
	v_mul_f32_e32 v49, v41, v48
	v_mul_f32_e32 v42, v19, v49
	v_fma_f32 v44, v49, v19, -v42
	v_sub_f32_e32 v17, v41, v17
	v_fmac_f32_e32 v44, v49, v9
	v_sub_f32_e32 v17, v40, v17
	v_add_f32_e32 v40, v42, v44
	v_sub_f32_e32 v43, v41, v40
	v_pk_add_f32 v[46:47], v[40:41], v[42:43] neg_lo:[0,1] neg_hi:[0,1]
	v_mov_b32_e32 v45, v40
	v_pk_add_f32 v[40:41], v[46:47], v[44:45] neg_lo:[0,1] neg_hi:[0,1]
	v_add_f32_e32 v17, v17, v41
	v_add_f32_e32 v17, v40, v17
	;; [unrolled: 1-line block ×3, first 2 shown]
	v_mul_f32_e32 v50, v48, v41
	v_mul_f32_e32 v42, v19, v50
	v_fma_f32 v44, v50, v19, -v42
	v_fmac_f32_e32 v44, v50, v9
	v_add_f32_e32 v40, v42, v44
	v_sub_f32_e32 v9, v43, v41
	v_sub_f32_e32 v43, v41, v40
	v_pk_add_f32 v[46:47], v[40:41], v[42:43] neg_lo:[0,1] neg_hi:[0,1]
	v_mov_b32_e32 v45, v40
	v_add_f32_e32 v9, v17, v9
	v_pk_add_f32 v[40:41], v[46:47], v[44:45] neg_lo:[0,1] neg_hi:[0,1]
	v_add_f32_e32 v9, v9, v41
	v_add_f32_e32 v9, v40, v9
	;; [unrolled: 1-line block ×4, first 2 shown]
	v_sub_f32_e32 v17, v19, v49
	v_mul_f32_e32 v9, v48, v9
	v_sub_f32_e32 v17, v50, v17
	v_add_f32_e32 v9, v17, v9
	v_add_f32_e32 v41, v19, v9
	v_cvt_f32_i32_e32 v40, v11
	v_mul_f32_e32 v42, v41, v41
	v_mov_b32_e32 v17, 0x3ecc95a3
	v_fmac_f32_e32 v17, 0x3e9b6dac, v42
	v_fma_f32 v17, v42, v17, v24
	v_sub_f32_e32 v11, v41, v19
	v_ldexp_f32 v43, v41, 1
	v_mul_f32_e32 v41, v41, v42
	v_pk_mul_f32 v[44:45], v[40:41], v[16:17]
	v_fma_f32 v42, v40, s43, -v44
	v_fmac_f32_e32 v42, 0xb102e308, v40
	v_pk_add_f32 v[40:41], v[44:45], v[42:43]
	v_sub_f32_e32 v9, v9, v11
	v_sub_f32_e32 v11, v41, v43
	v_ldexp_f32 v9, v9, 1
	v_sub_f32_e32 v11, v45, v11
	v_add_f32_e32 v47, v9, v11
	v_mov_b32_e32 v46, v44
	v_pk_add_f32 v[44:45], v[40:41], v[44:45] neg_lo:[0,1] neg_hi:[0,1]
	v_pk_add_f32 v[48:49], v[40:41], v[46:47]
	v_mov_b32_e32 v45, v49
	v_mov_b32_e32 v43, v40
	v_pk_add_f32 v[50:51], v[42:43], v[44:45] neg_lo:[0,1] neg_hi:[0,1]
	v_pk_add_f32 v[42:43], v[42:43], v[44:45]
	v_mov_b32_e32 v44, v43
	v_pk_add_f32 v[52:53], v[44:45], v[40:41] neg_lo:[0,1] neg_hi:[0,1]
	v_mov_b32_e32 v9, v52
	v_pk_add_f32 v[54:55], v[48:49], v[8:9] neg_lo:[0,1] neg_hi:[0,1]
	v_mov_b32_e32 v42, v49
	v_mov_b32_e32 v48, v41
	;; [unrolled: 1-line block ×4, first 2 shown]
	v_pk_add_f32 v[42:43], v[42:43], v[48:49] neg_lo:[0,1] neg_hi:[0,1]
	v_mov_b32_e32 v46, v47
	v_mov_b32_e32 v47, v40
	v_pk_add_f32 v[40:41], v[46:47], v[42:43] neg_lo:[0,1] neg_hi:[0,1]
	v_mov_b32_e32 v54, v50
	v_pk_add_f32 v[42:43], v[54:55], v[40:41]
	v_mov_b32_e32 v46, v43
	v_pk_add_f32 v[46:47], v[42:43], v[46:47]
	v_pk_add_f32 v[44:45], v[44:45], v[46:47]
	v_mov_b32_e32 v43, v44
	v_pk_add_f32 v[48:49], v[42:43], v[50:51] neg_lo:[0,1] neg_hi:[0,1]
	v_mov_b32_e32 v41, v46
	v_sub_f32_e32 v9, v42, v48
	v_pk_add_f32 v[40:41], v[40:41], v[48:49] neg_lo:[0,1] neg_hi:[0,1]
	v_sub_f32_e32 v9, v50, v9
	v_add_f32_e32 v9, v40, v9
	v_add_f32_e32 v9, v9, v41
	v_add_f32_e32 v9, v44, v9
	v_cmp_eq_f32_e32 vcc, s44, v10
	v_cndmask_b32_e32 v9, v9, v10, vcc
	v_cmp_ngt_f32_e32 vcc, -1.0, v10
	v_cndmask_b32_e32 v9, v32, v9, vcc
	v_cmp_neq_f32_e32 vcc, -1.0, v10
	v_cndmask_b32_e32 v9, v33, v9, vcc
	v_cmp_lt_f32_e64 vcc, |v10|, s45
	v_cndmask_b32_e32 v9, v9, v10, vcc
	v_mul_f32_e32 v9, 0x3e800000, v9
	s_andn2_saveexec_b64 s[36:37], s[4:5]
	s_cbranch_execz .LBB75_294
	s_branch .LBB75_293
.LBB75_292:                             ;   in Loop: Header=BB75_233 Depth=1
	s_andn2_saveexec_b64 s[36:37], s[4:5]
	s_cbranch_execz .LBB75_294
.LBB75_293:                             ;   in Loop: Header=BB75_233 Depth=1
	v_cmp_lt_f32_e64 vcc, |v12|, s46
	v_cndmask_b32_e32 v9, 1.0, v34, vcc
	v_mul_f32_e64 v9, |v12|, v9
	v_log_f32_e32 v9, v9
	v_mul_f32_e32 v10, 0x3f317217, v9
	v_fma_f32 v11, v9, s47, -v10
	v_fmac_f32_e32 v11, 0x3377d1cf, v9
	v_add_f32_e32 v10, v10, v11
	v_cmp_lt_f32_e64 s[4:5], |v9|, s44
	v_cndmask_b32_e64 v9, v9, v10, s[4:5]
	v_cndmask_b32_e32 v10, 0, v35, vcc
	v_sub_f32_e32 v9, v9, v10
	v_sub_f32_e32 v9, 0x3f317218, v9
	v_mul_f32_e32 v9, 0.5, v9
.LBB75_294:                             ;   in Loop: Header=BB75_233 Depth=1
	s_or_b64 exec, exec, s[36:37]
                                        ; implicit-def: $vgpr11
	s_and_saveexec_b64 s[4:5], s[34:35]
	s_xor_b64 s[34:35], exec, s[4:5]
	s_cbranch_execz .LBB75_300
; %bb.295:                              ;   in Loop: Header=BB75_233 Depth=1
	v_sub_f32_e64 v10, 1.0, |v13|
	v_add_f32_e64 v11, |v13|, 1.0
	v_add_f32_e64 v8, |v12|, |v12|
	v_mul_f32_e32 v10, v10, v11
                                        ; implicit-def: $vgpr11
	s_and_saveexec_b64 s[4:5], s[30:31]
	s_xor_b64 s[30:31], exec, s[4:5]
	s_cbranch_execz .LBB75_297
; %bb.296:                              ;   in Loop: Header=BB75_233 Depth=1
	v_fma_f32 v10, -v12, v12, v10
	v_max_f32_e64 v11, |v8|, |v8|
	v_min_f32_e64 v17, |v10|, v11
	v_max_f32_e64 v11, |v10|, v11
	v_frexp_mant_f32_e32 v19, v11
	v_rcp_f32_e32 v19, v19
	v_frexp_exp_i32_f32_e32 v11, v11
	v_frexp_exp_i32_f32_e32 v40, v17
	v_frexp_mant_f32_e32 v17, v17
	v_mul_f32_e32 v17, v17, v19
	v_sub_u32_e32 v11, v40, v11
	v_ldexp_f32 v11, v17, v11
	v_mul_f32_e32 v17, v11, v11
	v_mov_b32_e32 v19, 0xbc7a590c
	v_fmac_f32_e32 v19, 0x3b2d2a58, v17
	v_fma_f32 v19, v17, v19, v25
	v_fma_f32 v19, v17, v19, v26
	;; [unrolled: 1-line block ×6, first 2 shown]
	v_mul_f32_e32 v17, v17, v19
	v_fmac_f32_e32 v11, v11, v17
	v_sub_f32_e32 v17, 0x3fc90fdb, v11
	v_cmp_gt_f32_e64 vcc, |v8|, |v10|
	v_cndmask_b32_e32 v11, v11, v17, vcc
	v_sub_f32_e32 v17, 0x40490fdb, v11
	v_cmp_gt_f32_e32 vcc, 0, v10
	v_cmp_gt_i32_e64 s[4:5], 0, v10
	v_cndmask_b32_e32 v11, v11, v17, vcc
	v_cndmask_b32_e64 v17, 0, v36, s[4:5]
	v_cmp_eq_f32_e64 s[4:5], 0, v8
	v_cndmask_b32_e64 v11, v11, v17, s[4:5]
	v_cmp_class_f32_e64 s[4:5], v10, s48
	v_cmp_class_f32_e64 s[36:37], v8, s48
	v_cndmask_b32_e32 v17, v37, v38, vcc
	s_and_b64 vcc, s[36:37], s[4:5]
	v_cndmask_b32_e32 v11, v11, v17, vcc
	v_cmp_o_f32_e32 vcc, v10, v8
	v_cndmask_b32_e32 v10, v32, v11, vcc
	v_bfi_b32 v11, s49, v10, v8
                                        ; implicit-def: $vgpr8
                                        ; implicit-def: $vgpr10
.LBB75_297:                             ;   in Loop: Header=BB75_233 Depth=1
	s_andn2_saveexec_b64 s[30:31], s[30:31]
	s_cbranch_execz .LBB75_299
; %bb.298:                              ;   in Loop: Header=BB75_233 Depth=1
	v_max_f32_e32 v11, v8, v8
	v_max_f32_e64 v17, |v10|, |v10|
	v_min_f32_e32 v19, v17, v11
	v_max_f32_e32 v11, v17, v11
	v_frexp_mant_f32_e32 v17, v11
	v_rcp_f32_e32 v17, v17
	v_frexp_exp_i32_f32_e32 v11, v11
	v_frexp_exp_i32_f32_e32 v40, v19
	v_frexp_mant_f32_e32 v19, v19
	v_mul_f32_e32 v17, v19, v17
	v_sub_u32_e32 v11, v40, v11
	v_ldexp_f32 v11, v17, v11
	v_mul_f32_e32 v17, v11, v11
	v_mov_b32_e32 v19, 0xbc7a590c
	v_fmac_f32_e32 v19, 0x3b2d2a58, v17
	v_fma_f32 v19, v17, v19, v25
	v_fma_f32 v19, v17, v19, v26
	;; [unrolled: 1-line block ×6, first 2 shown]
	v_mul_f32_e32 v17, v17, v19
	v_fmac_f32_e32 v11, v11, v17
	v_sub_f32_e32 v17, 0x3fc90fdb, v11
	v_cmp_gt_f32_e64 vcc, v8, |v10|
	v_cndmask_b32_e32 v11, v11, v17, vcc
	v_sub_f32_e32 v17, 0x40490fdb, v11
	v_cmp_gt_f32_e32 vcc, 0, v10
	v_cmp_gt_i32_e64 s[4:5], 0, v10
	v_cndmask_b32_e32 v11, v11, v17, vcc
	v_cndmask_b32_e64 v17, 0, v36, s[4:5]
	v_cmp_eq_f32_e64 s[4:5], 0, v8
	v_cndmask_b32_e64 v11, v11, v17, s[4:5]
	v_cndmask_b32_e32 v17, v37, v38, vcc
	v_cmp_class_f32_e64 s[4:5], v10, s48
	v_cmp_eq_f32_e32 vcc, s44, v8
	s_and_b64 vcc, vcc, s[4:5]
	v_cndmask_b32_e32 v8, v11, v17, vcc
	v_cmp_o_f32_e32 vcc, v10, v10
	v_cndmask_b32_e64 v11, v32, |v8|, vcc
.LBB75_299:                             ;   in Loop: Header=BB75_233 Depth=1
	s_or_b64 exec, exec, s[30:31]
                                        ; implicit-def: $vgpr8
	s_andn2_saveexec_b64 s[4:5], s[34:35]
	s_cbranch_execnz .LBB75_301
	s_branch .LBB75_302
.LBB75_300:                             ;   in Loop: Header=BB75_233 Depth=1
	s_andn2_saveexec_b64 s[4:5], s[34:35]
	s_cbranch_execz .LBB75_302
.LBB75_301:                             ;   in Loop: Header=BB75_233 Depth=1
	v_min_f32_e32 v10, 2.0, v8
	v_max_f32_e32 v8, 2.0, v8
	v_frexp_mant_f32_e32 v11, v8
	v_rcp_f32_e32 v11, v11
	v_frexp_exp_i32_f32_e32 v8, v8
	v_frexp_exp_i32_f32_e32 v17, v10
	v_frexp_mant_f32_e32 v10, v10
	v_mul_f32_e32 v10, v10, v11
	v_sub_u32_e32 v8, v17, v8
	v_ldexp_f32 v8, v10, v8
	v_mul_f32_e32 v10, v8, v8
	v_mov_b32_e32 v11, 0xbc7a590c
	v_fmac_f32_e32 v11, 0x3b2d2a58, v10
	v_fma_f32 v11, v10, v11, v25
	v_fma_f32 v11, v10, v11, v26
	;; [unrolled: 1-line block ×6, first 2 shown]
	v_mul_f32_e32 v10, v10, v11
	v_fmac_f32_e32 v8, v8, v10
	v_sub_f32_e32 v10, 0x3fc90fdb, v8
	v_cmp_lt_f32_e64 vcc, |v12|, 2.0
	v_cndmask_b32_e32 v8, v8, v10, vcc
	v_sub_f32_e32 v10, 0x40490fdb, v8
	v_cmp_lg_f32_e32 vcc, 0, v12
	v_cndmask_b32_e32 v8, v8, v10, vcc
	v_and_b32_e32 v11, 0x7fffffff, v8
.LBB75_302:                             ;   in Loop: Header=BB75_233 Depth=1
	s_or_b64 exec, exec, s[4:5]
	v_mul_f32_e32 v8, 0.5, v11
	v_bfi_b32 v9, s49, v9, v13
	v_bfi_b32 v8, s49, v8, v12
                                        ; implicit-def: $vgpr13
.LBB75_303:                             ;   in Loop: Header=BB75_233 Depth=1
	s_andn2_saveexec_b64 s[4:5], s[28:29]
	s_cbranch_execz .LBB75_305
; %bb.304:                              ;   in Loop: Header=BB75_233 Depth=1
	v_pk_mov_b32 v[8:9], s[10:11], s[10:11] op_sel:[0,1]
	flat_store_dword v[8:9], v31
	s_waitcnt vmcnt(0)
	flat_load_dword v8, v[8:9] glc
	s_waitcnt vmcnt(0) lgkmcnt(0)
	v_add_f32_e32 v10, 1.0, v8
	v_pk_mov_b32 v[8:9], s[12:13], s[12:13] op_sel:[0,1]
	flat_store_dword v[8:9], v10
	s_waitcnt vmcnt(0)
	flat_load_dword v8, v[8:9] glc
	s_waitcnt vmcnt(0)
	v_mov_b32_e32 v9, v13
	s_waitcnt lgkmcnt(0)
	v_mov_b32_e32 v8, v12
.LBB75_305:                             ;   in Loop: Header=BB75_233 Depth=1
	s_or_b64 exec, exec, s[4:5]
                                        ; implicit-def: $vgpr10_vgpr11_vgpr12_vgpr13
.LBB75_306:                             ;   in Loop: Header=BB75_233 Depth=1
	s_andn2_saveexec_b64 s[4:5], s[26:27]
	s_cbranch_execz .LBB75_320
; %bb.307:                              ;   in Loop: Header=BB75_233 Depth=1
	v_and_b32_e32 v9, 0x7f800000, v12
	v_and_b32_e32 v8, 0x7f800000, v13
	v_sub_u32_e32 v10, v8, v9
	v_cmp_gt_i32_e32 vcc, s50, v10
	v_cmp_neq_f32_e64 s[26:27], |v13|, s44
	s_and_b64 s[26:27], s[26:27], vcc
	s_and_saveexec_b64 s[28:29], s[26:27]
	s_xor_b64 s[26:27], exec, s[28:29]
	s_cbranch_execz .LBB75_317
; %bb.308:                              ;   in Loop: Header=BB75_233 Depth=1
	v_sub_u32_e32 v9, v9, v8
	v_cmp_gt_i32_e32 vcc, s50, v9
	s_and_saveexec_b64 s[28:29], vcc
	s_xor_b64 s[28:29], exec, s[28:29]
	s_cbranch_execz .LBB75_314
; %bb.309:                              ;   in Loop: Header=BB75_233 Depth=1
	v_cmp_lt_u32_e32 vcc, s51, v8
	s_and_saveexec_b64 s[30:31], vcc
	s_xor_b64 s[30:31], exec, s[30:31]
	s_cbranch_execz .LBB75_311
; %bb.310:                              ;   in Loop: Header=BB75_233 Depth=1
	v_sub_u32_e32 v8, 0x7f800000, v8
	v_mul_f32_e32 v10, v12, v8
	v_mul_f32_e32 v9, v13, v8
	;; [unrolled: 1-line block ×3, first 2 shown]
	v_fmac_f32_e32 v10, v9, v9
	v_div_scale_f32 v11, s[34:35], v10, v10, v9
	v_rcp_f32_e32 v17, v11
	v_fma_f32 v19, -v11, v17, 1.0
	v_fmac_f32_e32 v17, v19, v17
	v_div_scale_f32 v19, vcc, v9, v10, v9
	v_mul_f32_e32 v40, v19, v17
	v_fma_f32 v41, -v11, v40, v19
	v_fmac_f32_e32 v40, v41, v17
	v_fma_f32 v11, -v11, v40, v19
	v_div_fmas_f32 v11, v11, v17, v40
	v_div_fixup_f32 v9, v11, v10, v9
	v_mul_f32_e32 v9, v9, v8
.LBB75_311:                             ;   in Loop: Header=BB75_233 Depth=1
	s_andn2_saveexec_b64 s[30:31], s[30:31]
	s_cbranch_execz .LBB75_313
; %bb.312:                              ;   in Loop: Header=BB75_233 Depth=1
	v_pk_mul_f32 v[8:9], v[12:13], v[12:13]
	v_add_f32_e32 v8, v8, v9
	v_div_scale_f32 v9, s[34:35], v8, v8, v13
	v_rcp_f32_e32 v10, v9
	v_div_scale_f32 v11, vcc, v13, v8, v13
	v_fma_f32 v17, -v9, v10, 1.0
	v_fmac_f32_e32 v10, v17, v10
	v_mul_f32_e32 v17, v11, v10
	v_fma_f32 v19, -v9, v17, v11
	v_fmac_f32_e32 v17, v19, v10
	v_fma_f32 v9, -v9, v17, v11
	v_div_fmas_f32 v9, v9, v10, v17
	v_div_fixup_f32 v9, v9, v8, v13
.LBB75_313:                             ;   in Loop: Header=BB75_233 Depth=1
	s_or_b64 exec, exec, s[30:31]
.LBB75_314:                             ;   in Loop: Header=BB75_233 Depth=1
	s_andn2_saveexec_b64 s[28:29], s[28:29]
	s_cbranch_execz .LBB75_316
; %bb.315:                              ;   in Loop: Header=BB75_233 Depth=1
	v_div_scale_f32 v8, s[30:31], v12, v12, v13
	v_rcp_f32_e32 v9, v8
	v_div_scale_f32 v10, vcc, v13, v12, v13
	v_fma_f32 v11, -v8, v9, 1.0
	v_fmac_f32_e32 v9, v11, v9
	v_mul_f32_e32 v11, v10, v9
	v_fma_f32 v17, -v8, v11, v10
	v_fmac_f32_e32 v11, v17, v9
	v_fma_f32 v8, -v8, v11, v10
	v_div_fmas_f32 v8, v8, v9, v11
	v_div_fixup_f32 v8, v8, v12, v13
	v_div_scale_f32 v9, s[30:31], v12, v12, v8
	v_rcp_f32_e32 v10, v9
	v_fma_f32 v11, -v9, v10, 1.0
	v_fmac_f32_e32 v10, v11, v10
	v_div_scale_f32 v11, vcc, v8, v12, v8
	v_mul_f32_e32 v17, v11, v10
	v_fma_f32 v19, -v9, v17, v11
	v_fmac_f32_e32 v17, v19, v10
	v_fma_f32 v9, -v9, v17, v11
	v_div_fmas_f32 v9, v9, v10, v17
	v_div_fixup_f32 v9, v9, v12, v8
.LBB75_316:                             ;   in Loop: Header=BB75_233 Depth=1
	s_or_b64 exec, exec, s[28:29]
.LBB75_317:                             ;   in Loop: Header=BB75_233 Depth=1
	s_andn2_saveexec_b64 s[26:27], s[26:27]
; %bb.318:                              ;   in Loop: Header=BB75_233 Depth=1
	v_div_scale_f32 v8, s[28:29], v13, v13, 1.0
	v_rcp_f32_e32 v9, v8
	v_div_scale_f32 v10, vcc, 1.0, v13, 1.0
	v_fma_f32 v11, -v8, v9, 1.0
	v_fmac_f32_e32 v9, v11, v9
	v_mul_f32_e32 v11, v10, v9
	v_fma_f32 v17, -v8, v11, v10
	v_fmac_f32_e32 v11, v17, v9
	v_fma_f32 v8, -v8, v11, v10
	v_div_fmas_f32 v8, v8, v9, v11
	v_div_fixup_f32 v9, v8, v13, 1.0
; %bb.319:                              ;   in Loop: Header=BB75_233 Depth=1
	s_or_b64 exec, exec, s[26:27]
	v_pk_mov_b32 v[10:11], s[8:9], s[8:9] op_sel:[0,1]
	flat_load_dword v8, v[10:11] glc
	s_waitcnt vmcnt(0) lgkmcnt(0)
	v_add_f32_e32 v8, 0x3fc90fdb, v8
	v_bfi_b32 v8, s49, v8, v12
.LBB75_320:                             ;   in Loop: Header=BB75_233 Depth=1
	s_or_b64 exec, exec, s[4:5]
                                        ; implicit-def: $vgpr10_vgpr11_vgpr12_vgpr13
.LBB75_321:                             ;   in Loop: Header=BB75_233 Depth=1
	s_andn2_saveexec_b64 s[4:5], s[24:25]
	s_cbranch_execz .LBB75_331
; %bb.322:                              ;   in Loop: Header=BB75_233 Depth=1
	v_cmp_neq_f32_e64 s[24:25], |v13|, s44
	s_and_saveexec_b64 s[26:27], s[24:25]
	s_xor_b64 s[24:25], exec, s[26:27]
	s_cbranch_execz .LBB75_328
; %bb.323:                              ;   in Loop: Header=BB75_233 Depth=1
	v_cmp_neq_f32_e64 s[26:27], |v12|, s44
	s_and_saveexec_b64 s[28:29], s[26:27]
	s_xor_b64 s[26:27], exec, s[28:29]
; %bb.324:                              ;   in Loop: Header=BB75_233 Depth=1
	v_add_f32_e32 v8, 0, v12
	v_add_f32_e32 v9, v8, v13
                                        ; implicit-def: $vgpr12_vgpr13
; %bb.325:                              ;   in Loop: Header=BB75_233 Depth=1
	s_or_saveexec_b64 s[26:27], s[26:27]
	v_mov_b32_e32 v8, v9
	s_xor_b64 exec, exec, s[26:27]
	s_cbranch_execz .LBB75_327
; %bb.326:                              ;   in Loop: Header=BB75_233 Depth=1
	v_pk_mov_b32 v[8:9], s[8:9], s[8:9] op_sel:[0,1]
	flat_load_dword v8, v[8:9] glc
	s_waitcnt vmcnt(0)
	v_bfi_b32 v9, s49, 0, v13
	s_waitcnt lgkmcnt(0)
	v_add_f32_e32 v8, 0x3fc90fdb, v8
	v_bfi_b32 v8, s49, v8, v12
.LBB75_327:                             ;   in Loop: Header=BB75_233 Depth=1
	s_or_b64 exec, exec, s[26:27]
                                        ; implicit-def: $vgpr10_vgpr11_vgpr12_vgpr13
.LBB75_328:                             ;   in Loop: Header=BB75_233 Depth=1
	s_andn2_saveexec_b64 s[24:25], s[24:25]
; %bb.329:                              ;   in Loop: Header=BB75_233 Depth=1
	v_bfi_b32 v9, s49, 0, v13
	v_add_f32_e32 v8, v12, v12
; %bb.330:                              ;   in Loop: Header=BB75_233 Depth=1
	s_or_b64 exec, exec, s[24:25]
.LBB75_331:                             ;   in Loop: Header=BB75_233 Depth=1
	s_or_b64 exec, exec, s[4:5]
                                        ; implicit-def: $vgpr10_vgpr11_vgpr12_vgpr13
.LBB75_332:                             ;   in Loop: Header=BB75_233 Depth=1
	s_andn2_saveexec_b64 s[4:5], s[22:23]
	s_cbranch_execz .LBB75_334
; %bb.333:                              ;   in Loop: Header=BB75_233 Depth=1
	v_rcp_f32_e64 v8, |v12|
	v_cmp_gt_f32_e64 vcc, |v12|, 1.0
	v_mov_b32_e32 v9, 0xbc7a590c
	v_cndmask_b32_e64 v8, |v12|, v8, vcc
	v_mul_f32_e32 v10, v8, v8
	v_fmac_f32_e32 v9, 0x3b2d2a58, v10
	v_fma_f32 v9, v10, v9, v25
	v_fma_f32 v9, v10, v9, v26
	;; [unrolled: 1-line block ×6, first 2 shown]
	v_mul_f32_e32 v9, v10, v9
	v_fmac_f32_e32 v8, v8, v9
	v_sub_f32_e32 v9, 0x3fc90fdb, v8
	v_cndmask_b32_e32 v8, v8, v9, vcc
	v_bfi_b32 v8, s49, v8, v12
	v_mov_b32_e32 v9, v13
.LBB75_334:                             ;   in Loop: Header=BB75_233 Depth=1
	s_or_b64 exec, exec, s[4:5]
                                        ; implicit-def: $vgpr10_vgpr11_vgpr12_vgpr13
.LBB75_335:                             ;   in Loop: Header=BB75_233 Depth=1
	s_andn2_saveexec_b64 s[4:5], s[20:21]
	s_cbranch_execz .LBB75_337
; %bb.336:                              ;   in Loop: Header=BB75_233 Depth=1
	v_sub_f32_e64 v9, 1.0, |v13|
	v_rcp_f32_e32 v17, v9
	v_add_f32_e64 v10, |v13|, 1.0
	v_sub_f32_e32 v11, 1.0, v9
	v_sub_f32_e64 v40, v11, |v13|
	v_mul_f32_e32 v42, v10, v17
	v_mul_f32_e32 v11, v9, v42
	v_fma_f32 v19, v42, v9, -v11
	v_fmac_f32_e32 v19, v42, v40
	v_pk_add_f32 v[40:41], v[10:11], v[18:19]
	v_sub_f32_e32 v43, v10, v41
	v_and_b32_e32 v8, 0x7fffffff, v13
	v_sub_f32_e32 v11, v41, v11
	v_sub_f32_e32 v9, v10, v43
	v_pk_add_f32 v[8:9], v[8:9], v[40:41] neg_lo:[0,1] neg_hi:[0,1]
	v_sub_f32_e32 v10, v11, v19
	v_add_f32_e32 v9, v10, v9
	v_add_f32_e32 v8, v8, v9
	;; [unrolled: 1-line block ×3, first 2 shown]
	v_mul_f32_e32 v8, v17, v8
	v_add_f32_e32 v10, v42, v8
	v_sub_f32_e32 v9, v10, v42
	v_sub_f32_e32 v11, v8, v9
	v_frexp_mant_f32_e32 v17, v10
	v_cvt_f64_f32_e32 v[8:9], v10
	v_frexp_exp_i32_f64_e32 v8, v[8:9]
	v_cmp_gt_f32_e32 vcc, s42, v17
	v_subbrev_co_u32_e32 v19, vcc, 0, v8, vcc
	v_sub_u32_e32 v8, 0, v19
	v_ldexp_f32 v9, v10, v8
	v_add_f32_e32 v10, -1.0, v9
	v_add_f32_e32 v17, 1.0, v9
	v_ldexp_f32 v8, v11, v8
	v_add_f32_e32 v11, 1.0, v10
	v_add_f32_e32 v40, -1.0, v17
	v_sub_f32_e32 v11, v9, v11
	v_sub_f32_e32 v9, v9, v40
	v_add_f32_e32 v11, v8, v11
	v_add_f32_e32 v8, v8, v9
	;; [unrolled: 1-line block ×3, first 2 shown]
	v_rcp_f32_e32 v45, v44
	v_sub_f32_e32 v9, v44, v17
	v_sub_f32_e32 v17, v8, v9
	v_add_f32_e32 v9, v10, v11
	v_mul_f32_e32 v47, v9, v45
	v_sub_f32_e32 v8, v9, v10
	v_mul_f32_e32 v10, v44, v47
	v_fma_f32 v40, v47, v44, -v10
	v_fmac_f32_e32 v40, v47, v17
	v_sub_f32_e32 v46, v11, v8
	v_add_f32_e32 v8, v10, v40
	v_sub_f32_e32 v11, v9, v8
	v_pk_add_f32 v[42:43], v[8:9], v[10:11] neg_lo:[0,1] neg_hi:[0,1]
	v_mov_b32_e32 v41, v8
	v_pk_add_f32 v[8:9], v[42:43], v[40:41] neg_lo:[0,1] neg_hi:[0,1]
	v_add_f32_e32 v9, v46, v9
	v_add_f32_e32 v8, v8, v9
	;; [unrolled: 1-line block ×3, first 2 shown]
	v_mul_f32_e32 v46, v45, v9
	v_mul_f32_e32 v10, v44, v46
	v_fma_f32 v40, v46, v44, -v10
	v_fmac_f32_e32 v40, v46, v17
	v_sub_f32_e32 v11, v11, v9
	v_add_f32_e32 v17, v8, v11
	v_add_f32_e32 v8, v10, v40
	v_sub_f32_e32 v11, v9, v8
	v_pk_add_f32 v[42:43], v[8:9], v[10:11] neg_lo:[0,1] neg_hi:[0,1]
	v_mov_b32_e32 v41, v8
	v_pk_add_f32 v[8:9], v[42:43], v[40:41] neg_lo:[0,1] neg_hi:[0,1]
	v_add_f32_e32 v9, v17, v9
	v_add_f32_e32 v8, v8, v9
	;; [unrolled: 1-line block ×4, first 2 shown]
	v_sub_f32_e32 v10, v9, v47
	v_mul_f32_e32 v8, v45, v8
	v_sub_f32_e32 v10, v46, v10
	v_add_f32_e32 v10, v10, v8
	v_add_f32_e32 v40, v9, v10
	v_mul_f32_e32 v41, v40, v40
	v_mov_b32_e32 v8, 0x3ecc95a3
	v_fmac_f32_e32 v8, 0x3e9b6dac, v41
	v_fma_f32 v17, v41, v8, v24
	v_cvt_f32_i32_e32 v8, v19
	v_sub_f32_e32 v9, v40, v9
	v_sub_f32_e32 v9, v10, v9
	v_ldexp_f32 v19, v9, 1
	v_mul_f32_e32 v9, v40, v41
	v_ldexp_f32 v11, v40, 1
	v_pk_mul_f32 v[40:41], v[8:9], v[16:17]
	v_fma_f32 v10, v8, s43, -v40
	v_fmac_f32_e32 v10, 0xb102e308, v8
	v_pk_add_f32 v[8:9], v[40:41], v[10:11]
	v_sub_f32_e32 v11, v9, v11
	v_sub_f32_e32 v11, v41, v11
	v_add_f32_e32 v43, v19, v11
	v_mov_b32_e32 v42, v40
	v_pk_add_f32 v[40:41], v[8:9], v[40:41] neg_lo:[0,1] neg_hi:[0,1]
	v_pk_add_f32 v[44:45], v[8:9], v[42:43]
	v_mov_b32_e32 v41, v45
	v_mov_b32_e32 v11, v8
	v_pk_add_f32 v[46:47], v[10:11], v[40:41] neg_lo:[0,1] neg_hi:[0,1]
	v_pk_add_f32 v[10:11], v[10:11], v[40:41]
	v_mov_b32_e32 v40, v11
	v_pk_add_f32 v[48:49], v[40:41], v[8:9] neg_lo:[0,1] neg_hi:[0,1]
	v_mov_b32_e32 v17, v48
	v_pk_add_f32 v[50:51], v[44:45], v[16:17] neg_lo:[0,1] neg_hi:[0,1]
	v_mov_b32_e32 v10, v45
	v_mov_b32_e32 v44, v9
	;; [unrolled: 1-line block ×4, first 2 shown]
	v_pk_add_f32 v[10:11], v[10:11], v[44:45] neg_lo:[0,1] neg_hi:[0,1]
	v_mov_b32_e32 v42, v43
	v_mov_b32_e32 v43, v8
	v_pk_add_f32 v[8:9], v[42:43], v[10:11] neg_lo:[0,1] neg_hi:[0,1]
	v_mov_b32_e32 v50, v46
	v_pk_add_f32 v[10:11], v[50:51], v[8:9]
	v_mov_b32_e32 v42, v11
	v_pk_add_f32 v[42:43], v[10:11], v[42:43]
	v_pk_add_f32 v[40:41], v[40:41], v[42:43]
	v_mov_b32_e32 v11, v40
	v_pk_add_f32 v[44:45], v[10:11], v[46:47] neg_lo:[0,1] neg_hi:[0,1]
	v_mov_b32_e32 v9, v42
	v_sub_f32_e32 v10, v10, v44
	v_pk_add_f32 v[8:9], v[8:9], v[44:45] neg_lo:[0,1] neg_hi:[0,1]
	v_sub_f32_e32 v10, v46, v10
	v_add_f32_e32 v8, v8, v10
	v_add_f32_e32 v8, v8, v9
	;; [unrolled: 1-line block ×3, first 2 shown]
	v_mul_f32_e32 v8, 0.5, v8
	v_cmp_lt_f32_e64 s[20:21], |v13|, s52
	v_cndmask_b32_e64 v8, v8, |v13|, s[20:21]
	v_cmp_ngt_f32_e64 vcc, |v13|, 1.0
	v_cndmask_b32_e32 v8, v32, v8, vcc
	v_cmp_neq_f32_e64 vcc, |v13|, 1.0
	v_cndmask_b32_e32 v8, v39, v8, vcc
	v_bfi_b32 v9, s49, v8, v13
	v_mov_b32_e32 v8, v12
.LBB75_337:                             ;   in Loop: Header=BB75_233 Depth=1
	s_or_b64 exec, exec, s[4:5]
	v_cmp_neq_f32_e32 vcc, 0, v2
	v_cmp_nle_f32_e64 s[4:5], |v3|, 1.0
	v_pk_mov_b32 v[10:11], s[8:9], s[8:9] op_sel:[0,1]
	s_or_b64 s[4:5], vcc, s[4:5]
	flat_store_dword v[10:11], v23
	s_waitcnt vmcnt(0)
                                        ; implicit-def: $vgpr11
	s_and_saveexec_b64 s[20:21], s[4:5]
	s_xor_b64 s[20:21], exec, s[20:21]
	s_cbranch_execz .LBB75_387
; %bb.338:                              ;   in Loop: Header=BB75_233 Depth=1
	v_cmp_neq_f32_e32 vcc, 0, v3
                                        ; implicit-def: $vgpr11
	s_and_saveexec_b64 s[4:5], vcc
	s_xor_b64 s[22:23], exec, s[4:5]
	s_cbranch_execz .LBB75_384
; %bb.339:                              ;   in Loop: Header=BB75_233 Depth=1
	v_cmp_o_f32_e32 vcc, v3, v2
                                        ; implicit-def: $vgpr11
	s_and_saveexec_b64 s[4:5], vcc
	s_xor_b64 s[24:25], exec, s[4:5]
	s_cbranch_execz .LBB75_373
; %bb.340:                              ;   in Loop: Header=BB75_233 Depth=1
	v_max_f32_e64 v11, |v3|, |v3|
	v_max_f32_e64 v10, |v2|, |v2|
	v_max_f32_e32 v11, v10, v11
	v_cmp_nlt_f32_e32 vcc, s38, v11
                                        ; implicit-def: $vgpr11
	s_and_saveexec_b64 s[4:5], vcc
	s_xor_b64 s[26:27], exec, s[4:5]
	s_cbranch_execz .LBB75_358
; %bb.341:                              ;   in Loop: Header=BB75_233 Depth=1
	v_cmp_nlt_f32_e64 s[4:5], |v3|, s39
	v_cmp_nlt_f32_e64 s[28:29], |v2|, s39
	s_or_b64 s[4:5], s[28:29], s[4:5]
                                        ; implicit-def: $vgpr11
	s_and_saveexec_b64 s[28:29], s[4:5]
	s_xor_b64 s[28:29], exec, s[28:29]
	s_cbranch_execz .LBB75_355
; %bb.342:                              ;   in Loop: Header=BB75_233 Depth=1
	v_cmp_neq_f32_e64 s[34:35], |v3|, 1.0
	v_cmp_nlt_f32_e64 s[30:31], |v2|, s40
	s_or_b64 s[4:5], s[30:31], s[34:35]
                                        ; implicit-def: $vgpr11
	s_and_saveexec_b64 s[36:37], s[4:5]
	s_xor_b64 s[4:5], exec, s[36:37]
	s_cbranch_execz .LBB75_344
; %bb.343:                              ;   in Loop: Header=BB75_233 Depth=1
	v_add_f32_e64 v12, |v3|, -1.0
	v_mul_f32_e32 v17, v2, v2
	v_mul_f32_e32 v13, v12, v12
	v_fmac_f32_e32 v17, v12, v12
	v_cmp_lt_f32_e64 vcc, |v2|, s41
	v_mul_f32_e64 v11, |v3|, 4.0
	v_cndmask_b32_e32 v12, v17, v13, vcc
	v_div_scale_f32 v13, s[36:37], v12, v12, v11
	v_rcp_f32_e32 v17, v13
	v_fma_f32 v19, -v13, v17, 1.0
	v_fmac_f32_e32 v17, v19, v17
	v_div_scale_f32 v19, vcc, v11, v12, v11
	v_mul_f32_e32 v40, v19, v17
	v_fma_f32 v41, -v13, v40, v19
	v_fmac_f32_e32 v40, v41, v17
	v_fma_f32 v13, -v13, v40, v19
	v_div_fmas_f32 v13, v13, v17, v40
	v_div_fixup_f32 v12, v13, v12, v11
	v_add_f32_e32 v41, 1.0, v12
	v_add_f32_e32 v13, -1.0, v41
	v_mov_b32_e32 v40, v13
	v_pk_add_f32 v[42:43], v[12:13], v[40:41] neg_lo:[0,1] neg_hi:[0,1]
	v_add_f32_e32 v11, 1.0, v43
	v_add_f32_e32 v11, v42, v11
	v_frexp_mant_f32_e32 v13, v41
	v_cvt_f64_f32_e32 v[42:43], v41
	v_frexp_exp_i32_f64_e32 v17, v[42:43]
	v_cmp_gt_f32_e32 vcc, s42, v13
	v_subbrev_co_u32_e32 v13, vcc, 0, v17, vcc
	v_sub_u32_e32 v17, 0, v13
	v_ldexp_f32 v19, v41, v17
	v_ldexp_f32 v11, v11, v17
	v_add_f32_e32 v17, -1.0, v19
	v_add_f32_e32 v41, 1.0, v19
	v_add_f32_e32 v40, 1.0, v17
	v_add_f32_e32 v42, -1.0, v41
	v_sub_f32_e32 v40, v19, v40
	v_sub_f32_e32 v19, v19, v42
	v_add_f32_e32 v40, v11, v40
	v_add_f32_e32 v11, v11, v19
	;; [unrolled: 1-line block ×3, first 2 shown]
	v_rcp_f32_e32 v48, v19
	v_sub_f32_e32 v41, v19, v41
	v_sub_f32_e32 v11, v11, v41
	v_add_f32_e32 v41, v17, v40
	v_mul_f32_e32 v49, v41, v48
	v_mul_f32_e32 v42, v19, v49
	v_fma_f32 v44, v49, v19, -v42
	v_sub_f32_e32 v17, v41, v17
	v_fmac_f32_e32 v44, v49, v11
	v_sub_f32_e32 v17, v40, v17
	v_add_f32_e32 v40, v42, v44
	v_sub_f32_e32 v43, v41, v40
	v_pk_add_f32 v[46:47], v[40:41], v[42:43] neg_lo:[0,1] neg_hi:[0,1]
	v_mov_b32_e32 v45, v40
	v_pk_add_f32 v[40:41], v[46:47], v[44:45] neg_lo:[0,1] neg_hi:[0,1]
	v_add_f32_e32 v17, v17, v41
	v_add_f32_e32 v17, v40, v17
	;; [unrolled: 1-line block ×3, first 2 shown]
	v_mul_f32_e32 v50, v48, v41
	v_mul_f32_e32 v42, v19, v50
	v_fma_f32 v44, v50, v19, -v42
	v_fmac_f32_e32 v44, v50, v11
	v_add_f32_e32 v40, v42, v44
	v_sub_f32_e32 v11, v43, v41
	v_sub_f32_e32 v43, v41, v40
	v_pk_add_f32 v[46:47], v[40:41], v[42:43] neg_lo:[0,1] neg_hi:[0,1]
	v_mov_b32_e32 v45, v40
	v_add_f32_e32 v11, v17, v11
	v_pk_add_f32 v[40:41], v[46:47], v[44:45] neg_lo:[0,1] neg_hi:[0,1]
	v_add_f32_e32 v11, v11, v41
	v_add_f32_e32 v11, v40, v11
	;; [unrolled: 1-line block ×4, first 2 shown]
	v_sub_f32_e32 v17, v19, v49
	v_mul_f32_e32 v11, v48, v11
	v_sub_f32_e32 v17, v50, v17
	v_add_f32_e32 v11, v17, v11
	v_add_f32_e32 v41, v19, v11
	v_cvt_f32_i32_e32 v40, v13
	v_mul_f32_e32 v42, v41, v41
	v_mov_b32_e32 v17, 0x3ecc95a3
	v_fmac_f32_e32 v17, 0x3e9b6dac, v42
	v_fma_f32 v17, v42, v17, v24
	v_sub_f32_e32 v13, v41, v19
	v_ldexp_f32 v43, v41, 1
	v_mul_f32_e32 v41, v41, v42
	v_pk_mul_f32 v[44:45], v[40:41], v[16:17]
	v_fma_f32 v42, v40, s43, -v44
	v_fmac_f32_e32 v42, 0xb102e308, v40
	v_pk_add_f32 v[40:41], v[44:45], v[42:43]
	v_sub_f32_e32 v11, v11, v13
	v_sub_f32_e32 v13, v41, v43
	v_ldexp_f32 v11, v11, 1
	v_sub_f32_e32 v13, v45, v13
	v_add_f32_e32 v47, v11, v13
	v_mov_b32_e32 v46, v44
	v_pk_add_f32 v[44:45], v[40:41], v[44:45] neg_lo:[0,1] neg_hi:[0,1]
	v_pk_add_f32 v[48:49], v[40:41], v[46:47]
	v_mov_b32_e32 v45, v49
	v_mov_b32_e32 v43, v40
	v_pk_add_f32 v[50:51], v[42:43], v[44:45] neg_lo:[0,1] neg_hi:[0,1]
	v_pk_add_f32 v[42:43], v[42:43], v[44:45]
	v_mov_b32_e32 v44, v43
	v_pk_add_f32 v[52:53], v[44:45], v[40:41] neg_lo:[0,1] neg_hi:[0,1]
	v_mov_b32_e32 v11, v52
	v_pk_add_f32 v[54:55], v[48:49], v[10:11] neg_lo:[0,1] neg_hi:[0,1]
	v_mov_b32_e32 v42, v49
	v_mov_b32_e32 v48, v41
	;; [unrolled: 1-line block ×4, first 2 shown]
	v_pk_add_f32 v[42:43], v[42:43], v[48:49] neg_lo:[0,1] neg_hi:[0,1]
	v_mov_b32_e32 v46, v47
	v_mov_b32_e32 v47, v40
	v_pk_add_f32 v[40:41], v[46:47], v[42:43] neg_lo:[0,1] neg_hi:[0,1]
	v_mov_b32_e32 v54, v50
	v_pk_add_f32 v[42:43], v[54:55], v[40:41]
	v_mov_b32_e32 v46, v43
	v_pk_add_f32 v[46:47], v[42:43], v[46:47]
	v_pk_add_f32 v[44:45], v[44:45], v[46:47]
	v_mov_b32_e32 v43, v44
	v_pk_add_f32 v[48:49], v[42:43], v[50:51] neg_lo:[0,1] neg_hi:[0,1]
	v_mov_b32_e32 v41, v46
	v_sub_f32_e32 v11, v42, v48
	v_pk_add_f32 v[40:41], v[40:41], v[48:49] neg_lo:[0,1] neg_hi:[0,1]
	v_sub_f32_e32 v11, v50, v11
	v_add_f32_e32 v11, v40, v11
	v_add_f32_e32 v11, v11, v41
	;; [unrolled: 1-line block ×3, first 2 shown]
	v_cmp_eq_f32_e32 vcc, s44, v12
	v_cndmask_b32_e32 v11, v11, v12, vcc
	v_cmp_ngt_f32_e32 vcc, -1.0, v12
	v_cndmask_b32_e32 v11, v32, v11, vcc
	v_cmp_neq_f32_e32 vcc, -1.0, v12
	v_cndmask_b32_e32 v11, v33, v11, vcc
	v_cmp_lt_f32_e64 vcc, |v12|, s45
	v_cndmask_b32_e32 v11, v11, v12, vcc
	v_mul_f32_e32 v11, 0x3e800000, v11
	s_andn2_saveexec_b64 s[36:37], s[4:5]
	s_cbranch_execz .LBB75_346
	s_branch .LBB75_345
.LBB75_344:                             ;   in Loop: Header=BB75_233 Depth=1
	s_andn2_saveexec_b64 s[36:37], s[4:5]
	s_cbranch_execz .LBB75_346
.LBB75_345:                             ;   in Loop: Header=BB75_233 Depth=1
	v_cmp_lt_f32_e64 vcc, |v2|, s46
	v_cndmask_b32_e32 v11, 1.0, v34, vcc
	v_mul_f32_e64 v11, |v2|, v11
	v_log_f32_e32 v11, v11
	v_mul_f32_e32 v12, 0x3f317217, v11
	v_fma_f32 v13, v11, s47, -v12
	v_fmac_f32_e32 v13, 0x3377d1cf, v11
	v_add_f32_e32 v12, v12, v13
	v_cmp_lt_f32_e64 s[4:5], |v11|, s44
	v_cndmask_b32_e64 v11, v11, v12, s[4:5]
	v_cndmask_b32_e32 v12, 0, v35, vcc
	v_sub_f32_e32 v11, v11, v12
	v_sub_f32_e32 v11, 0x3f317218, v11
	v_mul_f32_e32 v11, 0.5, v11
.LBB75_346:                             ;   in Loop: Header=BB75_233 Depth=1
	s_or_b64 exec, exec, s[36:37]
                                        ; implicit-def: $vgpr13
	s_and_saveexec_b64 s[4:5], s[34:35]
	s_xor_b64 s[34:35], exec, s[4:5]
	s_cbranch_execz .LBB75_352
; %bb.347:                              ;   in Loop: Header=BB75_233 Depth=1
	v_sub_f32_e64 v12, 1.0, |v3|
	v_add_f32_e64 v13, |v3|, 1.0
	v_add_f32_e64 v10, |v2|, |v2|
	v_mul_f32_e32 v12, v12, v13
                                        ; implicit-def: $vgpr13
	s_and_saveexec_b64 s[4:5], s[30:31]
	s_xor_b64 s[30:31], exec, s[4:5]
	s_cbranch_execz .LBB75_349
; %bb.348:                              ;   in Loop: Header=BB75_233 Depth=1
	v_fma_f32 v12, -v2, v2, v12
	v_max_f32_e64 v13, |v10|, |v10|
	v_min_f32_e64 v17, |v12|, v13
	v_max_f32_e64 v13, |v12|, v13
	v_frexp_mant_f32_e32 v19, v13
	v_rcp_f32_e32 v19, v19
	v_frexp_exp_i32_f32_e32 v13, v13
	v_frexp_exp_i32_f32_e32 v40, v17
	v_frexp_mant_f32_e32 v17, v17
	v_mul_f32_e32 v17, v17, v19
	v_sub_u32_e32 v13, v40, v13
	v_ldexp_f32 v13, v17, v13
	v_mul_f32_e32 v17, v13, v13
	v_mov_b32_e32 v19, 0xbc7a590c
	v_fmac_f32_e32 v19, 0x3b2d2a58, v17
	v_fma_f32 v19, v17, v19, v25
	v_fma_f32 v19, v17, v19, v26
	;; [unrolled: 1-line block ×6, first 2 shown]
	v_mul_f32_e32 v17, v17, v19
	v_fmac_f32_e32 v13, v13, v17
	v_sub_f32_e32 v17, 0x3fc90fdb, v13
	v_cmp_gt_f32_e64 vcc, |v10|, |v12|
	v_cndmask_b32_e32 v13, v13, v17, vcc
	v_sub_f32_e32 v17, 0x40490fdb, v13
	v_cmp_gt_f32_e32 vcc, 0, v12
	v_cmp_gt_i32_e64 s[4:5], 0, v12
	v_cndmask_b32_e32 v13, v13, v17, vcc
	v_cndmask_b32_e64 v17, 0, v36, s[4:5]
	v_cmp_eq_f32_e64 s[4:5], 0, v10
	v_cndmask_b32_e64 v13, v13, v17, s[4:5]
	v_cmp_class_f32_e64 s[4:5], v12, s48
	v_cmp_class_f32_e64 s[36:37], v10, s48
	v_cndmask_b32_e32 v17, v37, v38, vcc
	s_and_b64 vcc, s[36:37], s[4:5]
	v_cndmask_b32_e32 v13, v13, v17, vcc
	v_cmp_o_f32_e32 vcc, v12, v10
	v_cndmask_b32_e32 v12, v32, v13, vcc
	v_bfi_b32 v13, s49, v12, v10
                                        ; implicit-def: $vgpr10
                                        ; implicit-def: $vgpr12
.LBB75_349:                             ;   in Loop: Header=BB75_233 Depth=1
	s_andn2_saveexec_b64 s[30:31], s[30:31]
	s_cbranch_execz .LBB75_351
; %bb.350:                              ;   in Loop: Header=BB75_233 Depth=1
	v_max_f32_e32 v13, v10, v10
	v_max_f32_e64 v17, |v12|, |v12|
	v_min_f32_e32 v19, v17, v13
	v_max_f32_e32 v13, v17, v13
	v_frexp_mant_f32_e32 v17, v13
	v_rcp_f32_e32 v17, v17
	v_frexp_exp_i32_f32_e32 v13, v13
	v_frexp_exp_i32_f32_e32 v40, v19
	v_frexp_mant_f32_e32 v19, v19
	v_mul_f32_e32 v17, v19, v17
	v_sub_u32_e32 v13, v40, v13
	v_ldexp_f32 v13, v17, v13
	v_mul_f32_e32 v17, v13, v13
	v_mov_b32_e32 v19, 0xbc7a590c
	v_fmac_f32_e32 v19, 0x3b2d2a58, v17
	v_fma_f32 v19, v17, v19, v25
	v_fma_f32 v19, v17, v19, v26
	;; [unrolled: 1-line block ×6, first 2 shown]
	v_mul_f32_e32 v17, v17, v19
	v_fmac_f32_e32 v13, v13, v17
	v_sub_f32_e32 v17, 0x3fc90fdb, v13
	v_cmp_gt_f32_e64 vcc, v10, |v12|
	v_cndmask_b32_e32 v13, v13, v17, vcc
	v_sub_f32_e32 v17, 0x40490fdb, v13
	v_cmp_gt_f32_e32 vcc, 0, v12
	v_cmp_gt_i32_e64 s[4:5], 0, v12
	v_cndmask_b32_e32 v13, v13, v17, vcc
	v_cndmask_b32_e64 v17, 0, v36, s[4:5]
	v_cmp_eq_f32_e64 s[4:5], 0, v10
	v_cndmask_b32_e64 v13, v13, v17, s[4:5]
	v_cndmask_b32_e32 v17, v37, v38, vcc
	v_cmp_class_f32_e64 s[4:5], v12, s48
	v_cmp_eq_f32_e32 vcc, s44, v10
	s_and_b64 vcc, vcc, s[4:5]
	v_cndmask_b32_e32 v10, v13, v17, vcc
	v_cmp_o_f32_e32 vcc, v12, v12
	v_cndmask_b32_e64 v13, v32, |v10|, vcc
.LBB75_351:                             ;   in Loop: Header=BB75_233 Depth=1
	s_or_b64 exec, exec, s[30:31]
                                        ; implicit-def: $vgpr10
	s_andn2_saveexec_b64 s[4:5], s[34:35]
	s_cbranch_execnz .LBB75_353
	s_branch .LBB75_354
.LBB75_352:                             ;   in Loop: Header=BB75_233 Depth=1
	s_andn2_saveexec_b64 s[4:5], s[34:35]
	s_cbranch_execz .LBB75_354
.LBB75_353:                             ;   in Loop: Header=BB75_233 Depth=1
	v_min_f32_e32 v12, 2.0, v10
	v_max_f32_e32 v10, 2.0, v10
	v_frexp_mant_f32_e32 v13, v10
	v_rcp_f32_e32 v13, v13
	v_frexp_exp_i32_f32_e32 v10, v10
	v_frexp_exp_i32_f32_e32 v17, v12
	v_frexp_mant_f32_e32 v12, v12
	v_mul_f32_e32 v12, v12, v13
	v_sub_u32_e32 v10, v17, v10
	v_ldexp_f32 v10, v12, v10
	v_mul_f32_e32 v12, v10, v10
	v_mov_b32_e32 v13, 0xbc7a590c
	v_fmac_f32_e32 v13, 0x3b2d2a58, v12
	v_fma_f32 v13, v12, v13, v25
	v_fma_f32 v13, v12, v13, v26
	;; [unrolled: 1-line block ×6, first 2 shown]
	v_mul_f32_e32 v12, v12, v13
	v_fmac_f32_e32 v10, v10, v12
	v_sub_f32_e32 v12, 0x3fc90fdb, v10
	v_cmp_lt_f32_e64 vcc, |v2|, 2.0
	v_cndmask_b32_e32 v10, v10, v12, vcc
	v_sub_f32_e32 v12, 0x40490fdb, v10
	v_cmp_lg_f32_e32 vcc, 0, v2
	v_cndmask_b32_e32 v10, v10, v12, vcc
	v_and_b32_e32 v13, 0x7fffffff, v10
.LBB75_354:                             ;   in Loop: Header=BB75_233 Depth=1
	s_or_b64 exec, exec, s[4:5]
	v_mul_f32_e32 v10, 0.5, v13
	v_bfi_b32 v11, s49, v11, v3
	v_bfi_b32 v10, s49, v10, v2
.LBB75_355:                             ;   in Loop: Header=BB75_233 Depth=1
	s_andn2_saveexec_b64 s[4:5], s[28:29]
	s_cbranch_execz .LBB75_357
; %bb.356:                              ;   in Loop: Header=BB75_233 Depth=1
	v_pk_mov_b32 v[10:11], s[10:11], s[10:11] op_sel:[0,1]
	flat_store_dword v[10:11], v31
	s_waitcnt vmcnt(0)
	flat_load_dword v10, v[10:11] glc
	s_waitcnt vmcnt(0) lgkmcnt(0)
	v_add_f32_e32 v12, 1.0, v10
	v_pk_mov_b32 v[10:11], s[12:13], s[12:13] op_sel:[0,1]
	flat_store_dword v[10:11], v12
	s_waitcnt vmcnt(0)
	flat_load_dword v10, v[10:11] glc
	s_waitcnt vmcnt(0)
	v_mov_b32_e32 v11, v3
	s_waitcnt lgkmcnt(0)
	v_mov_b32_e32 v10, v2
.LBB75_357:                             ;   in Loop: Header=BB75_233 Depth=1
	s_or_b64 exec, exec, s[4:5]
.LBB75_358:                             ;   in Loop: Header=BB75_233 Depth=1
	s_andn2_saveexec_b64 s[4:5], s[26:27]
	s_cbranch_execz .LBB75_372
; %bb.359:                              ;   in Loop: Header=BB75_233 Depth=1
	v_and_b32_e32 v12, 0x7f800000, v2
	v_and_b32_e32 v10, 0x7f800000, v3
	v_sub_u32_e32 v11, v10, v12
	v_cmp_gt_i32_e32 vcc, s50, v11
	v_cmp_neq_f32_e64 s[26:27], |v3|, s44
	s_and_b64 s[26:27], s[26:27], vcc
                                        ; implicit-def: $vgpr11
	s_and_saveexec_b64 s[28:29], s[26:27]
	s_xor_b64 s[26:27], exec, s[28:29]
	s_cbranch_execz .LBB75_369
; %bb.360:                              ;   in Loop: Header=BB75_233 Depth=1
	v_sub_u32_e32 v11, v12, v10
	v_cmp_gt_i32_e32 vcc, s50, v11
                                        ; implicit-def: $vgpr11
	s_and_saveexec_b64 s[28:29], vcc
	s_xor_b64 s[28:29], exec, s[28:29]
	s_cbranch_execz .LBB75_366
; %bb.361:                              ;   in Loop: Header=BB75_233 Depth=1
	v_cmp_lt_u32_e32 vcc, s51, v10
                                        ; implicit-def: $vgpr11
	s_and_saveexec_b64 s[30:31], vcc
	s_xor_b64 s[30:31], exec, s[30:31]
	s_cbranch_execz .LBB75_363
; %bb.362:                              ;   in Loop: Header=BB75_233 Depth=1
	v_sub_u32_e32 v10, 0x7f800000, v10
	v_mul_f32_e32 v12, v2, v10
	v_mul_f32_e32 v11, v3, v10
	;; [unrolled: 1-line block ×3, first 2 shown]
	v_fmac_f32_e32 v12, v11, v11
	v_div_scale_f32 v13, s[34:35], v12, v12, v11
	v_rcp_f32_e32 v17, v13
	v_fma_f32 v19, -v13, v17, 1.0
	v_fmac_f32_e32 v17, v19, v17
	v_div_scale_f32 v19, vcc, v11, v12, v11
	v_mul_f32_e32 v40, v19, v17
	v_fma_f32 v41, -v13, v40, v19
	v_fmac_f32_e32 v40, v41, v17
	v_fma_f32 v13, -v13, v40, v19
	v_div_fmas_f32 v13, v13, v17, v40
	v_div_fixup_f32 v11, v13, v12, v11
	v_mul_f32_e32 v11, v11, v10
.LBB75_363:                             ;   in Loop: Header=BB75_233 Depth=1
	s_andn2_saveexec_b64 s[30:31], s[30:31]
	s_cbranch_execz .LBB75_365
; %bb.364:                              ;   in Loop: Header=BB75_233 Depth=1
	v_pk_mul_f32 v[10:11], v[2:3], v[2:3]
	v_add_f32_e32 v10, v10, v11
	v_div_scale_f32 v11, s[34:35], v10, v10, v3
	v_rcp_f32_e32 v12, v11
	v_div_scale_f32 v13, vcc, v3, v10, v3
	v_fma_f32 v17, -v11, v12, 1.0
	v_fmac_f32_e32 v12, v17, v12
	v_mul_f32_e32 v17, v13, v12
	v_fma_f32 v19, -v11, v17, v13
	v_fmac_f32_e32 v17, v19, v12
	v_fma_f32 v11, -v11, v17, v13
	v_div_fmas_f32 v11, v11, v12, v17
	v_div_fixup_f32 v11, v11, v10, v3
.LBB75_365:                             ;   in Loop: Header=BB75_233 Depth=1
	s_or_b64 exec, exec, s[30:31]
.LBB75_366:                             ;   in Loop: Header=BB75_233 Depth=1
	s_andn2_saveexec_b64 s[28:29], s[28:29]
	s_cbranch_execz .LBB75_368
; %bb.367:                              ;   in Loop: Header=BB75_233 Depth=1
	v_div_scale_f32 v10, s[30:31], v2, v2, v3
	v_rcp_f32_e32 v11, v10
	v_div_scale_f32 v12, vcc, v3, v2, v3
	v_fma_f32 v13, -v10, v11, 1.0
	v_fmac_f32_e32 v11, v13, v11
	v_mul_f32_e32 v13, v12, v11
	v_fma_f32 v17, -v10, v13, v12
	v_fmac_f32_e32 v13, v17, v11
	v_fma_f32 v10, -v10, v13, v12
	v_div_fmas_f32 v10, v10, v11, v13
	v_div_fixup_f32 v10, v10, v2, v3
	v_div_scale_f32 v11, s[30:31], v2, v2, v10
	v_rcp_f32_e32 v12, v11
	v_fma_f32 v13, -v11, v12, 1.0
	v_fmac_f32_e32 v12, v13, v12
	v_div_scale_f32 v13, vcc, v10, v2, v10
	v_mul_f32_e32 v17, v13, v12
	v_fma_f32 v19, -v11, v17, v13
	v_fmac_f32_e32 v17, v19, v12
	v_fma_f32 v11, -v11, v17, v13
	v_div_fmas_f32 v11, v11, v12, v17
	v_div_fixup_f32 v11, v11, v2, v10
.LBB75_368:                             ;   in Loop: Header=BB75_233 Depth=1
	s_or_b64 exec, exec, s[28:29]
.LBB75_369:                             ;   in Loop: Header=BB75_233 Depth=1
	s_andn2_saveexec_b64 s[26:27], s[26:27]
; %bb.370:                              ;   in Loop: Header=BB75_233 Depth=1
	v_div_scale_f32 v10, s[28:29], v3, v3, 1.0
	v_rcp_f32_e32 v11, v10
	v_div_scale_f32 v12, vcc, 1.0, v3, 1.0
	v_fma_f32 v13, -v10, v11, 1.0
	v_fmac_f32_e32 v11, v13, v11
	v_mul_f32_e32 v13, v12, v11
	v_fma_f32 v17, -v10, v13, v12
	v_fmac_f32_e32 v13, v17, v11
	v_fma_f32 v10, -v10, v13, v12
	v_div_fmas_f32 v10, v10, v11, v13
	v_div_fixup_f32 v11, v10, v3, 1.0
; %bb.371:                              ;   in Loop: Header=BB75_233 Depth=1
	s_or_b64 exec, exec, s[26:27]
	v_pk_mov_b32 v[12:13], s[8:9], s[8:9] op_sel:[0,1]
	flat_load_dword v10, v[12:13] glc
	s_waitcnt vmcnt(0) lgkmcnt(0)
	v_add_f32_e32 v10, 0x3fc90fdb, v10
	v_bfi_b32 v10, s49, v10, v2
.LBB75_372:                             ;   in Loop: Header=BB75_233 Depth=1
	s_or_b64 exec, exec, s[4:5]
.LBB75_373:                             ;   in Loop: Header=BB75_233 Depth=1
	s_andn2_saveexec_b64 s[4:5], s[24:25]
	s_cbranch_execz .LBB75_383
; %bb.374:                              ;   in Loop: Header=BB75_233 Depth=1
	v_cmp_neq_f32_e64 s[24:25], |v3|, s44
                                        ; implicit-def: $vgpr11
	s_and_saveexec_b64 s[26:27], s[24:25]
	s_xor_b64 s[24:25], exec, s[26:27]
	s_cbranch_execz .LBB75_380
; %bb.375:                              ;   in Loop: Header=BB75_233 Depth=1
	v_cmp_neq_f32_e64 s[26:27], |v2|, s44
                                        ; implicit-def: $vgpr11
	s_and_saveexec_b64 s[28:29], s[26:27]
	s_xor_b64 s[26:27], exec, s[28:29]
; %bb.376:                              ;   in Loop: Header=BB75_233 Depth=1
	v_add_f32_e32 v10, 0, v2
	v_add_f32_e32 v11, v10, v3
; %bb.377:                              ;   in Loop: Header=BB75_233 Depth=1
	s_or_saveexec_b64 s[26:27], s[26:27]
	v_mov_b32_e32 v10, v11
	s_xor_b64 exec, exec, s[26:27]
	s_cbranch_execz .LBB75_379
; %bb.378:                              ;   in Loop: Header=BB75_233 Depth=1
	v_pk_mov_b32 v[10:11], s[8:9], s[8:9] op_sel:[0,1]
	flat_load_dword v10, v[10:11] glc
	s_waitcnt vmcnt(0)
	v_bfi_b32 v11, s49, 0, v3
	s_waitcnt lgkmcnt(0)
	v_add_f32_e32 v10, 0x3fc90fdb, v10
	v_bfi_b32 v10, s49, v10, v2
.LBB75_379:                             ;   in Loop: Header=BB75_233 Depth=1
	s_or_b64 exec, exec, s[26:27]
.LBB75_380:                             ;   in Loop: Header=BB75_233 Depth=1
	s_andn2_saveexec_b64 s[24:25], s[24:25]
; %bb.381:                              ;   in Loop: Header=BB75_233 Depth=1
	v_bfi_b32 v11, s49, 0, v3
	v_add_f32_e32 v10, v2, v2
; %bb.382:                              ;   in Loop: Header=BB75_233 Depth=1
	s_or_b64 exec, exec, s[24:25]
.LBB75_383:                             ;   in Loop: Header=BB75_233 Depth=1
	s_or_b64 exec, exec, s[4:5]
.LBB75_384:                             ;   in Loop: Header=BB75_233 Depth=1
	s_andn2_saveexec_b64 s[4:5], s[22:23]
	s_cbranch_execz .LBB75_386
; %bb.385:                              ;   in Loop: Header=BB75_233 Depth=1
	v_rcp_f32_e64 v10, |v2|
	v_cmp_gt_f32_e64 vcc, |v2|, 1.0
	v_mov_b32_e32 v11, 0xbc7a590c
	v_cndmask_b32_e64 v10, |v2|, v10, vcc
	v_mul_f32_e32 v12, v10, v10
	v_fmac_f32_e32 v11, 0x3b2d2a58, v12
	v_fma_f32 v11, v12, v11, v25
	v_fma_f32 v11, v12, v11, v26
	;; [unrolled: 1-line block ×6, first 2 shown]
	v_mul_f32_e32 v11, v12, v11
	v_fmac_f32_e32 v10, v10, v11
	v_sub_f32_e32 v11, 0x3fc90fdb, v10
	v_cndmask_b32_e32 v10, v10, v11, vcc
	v_bfi_b32 v10, s49, v10, v2
	v_mov_b32_e32 v11, v3
.LBB75_386:                             ;   in Loop: Header=BB75_233 Depth=1
	s_or_b64 exec, exec, s[4:5]
.LBB75_387:                             ;   in Loop: Header=BB75_233 Depth=1
	s_andn2_saveexec_b64 s[4:5], s[20:21]
	s_cbranch_execz .LBB75_389
; %bb.388:                              ;   in Loop: Header=BB75_233 Depth=1
	v_sub_f32_e64 v11, 1.0, |v3|
	v_rcp_f32_e32 v17, v11
	v_add_f32_e64 v12, |v3|, 1.0
	v_sub_f32_e32 v13, 1.0, v11
	v_sub_f32_e64 v40, v13, |v3|
	v_mul_f32_e32 v42, v12, v17
	v_mul_f32_e32 v13, v11, v42
	v_fma_f32 v19, v42, v11, -v13
	v_fmac_f32_e32 v19, v42, v40
	v_pk_add_f32 v[40:41], v[12:13], v[18:19]
	v_sub_f32_e32 v43, v12, v41
	v_and_b32_e32 v10, 0x7fffffff, v3
	v_sub_f32_e32 v13, v41, v13
	v_sub_f32_e32 v11, v12, v43
	v_pk_add_f32 v[10:11], v[10:11], v[40:41] neg_lo:[0,1] neg_hi:[0,1]
	v_sub_f32_e32 v12, v13, v19
	v_add_f32_e32 v11, v12, v11
	v_add_f32_e32 v10, v10, v11
	v_add_f32_e32 v10, v43, v10
	v_mul_f32_e32 v10, v17, v10
	v_add_f32_e32 v12, v42, v10
	v_sub_f32_e32 v11, v12, v42
	v_sub_f32_e32 v13, v10, v11
	v_frexp_mant_f32_e32 v17, v12
	v_cvt_f64_f32_e32 v[10:11], v12
	v_frexp_exp_i32_f64_e32 v10, v[10:11]
	v_cmp_gt_f32_e32 vcc, s42, v17
	v_subbrev_co_u32_e32 v19, vcc, 0, v10, vcc
	v_sub_u32_e32 v10, 0, v19
	v_ldexp_f32 v11, v12, v10
	v_add_f32_e32 v12, -1.0, v11
	v_add_f32_e32 v17, 1.0, v11
	v_ldexp_f32 v10, v13, v10
	v_add_f32_e32 v13, 1.0, v12
	v_add_f32_e32 v40, -1.0, v17
	v_sub_f32_e32 v13, v11, v13
	v_sub_f32_e32 v11, v11, v40
	v_add_f32_e32 v13, v10, v13
	v_add_f32_e32 v10, v10, v11
	;; [unrolled: 1-line block ×3, first 2 shown]
	v_rcp_f32_e32 v45, v44
	v_sub_f32_e32 v11, v44, v17
	v_sub_f32_e32 v17, v10, v11
	v_add_f32_e32 v11, v12, v13
	v_mul_f32_e32 v47, v11, v45
	v_sub_f32_e32 v10, v11, v12
	v_mul_f32_e32 v12, v44, v47
	v_fma_f32 v40, v47, v44, -v12
	v_fmac_f32_e32 v40, v47, v17
	v_sub_f32_e32 v46, v13, v10
	v_add_f32_e32 v10, v12, v40
	v_sub_f32_e32 v13, v11, v10
	v_pk_add_f32 v[42:43], v[10:11], v[12:13] neg_lo:[0,1] neg_hi:[0,1]
	v_mov_b32_e32 v41, v10
	v_pk_add_f32 v[10:11], v[42:43], v[40:41] neg_lo:[0,1] neg_hi:[0,1]
	v_add_f32_e32 v11, v46, v11
	v_add_f32_e32 v10, v10, v11
	;; [unrolled: 1-line block ×3, first 2 shown]
	v_mul_f32_e32 v46, v45, v11
	v_mul_f32_e32 v12, v44, v46
	v_fma_f32 v40, v46, v44, -v12
	v_fmac_f32_e32 v40, v46, v17
	v_sub_f32_e32 v13, v13, v11
	v_add_f32_e32 v17, v10, v13
	v_add_f32_e32 v10, v12, v40
	v_sub_f32_e32 v13, v11, v10
	v_pk_add_f32 v[42:43], v[10:11], v[12:13] neg_lo:[0,1] neg_hi:[0,1]
	v_mov_b32_e32 v41, v10
	v_pk_add_f32 v[10:11], v[42:43], v[40:41] neg_lo:[0,1] neg_hi:[0,1]
	v_add_f32_e32 v11, v17, v11
	v_add_f32_e32 v10, v10, v11
	v_add_f32_e32 v11, v47, v46
	v_add_f32_e32 v10, v13, v10
	v_sub_f32_e32 v12, v11, v47
	v_mul_f32_e32 v10, v45, v10
	v_sub_f32_e32 v12, v46, v12
	v_add_f32_e32 v12, v12, v10
	v_add_f32_e32 v40, v11, v12
	v_mul_f32_e32 v41, v40, v40
	v_mov_b32_e32 v10, 0x3ecc95a3
	v_fmac_f32_e32 v10, 0x3e9b6dac, v41
	v_fma_f32 v17, v41, v10, v24
	v_cvt_f32_i32_e32 v10, v19
	v_sub_f32_e32 v11, v40, v11
	v_sub_f32_e32 v11, v12, v11
	v_ldexp_f32 v19, v11, 1
	v_mul_f32_e32 v11, v40, v41
	v_ldexp_f32 v13, v40, 1
	v_pk_mul_f32 v[40:41], v[10:11], v[16:17]
	v_fma_f32 v12, v10, s43, -v40
	v_fmac_f32_e32 v12, 0xb102e308, v10
	v_pk_add_f32 v[10:11], v[40:41], v[12:13]
	v_sub_f32_e32 v13, v11, v13
	v_sub_f32_e32 v13, v41, v13
	v_add_f32_e32 v43, v19, v13
	v_mov_b32_e32 v42, v40
	v_pk_add_f32 v[40:41], v[10:11], v[40:41] neg_lo:[0,1] neg_hi:[0,1]
	v_pk_add_f32 v[44:45], v[10:11], v[42:43]
	v_mov_b32_e32 v41, v45
	v_mov_b32_e32 v13, v10
	v_pk_add_f32 v[46:47], v[12:13], v[40:41] neg_lo:[0,1] neg_hi:[0,1]
	v_pk_add_f32 v[12:13], v[12:13], v[40:41]
	v_mov_b32_e32 v40, v13
	v_pk_add_f32 v[48:49], v[40:41], v[10:11] neg_lo:[0,1] neg_hi:[0,1]
	v_mov_b32_e32 v17, v48
	v_pk_add_f32 v[50:51], v[44:45], v[16:17] neg_lo:[0,1] neg_hi:[0,1]
	v_mov_b32_e32 v12, v45
	v_mov_b32_e32 v44, v11
	;; [unrolled: 1-line block ×4, first 2 shown]
	v_pk_add_f32 v[12:13], v[12:13], v[44:45] neg_lo:[0,1] neg_hi:[0,1]
	v_mov_b32_e32 v42, v43
	v_mov_b32_e32 v43, v10
	v_pk_add_f32 v[10:11], v[42:43], v[12:13] neg_lo:[0,1] neg_hi:[0,1]
	v_mov_b32_e32 v50, v46
	v_pk_add_f32 v[12:13], v[50:51], v[10:11]
	v_mov_b32_e32 v42, v13
	v_pk_add_f32 v[42:43], v[12:13], v[42:43]
	v_pk_add_f32 v[40:41], v[40:41], v[42:43]
	v_mov_b32_e32 v13, v40
	v_pk_add_f32 v[44:45], v[12:13], v[46:47] neg_lo:[0,1] neg_hi:[0,1]
	v_mov_b32_e32 v11, v42
	v_sub_f32_e32 v12, v12, v44
	v_pk_add_f32 v[10:11], v[10:11], v[44:45] neg_lo:[0,1] neg_hi:[0,1]
	v_sub_f32_e32 v12, v46, v12
	v_add_f32_e32 v10, v10, v12
	v_add_f32_e32 v10, v10, v11
	;; [unrolled: 1-line block ×3, first 2 shown]
	v_mul_f32_e32 v10, 0.5, v10
	v_cmp_lt_f32_e64 s[20:21], |v3|, s52
	v_cndmask_b32_e64 v10, v10, |v3|, s[20:21]
	v_cmp_ngt_f32_e64 vcc, |v3|, 1.0
	v_cndmask_b32_e32 v10, v32, v10, vcc
	v_cmp_neq_f32_e64 vcc, |v3|, 1.0
	v_cndmask_b32_e32 v10, v39, v10, vcc
	v_bfi_b32 v11, s49, v10, v3
	v_mov_b32_e32 v10, v2
.LBB75_389:                             ;   in Loop: Header=BB75_233 Depth=1
	s_or_b64 exec, exec, s[4:5]
	v_cmp_neq_f32_e32 vcc, 0, v4
	v_cmp_nle_f32_e64 s[4:5], |v5|, 1.0
	v_pk_mov_b32 v[2:3], s[8:9], s[8:9] op_sel:[0,1]
	s_or_b64 s[4:5], vcc, s[4:5]
	flat_store_dword v[2:3], v23
	s_waitcnt vmcnt(0)
	s_and_saveexec_b64 s[20:21], s[4:5]
	s_xor_b64 s[20:21], exec, s[20:21]
	s_cbranch_execz .LBB75_439
; %bb.390:                              ;   in Loop: Header=BB75_233 Depth=1
	v_cmp_neq_f32_e32 vcc, 0, v5
	s_and_saveexec_b64 s[4:5], vcc
	s_xor_b64 s[22:23], exec, s[4:5]
	s_cbranch_execz .LBB75_436
; %bb.391:                              ;   in Loop: Header=BB75_233 Depth=1
	v_cmp_o_f32_e32 vcc, v5, v4
	s_and_saveexec_b64 s[4:5], vcc
	s_xor_b64 s[24:25], exec, s[4:5]
	s_cbranch_execz .LBB75_425
; %bb.392:                              ;   in Loop: Header=BB75_233 Depth=1
	v_max_f32_e64 v3, |v5|, |v5|
	v_max_f32_e64 v2, |v4|, |v4|
	v_max_f32_e32 v3, v2, v3
	v_cmp_nlt_f32_e32 vcc, s38, v3
	s_and_saveexec_b64 s[4:5], vcc
	s_xor_b64 s[26:27], exec, s[4:5]
	s_cbranch_execz .LBB75_410
; %bb.393:                              ;   in Loop: Header=BB75_233 Depth=1
	v_cmp_nlt_f32_e64 s[4:5], |v5|, s39
	v_cmp_nlt_f32_e64 s[28:29], |v4|, s39
	s_or_b64 s[4:5], s[28:29], s[4:5]
	s_and_saveexec_b64 s[28:29], s[4:5]
	s_xor_b64 s[28:29], exec, s[28:29]
	s_cbranch_execz .LBB75_407
; %bb.394:                              ;   in Loop: Header=BB75_233 Depth=1
	v_cmp_neq_f32_e64 s[34:35], |v5|, 1.0
	v_cmp_nlt_f32_e64 s[30:31], |v4|, s40
	s_or_b64 s[4:5], s[30:31], s[34:35]
                                        ; implicit-def: $vgpr3
	s_and_saveexec_b64 s[36:37], s[4:5]
	s_xor_b64 s[4:5], exec, s[36:37]
	s_cbranch_execz .LBB75_396
; %bb.395:                              ;   in Loop: Header=BB75_233 Depth=1
	v_add_f32_e64 v12, |v5|, -1.0
	v_mul_f32_e32 v17, v4, v4
	v_mul_f32_e32 v13, v12, v12
	v_fmac_f32_e32 v17, v12, v12
	v_cmp_lt_f32_e64 vcc, |v4|, s41
	v_mul_f32_e64 v3, |v5|, 4.0
	v_cndmask_b32_e32 v12, v17, v13, vcc
	v_div_scale_f32 v13, s[36:37], v12, v12, v3
	v_rcp_f32_e32 v17, v13
	v_fma_f32 v19, -v13, v17, 1.0
	v_fmac_f32_e32 v17, v19, v17
	v_div_scale_f32 v19, vcc, v3, v12, v3
	v_mul_f32_e32 v40, v19, v17
	v_fma_f32 v41, -v13, v40, v19
	v_fmac_f32_e32 v40, v41, v17
	v_fma_f32 v13, -v13, v40, v19
	v_div_fmas_f32 v13, v13, v17, v40
	v_div_fixup_f32 v12, v13, v12, v3
	v_add_f32_e32 v41, 1.0, v12
	v_add_f32_e32 v13, -1.0, v41
	v_mov_b32_e32 v40, v13
	v_pk_add_f32 v[42:43], v[12:13], v[40:41] neg_lo:[0,1] neg_hi:[0,1]
	v_add_f32_e32 v3, 1.0, v43
	v_add_f32_e32 v3, v42, v3
	v_frexp_mant_f32_e32 v13, v41
	v_cvt_f64_f32_e32 v[42:43], v41
	v_frexp_exp_i32_f64_e32 v17, v[42:43]
	v_cmp_gt_f32_e32 vcc, s42, v13
	v_subbrev_co_u32_e32 v13, vcc, 0, v17, vcc
	v_sub_u32_e32 v17, 0, v13
	v_ldexp_f32 v19, v41, v17
	v_ldexp_f32 v3, v3, v17
	v_add_f32_e32 v17, -1.0, v19
	v_add_f32_e32 v41, 1.0, v19
	v_add_f32_e32 v40, 1.0, v17
	v_add_f32_e32 v42, -1.0, v41
	v_sub_f32_e32 v40, v19, v40
	v_sub_f32_e32 v19, v19, v42
	v_add_f32_e32 v40, v3, v40
	v_add_f32_e32 v3, v3, v19
	;; [unrolled: 1-line block ×3, first 2 shown]
	v_rcp_f32_e32 v48, v19
	v_sub_f32_e32 v41, v19, v41
	v_sub_f32_e32 v3, v3, v41
	v_add_f32_e32 v41, v17, v40
	v_mul_f32_e32 v49, v41, v48
	v_mul_f32_e32 v42, v19, v49
	v_fma_f32 v44, v49, v19, -v42
	v_sub_f32_e32 v17, v41, v17
	v_fmac_f32_e32 v44, v49, v3
	v_sub_f32_e32 v17, v40, v17
	v_add_f32_e32 v40, v42, v44
	v_sub_f32_e32 v43, v41, v40
	v_pk_add_f32 v[46:47], v[40:41], v[42:43] neg_lo:[0,1] neg_hi:[0,1]
	v_mov_b32_e32 v45, v40
	v_pk_add_f32 v[40:41], v[46:47], v[44:45] neg_lo:[0,1] neg_hi:[0,1]
	v_add_f32_e32 v17, v17, v41
	v_add_f32_e32 v17, v40, v17
	;; [unrolled: 1-line block ×3, first 2 shown]
	v_mul_f32_e32 v50, v48, v41
	v_mul_f32_e32 v42, v19, v50
	v_fma_f32 v44, v50, v19, -v42
	v_fmac_f32_e32 v44, v50, v3
	v_add_f32_e32 v40, v42, v44
	v_sub_f32_e32 v3, v43, v41
	v_sub_f32_e32 v43, v41, v40
	v_pk_add_f32 v[46:47], v[40:41], v[42:43] neg_lo:[0,1] neg_hi:[0,1]
	v_mov_b32_e32 v45, v40
	v_add_f32_e32 v3, v17, v3
	v_pk_add_f32 v[40:41], v[46:47], v[44:45] neg_lo:[0,1] neg_hi:[0,1]
	v_add_f32_e32 v3, v3, v41
	v_add_f32_e32 v3, v40, v3
	;; [unrolled: 1-line block ×4, first 2 shown]
	v_sub_f32_e32 v17, v19, v49
	v_mul_f32_e32 v3, v48, v3
	v_sub_f32_e32 v17, v50, v17
	v_add_f32_e32 v3, v17, v3
	v_add_f32_e32 v41, v19, v3
	v_cvt_f32_i32_e32 v40, v13
	v_mul_f32_e32 v42, v41, v41
	v_mov_b32_e32 v17, 0x3ecc95a3
	v_fmac_f32_e32 v17, 0x3e9b6dac, v42
	v_fma_f32 v17, v42, v17, v24
	v_sub_f32_e32 v13, v41, v19
	v_ldexp_f32 v43, v41, 1
	v_mul_f32_e32 v41, v41, v42
	v_pk_mul_f32 v[44:45], v[40:41], v[16:17]
	v_fma_f32 v42, v40, s43, -v44
	v_fmac_f32_e32 v42, 0xb102e308, v40
	v_pk_add_f32 v[40:41], v[44:45], v[42:43]
	v_sub_f32_e32 v3, v3, v13
	v_sub_f32_e32 v13, v41, v43
	v_ldexp_f32 v3, v3, 1
	v_sub_f32_e32 v13, v45, v13
	v_add_f32_e32 v47, v3, v13
	v_mov_b32_e32 v46, v44
	v_pk_add_f32 v[44:45], v[40:41], v[44:45] neg_lo:[0,1] neg_hi:[0,1]
	v_pk_add_f32 v[48:49], v[40:41], v[46:47]
	v_mov_b32_e32 v45, v49
	v_mov_b32_e32 v43, v40
	v_pk_add_f32 v[50:51], v[42:43], v[44:45] neg_lo:[0,1] neg_hi:[0,1]
	v_pk_add_f32 v[42:43], v[42:43], v[44:45]
	v_mov_b32_e32 v44, v43
	v_pk_add_f32 v[52:53], v[44:45], v[40:41] neg_lo:[0,1] neg_hi:[0,1]
	v_mov_b32_e32 v3, v52
	v_pk_add_f32 v[54:55], v[48:49], v[2:3] neg_lo:[0,1] neg_hi:[0,1]
	v_mov_b32_e32 v42, v49
	v_mov_b32_e32 v48, v41
	;; [unrolled: 1-line block ×4, first 2 shown]
	v_pk_add_f32 v[42:43], v[42:43], v[48:49] neg_lo:[0,1] neg_hi:[0,1]
	v_mov_b32_e32 v46, v47
	v_mov_b32_e32 v47, v40
	v_pk_add_f32 v[40:41], v[46:47], v[42:43] neg_lo:[0,1] neg_hi:[0,1]
	v_mov_b32_e32 v54, v50
	v_pk_add_f32 v[42:43], v[54:55], v[40:41]
	v_mov_b32_e32 v46, v43
	v_pk_add_f32 v[46:47], v[42:43], v[46:47]
	v_pk_add_f32 v[44:45], v[44:45], v[46:47]
	v_mov_b32_e32 v43, v44
	v_pk_add_f32 v[48:49], v[42:43], v[50:51] neg_lo:[0,1] neg_hi:[0,1]
	v_mov_b32_e32 v41, v46
	v_sub_f32_e32 v3, v42, v48
	v_pk_add_f32 v[40:41], v[40:41], v[48:49] neg_lo:[0,1] neg_hi:[0,1]
	v_sub_f32_e32 v3, v50, v3
	v_add_f32_e32 v3, v40, v3
	v_add_f32_e32 v3, v3, v41
	;; [unrolled: 1-line block ×3, first 2 shown]
	v_cmp_eq_f32_e32 vcc, s44, v12
	v_cndmask_b32_e32 v3, v3, v12, vcc
	v_cmp_ngt_f32_e32 vcc, -1.0, v12
	v_cndmask_b32_e32 v3, v32, v3, vcc
	v_cmp_neq_f32_e32 vcc, -1.0, v12
	v_cndmask_b32_e32 v3, v33, v3, vcc
	v_cmp_lt_f32_e64 vcc, |v12|, s45
	v_cndmask_b32_e32 v3, v3, v12, vcc
	v_mul_f32_e32 v3, 0x3e800000, v3
	s_andn2_saveexec_b64 s[36:37], s[4:5]
	s_cbranch_execz .LBB75_398
	s_branch .LBB75_397
.LBB75_396:                             ;   in Loop: Header=BB75_233 Depth=1
	s_andn2_saveexec_b64 s[36:37], s[4:5]
	s_cbranch_execz .LBB75_398
.LBB75_397:                             ;   in Loop: Header=BB75_233 Depth=1
	v_cmp_lt_f32_e64 vcc, |v4|, s46
	v_cndmask_b32_e32 v3, 1.0, v34, vcc
	v_mul_f32_e64 v3, |v4|, v3
	v_log_f32_e32 v3, v3
	v_mul_f32_e32 v12, 0x3f317217, v3
	v_fma_f32 v13, v3, s47, -v12
	v_fmac_f32_e32 v13, 0x3377d1cf, v3
	v_add_f32_e32 v12, v12, v13
	v_cmp_lt_f32_e64 s[4:5], |v3|, s44
	v_cndmask_b32_e64 v3, v3, v12, s[4:5]
	v_cndmask_b32_e32 v12, 0, v35, vcc
	v_sub_f32_e32 v3, v3, v12
	v_sub_f32_e32 v3, 0x3f317218, v3
	v_mul_f32_e32 v3, 0.5, v3
.LBB75_398:                             ;   in Loop: Header=BB75_233 Depth=1
	s_or_b64 exec, exec, s[36:37]
                                        ; implicit-def: $vgpr13
	s_and_saveexec_b64 s[4:5], s[34:35]
	s_xor_b64 s[34:35], exec, s[4:5]
	s_cbranch_execz .LBB75_404
; %bb.399:                              ;   in Loop: Header=BB75_233 Depth=1
	v_sub_f32_e64 v12, 1.0, |v5|
	v_add_f32_e64 v13, |v5|, 1.0
	v_add_f32_e64 v2, |v4|, |v4|
	v_mul_f32_e32 v12, v12, v13
                                        ; implicit-def: $vgpr13
	s_and_saveexec_b64 s[4:5], s[30:31]
	s_xor_b64 s[30:31], exec, s[4:5]
	s_cbranch_execz .LBB75_401
; %bb.400:                              ;   in Loop: Header=BB75_233 Depth=1
	v_fma_f32 v12, -v4, v4, v12
	v_max_f32_e64 v13, |v2|, |v2|
	v_min_f32_e64 v17, |v12|, v13
	v_max_f32_e64 v13, |v12|, v13
	v_frexp_mant_f32_e32 v19, v13
	v_rcp_f32_e32 v19, v19
	v_frexp_exp_i32_f32_e32 v13, v13
	v_frexp_exp_i32_f32_e32 v40, v17
	v_frexp_mant_f32_e32 v17, v17
	v_mul_f32_e32 v17, v17, v19
	v_sub_u32_e32 v13, v40, v13
	v_ldexp_f32 v13, v17, v13
	v_mul_f32_e32 v17, v13, v13
	v_mov_b32_e32 v19, 0xbc7a590c
	v_fmac_f32_e32 v19, 0x3b2d2a58, v17
	v_fma_f32 v19, v17, v19, v25
	v_fma_f32 v19, v17, v19, v26
	;; [unrolled: 1-line block ×6, first 2 shown]
	v_mul_f32_e32 v17, v17, v19
	v_fmac_f32_e32 v13, v13, v17
	v_sub_f32_e32 v17, 0x3fc90fdb, v13
	v_cmp_gt_f32_e64 vcc, |v2|, |v12|
	v_cndmask_b32_e32 v13, v13, v17, vcc
	v_sub_f32_e32 v17, 0x40490fdb, v13
	v_cmp_gt_f32_e32 vcc, 0, v12
	v_cmp_gt_i32_e64 s[4:5], 0, v12
	v_cndmask_b32_e32 v13, v13, v17, vcc
	v_cndmask_b32_e64 v17, 0, v36, s[4:5]
	v_cmp_eq_f32_e64 s[4:5], 0, v2
	v_cndmask_b32_e64 v13, v13, v17, s[4:5]
	v_cmp_class_f32_e64 s[4:5], v12, s48
	v_cmp_class_f32_e64 s[36:37], v2, s48
	v_cndmask_b32_e32 v17, v37, v38, vcc
	s_and_b64 vcc, s[36:37], s[4:5]
	v_cndmask_b32_e32 v13, v13, v17, vcc
	v_cmp_o_f32_e32 vcc, v12, v2
	v_cndmask_b32_e32 v12, v32, v13, vcc
	v_bfi_b32 v13, s49, v12, v2
                                        ; implicit-def: $vgpr2
                                        ; implicit-def: $vgpr12
.LBB75_401:                             ;   in Loop: Header=BB75_233 Depth=1
	s_andn2_saveexec_b64 s[30:31], s[30:31]
	s_cbranch_execz .LBB75_403
; %bb.402:                              ;   in Loop: Header=BB75_233 Depth=1
	v_max_f32_e32 v13, v2, v2
	v_max_f32_e64 v17, |v12|, |v12|
	v_min_f32_e32 v19, v17, v13
	v_max_f32_e32 v13, v17, v13
	v_frexp_mant_f32_e32 v17, v13
	v_rcp_f32_e32 v17, v17
	v_frexp_exp_i32_f32_e32 v13, v13
	v_frexp_exp_i32_f32_e32 v40, v19
	v_frexp_mant_f32_e32 v19, v19
	v_mul_f32_e32 v17, v19, v17
	v_sub_u32_e32 v13, v40, v13
	v_ldexp_f32 v13, v17, v13
	v_mul_f32_e32 v17, v13, v13
	v_mov_b32_e32 v19, 0xbc7a590c
	v_fmac_f32_e32 v19, 0x3b2d2a58, v17
	v_fma_f32 v19, v17, v19, v25
	v_fma_f32 v19, v17, v19, v26
	;; [unrolled: 1-line block ×6, first 2 shown]
	v_mul_f32_e32 v17, v17, v19
	v_fmac_f32_e32 v13, v13, v17
	v_sub_f32_e32 v17, 0x3fc90fdb, v13
	v_cmp_gt_f32_e64 vcc, v2, |v12|
	v_cndmask_b32_e32 v13, v13, v17, vcc
	v_sub_f32_e32 v17, 0x40490fdb, v13
	v_cmp_gt_f32_e32 vcc, 0, v12
	v_cmp_gt_i32_e64 s[4:5], 0, v12
	v_cndmask_b32_e32 v13, v13, v17, vcc
	v_cndmask_b32_e64 v17, 0, v36, s[4:5]
	v_cmp_eq_f32_e64 s[4:5], 0, v2
	v_cndmask_b32_e64 v13, v13, v17, s[4:5]
	v_cndmask_b32_e32 v17, v37, v38, vcc
	v_cmp_class_f32_e64 s[4:5], v12, s48
	v_cmp_eq_f32_e32 vcc, s44, v2
	s_and_b64 vcc, vcc, s[4:5]
	v_cndmask_b32_e32 v2, v13, v17, vcc
	v_cmp_o_f32_e32 vcc, v12, v12
	v_cndmask_b32_e64 v13, v32, |v2|, vcc
.LBB75_403:                             ;   in Loop: Header=BB75_233 Depth=1
	s_or_b64 exec, exec, s[30:31]
                                        ; implicit-def: $vgpr2
	s_andn2_saveexec_b64 s[4:5], s[34:35]
	s_cbranch_execnz .LBB75_405
	s_branch .LBB75_406
.LBB75_404:                             ;   in Loop: Header=BB75_233 Depth=1
	s_andn2_saveexec_b64 s[4:5], s[34:35]
	s_cbranch_execz .LBB75_406
.LBB75_405:                             ;   in Loop: Header=BB75_233 Depth=1
	v_min_f32_e32 v12, 2.0, v2
	v_max_f32_e32 v2, 2.0, v2
	v_frexp_mant_f32_e32 v13, v2
	v_rcp_f32_e32 v13, v13
	v_frexp_exp_i32_f32_e32 v2, v2
	v_frexp_exp_i32_f32_e32 v17, v12
	v_frexp_mant_f32_e32 v12, v12
	v_mul_f32_e32 v12, v12, v13
	v_sub_u32_e32 v2, v17, v2
	v_ldexp_f32 v2, v12, v2
	v_mul_f32_e32 v12, v2, v2
	v_mov_b32_e32 v13, 0xbc7a590c
	v_fmac_f32_e32 v13, 0x3b2d2a58, v12
	v_fma_f32 v13, v12, v13, v25
	v_fma_f32 v13, v12, v13, v26
	v_fma_f32 v13, v12, v13, v27
	v_fma_f32 v13, v12, v13, v28
	v_fma_f32 v13, v12, v13, v29
	v_fma_f32 v13, v12, v13, v30
	v_mul_f32_e32 v12, v12, v13
	v_fmac_f32_e32 v2, v2, v12
	v_sub_f32_e32 v12, 0x3fc90fdb, v2
	v_cmp_lt_f32_e64 vcc, |v4|, 2.0
	v_cndmask_b32_e32 v2, v2, v12, vcc
	v_sub_f32_e32 v12, 0x40490fdb, v2
	v_cmp_lg_f32_e32 vcc, 0, v4
	v_cndmask_b32_e32 v2, v2, v12, vcc
	v_and_b32_e32 v13, 0x7fffffff, v2
.LBB75_406:                             ;   in Loop: Header=BB75_233 Depth=1
	s_or_b64 exec, exec, s[4:5]
	v_mul_f32_e32 v2, 0.5, v13
	v_bfi_b32 v13, s49, v3, v5
	v_bfi_b32 v12, s49, v2, v4
                                        ; implicit-def: $vgpr5
.LBB75_407:                             ;   in Loop: Header=BB75_233 Depth=1
	s_andn2_saveexec_b64 s[4:5], s[28:29]
	s_cbranch_execz .LBB75_409
; %bb.408:                              ;   in Loop: Header=BB75_233 Depth=1
	v_pk_mov_b32 v[2:3], s[10:11], s[10:11] op_sel:[0,1]
	flat_store_dword v[2:3], v31
	s_waitcnt vmcnt(0)
	flat_load_dword v2, v[2:3] glc
	s_waitcnt vmcnt(0)
	v_mov_b32_e32 v13, v5
	s_waitcnt lgkmcnt(0)
	v_add_f32_e32 v12, 1.0, v2
	v_pk_mov_b32 v[2:3], s[12:13], s[12:13] op_sel:[0,1]
	flat_store_dword v[2:3], v12
	s_waitcnt vmcnt(0)
	flat_load_dword v2, v[2:3] glc
	s_waitcnt vmcnt(0)
	v_mov_b32_e32 v12, v4
.LBB75_409:                             ;   in Loop: Header=BB75_233 Depth=1
	s_or_b64 exec, exec, s[4:5]
                                        ; implicit-def: $vgpr2_vgpr3_vgpr4_vgpr5
.LBB75_410:                             ;   in Loop: Header=BB75_233 Depth=1
	s_andn2_saveexec_b64 s[4:5], s[26:27]
	s_cbranch_execz .LBB75_424
; %bb.411:                              ;   in Loop: Header=BB75_233 Depth=1
	v_and_b32_e32 v3, 0x7f800000, v4
	s_waitcnt lgkmcnt(0)
	v_and_b32_e32 v2, 0x7f800000, v5
	v_sub_u32_e32 v12, v2, v3
	v_cmp_gt_i32_e32 vcc, s50, v12
	v_cmp_neq_f32_e64 s[26:27], |v5|, s44
	s_and_b64 s[26:27], s[26:27], vcc
	s_and_saveexec_b64 s[28:29], s[26:27]
	s_xor_b64 s[26:27], exec, s[28:29]
	s_cbranch_execz .LBB75_421
; %bb.412:                              ;   in Loop: Header=BB75_233 Depth=1
	v_sub_u32_e32 v3, v3, v2
	v_cmp_gt_i32_e32 vcc, s50, v3
	s_and_saveexec_b64 s[28:29], vcc
	s_xor_b64 s[28:29], exec, s[28:29]
	s_cbranch_execz .LBB75_418
; %bb.413:                              ;   in Loop: Header=BB75_233 Depth=1
	v_cmp_lt_u32_e32 vcc, s51, v2
	s_and_saveexec_b64 s[30:31], vcc
	s_xor_b64 s[30:31], exec, s[30:31]
	s_cbranch_execz .LBB75_415
; %bb.414:                              ;   in Loop: Header=BB75_233 Depth=1
	v_sub_u32_e32 v2, 0x7f800000, v2
	v_mul_f32_e32 v12, v4, v2
	v_mul_f32_e32 v3, v5, v2
	;; [unrolled: 1-line block ×3, first 2 shown]
	v_fmac_f32_e32 v12, v3, v3
	v_div_scale_f32 v13, s[34:35], v12, v12, v3
	v_rcp_f32_e32 v17, v13
	v_fma_f32 v19, -v13, v17, 1.0
	v_fmac_f32_e32 v17, v19, v17
	v_div_scale_f32 v19, vcc, v3, v12, v3
	v_mul_f32_e32 v40, v19, v17
	v_fma_f32 v41, -v13, v40, v19
	v_fmac_f32_e32 v40, v41, v17
	v_fma_f32 v13, -v13, v40, v19
	v_div_fmas_f32 v13, v13, v17, v40
	v_div_fixup_f32 v3, v13, v12, v3
	v_mul_f32_e32 v13, v3, v2
.LBB75_415:                             ;   in Loop: Header=BB75_233 Depth=1
	s_andn2_saveexec_b64 s[30:31], s[30:31]
	s_cbranch_execz .LBB75_417
; %bb.416:                              ;   in Loop: Header=BB75_233 Depth=1
	v_pk_mul_f32 v[2:3], v[4:5], v[4:5]
	v_add_f32_e32 v2, v2, v3
	v_div_scale_f32 v3, s[34:35], v2, v2, v5
	v_rcp_f32_e32 v12, v3
	v_div_scale_f32 v13, vcc, v5, v2, v5
	v_fma_f32 v17, -v3, v12, 1.0
	v_fmac_f32_e32 v12, v17, v12
	v_mul_f32_e32 v17, v13, v12
	v_fma_f32 v19, -v3, v17, v13
	v_fmac_f32_e32 v17, v19, v12
	v_fma_f32 v3, -v3, v17, v13
	v_div_fmas_f32 v3, v3, v12, v17
	v_div_fixup_f32 v13, v3, v2, v5
.LBB75_417:                             ;   in Loop: Header=BB75_233 Depth=1
	s_or_b64 exec, exec, s[30:31]
.LBB75_418:                             ;   in Loop: Header=BB75_233 Depth=1
	s_andn2_saveexec_b64 s[28:29], s[28:29]
	s_cbranch_execz .LBB75_420
; %bb.419:                              ;   in Loop: Header=BB75_233 Depth=1
	v_div_scale_f32 v2, s[30:31], v4, v4, v5
	v_rcp_f32_e32 v3, v2
	v_div_scale_f32 v12, vcc, v5, v4, v5
	v_fma_f32 v13, -v2, v3, 1.0
	v_fmac_f32_e32 v3, v13, v3
	v_mul_f32_e32 v13, v12, v3
	v_fma_f32 v17, -v2, v13, v12
	v_fmac_f32_e32 v13, v17, v3
	v_fma_f32 v2, -v2, v13, v12
	v_div_fmas_f32 v2, v2, v3, v13
	v_div_fixup_f32 v2, v2, v4, v5
	v_div_scale_f32 v3, s[30:31], v4, v4, v2
	v_rcp_f32_e32 v12, v3
	v_fma_f32 v13, -v3, v12, 1.0
	v_fmac_f32_e32 v12, v13, v12
	v_div_scale_f32 v13, vcc, v2, v4, v2
	v_mul_f32_e32 v17, v13, v12
	v_fma_f32 v19, -v3, v17, v13
	v_fmac_f32_e32 v17, v19, v12
	v_fma_f32 v3, -v3, v17, v13
	v_div_fmas_f32 v3, v3, v12, v17
	v_div_fixup_f32 v13, v3, v4, v2
.LBB75_420:                             ;   in Loop: Header=BB75_233 Depth=1
	s_or_b64 exec, exec, s[28:29]
.LBB75_421:                             ;   in Loop: Header=BB75_233 Depth=1
	s_andn2_saveexec_b64 s[26:27], s[26:27]
; %bb.422:                              ;   in Loop: Header=BB75_233 Depth=1
	v_div_scale_f32 v2, s[28:29], v5, v5, 1.0
	v_rcp_f32_e32 v3, v2
	v_div_scale_f32 v12, vcc, 1.0, v5, 1.0
	v_fma_f32 v13, -v2, v3, 1.0
	v_fmac_f32_e32 v3, v13, v3
	v_mul_f32_e32 v13, v12, v3
	v_fma_f32 v17, -v2, v13, v12
	v_fmac_f32_e32 v13, v17, v3
	v_fma_f32 v2, -v2, v13, v12
	v_div_fmas_f32 v2, v2, v3, v13
	v_div_fixup_f32 v13, v2, v5, 1.0
; %bb.423:                              ;   in Loop: Header=BB75_233 Depth=1
	s_or_b64 exec, exec, s[26:27]
	v_pk_mov_b32 v[2:3], s[8:9], s[8:9] op_sel:[0,1]
	flat_load_dword v2, v[2:3] glc
	s_waitcnt vmcnt(0) lgkmcnt(0)
	v_add_f32_e32 v2, 0x3fc90fdb, v2
	v_bfi_b32 v12, s49, v2, v4
.LBB75_424:                             ;   in Loop: Header=BB75_233 Depth=1
	s_or_b64 exec, exec, s[4:5]
                                        ; implicit-def: $vgpr2_vgpr3_vgpr4_vgpr5
.LBB75_425:                             ;   in Loop: Header=BB75_233 Depth=1
	s_andn2_saveexec_b64 s[4:5], s[24:25]
	s_cbranch_execz .LBB75_435
; %bb.426:                              ;   in Loop: Header=BB75_233 Depth=1
	v_cmp_neq_f32_e64 s[24:25], |v5|, s44
	s_and_saveexec_b64 s[26:27], s[24:25]
	s_xor_b64 s[24:25], exec, s[26:27]
	s_cbranch_execz .LBB75_432
; %bb.427:                              ;   in Loop: Header=BB75_233 Depth=1
	v_cmp_neq_f32_e64 s[26:27], |v4|, s44
	s_and_saveexec_b64 s[28:29], s[26:27]
	s_xor_b64 s[26:27], exec, s[28:29]
	s_cbranch_execz .LBB75_429
; %bb.428:                              ;   in Loop: Header=BB75_233 Depth=1
	s_waitcnt lgkmcnt(0)
	v_add_f32_e32 v2, 0, v4
	v_add_f32_e32 v13, v2, v5
                                        ; implicit-def: $vgpr4_vgpr5
.LBB75_429:                             ;   in Loop: Header=BB75_233 Depth=1
	s_or_saveexec_b64 s[26:27], s[26:27]
	v_mov_b32_e32 v12, v13
	s_xor_b64 exec, exec, s[26:27]
	s_cbranch_execz .LBB75_431
; %bb.430:                              ;   in Loop: Header=BB75_233 Depth=1
	s_waitcnt lgkmcnt(0)
	v_pk_mov_b32 v[2:3], s[8:9], s[8:9] op_sel:[0,1]
	flat_load_dword v2, v[2:3] glc
	s_waitcnt vmcnt(0)
	v_bfi_b32 v13, s49, 0, v5
	s_waitcnt lgkmcnt(0)
	v_add_f32_e32 v2, 0x3fc90fdb, v2
	v_bfi_b32 v12, s49, v2, v4
.LBB75_431:                             ;   in Loop: Header=BB75_233 Depth=1
	s_or_b64 exec, exec, s[26:27]
                                        ; implicit-def: $vgpr2_vgpr3_vgpr4_vgpr5
.LBB75_432:                             ;   in Loop: Header=BB75_233 Depth=1
	s_andn2_saveexec_b64 s[24:25], s[24:25]
; %bb.433:                              ;   in Loop: Header=BB75_233 Depth=1
	v_bfi_b32 v13, s49, 0, v5
	v_add_f32_e32 v12, v4, v4
; %bb.434:                              ;   in Loop: Header=BB75_233 Depth=1
	s_or_b64 exec, exec, s[24:25]
.LBB75_435:                             ;   in Loop: Header=BB75_233 Depth=1
	s_or_b64 exec, exec, s[4:5]
                                        ; implicit-def: $vgpr2_vgpr3_vgpr4_vgpr5
.LBB75_436:                             ;   in Loop: Header=BB75_233 Depth=1
	s_andn2_saveexec_b64 s[4:5], s[22:23]
	s_cbranch_execz .LBB75_438
; %bb.437:                              ;   in Loop: Header=BB75_233 Depth=1
	s_waitcnt lgkmcnt(0)
	v_rcp_f32_e64 v2, |v4|
	v_cmp_gt_f32_e64 vcc, |v4|, 1.0
	v_mov_b32_e32 v3, 0xbc7a590c
	v_mov_b32_e32 v13, v5
	v_cndmask_b32_e64 v2, |v4|, v2, vcc
	v_mul_f32_e32 v12, v2, v2
	v_fmac_f32_e32 v3, 0x3b2d2a58, v12
	v_fma_f32 v3, v12, v3, v25
	v_fma_f32 v3, v12, v3, v26
	;; [unrolled: 1-line block ×6, first 2 shown]
	v_mul_f32_e32 v3, v12, v3
	v_fmac_f32_e32 v2, v2, v3
	v_sub_f32_e32 v3, 0x3fc90fdb, v2
	v_cndmask_b32_e32 v2, v2, v3, vcc
	v_bfi_b32 v12, s49, v2, v4
.LBB75_438:                             ;   in Loop: Header=BB75_233 Depth=1
	s_or_b64 exec, exec, s[4:5]
                                        ; implicit-def: $vgpr2_vgpr3_vgpr4_vgpr5
.LBB75_439:                             ;   in Loop: Header=BB75_233 Depth=1
	s_andn2_saveexec_b64 s[4:5], s[20:21]
	s_cbranch_execz .LBB75_232
; %bb.440:                              ;   in Loop: Header=BB75_233 Depth=1
	v_sub_f32_e64 v3, 1.0, |v5|
	v_rcp_f32_e32 v17, v3
	v_add_f32_e64 v12, |v5|, 1.0
	v_sub_f32_e32 v13, 1.0, v3
	v_sub_f32_e64 v40, v13, |v5|
	v_mul_f32_e32 v42, v12, v17
	v_mul_f32_e32 v13, v3, v42
	v_fma_f32 v19, v42, v3, -v13
	v_fmac_f32_e32 v19, v42, v40
	v_pk_add_f32 v[40:41], v[12:13], v[18:19]
	v_sub_f32_e32 v43, v12, v41
	s_waitcnt lgkmcnt(0)
	v_and_b32_e32 v2, 0x7fffffff, v5
	v_sub_f32_e32 v13, v41, v13
	v_sub_f32_e32 v3, v12, v43
	v_pk_add_f32 v[2:3], v[2:3], v[40:41] neg_lo:[0,1] neg_hi:[0,1]
	v_sub_f32_e32 v12, v13, v19
	v_add_f32_e32 v3, v12, v3
	v_add_f32_e32 v2, v2, v3
	;; [unrolled: 1-line block ×3, first 2 shown]
	v_mul_f32_e32 v2, v17, v2
	v_add_f32_e32 v12, v42, v2
	v_sub_f32_e32 v3, v12, v42
	v_sub_f32_e32 v13, v2, v3
	v_frexp_mant_f32_e32 v17, v12
	v_cvt_f64_f32_e32 v[2:3], v12
	v_frexp_exp_i32_f64_e32 v2, v[2:3]
	v_cmp_gt_f32_e32 vcc, s42, v17
	v_subbrev_co_u32_e32 v19, vcc, 0, v2, vcc
	v_sub_u32_e32 v2, 0, v19
	v_ldexp_f32 v3, v12, v2
	v_add_f32_e32 v12, -1.0, v3
	v_add_f32_e32 v17, 1.0, v3
	v_ldexp_f32 v2, v13, v2
	v_add_f32_e32 v13, 1.0, v12
	v_add_f32_e32 v40, -1.0, v17
	v_sub_f32_e32 v13, v3, v13
	v_sub_f32_e32 v3, v3, v40
	v_add_f32_e32 v13, v2, v13
	v_add_f32_e32 v2, v2, v3
	;; [unrolled: 1-line block ×3, first 2 shown]
	v_rcp_f32_e32 v45, v44
	v_sub_f32_e32 v3, v44, v17
	v_sub_f32_e32 v17, v2, v3
	v_add_f32_e32 v3, v12, v13
	v_mul_f32_e32 v47, v3, v45
	v_sub_f32_e32 v2, v3, v12
	v_mul_f32_e32 v12, v44, v47
	v_fma_f32 v40, v47, v44, -v12
	v_fmac_f32_e32 v40, v47, v17
	v_sub_f32_e32 v46, v13, v2
	v_add_f32_e32 v2, v12, v40
	v_sub_f32_e32 v13, v3, v2
	v_pk_add_f32 v[42:43], v[2:3], v[12:13] neg_lo:[0,1] neg_hi:[0,1]
	v_mov_b32_e32 v41, v2
	v_pk_add_f32 v[2:3], v[42:43], v[40:41] neg_lo:[0,1] neg_hi:[0,1]
	v_add_f32_e32 v3, v46, v3
	v_add_f32_e32 v2, v2, v3
	;; [unrolled: 1-line block ×3, first 2 shown]
	v_mul_f32_e32 v46, v45, v3
	v_mul_f32_e32 v12, v44, v46
	v_fma_f32 v40, v46, v44, -v12
	v_fmac_f32_e32 v40, v46, v17
	v_sub_f32_e32 v13, v13, v3
	v_add_f32_e32 v17, v2, v13
	v_add_f32_e32 v2, v12, v40
	v_sub_f32_e32 v13, v3, v2
	v_pk_add_f32 v[42:43], v[2:3], v[12:13] neg_lo:[0,1] neg_hi:[0,1]
	v_mov_b32_e32 v41, v2
	v_pk_add_f32 v[2:3], v[42:43], v[40:41] neg_lo:[0,1] neg_hi:[0,1]
	v_add_f32_e32 v3, v17, v3
	v_add_f32_e32 v2, v2, v3
	;; [unrolled: 1-line block ×4, first 2 shown]
	v_sub_f32_e32 v12, v3, v47
	v_mul_f32_e32 v2, v45, v2
	v_sub_f32_e32 v12, v46, v12
	v_add_f32_e32 v12, v12, v2
	v_add_f32_e32 v40, v3, v12
	v_mul_f32_e32 v41, v40, v40
	v_mov_b32_e32 v2, 0x3ecc95a3
	v_fmac_f32_e32 v2, 0x3e9b6dac, v41
	v_fma_f32 v17, v41, v2, v24
	v_cvt_f32_i32_e32 v2, v19
	v_sub_f32_e32 v3, v40, v3
	v_sub_f32_e32 v3, v12, v3
	v_ldexp_f32 v19, v3, 1
	v_mul_f32_e32 v3, v40, v41
	v_ldexp_f32 v13, v40, 1
	v_pk_mul_f32 v[40:41], v[2:3], v[16:17]
	v_fma_f32 v12, v2, s43, -v40
	v_fmac_f32_e32 v12, 0xb102e308, v2
	v_pk_add_f32 v[2:3], v[40:41], v[12:13]
	v_sub_f32_e32 v13, v3, v13
	v_sub_f32_e32 v13, v41, v13
	v_add_f32_e32 v43, v19, v13
	v_mov_b32_e32 v42, v40
	v_pk_add_f32 v[40:41], v[2:3], v[40:41] neg_lo:[0,1] neg_hi:[0,1]
	v_pk_add_f32 v[44:45], v[2:3], v[42:43]
	v_mov_b32_e32 v41, v45
	v_mov_b32_e32 v13, v2
	v_pk_add_f32 v[46:47], v[12:13], v[40:41] neg_lo:[0,1] neg_hi:[0,1]
	v_pk_add_f32 v[12:13], v[12:13], v[40:41]
	v_mov_b32_e32 v40, v13
	v_pk_add_f32 v[48:49], v[40:41], v[2:3] neg_lo:[0,1] neg_hi:[0,1]
	v_mov_b32_e32 v17, v48
	v_pk_add_f32 v[50:51], v[44:45], v[16:17] neg_lo:[0,1] neg_hi:[0,1]
	v_mov_b32_e32 v12, v45
	v_mov_b32_e32 v44, v3
	;; [unrolled: 1-line block ×4, first 2 shown]
	v_pk_add_f32 v[12:13], v[12:13], v[44:45] neg_lo:[0,1] neg_hi:[0,1]
	v_mov_b32_e32 v42, v43
	v_mov_b32_e32 v43, v2
	v_pk_add_f32 v[2:3], v[42:43], v[12:13] neg_lo:[0,1] neg_hi:[0,1]
	v_mov_b32_e32 v50, v46
	v_pk_add_f32 v[12:13], v[50:51], v[2:3]
	v_mov_b32_e32 v42, v13
	v_pk_add_f32 v[42:43], v[12:13], v[42:43]
	v_pk_add_f32 v[40:41], v[40:41], v[42:43]
	v_mov_b32_e32 v13, v40
	v_pk_add_f32 v[44:45], v[12:13], v[46:47] neg_lo:[0,1] neg_hi:[0,1]
	v_mov_b32_e32 v3, v42
	v_sub_f32_e32 v12, v12, v44
	v_pk_add_f32 v[2:3], v[2:3], v[44:45] neg_lo:[0,1] neg_hi:[0,1]
	v_sub_f32_e32 v12, v46, v12
	v_add_f32_e32 v2, v2, v12
	v_add_f32_e32 v2, v2, v3
	v_add_f32_e32 v2, v40, v2
	v_mul_f32_e32 v2, 0.5, v2
	v_cmp_lt_f32_e64 s[20:21], |v5|, s52
	v_cndmask_b32_e64 v2, v2, |v5|, s[20:21]
	v_cmp_ngt_f32_e64 vcc, |v5|, 1.0
	v_cndmask_b32_e32 v2, v32, v2, vcc
	v_cmp_neq_f32_e64 vcc, |v5|, 1.0
	v_cndmask_b32_e32 v2, v39, v2, vcc
	v_bfi_b32 v13, s49, v2, v5
	v_mov_b32_e32 v12, v4
	s_branch .LBB75_232
.LBB75_441:
	s_endpgm
	.section	.rodata,"a",@progbits
	.p2align	6, 0x0
	.amdhsa_kernel _ZN2at6native12_GLOBAL__N_125multi_tensor_apply_kernelINS1_18TensorListMetadataILi1EEENS1_14UnaryOpFunctorIN3c107complexIfEELi1ELi1ELi0EEEJNS0_4AtanIS8_EEEEEvT_T0_DpT1_
		.amdhsa_group_segment_fixed_size 0
		.amdhsa_private_segment_fixed_size 16
		.amdhsa_kernarg_size 3632
		.amdhsa_user_sgpr_count 8
		.amdhsa_user_sgpr_private_segment_buffer 1
		.amdhsa_user_sgpr_dispatch_ptr 0
		.amdhsa_user_sgpr_queue_ptr 0
		.amdhsa_user_sgpr_kernarg_segment_ptr 1
		.amdhsa_user_sgpr_dispatch_id 0
		.amdhsa_user_sgpr_flat_scratch_init 1
		.amdhsa_user_sgpr_kernarg_preload_length 0
		.amdhsa_user_sgpr_kernarg_preload_offset 0
		.amdhsa_user_sgpr_private_segment_size 0
		.amdhsa_uses_dynamic_stack 0
		.amdhsa_system_sgpr_private_segment_wavefront_offset 1
		.amdhsa_system_sgpr_workgroup_id_x 1
		.amdhsa_system_sgpr_workgroup_id_y 0
		.amdhsa_system_sgpr_workgroup_id_z 0
		.amdhsa_system_sgpr_workgroup_info 0
		.amdhsa_system_vgpr_workitem_id 0
		.amdhsa_next_free_vgpr 60
		.amdhsa_next_free_sgpr 69
		.amdhsa_accum_offset 60
		.amdhsa_reserve_vcc 1
		.amdhsa_reserve_flat_scratch 1
		.amdhsa_float_round_mode_32 0
		.amdhsa_float_round_mode_16_64 0
		.amdhsa_float_denorm_mode_32 3
		.amdhsa_float_denorm_mode_16_64 3
		.amdhsa_dx10_clamp 1
		.amdhsa_ieee_mode 1
		.amdhsa_fp16_overflow 0
		.amdhsa_tg_split 0
		.amdhsa_exception_fp_ieee_invalid_op 0
		.amdhsa_exception_fp_denorm_src 0
		.amdhsa_exception_fp_ieee_div_zero 0
		.amdhsa_exception_fp_ieee_overflow 0
		.amdhsa_exception_fp_ieee_underflow 0
		.amdhsa_exception_fp_ieee_inexact 0
		.amdhsa_exception_int_div_zero 0
	.end_amdhsa_kernel
	.section	.text._ZN2at6native12_GLOBAL__N_125multi_tensor_apply_kernelINS1_18TensorListMetadataILi1EEENS1_14UnaryOpFunctorIN3c107complexIfEELi1ELi1ELi0EEEJNS0_4AtanIS8_EEEEEvT_T0_DpT1_,"axG",@progbits,_ZN2at6native12_GLOBAL__N_125multi_tensor_apply_kernelINS1_18TensorListMetadataILi1EEENS1_14UnaryOpFunctorIN3c107complexIfEELi1ELi1ELi0EEEJNS0_4AtanIS8_EEEEEvT_T0_DpT1_,comdat
.Lfunc_end75:
	.size	_ZN2at6native12_GLOBAL__N_125multi_tensor_apply_kernelINS1_18TensorListMetadataILi1EEENS1_14UnaryOpFunctorIN3c107complexIfEELi1ELi1ELi0EEEJNS0_4AtanIS8_EEEEEvT_T0_DpT1_, .Lfunc_end75-_ZN2at6native12_GLOBAL__N_125multi_tensor_apply_kernelINS1_18TensorListMetadataILi1EEENS1_14UnaryOpFunctorIN3c107complexIfEELi1ELi1ELi0EEEJNS0_4AtanIS8_EEEEEvT_T0_DpT1_
                                        ; -- End function
	.section	.AMDGPU.csdata,"",@progbits
; Kernel info:
; codeLenInByte = 29248
; NumSgprs: 75
; NumVgprs: 60
; NumAgprs: 0
; TotalNumVgprs: 60
; ScratchSize: 16
; MemoryBound: 0
; FloatMode: 240
; IeeeMode: 1
; LDSByteSize: 0 bytes/workgroup (compile time only)
; SGPRBlocks: 9
; VGPRBlocks: 7
; NumSGPRsForWavesPerEU: 75
; NumVGPRsForWavesPerEU: 60
; AccumOffset: 60
; Occupancy: 8
; WaveLimiterHint : 0
; COMPUTE_PGM_RSRC2:SCRATCH_EN: 1
; COMPUTE_PGM_RSRC2:USER_SGPR: 8
; COMPUTE_PGM_RSRC2:TRAP_HANDLER: 0
; COMPUTE_PGM_RSRC2:TGID_X_EN: 1
; COMPUTE_PGM_RSRC2:TGID_Y_EN: 0
; COMPUTE_PGM_RSRC2:TGID_Z_EN: 0
; COMPUTE_PGM_RSRC2:TIDIG_COMP_CNT: 0
; COMPUTE_PGM_RSRC3_GFX90A:ACCUM_OFFSET: 14
; COMPUTE_PGM_RSRC3_GFX90A:TG_SPLIT: 0
	.section	.text._ZN2at6native12_GLOBAL__N_125multi_tensor_apply_kernelINS1_18TensorListMetadataILi1EEENS1_14UnaryOpFunctorIN3c104HalfELi1ELi1ELi0EEEJNS0_4AtanIfEEEEEvT_T0_DpT1_,"axG",@progbits,_ZN2at6native12_GLOBAL__N_125multi_tensor_apply_kernelINS1_18TensorListMetadataILi1EEENS1_14UnaryOpFunctorIN3c104HalfELi1ELi1ELi0EEEJNS0_4AtanIfEEEEEvT_T0_DpT1_,comdat
	.globl	_ZN2at6native12_GLOBAL__N_125multi_tensor_apply_kernelINS1_18TensorListMetadataILi1EEENS1_14UnaryOpFunctorIN3c104HalfELi1ELi1ELi0EEEJNS0_4AtanIfEEEEEvT_T0_DpT1_ ; -- Begin function _ZN2at6native12_GLOBAL__N_125multi_tensor_apply_kernelINS1_18TensorListMetadataILi1EEENS1_14UnaryOpFunctorIN3c104HalfELi1ELi1ELi0EEEJNS0_4AtanIfEEEEEvT_T0_DpT1_
	.p2align	8
	.type	_ZN2at6native12_GLOBAL__N_125multi_tensor_apply_kernelINS1_18TensorListMetadataILi1EEENS1_14UnaryOpFunctorIN3c104HalfELi1ELi1ELi0EEEJNS0_4AtanIfEEEEEvT_T0_DpT1_,@function
_ZN2at6native12_GLOBAL__N_125multi_tensor_apply_kernelINS1_18TensorListMetadataILi1EEENS1_14UnaryOpFunctorIN3c104HalfELi1ELi1ELi0EEEJNS0_4AtanIfEEEEEvT_T0_DpT1_: ; @_ZN2at6native12_GLOBAL__N_125multi_tensor_apply_kernelINS1_18TensorListMetadataILi1EEENS1_14UnaryOpFunctorIN3c104HalfELi1ELi1ELi0EEEJNS0_4AtanIfEEEEEvT_T0_DpT1_
; %bb.0:
	v_mov_b32_e32 v1, s6
	global_load_ubyte v1, v1, s[4:5] offset:1760
	s_add_u32 s0, s4, s6
	s_mul_hi_u32 s1, s6, 3
	s_mul_i32 s6, s6, 3
	s_addc_u32 s2, s5, 0
	s_add_u32 s0, s0, s6
	s_addc_u32 s1, s2, s1
	s_load_dword s0, s[0:1], 0x820
	s_mov_b32 s7, 0
	s_waitcnt vmcnt(0)
	v_readfirstlane_b32 s2, v1
	s_lshl_b32 s1, s2, 3
	s_load_dwordx2 s[2:3], s[4:5], s1 offset:0x370
	s_load_dwordx2 s[12:13], s[4:5], s1 offset:0x0
	s_waitcnt lgkmcnt(0)
	s_ashr_i32 s1, s0, 31
	s_lshl_b64 s[14:15], s[0:1], 17
	s_lshl_b64 s[0:1], s[0:1], 16
	s_and_b32 s6, s12, 7
	s_sub_u32 s10, s2, s0
	s_subb_u32 s11, s3, s1
	s_and_b32 s0, s2, 3
	s_mov_b32 s1, s7
	s_or_b64 s[0:1], s[6:7], s[0:1]
	s_cmp_eq_u64 s[0:1], 0
	s_cbranch_scc1 .LBB76_21
; %bb.1:
	v_cmp_lt_i64_e64 s[0:1], s[10:11], 1
	s_and_b64 vcc, exec, s[0:1]
	s_cbranch_vccnz .LBB76_20
; %bb.2:
	s_load_dword s0, s[4:5], 0xd3c
	v_mov_b32_e32 v2, 0x10000
	v_mov_b32_e32 v3, 0
	v_cmp_lt_u64_e32 vcc, s[10:11], v[2:3]
	v_lshlrev_b32_e32 v1, 1, v0
	s_waitcnt lgkmcnt(0)
	s_and_b32 s2, s0, 0xffff
	s_and_b64 s[0:1], vcc, exec
	s_cselect_b32 s17, s11, 0
	s_cselect_b32 s16, s10, 0x10000
	s_lshl_b32 s3, s2, 1
	s_lshl_b32 s23, s2, 2
	s_add_u32 s6, s12, s14
	s_addc_u32 s7, s13, s15
	v_mov_b32_e32 v3, s7
	v_add_co_u32_e32 v2, vcc, s6, v1
	s_mul_i32 s0, s2, 3
	v_addc_co_u32_e32 v3, vcc, 0, v3, vcc
	v_add_co_u32_e32 v1, vcc, s0, v0
	v_addc_co_u32_e64 v8, s[0:1], 0, 0, vcc
	v_add_co_u32_e32 v9, vcc, s3, v0
	v_addc_co_u32_e64 v10, s[0:1], 0, 0, vcc
	v_add_co_u32_e32 v11, vcc, s2, v0
	v_lshlrev_b32_e32 v4, 1, v11
	s_mov_b32 s22, 0
	v_addc_co_u32_e64 v12, s[0:1], 0, 0, vcc
	v_mov_b32_e32 v5, s7
	v_add_co_u32_e32 v4, vcc, s6, v4
	s_lshl_b32 s24, s2, 3
	s_mul_i32 s25, s2, 6
	s_mov_b32 s26, s22
	v_addc_co_u32_e32 v5, vcc, 0, v5, vcc
	s_mov_b64 s[18:19], 0
	v_mov_b32_e32 v13, 0x3d29fb3f
	v_mov_b32_e32 v14, 0xbd97d4d7
	;; [unrolled: 1-line block ×6, first 2 shown]
	s_movk_i32 s27, 0x7fff
	v_pk_mov_b32 v[6:7], s[10:11], s[10:11] op_sel:[0,1]
	v_mov_b32_e32 v19, s22
	s_branch .LBB76_4
.LBB76_3:                               ;   in Loop: Header=BB76_4 Depth=1
	s_or_b64 exec, exec, s[0:1]
	s_add_u32 s18, s18, s23
	s_waitcnt vmcnt(0)
	v_mov_b32_e32 v20, 0x10000
	s_addc_u32 s19, s19, 0
	v_mov_b32_e32 v21, 0
	v_cmp_lt_i64_e32 vcc, s[18:19], v[6:7]
	v_cmp_lt_u64_e64 s[0:1], s[18:19], v[20:21]
	s_and_b64 s[0:1], vcc, s[0:1]
	v_add_co_u32_e32 v2, vcc, s24, v2
	v_addc_co_u32_e32 v3, vcc, v3, v19, vcc
	v_add_co_u32_e32 v4, vcc, s24, v4
	v_addc_co_u32_e32 v5, vcc, v5, v19, vcc
	s_and_b64 vcc, exec, s[0:1]
	s_cbranch_vccz .LBB76_20
.LBB76_4:                               ; =>This Inner Loop Header: Depth=1
	v_mov_b32_e32 v21, s19
	v_add_co_u32_e32 v20, vcc, s18, v0
	v_addc_co_u32_e32 v21, vcc, 0, v21, vcc
	v_cmp_gt_u64_e64 s[6:7], s[16:17], v[20:21]
	v_mov_b32_e32 v23, 0
	s_and_saveexec_b64 s[0:1], s[6:7]
	s_cbranch_execz .LBB76_6
; %bb.5:                                ;   in Loop: Header=BB76_4 Depth=1
	global_load_ushort v23, v[2:3], off
.LBB76_6:                               ;   in Loop: Header=BB76_4 Depth=1
	s_or_b64 exec, exec, s[0:1]
	v_mov_b32_e32 v21, s19
	v_add_co_u32_e32 v20, vcc, s18, v11
	v_addc_co_u32_e32 v21, vcc, v12, v21, vcc
	v_cmp_gt_u64_e64 s[2:3], s[16:17], v[20:21]
	v_mov_b32_e32 v22, 0
	s_and_saveexec_b64 s[0:1], s[2:3]
	s_cbranch_execz .LBB76_8
; %bb.7:                                ;   in Loop: Header=BB76_4 Depth=1
	global_load_ushort v22, v[4:5], off
.LBB76_8:                               ;   in Loop: Header=BB76_4 Depth=1
	s_or_b64 exec, exec, s[0:1]
	v_mov_b32_e32 v21, s19
	v_add_co_u32_e32 v20, vcc, s18, v9
	v_addc_co_u32_e32 v21, vcc, v10, v21, vcc
	v_cmp_gt_u64_e64 s[0:1], s[16:17], v[20:21]
	v_mov_b32_e32 v20, 0
	v_mov_b32_e32 v21, 0
	s_and_saveexec_b64 s[8:9], s[0:1]
	s_cbranch_execz .LBB76_10
; %bb.9:                                ;   in Loop: Header=BB76_4 Depth=1
	v_mov_b32_e32 v21, s22
	v_add_co_u32_e32 v24, vcc, s23, v2
	v_addc_co_u32_e32 v25, vcc, v3, v21, vcc
	global_load_ushort v21, v[24:25], off
.LBB76_10:                              ;   in Loop: Header=BB76_4 Depth=1
	s_or_b64 exec, exec, s[8:9]
	v_mov_b32_e32 v25, s19
	v_add_co_u32_e32 v24, vcc, s18, v1
	v_addc_co_u32_e32 v25, vcc, v8, v25, vcc
	v_cmp_gt_u64_e32 vcc, s[16:17], v[24:25]
	s_and_saveexec_b64 s[20:21], vcc
	s_cbranch_execnz .LBB76_15
; %bb.11:                               ;   in Loop: Header=BB76_4 Depth=1
	s_or_b64 exec, exec, s[20:21]
	s_and_saveexec_b64 s[8:9], s[6:7]
	s_cbranch_execnz .LBB76_16
.LBB76_12:                              ;   in Loop: Header=BB76_4 Depth=1
	s_or_b64 exec, exec, s[8:9]
	s_and_saveexec_b64 s[6:7], s[2:3]
	s_cbranch_execnz .LBB76_17
.LBB76_13:                              ;   in Loop: Header=BB76_4 Depth=1
	s_or_b64 exec, exec, s[6:7]
	s_and_saveexec_b64 s[2:3], s[0:1]
	s_cbranch_execnz .LBB76_18
.LBB76_14:                              ;   in Loop: Header=BB76_4 Depth=1
	s_or_b64 exec, exec, s[2:3]
	s_and_saveexec_b64 s[0:1], vcc
	s_cbranch_execz .LBB76_3
	s_branch .LBB76_19
.LBB76_15:                              ;   in Loop: Header=BB76_4 Depth=1
	v_mov_b32_e32 v20, s26
	v_add_co_u32_e64 v24, s[8:9], s25, v2
	v_addc_co_u32_e64 v25, s[8:9], v3, v20, s[8:9]
	global_load_ushort v20, v[24:25], off
	s_or_b64 exec, exec, s[20:21]
	s_and_saveexec_b64 s[8:9], s[6:7]
	s_cbranch_execz .LBB76_12
.LBB76_16:                              ;   in Loop: Header=BB76_4 Depth=1
	s_waitcnt vmcnt(0)
	v_cvt_f32_f16_e32 v24, v23
	v_mov_b32_e32 v26, 0xbc7a590c
	v_rcp_f32_e64 v25, |v24|
	v_cmp_gt_f32_e64 s[6:7], |v24|, 1.0
	v_cndmask_b32_e64 v24, |v24|, v25, s[6:7]
	v_mul_f32_e32 v25, v24, v24
	v_fmac_f32_e32 v26, 0x3b2d2a58, v25
	v_fma_f32 v26, v25, v26, v13
	v_fma_f32 v26, v25, v26, v14
	;; [unrolled: 1-line block ×6, first 2 shown]
	v_mul_f32_e32 v25, v25, v26
	v_fmac_f32_e32 v24, v24, v25
	v_sub_f32_e32 v25, 0x3fc90fdb, v24
	v_cndmask_b32_e64 v24, v24, v25, s[6:7]
	v_cvt_f16_f32_e32 v24, v24
	v_bfi_b32 v23, s27, v24, v23
	global_store_short v[2:3], v23, off
	s_or_b64 exec, exec, s[8:9]
	s_and_saveexec_b64 s[6:7], s[2:3]
	s_cbranch_execz .LBB76_13
.LBB76_17:                              ;   in Loop: Header=BB76_4 Depth=1
	s_waitcnt vmcnt(0)
	v_cvt_f32_f16_e32 v23, v22
	v_mov_b32_e32 v25, 0xbc7a590c
	v_rcp_f32_e64 v24, |v23|
	v_cmp_gt_f32_e64 s[2:3], |v23|, 1.0
	v_cndmask_b32_e64 v23, |v23|, v24, s[2:3]
	v_mul_f32_e32 v24, v23, v23
	v_fmac_f32_e32 v25, 0x3b2d2a58, v24
	v_fma_f32 v25, v24, v25, v13
	v_fma_f32 v25, v24, v25, v14
	;; [unrolled: 1-line block ×6, first 2 shown]
	v_mul_f32_e32 v24, v24, v25
	v_fmac_f32_e32 v23, v23, v24
	v_sub_f32_e32 v24, 0x3fc90fdb, v23
	v_cndmask_b32_e64 v23, v23, v24, s[2:3]
	v_cvt_f16_f32_e32 v23, v23
	v_bfi_b32 v22, s27, v23, v22
	global_store_short v[4:5], v22, off
	s_or_b64 exec, exec, s[6:7]
	s_and_saveexec_b64 s[2:3], s[0:1]
	s_cbranch_execz .LBB76_14
.LBB76_18:                              ;   in Loop: Header=BB76_4 Depth=1
	s_waitcnt vmcnt(0)
	v_cvt_f32_f16_e32 v22, v21
	v_mov_b32_e32 v24, 0xbc7a590c
	v_rcp_f32_e64 v23, |v22|
	v_cmp_gt_f32_e64 s[0:1], |v22|, 1.0
	v_cndmask_b32_e64 v22, |v22|, v23, s[0:1]
	v_mul_f32_e32 v23, v22, v22
	v_fmac_f32_e32 v24, 0x3b2d2a58, v23
	v_fma_f32 v24, v23, v24, v13
	v_fma_f32 v24, v23, v24, v14
	;; [unrolled: 1-line block ×6, first 2 shown]
	v_mul_f32_e32 v23, v23, v24
	v_fmac_f32_e32 v22, v22, v23
	v_sub_f32_e32 v23, 0x3fc90fdb, v22
	v_cndmask_b32_e64 v22, v22, v23, s[0:1]
	v_cvt_f16_f32_e32 v22, v22
	v_mov_b32_e32 v23, s22
	v_bfi_b32 v21, s27, v22, v21
	v_add_co_u32_e64 v22, s[0:1], s23, v2
	v_addc_co_u32_e64 v23, s[0:1], v3, v23, s[0:1]
	global_store_short v[22:23], v21, off
	s_or_b64 exec, exec, s[2:3]
	s_and_saveexec_b64 s[0:1], vcc
	s_cbranch_execz .LBB76_3
.LBB76_19:                              ;   in Loop: Header=BB76_4 Depth=1
	s_waitcnt vmcnt(0)
	v_cvt_f32_f16_e32 v21, v20
	v_mov_b32_e32 v23, 0xbc7a590c
	v_rcp_f32_e64 v22, |v21|
	v_cmp_gt_f32_e64 vcc, |v21|, 1.0
	v_cndmask_b32_e64 v21, |v21|, v22, vcc
	v_mul_f32_e32 v22, v21, v21
	v_fmac_f32_e32 v23, 0x3b2d2a58, v22
	v_fma_f32 v23, v22, v23, v13
	v_fma_f32 v23, v22, v23, v14
	;; [unrolled: 1-line block ×6, first 2 shown]
	v_mul_f32_e32 v22, v22, v23
	v_fmac_f32_e32 v21, v21, v22
	v_sub_f32_e32 v22, 0x3fc90fdb, v21
	v_cndmask_b32_e32 v21, v21, v22, vcc
	v_cvt_f16_f32_e32 v21, v21
	v_mov_b32_e32 v22, s26
	v_bfi_b32 v23, s27, v21, v20
	v_add_co_u32_e32 v20, vcc, s25, v2
	v_addc_co_u32_e32 v21, vcc, v3, v22, vcc
	global_store_short v[20:21], v23, off
	s_branch .LBB76_3
.LBB76_20:
	s_cbranch_execz .LBB76_22
	s_branch .LBB76_25
.LBB76_21:
.LBB76_22:
	v_mov_b32_e32 v3, 0
	v_lshlrev_b32_e32 v2, 2, v0
	s_mov_b32 s0, 0
	v_cmp_gt_i64_e32 vcc, s[10:11], v[2:3]
	s_and_saveexec_b64 s[2:3], vcc
	s_cbranch_execz .LBB76_25
; %bb.23:
	s_load_dword s1, s[4:5], 0xd3c
	v_lshlrev_b32_e32 v1, 3, v0
	s_mov_b64 s[6:7], 0
	s_mov_b32 s8, 0x3b2d2a58
	s_mov_b32 s16, 0x3dd931b2
	s_waitcnt lgkmcnt(0)
	s_and_b32 s1, s1, 0xffff
	s_add_u32 s2, s12, s14
	s_addc_u32 s3, s13, s15
	v_mov_b32_e32 v2, s3
	v_add_co_u32_e32 v4, vcc, s2, v1
	s_mov_b32 s2, 0xbc7a590c
	v_addc_co_u32_e32 v5, vcc, 0, v2, vcc
	s_lshl_b32 s9, s1, 3
	v_add_lshl_u32 v2, v0, s1, 2
	s_lshl_b32 s13, s1, 2
	v_pk_mov_b32 v[0:1], s[2:3], s[2:3] op_sel:[0,1]
	s_mov_b32 s12, 0x3d29fb3f
	s_mov_b32 s14, 0xbd97d4d7
	;; [unrolled: 1-line block ×5, first 2 shown]
	s_movk_i32 s15, 0x7fff
	s_mov_b64 s[24:25], 0xffff
	v_mov_b32_e32 v6, s0
	v_mov_b32_e32 v7, s0
.LBB76_24:                              ; =>This Inner Loop Header: Depth=1
	global_load_dwordx2 v[8:9], v[4:5], off
	v_cmp_le_i64_e32 vcc, s[10:11], v[2:3]
	v_cmp_lt_u64_e64 s[0:1], s[24:25], v[2:3]
	s_or_b64 s[0:1], vcc, s[0:1]
	s_and_b64 s[0:1], exec, s[0:1]
	s_or_b64 s[6:7], s[0:1], s[6:7]
	s_waitcnt vmcnt(0)
	v_lshrrev_b32_e32 v22, 16, v9
	v_lshrrev_b32_e32 v23, 16, v8
	v_cvt_f32_f16_e32 v11, v8
	v_cvt_f32_f16_e32 v10, v9
	;; [unrolled: 1-line block ×4, first 2 shown]
	v_rcp_f32_e64 v12, |v11|
	v_rcp_f32_e64 v15, |v10|
	;; [unrolled: 1-line block ×4, first 2 shown]
	v_cmp_gt_f32_e64 vcc, |v10|, 1.0
	v_cmp_gt_f32_e64 s[0:1], |v11|, 1.0
	v_cmp_gt_f32_e64 s[2:3], |v14|, 1.0
	;; [unrolled: 1-line block ×3, first 2 shown]
	v_cndmask_b32_e64 v10, |v10|, v15, vcc
	v_cndmask_b32_e64 v12, |v11|, v12, s[0:1]
	v_cndmask_b32_e64 v11, |v14|, v17, s[2:3]
	;; [unrolled: 1-line block ×3, first 2 shown]
	v_pk_mul_f32 v[14:15], v[12:13], v[12:13]
	v_pk_mul_f32 v[16:17], v[10:11], v[10:11]
	v_pk_fma_f32 v[18:19], v[16:17], s[8:9], v[0:1] op_sel_hi:[1,0,0]
	v_pk_fma_f32 v[20:21], v[14:15], s[8:9], v[0:1] op_sel_hi:[1,0,0]
	;; [unrolled: 1-line block ×14, first 2 shown]
	v_pk_mul_f32 v[14:15], v[14:15], v[20:21]
	v_pk_mul_f32 v[16:17], v[16:17], v[18:19]
	v_pk_fma_f32 v[10:11], v[10:11], v[16:17], v[10:11]
	v_pk_fma_f32 v[12:13], v[12:13], v[14:15], v[12:13]
	v_sub_f32_e32 v14, 0x3fc90fdb, v12
	v_sub_f32_e32 v15, 0x3fc90fdb, v13
	;; [unrolled: 1-line block ×4, first 2 shown]
	v_cndmask_b32_e64 v11, v11, v17, s[2:3]
	v_cndmask_b32_e32 v10, v10, v16, vcc
	v_cndmask_b32_e64 v13, v13, v15, s[4:5]
	v_cndmask_b32_e64 v12, v12, v14, s[0:1]
	v_cvt_f16_f32_e32 v11, v11
	v_cvt_f16_f32_e32 v10, v10
	;; [unrolled: 1-line block ×4, first 2 shown]
	v_bfi_b32 v11, s15, v11, v22
	v_bfi_b32 v9, s15, v10, v9
	;; [unrolled: 1-line block ×4, first 2 shown]
	v_pack_b32_f16 v9, v9, v11
	v_pack_b32_f16 v8, v8, v10
	global_store_dwordx2 v[4:5], v[8:9], off
	v_add_co_u32_e32 v4, vcc, s9, v4
	v_addc_co_u32_e32 v5, vcc, v5, v6, vcc
	v_add_co_u32_e32 v2, vcc, s13, v2
	v_addc_co_u32_e32 v3, vcc, v3, v7, vcc
	s_andn2_b64 exec, exec, s[6:7]
	s_cbranch_execnz .LBB76_24
.LBB76_25:
	s_endpgm
	.section	.rodata,"a",@progbits
	.p2align	6, 0x0
	.amdhsa_kernel _ZN2at6native12_GLOBAL__N_125multi_tensor_apply_kernelINS1_18TensorListMetadataILi1EEENS1_14UnaryOpFunctorIN3c104HalfELi1ELi1ELi0EEEJNS0_4AtanIfEEEEEvT_T0_DpT1_
		.amdhsa_group_segment_fixed_size 0
		.amdhsa_private_segment_fixed_size 0
		.amdhsa_kernarg_size 3632
		.amdhsa_user_sgpr_count 6
		.amdhsa_user_sgpr_private_segment_buffer 1
		.amdhsa_user_sgpr_dispatch_ptr 0
		.amdhsa_user_sgpr_queue_ptr 0
		.amdhsa_user_sgpr_kernarg_segment_ptr 1
		.amdhsa_user_sgpr_dispatch_id 0
		.amdhsa_user_sgpr_flat_scratch_init 0
		.amdhsa_user_sgpr_kernarg_preload_length 0
		.amdhsa_user_sgpr_kernarg_preload_offset 0
		.amdhsa_user_sgpr_private_segment_size 0
		.amdhsa_uses_dynamic_stack 0
		.amdhsa_system_sgpr_private_segment_wavefront_offset 0
		.amdhsa_system_sgpr_workgroup_id_x 1
		.amdhsa_system_sgpr_workgroup_id_y 0
		.amdhsa_system_sgpr_workgroup_id_z 0
		.amdhsa_system_sgpr_workgroup_info 0
		.amdhsa_system_vgpr_workitem_id 0
		.amdhsa_next_free_vgpr 27
		.amdhsa_next_free_sgpr 28
		.amdhsa_accum_offset 28
		.amdhsa_reserve_vcc 1
		.amdhsa_reserve_flat_scratch 0
		.amdhsa_float_round_mode_32 0
		.amdhsa_float_round_mode_16_64 0
		.amdhsa_float_denorm_mode_32 3
		.amdhsa_float_denorm_mode_16_64 3
		.amdhsa_dx10_clamp 1
		.amdhsa_ieee_mode 1
		.amdhsa_fp16_overflow 0
		.amdhsa_tg_split 0
		.amdhsa_exception_fp_ieee_invalid_op 0
		.amdhsa_exception_fp_denorm_src 0
		.amdhsa_exception_fp_ieee_div_zero 0
		.amdhsa_exception_fp_ieee_overflow 0
		.amdhsa_exception_fp_ieee_underflow 0
		.amdhsa_exception_fp_ieee_inexact 0
		.amdhsa_exception_int_div_zero 0
	.end_amdhsa_kernel
	.section	.text._ZN2at6native12_GLOBAL__N_125multi_tensor_apply_kernelINS1_18TensorListMetadataILi1EEENS1_14UnaryOpFunctorIN3c104HalfELi1ELi1ELi0EEEJNS0_4AtanIfEEEEEvT_T0_DpT1_,"axG",@progbits,_ZN2at6native12_GLOBAL__N_125multi_tensor_apply_kernelINS1_18TensorListMetadataILi1EEENS1_14UnaryOpFunctorIN3c104HalfELi1ELi1ELi0EEEJNS0_4AtanIfEEEEEvT_T0_DpT1_,comdat
.Lfunc_end76:
	.size	_ZN2at6native12_GLOBAL__N_125multi_tensor_apply_kernelINS1_18TensorListMetadataILi1EEENS1_14UnaryOpFunctorIN3c104HalfELi1ELi1ELi0EEEJNS0_4AtanIfEEEEEvT_T0_DpT1_, .Lfunc_end76-_ZN2at6native12_GLOBAL__N_125multi_tensor_apply_kernelINS1_18TensorListMetadataILi1EEENS1_14UnaryOpFunctorIN3c104HalfELi1ELi1ELi0EEEJNS0_4AtanIfEEEEEvT_T0_DpT1_
                                        ; -- End function
	.section	.AMDGPU.csdata,"",@progbits
; Kernel info:
; codeLenInByte = 2008
; NumSgprs: 32
; NumVgprs: 27
; NumAgprs: 0
; TotalNumVgprs: 27
; ScratchSize: 0
; MemoryBound: 0
; FloatMode: 240
; IeeeMode: 1
; LDSByteSize: 0 bytes/workgroup (compile time only)
; SGPRBlocks: 3
; VGPRBlocks: 3
; NumSGPRsForWavesPerEU: 32
; NumVGPRsForWavesPerEU: 27
; AccumOffset: 28
; Occupancy: 8
; WaveLimiterHint : 0
; COMPUTE_PGM_RSRC2:SCRATCH_EN: 0
; COMPUTE_PGM_RSRC2:USER_SGPR: 6
; COMPUTE_PGM_RSRC2:TRAP_HANDLER: 0
; COMPUTE_PGM_RSRC2:TGID_X_EN: 1
; COMPUTE_PGM_RSRC2:TGID_Y_EN: 0
; COMPUTE_PGM_RSRC2:TGID_Z_EN: 0
; COMPUTE_PGM_RSRC2:TIDIG_COMP_CNT: 0
; COMPUTE_PGM_RSRC3_GFX90A:ACCUM_OFFSET: 6
; COMPUTE_PGM_RSRC3_GFX90A:TG_SPLIT: 0
	.section	.text._ZN2at6native12_GLOBAL__N_125multi_tensor_apply_kernelINS1_18TensorListMetadataILi1EEENS1_14UnaryOpFunctorIN3c108BFloat16ELi1ELi1ELi0EEEJNS0_4AtanIfEEEEEvT_T0_DpT1_,"axG",@progbits,_ZN2at6native12_GLOBAL__N_125multi_tensor_apply_kernelINS1_18TensorListMetadataILi1EEENS1_14UnaryOpFunctorIN3c108BFloat16ELi1ELi1ELi0EEEJNS0_4AtanIfEEEEEvT_T0_DpT1_,comdat
	.globl	_ZN2at6native12_GLOBAL__N_125multi_tensor_apply_kernelINS1_18TensorListMetadataILi1EEENS1_14UnaryOpFunctorIN3c108BFloat16ELi1ELi1ELi0EEEJNS0_4AtanIfEEEEEvT_T0_DpT1_ ; -- Begin function _ZN2at6native12_GLOBAL__N_125multi_tensor_apply_kernelINS1_18TensorListMetadataILi1EEENS1_14UnaryOpFunctorIN3c108BFloat16ELi1ELi1ELi0EEEJNS0_4AtanIfEEEEEvT_T0_DpT1_
	.p2align	8
	.type	_ZN2at6native12_GLOBAL__N_125multi_tensor_apply_kernelINS1_18TensorListMetadataILi1EEENS1_14UnaryOpFunctorIN3c108BFloat16ELi1ELi1ELi0EEEJNS0_4AtanIfEEEEEvT_T0_DpT1_,@function
_ZN2at6native12_GLOBAL__N_125multi_tensor_apply_kernelINS1_18TensorListMetadataILi1EEENS1_14UnaryOpFunctorIN3c108BFloat16ELi1ELi1ELi0EEEJNS0_4AtanIfEEEEEvT_T0_DpT1_: ; @_ZN2at6native12_GLOBAL__N_125multi_tensor_apply_kernelINS1_18TensorListMetadataILi1EEENS1_14UnaryOpFunctorIN3c108BFloat16ELi1ELi1ELi0EEEJNS0_4AtanIfEEEEEvT_T0_DpT1_
; %bb.0:
	v_mov_b32_e32 v1, s6
	global_load_ubyte v1, v1, s[4:5] offset:1760
	s_add_u32 s0, s4, s6
	s_mul_hi_u32 s1, s6, 3
	s_mul_i32 s6, s6, 3
	s_addc_u32 s2, s5, 0
	s_add_u32 s0, s0, s6
	s_addc_u32 s1, s2, s1
	s_load_dword s0, s[0:1], 0x820
	s_mov_b32 s7, 0
	s_waitcnt vmcnt(0)
	v_readfirstlane_b32 s2, v1
	s_lshl_b32 s1, s2, 3
	s_load_dwordx2 s[2:3], s[4:5], s1 offset:0x370
	s_load_dwordx2 s[12:13], s[4:5], s1 offset:0x0
	s_waitcnt lgkmcnt(0)
	s_ashr_i32 s1, s0, 31
	s_lshl_b64 s[14:15], s[0:1], 17
	s_lshl_b64 s[0:1], s[0:1], 16
	s_and_b32 s6, s12, 7
	s_sub_u32 s10, s2, s0
	s_subb_u32 s11, s3, s1
	s_and_b32 s0, s2, 3
	s_mov_b32 s1, s7
	s_or_b64 s[0:1], s[6:7], s[0:1]
	s_cmp_eq_u64 s[0:1], 0
	s_cbranch_scc1 .LBB77_21
; %bb.1:
	v_cmp_lt_i64_e64 s[0:1], s[10:11], 1
	s_and_b64 vcc, exec, s[0:1]
	s_cbranch_vccnz .LBB77_20
; %bb.2:
	s_load_dword s0, s[4:5], 0xd3c
	v_mov_b32_e32 v2, 0x10000
	v_mov_b32_e32 v3, 0
	v_cmp_lt_u64_e32 vcc, s[10:11], v[2:3]
	v_lshlrev_b32_e32 v1, 1, v0
	s_waitcnt lgkmcnt(0)
	s_and_b32 s2, s0, 0xffff
	s_and_b64 s[0:1], vcc, exec
	s_cselect_b32 s17, s11, 0
	s_cselect_b32 s16, s10, 0x10000
	s_lshl_b32 s3, s2, 1
	s_lshl_b32 s23, s2, 2
	s_add_u32 s6, s12, s14
	s_addc_u32 s7, s13, s15
	v_mov_b32_e32 v3, s7
	v_add_co_u32_e32 v2, vcc, s6, v1
	s_mul_i32 s0, s2, 3
	v_addc_co_u32_e32 v3, vcc, 0, v3, vcc
	v_add_co_u32_e32 v1, vcc, s0, v0
	v_addc_co_u32_e64 v8, s[0:1], 0, 0, vcc
	v_add_co_u32_e32 v9, vcc, s3, v0
	v_addc_co_u32_e64 v10, s[0:1], 0, 0, vcc
	v_add_co_u32_e32 v11, vcc, s2, v0
	v_lshlrev_b32_e32 v4, 1, v11
	s_mov_b32 s22, 0
	v_addc_co_u32_e64 v12, s[0:1], 0, 0, vcc
	v_mov_b32_e32 v5, s7
	v_add_co_u32_e32 v4, vcc, s6, v4
	s_lshl_b32 s24, s2, 3
	s_mul_i32 s25, s2, 6
	s_mov_b32 s26, s22
	v_addc_co_u32_e32 v5, vcc, 0, v5, vcc
	s_mov_b64 s[18:19], 0
	v_mov_b32_e32 v13, 0x3d29fb3f
	v_mov_b32_e32 v14, 0xbd97d4d7
	;; [unrolled: 1-line block ×6, first 2 shown]
	s_brev_b32 s27, -2
	s_movk_i32 s28, 0x7fff
	v_mov_b32_e32 v19, 0x7fc0
	v_pk_mov_b32 v[6:7], s[10:11], s[10:11] op_sel:[0,1]
	v_mov_b32_e32 v20, s22
	s_branch .LBB77_4
.LBB77_3:                               ;   in Loop: Header=BB77_4 Depth=1
	s_or_b64 exec, exec, s[0:1]
	s_add_u32 s18, s18, s23
	s_waitcnt vmcnt(0)
	v_mov_b32_e32 v22, 0x10000
	s_addc_u32 s19, s19, 0
	v_mov_b32_e32 v23, 0
	v_cmp_lt_i64_e32 vcc, s[18:19], v[6:7]
	v_cmp_lt_u64_e64 s[0:1], s[18:19], v[22:23]
	s_and_b64 s[0:1], vcc, s[0:1]
	v_add_co_u32_e32 v2, vcc, s24, v2
	v_addc_co_u32_e32 v3, vcc, v3, v20, vcc
	v_add_co_u32_e32 v4, vcc, s24, v4
	v_addc_co_u32_e32 v5, vcc, v5, v20, vcc
	s_and_b64 vcc, exec, s[0:1]
	s_cbranch_vccz .LBB77_20
.LBB77_4:                               ; =>This Inner Loop Header: Depth=1
	v_mov_b32_e32 v21, s19
	v_add_co_u32_e32 v22, vcc, s18, v0
	v_addc_co_u32_e32 v23, vcc, 0, v21, vcc
	v_cmp_gt_u64_e64 s[6:7], s[16:17], v[22:23]
	v_mov_b32_e32 v24, 0
	s_and_saveexec_b64 s[0:1], s[6:7]
	s_cbranch_execz .LBB77_6
; %bb.5:                                ;   in Loop: Header=BB77_4 Depth=1
	global_load_ushort v24, v[2:3], off
.LBB77_6:                               ;   in Loop: Header=BB77_4 Depth=1
	s_or_b64 exec, exec, s[0:1]
	v_mov_b32_e32 v21, s19
	v_add_co_u32_e32 v22, vcc, s18, v11
	v_addc_co_u32_e32 v23, vcc, v12, v21, vcc
	v_cmp_gt_u64_e64 s[2:3], s[16:17], v[22:23]
	v_mov_b32_e32 v23, 0
	s_and_saveexec_b64 s[0:1], s[2:3]
	s_cbranch_execz .LBB77_8
; %bb.7:                                ;   in Loop: Header=BB77_4 Depth=1
	global_load_ushort v23, v[4:5], off
.LBB77_8:                               ;   in Loop: Header=BB77_4 Depth=1
	s_or_b64 exec, exec, s[0:1]
	v_mov_b32_e32 v21, s19
	v_add_co_u32_e32 v26, vcc, s18, v9
	v_addc_co_u32_e32 v27, vcc, v10, v21, vcc
	v_cmp_gt_u64_e64 s[0:1], s[16:17], v[26:27]
	v_mov_b32_e32 v21, 0
	v_mov_b32_e32 v22, 0
	s_and_saveexec_b64 s[8:9], s[0:1]
	s_cbranch_execz .LBB77_10
; %bb.9:                                ;   in Loop: Header=BB77_4 Depth=1
	v_mov_b32_e32 v22, s22
	v_add_co_u32_e32 v26, vcc, s23, v2
	v_addc_co_u32_e32 v27, vcc, v3, v22, vcc
	global_load_ushort v22, v[26:27], off
.LBB77_10:                              ;   in Loop: Header=BB77_4 Depth=1
	s_or_b64 exec, exec, s[8:9]
	v_mov_b32_e32 v25, s19
	v_add_co_u32_e32 v26, vcc, s18, v1
	v_addc_co_u32_e32 v27, vcc, v8, v25, vcc
	v_cmp_gt_u64_e32 vcc, s[16:17], v[26:27]
	s_and_saveexec_b64 s[20:21], vcc
	s_cbranch_execnz .LBB77_15
; %bb.11:                               ;   in Loop: Header=BB77_4 Depth=1
	s_or_b64 exec, exec, s[20:21]
	s_and_saveexec_b64 s[8:9], s[6:7]
	s_cbranch_execnz .LBB77_16
.LBB77_12:                              ;   in Loop: Header=BB77_4 Depth=1
	s_or_b64 exec, exec, s[8:9]
	s_and_saveexec_b64 s[6:7], s[2:3]
	s_cbranch_execnz .LBB77_17
.LBB77_13:                              ;   in Loop: Header=BB77_4 Depth=1
	s_or_b64 exec, exec, s[6:7]
	s_and_saveexec_b64 s[2:3], s[0:1]
	s_cbranch_execnz .LBB77_18
.LBB77_14:                              ;   in Loop: Header=BB77_4 Depth=1
	s_or_b64 exec, exec, s[2:3]
	s_and_saveexec_b64 s[0:1], vcc
	s_cbranch_execz .LBB77_3
	s_branch .LBB77_19
.LBB77_15:                              ;   in Loop: Header=BB77_4 Depth=1
	v_mov_b32_e32 v21, s26
	v_add_co_u32_e64 v26, s[8:9], s25, v2
	v_addc_co_u32_e64 v27, s[8:9], v3, v21, s[8:9]
	global_load_ushort v21, v[26:27], off
	s_or_b64 exec, exec, s[20:21]
	s_and_saveexec_b64 s[8:9], s[6:7]
	s_cbranch_execz .LBB77_12
.LBB77_16:                              ;   in Loop: Header=BB77_4 Depth=1
	s_waitcnt vmcnt(0)
	v_lshlrev_b32_e32 v24, 16, v24
	v_rcp_f32_e64 v25, |v24|
	v_cmp_gt_f32_e64 s[6:7], |v24|, 1.0
	v_mov_b32_e32 v26, 0xbc7a590c
	v_cndmask_b32_e64 v25, |v24|, v25, s[6:7]
	v_mul_f32_e32 v27, v25, v25
	v_fmac_f32_e32 v26, 0x3b2d2a58, v27
	v_fma_f32 v26, v27, v26, v13
	v_fma_f32 v26, v27, v26, v14
	;; [unrolled: 1-line block ×6, first 2 shown]
	v_mul_f32_e32 v26, v27, v26
	v_fmac_f32_e32 v25, v25, v26
	v_sub_f32_e32 v26, 0x3fc90fdb, v25
	v_cndmask_b32_e64 v25, v25, v26, s[6:7]
	v_bfi_b32 v24, s27, v25, v24
	v_bfe_u32 v25, v24, 16, 1
	v_add3_u32 v25, v24, v25, s28
	v_lshrrev_b32_e32 v25, 16, v25
	v_cmp_o_f32_e64 s[6:7], v24, v24
	v_cndmask_b32_e64 v24, v19, v25, s[6:7]
	global_store_short v[2:3], v24, off
	s_or_b64 exec, exec, s[8:9]
	s_and_saveexec_b64 s[6:7], s[2:3]
	s_cbranch_execz .LBB77_13
.LBB77_17:                              ;   in Loop: Header=BB77_4 Depth=1
	s_waitcnt vmcnt(0)
	v_lshlrev_b32_e32 v23, 16, v23
	v_rcp_f32_e64 v24, |v23|
	v_cmp_gt_f32_e64 s[2:3], |v23|, 1.0
	v_mov_b32_e32 v25, 0xbc7a590c
	v_cndmask_b32_e64 v24, |v23|, v24, s[2:3]
	v_mul_f32_e32 v26, v24, v24
	v_fmac_f32_e32 v25, 0x3b2d2a58, v26
	v_fma_f32 v25, v26, v25, v13
	v_fma_f32 v25, v26, v25, v14
	;; [unrolled: 1-line block ×6, first 2 shown]
	v_mul_f32_e32 v25, v26, v25
	v_fmac_f32_e32 v24, v24, v25
	v_sub_f32_e32 v25, 0x3fc90fdb, v24
	v_cndmask_b32_e64 v24, v24, v25, s[2:3]
	v_bfi_b32 v23, s27, v24, v23
	v_bfe_u32 v24, v23, 16, 1
	v_add3_u32 v24, v23, v24, s28
	v_lshrrev_b32_e32 v24, 16, v24
	v_cmp_o_f32_e64 s[2:3], v23, v23
	v_cndmask_b32_e64 v23, v19, v24, s[2:3]
	global_store_short v[4:5], v23, off
	s_or_b64 exec, exec, s[6:7]
	s_and_saveexec_b64 s[2:3], s[0:1]
	s_cbranch_execz .LBB77_14
.LBB77_18:                              ;   in Loop: Header=BB77_4 Depth=1
	s_waitcnt vmcnt(0)
	v_lshlrev_b32_e32 v22, 16, v22
	v_rcp_f32_e64 v23, |v22|
	v_cmp_gt_f32_e64 s[0:1], |v22|, 1.0
	v_mov_b32_e32 v24, 0xbc7a590c
	v_cndmask_b32_e64 v23, |v22|, v23, s[0:1]
	v_mul_f32_e32 v25, v23, v23
	v_fmac_f32_e32 v24, 0x3b2d2a58, v25
	v_fma_f32 v24, v25, v24, v13
	v_fma_f32 v24, v25, v24, v14
	;; [unrolled: 1-line block ×6, first 2 shown]
	v_mul_f32_e32 v24, v25, v24
	v_fmac_f32_e32 v23, v23, v24
	v_sub_f32_e32 v24, 0x3fc90fdb, v23
	v_cndmask_b32_e64 v23, v23, v24, s[0:1]
	v_bfi_b32 v22, s27, v23, v22
	v_bfe_u32 v23, v22, 16, 1
	v_add3_u32 v23, v22, v23, s28
	v_lshrrev_b32_e32 v23, 16, v23
	v_cmp_o_f32_e64 s[0:1], v22, v22
	v_cndmask_b32_e64 v24, v19, v23, s[0:1]
	v_mov_b32_e32 v23, s22
	v_add_co_u32_e64 v22, s[0:1], s23, v2
	v_addc_co_u32_e64 v23, s[0:1], v3, v23, s[0:1]
	global_store_short v[22:23], v24, off
	s_or_b64 exec, exec, s[2:3]
	s_and_saveexec_b64 s[0:1], vcc
	s_cbranch_execz .LBB77_3
.LBB77_19:                              ;   in Loop: Header=BB77_4 Depth=1
	s_waitcnt vmcnt(0)
	v_lshlrev_b32_e32 v21, 16, v21
	v_rcp_f32_e64 v22, |v21|
	v_cmp_gt_f32_e64 vcc, |v21|, 1.0
	v_mov_b32_e32 v23, 0xbc7a590c
	v_cndmask_b32_e64 v22, |v21|, v22, vcc
	v_mul_f32_e32 v24, v22, v22
	v_fmac_f32_e32 v23, 0x3b2d2a58, v24
	v_fma_f32 v23, v24, v23, v13
	v_fma_f32 v23, v24, v23, v14
	;; [unrolled: 1-line block ×6, first 2 shown]
	v_mul_f32_e32 v23, v24, v23
	v_fmac_f32_e32 v22, v22, v23
	v_sub_f32_e32 v23, 0x3fc90fdb, v22
	v_cndmask_b32_e32 v22, v22, v23, vcc
	v_bfi_b32 v21, s27, v22, v21
	v_bfe_u32 v22, v21, 16, 1
	v_add3_u32 v22, v21, v22, s28
	v_lshrrev_b32_e32 v22, 16, v22
	v_cmp_o_f32_e32 vcc, v21, v21
	v_cndmask_b32_e32 v21, v19, v22, vcc
	v_mov_b32_e32 v23, s26
	v_add_co_u32_e32 v22, vcc, s25, v2
	v_addc_co_u32_e32 v23, vcc, v3, v23, vcc
	global_store_short v[22:23], v21, off
	s_branch .LBB77_3
.LBB77_20:
	s_cbranch_execz .LBB77_22
	s_branch .LBB77_25
.LBB77_21:
.LBB77_22:
	v_mov_b32_e32 v3, 0
	v_lshlrev_b32_e32 v2, 2, v0
	s_mov_b32 s0, 0
	v_cmp_gt_i64_e32 vcc, s[10:11], v[2:3]
	s_and_saveexec_b64 s[2:3], vcc
	s_cbranch_execz .LBB77_25
; %bb.23:
	s_load_dword s1, s[4:5], 0xd3c
	v_lshlrev_b32_e32 v1, 3, v0
	s_mov_b64 s[6:7], 0
	s_mov_b32 s8, 0x3b2d2a58
	s_mov_b32 s16, 0x3dd931b2
	s_waitcnt lgkmcnt(0)
	s_and_b32 s1, s1, 0xffff
	s_add_u32 s2, s12, s14
	s_addc_u32 s3, s13, s15
	v_mov_b32_e32 v2, s3
	v_add_co_u32_e32 v4, vcc, s2, v1
	s_mov_b32 s2, 0xbc7a590c
	v_addc_co_u32_e32 v5, vcc, 0, v2, vcc
	s_lshl_b32 s9, s1, 3
	v_add_lshl_u32 v2, v0, s1, 2
	s_lshl_b32 s13, s1, 2
	v_pk_mov_b32 v[0:1], s[2:3], s[2:3] op_sel:[0,1]
	s_mov_b32 s12, 0x3d29fb3f
	s_mov_b32 s14, 0xbd97d4d7
	;; [unrolled: 1-line block ×5, first 2 shown]
	s_brev_b32 s15, -2
	s_movk_i32 s17, 0x7fff
	v_mov_b32_e32 v6, 0x7fc0
	v_mov_b32_e32 v7, 0x7fc00000
	s_mov_b64 s[24:25], 0xffff
	v_mov_b32_e32 v8, s0
	v_mov_b32_e32 v9, s0
.LBB77_24:                              ; =>This Inner Loop Header: Depth=1
	global_load_dwordx2 v[10:11], v[4:5], off
	v_cmp_le_i64_e32 vcc, s[10:11], v[2:3]
	v_cmp_lt_u64_e64 s[0:1], s[24:25], v[2:3]
	s_or_b64 s[0:1], vcc, s[0:1]
	s_and_b64 s[0:1], exec, s[0:1]
	s_or_b64 s[6:7], s[0:1], s[6:7]
	s_waitcnt vmcnt(0)
	v_alignbit_b32 v12, v11, v10, 16
	v_lshlrev_b32_e32 v22, 16, v10
	v_and_b32_e32 v24, 0xffff0000, v10
	v_and_b32_e32 v25, 0xffff0000, v12
	v_rcp_f32_e64 v10, |v22|
	v_rcp_f32_e64 v12, |v24|
	v_and_b32_e32 v23, 0xffff0000, v11
	v_rcp_f32_e64 v14, |v25|
	v_rcp_f32_e64 v11, |v23|
	v_cmp_gt_f32_e64 s[0:1], |v24|, 1.0
	v_cmp_gt_f32_e64 s[2:3], |v22|, 1.0
	v_cndmask_b32_e64 v13, |v24|, v12, s[0:1]
	v_cndmask_b32_e64 v12, |v22|, v10, s[2:3]
	v_cmp_gt_f32_e64 s[4:5], |v25|, 1.0
	v_cmp_gt_f32_e64 vcc, |v23|, 1.0
	v_cndmask_b32_e64 v10, |v25|, v14, s[4:5]
	v_pk_mul_f32 v[14:15], v[12:13], v[12:13]
	v_cndmask_b32_e64 v11, |v23|, v11, vcc
	v_pk_fma_f32 v[18:19], v[14:15], s[8:9], v[0:1] op_sel_hi:[1,0,0]
	v_pk_mul_f32 v[16:17], v[10:11], v[10:11]
	v_pk_fma_f32 v[18:19], v[14:15], v[18:19], s[12:13] op_sel_hi:[1,1,0]
	v_pk_fma_f32 v[20:21], v[16:17], s[8:9], v[0:1] op_sel_hi:[1,0,0]
	;; [unrolled: 1-line block ×12, first 2 shown]
	v_pk_mul_f32 v[14:15], v[14:15], v[18:19]
	v_pk_fma_f32 v[20:21], v[16:17], v[20:21], s[22:23] op_sel_hi:[1,1,0]
	v_pk_fma_f32 v[12:13], v[12:13], v[14:15], v[12:13]
	v_pk_mul_f32 v[16:17], v[16:17], v[20:21]
	v_sub_f32_e32 v15, 0x3fc90fdb, v12
	v_pk_fma_f32 v[10:11], v[10:11], v[16:17], v[10:11]
	v_sub_f32_e32 v14, 0x3fc90fdb, v13
	v_cndmask_b32_e64 v12, v12, v15, s[2:3]
	v_sub_f32_e32 v17, 0x3fc90fdb, v10
	v_cndmask_b32_e64 v13, v13, v14, s[0:1]
	v_bfi_b32 v12, s15, v12, v22
	v_sub_f32_e32 v16, 0x3fc90fdb, v11
	v_cndmask_b32_e64 v10, v10, v17, s[4:5]
	v_bfi_b32 v13, s15, v13, v24
	v_bfe_u32 v14, v12, 16, 1
	v_cndmask_b32_e32 v11, v11, v16, vcc
	v_bfi_b32 v10, s15, v10, v25
	v_bfe_u32 v15, v13, 16, 1
	v_add3_u32 v14, v12, v14, s17
	v_bfi_b32 v11, s15, v11, v23
	v_add3_u32 v15, v13, v15, s17
	v_bfe_u32 v16, v10, 16, 1
	v_lshrrev_b32_e32 v14, 16, v14
	v_cmp_o_f32_e32 vcc, v12, v12
	v_bfe_u32 v17, v11, 16, 1
	v_and_b32_e32 v15, 0xffff0000, v15
	v_add3_u32 v16, v10, v16, s17
	v_cndmask_b32_e32 v12, v6, v14, vcc
	v_cmp_o_f32_e32 vcc, v13, v13
	v_add3_u32 v17, v11, v17, s17
	v_lshrrev_b32_e32 v16, 16, v16
	v_cndmask_b32_e32 v13, v7, v15, vcc
	v_cmp_o_f32_e32 vcc, v10, v10
	v_and_b32_e32 v17, 0xffff0000, v17
	v_cndmask_b32_e32 v14, v6, v16, vcc
	v_cmp_o_f32_e32 vcc, v11, v11
	v_cndmask_b32_e32 v11, v7, v17, vcc
	v_or3_b32 v10, v12, 0, v13
	v_or3_b32 v11, 0, v14, v11
	global_store_dwordx2 v[4:5], v[10:11], off
	v_add_co_u32_e32 v4, vcc, s9, v4
	v_addc_co_u32_e32 v5, vcc, v5, v8, vcc
	v_add_co_u32_e32 v2, vcc, s13, v2
	v_addc_co_u32_e32 v3, vcc, v3, v9, vcc
	s_andn2_b64 exec, exec, s[6:7]
	s_cbranch_execnz .LBB77_24
.LBB77_25:
	s_endpgm
	.section	.rodata,"a",@progbits
	.p2align	6, 0x0
	.amdhsa_kernel _ZN2at6native12_GLOBAL__N_125multi_tensor_apply_kernelINS1_18TensorListMetadataILi1EEENS1_14UnaryOpFunctorIN3c108BFloat16ELi1ELi1ELi0EEEJNS0_4AtanIfEEEEEvT_T0_DpT1_
		.amdhsa_group_segment_fixed_size 0
		.amdhsa_private_segment_fixed_size 0
		.amdhsa_kernarg_size 3632
		.amdhsa_user_sgpr_count 6
		.amdhsa_user_sgpr_private_segment_buffer 1
		.amdhsa_user_sgpr_dispatch_ptr 0
		.amdhsa_user_sgpr_queue_ptr 0
		.amdhsa_user_sgpr_kernarg_segment_ptr 1
		.amdhsa_user_sgpr_dispatch_id 0
		.amdhsa_user_sgpr_flat_scratch_init 0
		.amdhsa_user_sgpr_kernarg_preload_length 0
		.amdhsa_user_sgpr_kernarg_preload_offset 0
		.amdhsa_user_sgpr_private_segment_size 0
		.amdhsa_uses_dynamic_stack 0
		.amdhsa_system_sgpr_private_segment_wavefront_offset 0
		.amdhsa_system_sgpr_workgroup_id_x 1
		.amdhsa_system_sgpr_workgroup_id_y 0
		.amdhsa_system_sgpr_workgroup_id_z 0
		.amdhsa_system_sgpr_workgroup_info 0
		.amdhsa_system_vgpr_workitem_id 0
		.amdhsa_next_free_vgpr 28
		.amdhsa_next_free_sgpr 29
		.amdhsa_accum_offset 28
		.amdhsa_reserve_vcc 1
		.amdhsa_reserve_flat_scratch 0
		.amdhsa_float_round_mode_32 0
		.amdhsa_float_round_mode_16_64 0
		.amdhsa_float_denorm_mode_32 3
		.amdhsa_float_denorm_mode_16_64 3
		.amdhsa_dx10_clamp 1
		.amdhsa_ieee_mode 1
		.amdhsa_fp16_overflow 0
		.amdhsa_tg_split 0
		.amdhsa_exception_fp_ieee_invalid_op 0
		.amdhsa_exception_fp_denorm_src 0
		.amdhsa_exception_fp_ieee_div_zero 0
		.amdhsa_exception_fp_ieee_overflow 0
		.amdhsa_exception_fp_ieee_underflow 0
		.amdhsa_exception_fp_ieee_inexact 0
		.amdhsa_exception_int_div_zero 0
	.end_amdhsa_kernel
	.section	.text._ZN2at6native12_GLOBAL__N_125multi_tensor_apply_kernelINS1_18TensorListMetadataILi1EEENS1_14UnaryOpFunctorIN3c108BFloat16ELi1ELi1ELi0EEEJNS0_4AtanIfEEEEEvT_T0_DpT1_,"axG",@progbits,_ZN2at6native12_GLOBAL__N_125multi_tensor_apply_kernelINS1_18TensorListMetadataILi1EEENS1_14UnaryOpFunctorIN3c108BFloat16ELi1ELi1ELi0EEEJNS0_4AtanIfEEEEEvT_T0_DpT1_,comdat
.Lfunc_end77:
	.size	_ZN2at6native12_GLOBAL__N_125multi_tensor_apply_kernelINS1_18TensorListMetadataILi1EEENS1_14UnaryOpFunctorIN3c108BFloat16ELi1ELi1ELi0EEEJNS0_4AtanIfEEEEEvT_T0_DpT1_, .Lfunc_end77-_ZN2at6native12_GLOBAL__N_125multi_tensor_apply_kernelINS1_18TensorListMetadataILi1EEENS1_14UnaryOpFunctorIN3c108BFloat16ELi1ELi1ELi0EEEJNS0_4AtanIfEEEEEvT_T0_DpT1_
                                        ; -- End function
	.section	.AMDGPU.csdata,"",@progbits
; Kernel info:
; codeLenInByte = 2276
; NumSgprs: 33
; NumVgprs: 28
; NumAgprs: 0
; TotalNumVgprs: 28
; ScratchSize: 0
; MemoryBound: 0
; FloatMode: 240
; IeeeMode: 1
; LDSByteSize: 0 bytes/workgroup (compile time only)
; SGPRBlocks: 4
; VGPRBlocks: 3
; NumSGPRsForWavesPerEU: 33
; NumVGPRsForWavesPerEU: 28
; AccumOffset: 28
; Occupancy: 8
; WaveLimiterHint : 0
; COMPUTE_PGM_RSRC2:SCRATCH_EN: 0
; COMPUTE_PGM_RSRC2:USER_SGPR: 6
; COMPUTE_PGM_RSRC2:TRAP_HANDLER: 0
; COMPUTE_PGM_RSRC2:TGID_X_EN: 1
; COMPUTE_PGM_RSRC2:TGID_Y_EN: 0
; COMPUTE_PGM_RSRC2:TGID_Z_EN: 0
; COMPUTE_PGM_RSRC2:TIDIG_COMP_CNT: 0
; COMPUTE_PGM_RSRC3_GFX90A:ACCUM_OFFSET: 6
; COMPUTE_PGM_RSRC3_GFX90A:TG_SPLIT: 0
	.section	.text._ZN2at6native12_GLOBAL__N_125multi_tensor_apply_kernelINS1_18TensorListMetadataILi2EEENS1_14UnaryOpFunctorIdLi2ELi1ELi1EEEJNS0_4CoshIdEEEEEvT_T0_DpT1_,"axG",@progbits,_ZN2at6native12_GLOBAL__N_125multi_tensor_apply_kernelINS1_18TensorListMetadataILi2EEENS1_14UnaryOpFunctorIdLi2ELi1ELi1EEEJNS0_4CoshIdEEEEEvT_T0_DpT1_,comdat
	.globl	_ZN2at6native12_GLOBAL__N_125multi_tensor_apply_kernelINS1_18TensorListMetadataILi2EEENS1_14UnaryOpFunctorIdLi2ELi1ELi1EEEJNS0_4CoshIdEEEEEvT_T0_DpT1_ ; -- Begin function _ZN2at6native12_GLOBAL__N_125multi_tensor_apply_kernelINS1_18TensorListMetadataILi2EEENS1_14UnaryOpFunctorIdLi2ELi1ELi1EEEJNS0_4CoshIdEEEEEvT_T0_DpT1_
	.p2align	8
	.type	_ZN2at6native12_GLOBAL__N_125multi_tensor_apply_kernelINS1_18TensorListMetadataILi2EEENS1_14UnaryOpFunctorIdLi2ELi1ELi1EEEJNS0_4CoshIdEEEEEvT_T0_DpT1_,@function
_ZN2at6native12_GLOBAL__N_125multi_tensor_apply_kernelINS1_18TensorListMetadataILi2EEENS1_14UnaryOpFunctorIdLi2ELi1ELi1EEEJNS0_4CoshIdEEEEEvT_T0_DpT1_: ; @_ZN2at6native12_GLOBAL__N_125multi_tensor_apply_kernelINS1_18TensorListMetadataILi2EEENS1_14UnaryOpFunctorIdLi2ELi1ELi1EEEJNS0_4CoshIdEEEEEvT_T0_DpT1_
; %bb.0:
	v_mov_b32_e32 v1, s6
	global_load_ubyte v1, v1, s[4:5] offset:1536
	s_add_u32 s0, s4, s6
	s_mul_hi_u32 s3, s6, 3
	s_mul_i32 s6, s6, 3
	s_addc_u32 s7, s5, 0
	s_add_u32 s2, s0, s6
	s_addc_u32 s3, s7, s3
	s_load_dword s14, s[2:3], 0x740
	s_mov_b32 s1, 0
	s_mov_b32 s13, s1
	;; [unrolled: 1-line block ×3, first 2 shown]
	s_waitcnt lgkmcnt(0)
	s_ashr_i32 s15, s14, 31
	s_lshl_b64 s[8:9], s[14:15], 19
	s_waitcnt vmcnt(0)
	v_readfirstlane_b32 s0, v1
	s_lshl_b32 s0, s0, 3
	s_load_dwordx2 s[6:7], s[4:5], s0 offset:0x0
	s_load_dwordx2 s[16:17], s[4:5], s0 offset:0x400
	;; [unrolled: 1-line block ×3, first 2 shown]
	s_waitcnt lgkmcnt(0)
	s_add_u32 s33, s6, s8
	s_addc_u32 s54, s7, s9
	s_and_b32 s0, s33, 31
	s_add_u32 s55, s2, s8
	s_addc_u32 s56, s3, s9
	s_and_b32 s12, s16, 3
	s_and_b32 s10, s55, 31
	s_or_b64 s[12:13], s[0:1], s[12:13]
	s_or_b64 s[12:13], s[10:11], s[12:13]
	s_lshl_b64 s[10:11], s[14:15], 16
	s_sub_u32 s10, s16, s10
	s_subb_u32 s11, s17, s11
	s_cmp_eq_u64 s[12:13], 0
	s_mov_b64 s[12:13], -1
	s_cbranch_scc0 .LBB78_5
; %bb.1:
	v_mov_b32_e32 v11, 0
	v_lshlrev_b32_e32 v10, 2, v0
	v_cmp_gt_i64_e32 vcc, s[10:11], v[10:11]
	s_and_saveexec_b64 s[12:13], vcc
	s_cbranch_execz .LBB78_4
; %bb.2:
	s_load_dword s0, s[4:5], 0xc5c
	s_mov_b32 s34, 0xfca7ab0c
	s_mov_b32 s16, 0xfefa39ef
	;; [unrolled: 1-line block ×4, first 2 shown]
	s_waitcnt lgkmcnt(0)
	s_and_b32 s0, s0, 0xffff
	s_mov_b32 s20, 0x3b39803f
	s_mov_b32 s22, 0x652b82fe
	;; [unrolled: 1-line block ×5, first 2 shown]
	v_pk_mov_b32 v[14:15], s[34:35], s[34:35] op_sel:[0,1]
	s_mov_b32 s34, 0x623fde64
	s_mov_b32 s36, 0x7c89e6b0
	;; [unrolled: 1-line block ×9, first 2 shown]
	v_lshlrev_b32_e32 v12, 5, v0
	s_mov_b64 s[14:15], 0
	v_add_lshl_u32 v10, v0, s0, 2
	s_lshl_b32 s57, s0, 2
	s_lshl_b32 s58, s0, 5
	s_mov_b32 s19, 0x3fe62e42
	s_mov_b32 s18, s16
	;; [unrolled: 1-line block ×18, first 2 shown]
	v_mov_b32_e32 v1, 0x7ff00000
	s_mov_b64 s[52:53], 0xffff
	v_mov_b32_e32 v13, s1
.LBB78_3:                               ; =>This Inner Loop Header: Depth=1
	v_add_co_u32_e32 v6, vcc, s33, v12
	v_mov_b32_e32 v2, s54
	v_addc_co_u32_e32 v7, vcc, 0, v2, vcc
	global_load_dwordx4 v[2:5], v[6:7], off offset:16
	s_nop 0
	global_load_dwordx4 v[6:9], v[6:7], off
	v_cmp_lt_u64_e64 s[0:1], s[52:53], v[10:11]
	s_waitcnt vmcnt(0)
	v_add_f64 v[16:17], |v[6:7]|, s[16:17]
	v_add_f64 v[18:19], v[16:17], -|v[6:7]|
	v_add_f64 v[20:21], v[18:19], -v[16:17]
	v_add_f64 v[20:21], |v[6:7]|, v[20:21]
	v_add_f64 v[18:19], v[18:19], s[18:19]
	v_add_f64 v[18:19], v[20:21], -v[18:19]
	v_add_f64 v[18:19], v[18:19], s[20:21]
	v_add_f64 v[20:21], v[16:17], v[18:19]
	v_add_f64 v[16:17], v[16:17], -v[20:21]
	v_add_f64 v[16:17], v[18:19], v[16:17]
	v_mul_f64 v[18:19], v[20:21], s[22:23]
	v_rndne_f64_e32 v[18:19], v[18:19]
	v_fmac_f64_e32 v[20:21], s[24:25], v[18:19]
	v_add_f64 v[22:23], v[16:17], v[20:21]
	v_add_f64 v[20:21], v[20:21], -v[22:23]
	v_add_f64 v[16:17], v[16:17], v[20:21]
	v_mul_f64 v[20:21], v[18:19], s[26:27]
	v_add_f64 v[24:25], v[22:23], -v[20:21]
	v_add_f64 v[22:23], v[22:23], -v[24:25]
	;; [unrolled: 1-line block ×3, first 2 shown]
	v_add_f64 v[16:17], v[16:17], v[20:21]
	v_add_f64 v[20:21], v[24:25], v[16:17]
	v_add_f64 v[22:23], v[24:25], -v[20:21]
	v_add_f64 v[16:17], v[16:17], v[22:23]
	v_mul_f64 v[22:23], v[18:19], s[28:29]
	v_add_f64 v[24:25], v[20:21], -v[22:23]
	v_add_f64 v[20:21], v[20:21], -v[24:25]
	;; [unrolled: 1-line block ×3, first 2 shown]
	v_add_f64 v[16:17], v[16:17], v[20:21]
	v_add_f64 v[20:21], v[24:25], v[16:17]
	v_add_f64 v[22:23], v[24:25], -v[20:21]
	v_add_f64 v[16:17], v[16:17], v[22:23]
	v_fma_f64 v[22:23], s[30:31], v[20:21], v[14:15]
	v_fma_f64 v[22:23], v[20:21], v[22:23], s[34:35]
	;; [unrolled: 1-line block ×5, first 2 shown]
	v_mul_f64 v[24:25], v[20:21], v[20:21]
	v_fma_f64 v[22:23], v[20:21], v[22:23], s[42:43]
	v_fma_f64 v[26:27], v[20:21], v[20:21], -v[24:25]
	v_add_f64 v[28:29], v[16:17], v[16:17]
	v_fma_f64 v[22:23], v[20:21], v[22:23], s[44:45]
	v_fmac_f64_e32 v[26:27], v[20:21], v[28:29]
	v_fma_f64 v[22:23], v[20:21], v[22:23], s[46:47]
	v_add_f64 v[28:29], v[24:25], v[26:27]
	v_fma_f64 v[22:23], v[20:21], v[22:23], s[48:49]
	v_add_f64 v[24:25], v[28:29], -v[24:25]
	v_add_f64 v[24:25], v[26:27], -v[24:25]
	v_mul_f64 v[26:27], v[28:29], v[22:23]
	v_fma_f64 v[28:29], v[28:29], v[22:23], -v[26:27]
	v_fmac_f64_e32 v[28:29], v[24:25], v[22:23]
	v_add_f64 v[22:23], v[26:27], v[28:29]
	v_add_f64 v[24:25], v[22:23], -v[26:27]
	v_add_f64 v[26:27], v[20:21], v[22:23]
	v_add_f64 v[24:25], v[28:29], -v[24:25]
	v_add_f64 v[20:21], v[26:27], -v[20:21]
	;; [unrolled: 1-line block ×3, first 2 shown]
	v_add_f64 v[16:17], v[16:17], v[24:25]
	v_add_f64 v[16:17], v[16:17], v[20:21]
	;; [unrolled: 1-line block ×3, first 2 shown]
	v_add_f64 v[22:23], v[20:21], -v[26:27]
	v_add_f64 v[16:17], v[16:17], -v[22:23]
	v_add_f64 v[22:23], v[20:21], 1.0
	v_add_f64 v[24:25], v[22:23], -1.0
	v_add_f64 v[20:21], v[20:21], -v[24:25]
	v_add_f64 v[16:17], v[16:17], v[20:21]
	v_add_f64 v[20:21], v[22:23], v[16:17]
	v_add_f64 v[22:23], v[20:21], -v[22:23]
	v_add_f64 v[16:17], v[16:17], -v[22:23]
	v_cvt_i32_f64_e32 v22, v[18:19]
	v_ldexp_f64 v[18:19], v[20:21], v22
	v_rcp_f64_e32 v[20:21], v[18:19]
	v_ldexp_f64 v[16:17], v[16:17], v22
	v_cmp_nge_f64_e64 vcc, |v[6:7]|, s[50:51]
	v_fma_f64 v[22:23], -v[18:19], v[20:21], 1.0
	v_fmac_f64_e32 v[20:21], v[22:23], v[20:21]
	v_fma_f64 v[22:23], -v[18:19], v[20:21], 1.0
	v_fmac_f64_e32 v[20:21], v[22:23], v[20:21]
	v_mul_f64 v[22:23], v[18:19], v[20:21]
	v_fma_f64 v[24:25], v[20:21], v[18:19], -v[22:23]
	v_fmac_f64_e32 v[24:25], v[20:21], v[16:17]
	v_add_f64 v[26:27], v[22:23], v[24:25]
	v_add_f64 v[28:29], -v[26:27], 1.0
	v_add_f64 v[22:23], v[26:27], -v[22:23]
	v_add_f64 v[30:31], -v[28:29], 1.0
	v_add_f64 v[26:27], v[30:31], -v[26:27]
	v_add_f64 v[22:23], v[22:23], -v[24:25]
	v_add_f64 v[22:23], v[22:23], v[26:27]
	v_add_f64 v[24:25], v[28:29], v[22:23]
	v_add_f64 v[26:27], v[28:29], -v[24:25]
	v_add_f64 v[22:23], v[22:23], v[26:27]
	v_mul_f64 v[26:27], v[20:21], v[24:25]
	v_mul_f64 v[28:29], v[18:19], v[26:27]
	v_fma_f64 v[30:31], v[26:27], v[18:19], -v[28:29]
	v_fmac_f64_e32 v[30:31], v[26:27], v[16:17]
	v_add_f64 v[32:33], v[28:29], v[30:31]
	v_add_f64 v[34:35], v[24:25], -v[32:33]
	v_add_f64 v[24:25], v[24:25], -v[34:35]
	;; [unrolled: 1-line block ×4, first 2 shown]
	v_add_f64 v[22:23], v[22:23], v[24:25]
	v_add_f64 v[24:25], v[28:29], -v[30:31]
	v_add_f64 v[22:23], v[24:25], v[22:23]
	v_add_f64 v[22:23], v[34:35], v[22:23]
	;; [unrolled: 1-line block ×3, first 2 shown]
	v_mul_f64 v[22:23], v[20:21], v[22:23]
	v_add_f64 v[20:21], v[24:25], -v[20:21]
	v_add_f64 v[20:21], v[26:27], -v[20:21]
	v_add_f64 v[20:21], v[20:21], v[22:23]
	v_add_f64 v[22:23], v[24:25], v[20:21]
	v_add_f64 v[24:25], v[22:23], -v[24:25]
	v_ldexp_f64 v[22:23], v[22:23], -2
	v_add_f64 v[20:21], v[20:21], -v[24:25]
	v_add_f64 v[24:25], v[18:19], v[22:23]
	v_ldexp_f64 v[20:21], v[20:21], -2
	v_add_f64 v[18:19], v[24:25], -v[18:19]
	v_add_f64 v[18:19], v[22:23], -v[18:19]
	v_add_f64 v[16:17], v[16:17], v[20:21]
	v_add_f64 v[16:17], v[16:17], v[18:19]
	;; [unrolled: 1-line block ×3, first 2 shown]
	v_cndmask_b32_e32 v7, v1, v17, vcc
	v_cndmask_b32_e32 v6, 0, v16, vcc
	v_add_f64 v[16:17], |v[8:9]|, s[16:17]
	v_add_f64 v[18:19], v[16:17], -|v[8:9]|
	v_add_f64 v[20:21], v[18:19], -v[16:17]
	v_add_f64 v[20:21], |v[8:9]|, v[20:21]
	v_add_f64 v[18:19], v[18:19], s[18:19]
	v_add_f64 v[18:19], v[20:21], -v[18:19]
	v_add_f64 v[18:19], v[18:19], s[20:21]
	v_add_f64 v[20:21], v[16:17], v[18:19]
	v_add_f64 v[16:17], v[16:17], -v[20:21]
	v_add_f64 v[16:17], v[18:19], v[16:17]
	v_mul_f64 v[18:19], v[20:21], s[22:23]
	v_rndne_f64_e32 v[18:19], v[18:19]
	v_fmac_f64_e32 v[20:21], s[24:25], v[18:19]
	v_add_f64 v[22:23], v[16:17], v[20:21]
	v_add_f64 v[20:21], v[20:21], -v[22:23]
	v_add_f64 v[16:17], v[16:17], v[20:21]
	v_mul_f64 v[20:21], v[18:19], s[26:27]
	v_add_f64 v[24:25], v[22:23], -v[20:21]
	v_add_f64 v[22:23], v[22:23], -v[24:25]
	v_add_f64 v[20:21], v[22:23], -v[20:21]
	v_add_f64 v[16:17], v[16:17], v[20:21]
	v_add_f64 v[20:21], v[24:25], v[16:17]
	v_add_f64 v[22:23], v[24:25], -v[20:21]
	v_add_f64 v[16:17], v[16:17], v[22:23]
	v_mul_f64 v[22:23], v[18:19], s[28:29]
	v_add_f64 v[24:25], v[20:21], -v[22:23]
	v_add_f64 v[20:21], v[20:21], -v[24:25]
	;; [unrolled: 1-line block ×3, first 2 shown]
	v_add_f64 v[16:17], v[16:17], v[20:21]
	v_add_f64 v[20:21], v[24:25], v[16:17]
	v_add_f64 v[22:23], v[24:25], -v[20:21]
	v_add_f64 v[16:17], v[16:17], v[22:23]
	v_fma_f64 v[22:23], s[30:31], v[20:21], v[14:15]
	v_fma_f64 v[22:23], v[20:21], v[22:23], s[34:35]
	;; [unrolled: 1-line block ×5, first 2 shown]
	v_mul_f64 v[24:25], v[20:21], v[20:21]
	v_fma_f64 v[22:23], v[20:21], v[22:23], s[42:43]
	v_fma_f64 v[26:27], v[20:21], v[20:21], -v[24:25]
	v_add_f64 v[28:29], v[16:17], v[16:17]
	v_fma_f64 v[22:23], v[20:21], v[22:23], s[44:45]
	v_fmac_f64_e32 v[26:27], v[20:21], v[28:29]
	v_fma_f64 v[22:23], v[20:21], v[22:23], s[46:47]
	v_add_f64 v[28:29], v[24:25], v[26:27]
	v_fma_f64 v[22:23], v[20:21], v[22:23], s[48:49]
	v_add_f64 v[24:25], v[28:29], -v[24:25]
	v_add_f64 v[24:25], v[26:27], -v[24:25]
	v_mul_f64 v[26:27], v[28:29], v[22:23]
	v_fma_f64 v[28:29], v[28:29], v[22:23], -v[26:27]
	v_fmac_f64_e32 v[28:29], v[24:25], v[22:23]
	v_add_f64 v[22:23], v[26:27], v[28:29]
	v_add_f64 v[24:25], v[22:23], -v[26:27]
	v_add_f64 v[26:27], v[20:21], v[22:23]
	v_add_f64 v[24:25], v[28:29], -v[24:25]
	v_add_f64 v[20:21], v[26:27], -v[20:21]
	;; [unrolled: 1-line block ×3, first 2 shown]
	v_add_f64 v[16:17], v[16:17], v[24:25]
	v_add_f64 v[16:17], v[16:17], v[20:21]
	;; [unrolled: 1-line block ×3, first 2 shown]
	v_add_f64 v[22:23], v[20:21], -v[26:27]
	v_add_f64 v[16:17], v[16:17], -v[22:23]
	v_add_f64 v[22:23], v[20:21], 1.0
	v_add_f64 v[24:25], v[22:23], -1.0
	v_add_f64 v[20:21], v[20:21], -v[24:25]
	v_add_f64 v[16:17], v[16:17], v[20:21]
	v_add_f64 v[20:21], v[22:23], v[16:17]
	v_add_f64 v[22:23], v[20:21], -v[22:23]
	v_add_f64 v[16:17], v[16:17], -v[22:23]
	v_cvt_i32_f64_e32 v22, v[18:19]
	v_ldexp_f64 v[18:19], v[20:21], v22
	v_rcp_f64_e32 v[20:21], v[18:19]
	v_ldexp_f64 v[16:17], v[16:17], v22
	v_cmp_nge_f64_e64 vcc, |v[8:9]|, s[50:51]
	v_fma_f64 v[22:23], -v[18:19], v[20:21], 1.0
	v_fmac_f64_e32 v[20:21], v[22:23], v[20:21]
	v_fma_f64 v[22:23], -v[18:19], v[20:21], 1.0
	v_fmac_f64_e32 v[20:21], v[22:23], v[20:21]
	v_mul_f64 v[22:23], v[18:19], v[20:21]
	v_fma_f64 v[24:25], v[20:21], v[18:19], -v[22:23]
	v_fmac_f64_e32 v[24:25], v[20:21], v[16:17]
	v_add_f64 v[26:27], v[22:23], v[24:25]
	v_add_f64 v[28:29], -v[26:27], 1.0
	v_add_f64 v[22:23], v[26:27], -v[22:23]
	v_add_f64 v[30:31], -v[28:29], 1.0
	v_add_f64 v[26:27], v[30:31], -v[26:27]
	v_add_f64 v[22:23], v[22:23], -v[24:25]
	v_add_f64 v[22:23], v[22:23], v[26:27]
	v_add_f64 v[24:25], v[28:29], v[22:23]
	v_add_f64 v[26:27], v[28:29], -v[24:25]
	v_add_f64 v[22:23], v[22:23], v[26:27]
	v_mul_f64 v[26:27], v[20:21], v[24:25]
	v_mul_f64 v[28:29], v[18:19], v[26:27]
	v_fma_f64 v[30:31], v[26:27], v[18:19], -v[28:29]
	v_fmac_f64_e32 v[30:31], v[26:27], v[16:17]
	v_add_f64 v[32:33], v[28:29], v[30:31]
	v_add_f64 v[34:35], v[24:25], -v[32:33]
	v_add_f64 v[24:25], v[24:25], -v[34:35]
	;; [unrolled: 1-line block ×4, first 2 shown]
	v_add_f64 v[22:23], v[22:23], v[24:25]
	v_add_f64 v[24:25], v[28:29], -v[30:31]
	v_add_f64 v[22:23], v[24:25], v[22:23]
	v_add_f64 v[22:23], v[34:35], v[22:23]
	;; [unrolled: 1-line block ×3, first 2 shown]
	v_mul_f64 v[22:23], v[20:21], v[22:23]
	v_add_f64 v[20:21], v[24:25], -v[20:21]
	v_add_f64 v[20:21], v[26:27], -v[20:21]
	v_add_f64 v[20:21], v[20:21], v[22:23]
	v_add_f64 v[22:23], v[24:25], v[20:21]
	v_add_f64 v[24:25], v[22:23], -v[24:25]
	v_ldexp_f64 v[22:23], v[22:23], -2
	v_add_f64 v[20:21], v[20:21], -v[24:25]
	v_add_f64 v[24:25], v[18:19], v[22:23]
	v_ldexp_f64 v[20:21], v[20:21], -2
	v_add_f64 v[18:19], v[24:25], -v[18:19]
	v_add_f64 v[18:19], v[22:23], -v[18:19]
	v_add_f64 v[16:17], v[16:17], v[20:21]
	v_add_f64 v[16:17], v[16:17], v[18:19]
	;; [unrolled: 1-line block ×3, first 2 shown]
	v_cndmask_b32_e32 v9, v1, v17, vcc
	v_cndmask_b32_e32 v8, 0, v16, vcc
	v_add_f64 v[16:17], |v[2:3]|, s[16:17]
	v_add_f64 v[18:19], v[16:17], -|v[2:3]|
	v_add_f64 v[20:21], v[18:19], -v[16:17]
	v_add_f64 v[20:21], |v[2:3]|, v[20:21]
	v_add_f64 v[18:19], v[18:19], s[18:19]
	v_add_f64 v[18:19], v[20:21], -v[18:19]
	v_add_f64 v[18:19], v[18:19], s[20:21]
	v_add_f64 v[20:21], v[16:17], v[18:19]
	v_add_f64 v[16:17], v[16:17], -v[20:21]
	v_add_f64 v[16:17], v[18:19], v[16:17]
	v_mul_f64 v[18:19], v[20:21], s[22:23]
	v_rndne_f64_e32 v[18:19], v[18:19]
	v_fmac_f64_e32 v[20:21], s[24:25], v[18:19]
	v_add_f64 v[22:23], v[16:17], v[20:21]
	v_add_f64 v[20:21], v[20:21], -v[22:23]
	v_add_f64 v[16:17], v[16:17], v[20:21]
	v_mul_f64 v[20:21], v[18:19], s[26:27]
	v_add_f64 v[24:25], v[22:23], -v[20:21]
	v_add_f64 v[22:23], v[22:23], -v[24:25]
	;; [unrolled: 1-line block ×3, first 2 shown]
	v_add_f64 v[16:17], v[16:17], v[20:21]
	v_add_f64 v[20:21], v[24:25], v[16:17]
	v_add_f64 v[22:23], v[24:25], -v[20:21]
	v_add_f64 v[16:17], v[16:17], v[22:23]
	v_mul_f64 v[22:23], v[18:19], s[28:29]
	v_add_f64 v[24:25], v[20:21], -v[22:23]
	v_add_f64 v[20:21], v[20:21], -v[24:25]
	;; [unrolled: 1-line block ×3, first 2 shown]
	v_add_f64 v[16:17], v[16:17], v[20:21]
	v_add_f64 v[20:21], v[24:25], v[16:17]
	v_add_f64 v[22:23], v[24:25], -v[20:21]
	v_add_f64 v[16:17], v[16:17], v[22:23]
	v_fma_f64 v[22:23], s[30:31], v[20:21], v[14:15]
	v_fma_f64 v[22:23], v[20:21], v[22:23], s[34:35]
	;; [unrolled: 1-line block ×5, first 2 shown]
	v_mul_f64 v[24:25], v[20:21], v[20:21]
	v_fma_f64 v[22:23], v[20:21], v[22:23], s[42:43]
	v_fma_f64 v[26:27], v[20:21], v[20:21], -v[24:25]
	v_add_f64 v[28:29], v[16:17], v[16:17]
	v_fma_f64 v[22:23], v[20:21], v[22:23], s[44:45]
	v_fmac_f64_e32 v[26:27], v[20:21], v[28:29]
	v_fma_f64 v[22:23], v[20:21], v[22:23], s[46:47]
	v_add_f64 v[28:29], v[24:25], v[26:27]
	v_fma_f64 v[22:23], v[20:21], v[22:23], s[48:49]
	v_add_f64 v[24:25], v[28:29], -v[24:25]
	v_add_f64 v[24:25], v[26:27], -v[24:25]
	v_mul_f64 v[26:27], v[28:29], v[22:23]
	v_fma_f64 v[28:29], v[28:29], v[22:23], -v[26:27]
	v_fmac_f64_e32 v[28:29], v[24:25], v[22:23]
	v_add_f64 v[22:23], v[26:27], v[28:29]
	v_add_f64 v[24:25], v[22:23], -v[26:27]
	v_add_f64 v[26:27], v[20:21], v[22:23]
	v_add_f64 v[24:25], v[28:29], -v[24:25]
	v_add_f64 v[20:21], v[26:27], -v[20:21]
	v_add_f64 v[20:21], v[22:23], -v[20:21]
	v_add_f64 v[16:17], v[16:17], v[24:25]
	v_add_f64 v[16:17], v[16:17], v[20:21]
	;; [unrolled: 1-line block ×3, first 2 shown]
	v_add_f64 v[22:23], v[20:21], -v[26:27]
	v_add_f64 v[16:17], v[16:17], -v[22:23]
	v_add_f64 v[22:23], v[20:21], 1.0
	v_add_f64 v[24:25], v[22:23], -1.0
	v_add_f64 v[20:21], v[20:21], -v[24:25]
	v_add_f64 v[16:17], v[16:17], v[20:21]
	v_add_f64 v[20:21], v[22:23], v[16:17]
	v_add_f64 v[22:23], v[20:21], -v[22:23]
	v_add_f64 v[16:17], v[16:17], -v[22:23]
	v_cvt_i32_f64_e32 v22, v[18:19]
	v_ldexp_f64 v[18:19], v[20:21], v22
	v_rcp_f64_e32 v[20:21], v[18:19]
	v_ldexp_f64 v[16:17], v[16:17], v22
	v_cmp_nge_f64_e64 vcc, |v[2:3]|, s[50:51]
	v_fma_f64 v[22:23], -v[18:19], v[20:21], 1.0
	v_fmac_f64_e32 v[20:21], v[22:23], v[20:21]
	v_fma_f64 v[22:23], -v[18:19], v[20:21], 1.0
	v_fmac_f64_e32 v[20:21], v[22:23], v[20:21]
	v_mul_f64 v[22:23], v[18:19], v[20:21]
	v_fma_f64 v[24:25], v[20:21], v[18:19], -v[22:23]
	v_fmac_f64_e32 v[24:25], v[20:21], v[16:17]
	v_add_f64 v[26:27], v[22:23], v[24:25]
	v_add_f64 v[28:29], -v[26:27], 1.0
	v_add_f64 v[22:23], v[26:27], -v[22:23]
	v_add_f64 v[30:31], -v[28:29], 1.0
	v_add_f64 v[26:27], v[30:31], -v[26:27]
	v_add_f64 v[22:23], v[22:23], -v[24:25]
	v_add_f64 v[22:23], v[22:23], v[26:27]
	v_add_f64 v[24:25], v[28:29], v[22:23]
	v_add_f64 v[26:27], v[28:29], -v[24:25]
	v_add_f64 v[22:23], v[22:23], v[26:27]
	v_mul_f64 v[26:27], v[20:21], v[24:25]
	v_mul_f64 v[28:29], v[18:19], v[26:27]
	v_fma_f64 v[30:31], v[26:27], v[18:19], -v[28:29]
	v_fmac_f64_e32 v[30:31], v[26:27], v[16:17]
	v_add_f64 v[32:33], v[28:29], v[30:31]
	v_add_f64 v[34:35], v[24:25], -v[32:33]
	v_add_f64 v[24:25], v[24:25], -v[34:35]
	;; [unrolled: 1-line block ×4, first 2 shown]
	v_add_f64 v[22:23], v[22:23], v[24:25]
	v_add_f64 v[24:25], v[28:29], -v[30:31]
	v_add_f64 v[22:23], v[24:25], v[22:23]
	v_add_f64 v[22:23], v[34:35], v[22:23]
	;; [unrolled: 1-line block ×3, first 2 shown]
	v_mul_f64 v[22:23], v[20:21], v[22:23]
	v_add_f64 v[20:21], v[24:25], -v[20:21]
	v_add_f64 v[20:21], v[26:27], -v[20:21]
	v_add_f64 v[20:21], v[20:21], v[22:23]
	v_add_f64 v[22:23], v[24:25], v[20:21]
	v_add_f64 v[24:25], v[22:23], -v[24:25]
	v_ldexp_f64 v[22:23], v[22:23], -2
	v_add_f64 v[20:21], v[20:21], -v[24:25]
	v_add_f64 v[24:25], v[18:19], v[22:23]
	v_ldexp_f64 v[20:21], v[20:21], -2
	v_add_f64 v[18:19], v[24:25], -v[18:19]
	v_add_f64 v[18:19], v[22:23], -v[18:19]
	v_add_f64 v[16:17], v[16:17], v[20:21]
	v_add_f64 v[16:17], v[16:17], v[18:19]
	;; [unrolled: 1-line block ×3, first 2 shown]
	v_cndmask_b32_e32 v3, v1, v17, vcc
	v_cndmask_b32_e32 v2, 0, v16, vcc
	v_add_f64 v[16:17], |v[4:5]|, s[16:17]
	v_add_f64 v[18:19], v[16:17], -|v[4:5]|
	v_add_f64 v[20:21], v[18:19], -v[16:17]
	v_add_f64 v[20:21], |v[4:5]|, v[20:21]
	v_add_f64 v[18:19], v[18:19], s[18:19]
	v_add_f64 v[18:19], v[20:21], -v[18:19]
	v_add_f64 v[18:19], v[18:19], s[20:21]
	v_add_f64 v[20:21], v[16:17], v[18:19]
	v_add_f64 v[16:17], v[16:17], -v[20:21]
	v_add_f64 v[16:17], v[18:19], v[16:17]
	v_mul_f64 v[18:19], v[20:21], s[22:23]
	v_rndne_f64_e32 v[22:23], v[18:19]
	v_fmac_f64_e32 v[20:21], s[24:25], v[22:23]
	v_add_f64 v[18:19], v[16:17], v[20:21]
	v_add_f64 v[20:21], v[20:21], -v[18:19]
	v_add_f64 v[16:17], v[16:17], v[20:21]
	v_mul_f64 v[20:21], v[22:23], s[26:27]
	v_add_f64 v[24:25], v[18:19], -v[20:21]
	v_add_f64 v[18:19], v[18:19], -v[24:25]
	;; [unrolled: 1-line block ×3, first 2 shown]
	v_add_f64 v[16:17], v[16:17], v[18:19]
	v_add_f64 v[18:19], v[24:25], v[16:17]
	v_add_f64 v[20:21], v[24:25], -v[18:19]
	v_add_f64 v[16:17], v[16:17], v[20:21]
	v_mul_f64 v[20:21], v[22:23], s[28:29]
	v_add_f64 v[24:25], v[18:19], -v[20:21]
	v_add_f64 v[18:19], v[18:19], -v[24:25]
	;; [unrolled: 1-line block ×3, first 2 shown]
	v_add_f64 v[16:17], v[16:17], v[18:19]
	v_add_f64 v[18:19], v[24:25], v[16:17]
	v_add_f64 v[20:21], v[24:25], -v[18:19]
	v_add_f64 v[16:17], v[16:17], v[20:21]
	v_fma_f64 v[20:21], s[30:31], v[18:19], v[14:15]
	v_fma_f64 v[20:21], v[18:19], v[20:21], s[34:35]
	;; [unrolled: 1-line block ×5, first 2 shown]
	v_mul_f64 v[24:25], v[18:19], v[18:19]
	v_fma_f64 v[20:21], v[18:19], v[20:21], s[42:43]
	v_fma_f64 v[26:27], v[18:19], v[18:19], -v[24:25]
	v_add_f64 v[28:29], v[16:17], v[16:17]
	v_fma_f64 v[20:21], v[18:19], v[20:21], s[44:45]
	v_fmac_f64_e32 v[26:27], v[18:19], v[28:29]
	v_fma_f64 v[20:21], v[18:19], v[20:21], s[46:47]
	v_add_f64 v[28:29], v[24:25], v[26:27]
	v_fma_f64 v[20:21], v[18:19], v[20:21], s[48:49]
	v_add_f64 v[24:25], v[28:29], -v[24:25]
	v_add_f64 v[24:25], v[26:27], -v[24:25]
	v_mul_f64 v[26:27], v[28:29], v[20:21]
	v_fma_f64 v[28:29], v[28:29], v[20:21], -v[26:27]
	v_fmac_f64_e32 v[28:29], v[24:25], v[20:21]
	v_add_f64 v[20:21], v[26:27], v[28:29]
	v_add_f64 v[24:25], v[20:21], -v[26:27]
	v_add_f64 v[26:27], v[18:19], v[20:21]
	v_add_f64 v[24:25], v[28:29], -v[24:25]
	v_add_f64 v[18:19], v[26:27], -v[18:19]
	;; [unrolled: 1-line block ×3, first 2 shown]
	v_add_f64 v[16:17], v[16:17], v[24:25]
	v_add_f64 v[16:17], v[16:17], v[18:19]
	;; [unrolled: 1-line block ×3, first 2 shown]
	v_add_f64 v[20:21], v[18:19], -v[26:27]
	v_add_f64 v[16:17], v[16:17], -v[20:21]
	v_add_f64 v[20:21], v[18:19], 1.0
	v_add_f64 v[24:25], v[20:21], -1.0
	v_add_f64 v[18:19], v[18:19], -v[24:25]
	v_add_f64 v[18:19], v[16:17], v[18:19]
	v_add_f64 v[16:17], v[20:21], v[18:19]
	v_add_f64 v[20:21], v[16:17], -v[20:21]
	v_add_f64 v[18:19], v[18:19], -v[20:21]
	v_cvt_i32_f64_e32 v20, v[22:23]
	v_ldexp_f64 v[16:17], v[16:17], v20
	v_ldexp_f64 v[18:19], v[18:19], v20
	v_rcp_f64_e32 v[20:21], v[16:17]
	v_cmp_nge_f64_e64 vcc, |v[4:5]|, s[50:51]
	v_fma_f64 v[22:23], -v[16:17], v[20:21], 1.0
	v_fmac_f64_e32 v[20:21], v[22:23], v[20:21]
	v_fma_f64 v[22:23], -v[16:17], v[20:21], 1.0
	v_fmac_f64_e32 v[20:21], v[22:23], v[20:21]
	v_mul_f64 v[22:23], v[16:17], v[20:21]
	v_fma_f64 v[24:25], v[20:21], v[16:17], -v[22:23]
	v_fmac_f64_e32 v[24:25], v[20:21], v[18:19]
	v_add_f64 v[26:27], v[22:23], v[24:25]
	v_add_f64 v[28:29], -v[26:27], 1.0
	v_add_f64 v[22:23], v[26:27], -v[22:23]
	v_add_f64 v[30:31], -v[28:29], 1.0
	v_add_f64 v[26:27], v[30:31], -v[26:27]
	v_add_f64 v[22:23], v[22:23], -v[24:25]
	v_add_f64 v[22:23], v[22:23], v[26:27]
	v_add_f64 v[24:25], v[28:29], v[22:23]
	v_add_f64 v[26:27], v[28:29], -v[24:25]
	v_add_f64 v[22:23], v[22:23], v[26:27]
	v_mul_f64 v[26:27], v[20:21], v[24:25]
	v_mul_f64 v[28:29], v[16:17], v[26:27]
	v_fma_f64 v[30:31], v[26:27], v[16:17], -v[28:29]
	v_fmac_f64_e32 v[30:31], v[26:27], v[18:19]
	v_add_f64 v[32:33], v[28:29], v[30:31]
	v_add_f64 v[34:35], v[24:25], -v[32:33]
	v_add_f64 v[24:25], v[24:25], -v[34:35]
	;; [unrolled: 1-line block ×4, first 2 shown]
	v_add_f64 v[22:23], v[22:23], v[24:25]
	v_add_f64 v[24:25], v[28:29], -v[30:31]
	v_add_f64 v[22:23], v[24:25], v[22:23]
	v_add_f64 v[22:23], v[34:35], v[22:23]
	;; [unrolled: 1-line block ×3, first 2 shown]
	v_mul_f64 v[22:23], v[20:21], v[22:23]
	v_add_f64 v[20:21], v[24:25], -v[20:21]
	v_add_f64 v[20:21], v[26:27], -v[20:21]
	v_add_f64 v[20:21], v[20:21], v[22:23]
	v_add_f64 v[22:23], v[24:25], v[20:21]
	v_add_f64 v[24:25], v[22:23], -v[24:25]
	v_ldexp_f64 v[22:23], v[22:23], -2
	v_add_f64 v[20:21], v[20:21], -v[24:25]
	v_add_f64 v[24:25], v[16:17], v[22:23]
	v_ldexp_f64 v[20:21], v[20:21], -2
	v_add_f64 v[16:17], v[24:25], -v[16:17]
	v_add_f64 v[16:17], v[22:23], -v[16:17]
	v_add_f64 v[18:19], v[18:19], v[20:21]
	v_add_f64 v[16:17], v[18:19], v[16:17]
	;; [unrolled: 1-line block ×3, first 2 shown]
	v_cndmask_b32_e32 v5, v1, v17, vcc
	v_cndmask_b32_e32 v4, 0, v16, vcc
	v_add_co_u32_e32 v16, vcc, s55, v12
	v_mov_b32_e32 v17, s56
	v_addc_co_u32_e32 v17, vcc, 0, v17, vcc
	v_cmp_le_i64_e32 vcc, s[10:11], v[10:11]
	s_or_b64 s[0:1], vcc, s[0:1]
	s_add_u32 s33, s33, s58
	s_addc_u32 s54, s54, 0
	s_add_u32 s55, s55, s58
	s_addc_u32 s56, s56, 0
	v_add_co_u32_e32 v10, vcc, s57, v10
	s_and_b64 s[0:1], exec, s[0:1]
	v_addc_co_u32_e32 v11, vcc, v11, v13, vcc
	s_or_b64 s[14:15], s[0:1], s[14:15]
	global_store_dwordx4 v[16:17], v[6:9], off
	global_store_dwordx4 v[16:17], v[2:5], off offset:16
	s_andn2_b64 exec, exec, s[14:15]
	s_cbranch_execnz .LBB78_3
.LBB78_4:
	s_or_b64 exec, exec, s[12:13]
	s_mov_b64 s[12:13], 0
.LBB78_5:
	s_andn2_b64 vcc, exec, s[12:13]
	s_cbranch_vccnz .LBB78_25
; %bb.6:
	v_cmp_lt_i64_e64 s[0:1], s[10:11], 1
	s_and_b64 vcc, exec, s[0:1]
	s_cbranch_vccnz .LBB78_25
; %bb.7:
	s_load_dword s0, s[4:5], 0xc5c
	v_mov_b32_e32 v2, 0x10000
	v_mov_b32_e32 v3, 0
	v_cmp_lt_u64_e32 vcc, s[10:11], v[2:3]
	v_lshlrev_b32_e32 v10, 3, v0
	s_waitcnt lgkmcnt(0)
	s_and_b32 s4, s0, 0xffff
	s_and_b64 s[0:1], vcc, exec
	v_mov_b32_e32 v13, s7
	v_add_co_u32_e32 v2, vcc, s6, v10
	v_addc_co_u32_e32 v1, vcc, 0, v13, vcc
	v_mov_b32_e32 v11, 0
	v_mov_b32_e32 v15, s3
	v_add_co_u32_e32 v4, vcc, s2, v10
	v_addc_co_u32_e32 v3, vcc, 0, v15, vcc
	v_mad_u64_u32 v[8:9], s[0:1], s4, 24, v[10:11]
	v_add_co_u32_e32 v6, vcc, s6, v8
	v_addc_co_u32_e32 v5, vcc, v13, v9, vcc
	v_add_co_u32_e32 v8, vcc, s2, v8
	s_mul_i32 s14, s4, 3
	v_addc_co_u32_e32 v7, vcc, v15, v9, vcc
	v_add_co_u32_e32 v17, vcc, s14, v0
	v_addc_co_u32_e64 v44, s[0:1], 0, 0, vcc
	s_cselect_b32 s13, s11, 0
	s_cselect_b32 s12, s10, 0x10000
	s_lshl_b32 s0, s4, 4
	v_add_co_u32_e32 v11, vcc, s0, v10
	v_addc_co_u32_e64 v14, s[0:1], 0, 0, vcc
	v_add_co_u32_e32 v10, vcc, s6, v11
	v_addc_co_u32_e32 v9, vcc, v13, v14, vcc
	v_add_co_u32_e32 v12, vcc, s2, v11
	s_lshl_b32 s5, s4, 1
	v_addc_co_u32_e32 v11, vcc, v15, v14, vcc
	v_add_co_u32_e32 v45, vcc, s5, v0
	v_addc_co_u32_e64 v46, s[0:1], 0, 0, vcc
	v_add_co_u32_e32 v47, vcc, s4, v0
	v_lshlrev_b32_e32 v16, 3, v47
	v_addc_co_u32_e64 v48, s[0:1], 0, 0, vcc
	v_add_co_u32_e32 v14, vcc, s6, v16
	v_addc_co_u32_e32 v13, vcc, 0, v13, vcc
	v_add_co_u32_e32 v16, vcc, s2, v16
	s_mov_b32 s16, 0xfefa39ef
	s_mov_b32 s20, 0x3b39803f
	;; [unrolled: 1-line block ×8, first 2 shown]
	s_lshl_b32 s38, s4, 2
	s_lshl_b32 s39, s4, 5
	v_addc_co_u32_e32 v15, vcc, 0, v15, vcc
	s_mov_b64 s[14:15], 0
	s_mov_b32 s17, 0xbfe62e42
	s_mov_b32 s19, 0x3fe62e42
	;; [unrolled: 1-line block ×9, first 2 shown]
	v_mov_b32_e32 v18, 0xfca7ab0c
	v_mov_b32_e32 v19, 0x3e928af3
	;; [unrolled: 1-line block ×19, first 2 shown]
	s_branch .LBB78_9
.LBB78_8:                               ;   in Loop: Header=BB78_9 Depth=1
	s_or_b64 exec, exec, s[0:1]
	s_add_u32 s14, s14, s38
	s_addc_u32 s15, s15, 0
	s_waitcnt vmcnt(0)
	v_pk_mov_b32 v[36:37], s[10:11], s[10:11] op_sel:[0,1]
	v_cmp_ge_i64_e32 vcc, s[14:15], v[36:37]
	v_mov_b32_e32 v36, 0xffff
	v_mov_b32_e32 v37, 0
	v_cmp_gt_u64_e64 s[0:1], s[14:15], v[36:37]
	s_or_b64 s[0:1], vcc, s[0:1]
	v_mov_b32_e32 v36, s33
	v_add_co_u32_e32 v2, vcc, s39, v2
	v_addc_co_u32_e32 v1, vcc, v1, v36, vcc
	v_add_co_u32_e32 v4, vcc, s39, v4
	v_addc_co_u32_e32 v3, vcc, v3, v36, vcc
	;; [unrolled: 2-line block ×8, first 2 shown]
	s_and_b64 vcc, exec, s[0:1]
	s_cbranch_vccnz .LBB78_25
.LBB78_9:                               ; =>This Inner Loop Header: Depth=1
	v_mov_b32_e32 v37, s15
	v_add_co_u32_e32 v36, vcc, s14, v0
	v_addc_co_u32_e32 v37, vcc, 0, v37, vcc
	v_pk_mov_b32 v[40:41], 0, 0
	v_cmp_gt_u64_e64 s[4:5], s[12:13], v[36:37]
	v_pk_mov_b32 v[42:43], v[40:41], v[40:41] op_sel:[0,1]
	s_and_saveexec_b64 s[0:1], s[4:5]
	s_cbranch_execz .LBB78_11
; %bb.10:                               ;   in Loop: Header=BB78_9 Depth=1
	v_mov_b32_e32 v37, s9
	v_add_co_u32_e32 v36, vcc, s8, v2
	v_addc_co_u32_e32 v37, vcc, v1, v37, vcc
	global_load_dwordx2 v[42:43], v[36:37], off
.LBB78_11:                              ;   in Loop: Header=BB78_9 Depth=1
	s_or_b64 exec, exec, s[0:1]
	v_mov_b32_e32 v37, s15
	v_add_co_u32_e32 v36, vcc, s14, v47
	v_addc_co_u32_e32 v37, vcc, v48, v37, vcc
	v_cmp_gt_u64_e64 s[2:3], s[12:13], v[36:37]
	s_and_saveexec_b64 s[0:1], s[2:3]
	s_cbranch_execz .LBB78_13
; %bb.12:                               ;   in Loop: Header=BB78_9 Depth=1
	v_mov_b32_e32 v37, s9
	v_add_co_u32_e32 v36, vcc, s8, v14
	v_addc_co_u32_e32 v37, vcc, v13, v37, vcc
	global_load_dwordx2 v[40:41], v[36:37], off
.LBB78_13:                              ;   in Loop: Header=BB78_9 Depth=1
	s_or_b64 exec, exec, s[0:1]
	v_mov_b32_e32 v37, s15
	v_add_co_u32_e32 v36, vcc, s14, v45
	v_addc_co_u32_e32 v37, vcc, v46, v37, vcc
	v_cmp_gt_u64_e64 s[0:1], s[12:13], v[36:37]
	v_pk_mov_b32 v[36:37], 0, 0
	v_pk_mov_b32 v[38:39], v[36:37], v[36:37] op_sel:[0,1]
	s_and_saveexec_b64 s[6:7], s[0:1]
	s_cbranch_execz .LBB78_15
; %bb.14:                               ;   in Loop: Header=BB78_9 Depth=1
	v_mov_b32_e32 v39, s9
	v_add_co_u32_e32 v38, vcc, s8, v10
	v_addc_co_u32_e32 v39, vcc, v9, v39, vcc
	global_load_dwordx2 v[38:39], v[38:39], off
.LBB78_15:                              ;   in Loop: Header=BB78_9 Depth=1
	s_or_b64 exec, exec, s[6:7]
	v_mov_b32_e32 v51, s15
	v_add_co_u32_e32 v50, vcc, s14, v17
	v_addc_co_u32_e32 v51, vcc, v44, v51, vcc
	v_cmp_gt_u64_e32 vcc, s[12:13], v[50:51]
	s_and_saveexec_b64 s[36:37], vcc
	s_cbranch_execnz .LBB78_20
; %bb.16:                               ;   in Loop: Header=BB78_9 Depth=1
	s_or_b64 exec, exec, s[36:37]
	s_and_saveexec_b64 s[6:7], s[4:5]
	s_cbranch_execnz .LBB78_21
.LBB78_17:                              ;   in Loop: Header=BB78_9 Depth=1
	s_or_b64 exec, exec, s[6:7]
	s_and_saveexec_b64 s[4:5], s[2:3]
	s_cbranch_execnz .LBB78_22
.LBB78_18:                              ;   in Loop: Header=BB78_9 Depth=1
	s_or_b64 exec, exec, s[4:5]
	s_and_saveexec_b64 s[2:3], s[0:1]
	s_cbranch_execnz .LBB78_23
.LBB78_19:                              ;   in Loop: Header=BB78_9 Depth=1
	s_or_b64 exec, exec, s[2:3]
	s_and_saveexec_b64 s[0:1], vcc
	s_cbranch_execz .LBB78_8
	s_branch .LBB78_24
.LBB78_20:                              ;   in Loop: Header=BB78_9 Depth=1
	v_mov_b32_e32 v37, s9
	v_add_co_u32_e64 v36, s[6:7], s8, v6
	v_addc_co_u32_e64 v37, s[6:7], v5, v37, s[6:7]
	global_load_dwordx2 v[36:37], v[36:37], off
	s_or_b64 exec, exec, s[36:37]
	s_and_saveexec_b64 s[6:7], s[4:5]
	s_cbranch_execz .LBB78_17
.LBB78_21:                              ;   in Loop: Header=BB78_9 Depth=1
	s_waitcnt vmcnt(0)
	v_add_f64 v[50:51], |v[42:43]|, s[16:17]
	v_add_f64 v[52:53], v[50:51], -|v[42:43]|
	v_add_f64 v[54:55], v[52:53], -v[50:51]
	s_mov_b32 s18, s16
	v_add_f64 v[54:55], |v[42:43]|, v[54:55]
	v_add_f64 v[52:53], v[52:53], s[18:19]
	v_add_f64 v[52:53], v[54:55], -v[52:53]
	v_add_f64 v[52:53], v[52:53], s[20:21]
	v_add_f64 v[54:55], v[50:51], v[52:53]
	v_add_f64 v[50:51], v[50:51], -v[54:55]
	v_add_f64 v[50:51], v[52:53], v[50:51]
	v_mul_f64 v[52:53], v[54:55], s[22:23]
	v_rndne_f64_e32 v[52:53], v[52:53]
	s_mov_b32 s25, s17
	v_fmac_f64_e32 v[54:55], s[24:25], v[52:53]
	v_add_f64 v[56:57], v[50:51], v[54:55]
	v_mul_f64 v[58:59], v[52:53], s[26:27]
	v_add_f64 v[60:61], v[56:57], v[58:59]
	v_add_f64 v[54:55], v[54:55], -v[56:57]
	v_add_f64 v[50:51], v[50:51], v[54:55]
	v_add_f64 v[54:55], v[56:57], -v[60:61]
	v_add_f64 v[54:55], v[54:55], v[58:59]
	v_add_f64 v[50:51], v[50:51], v[54:55]
	;; [unrolled: 1-line block ×3, first 2 shown]
	v_mul_f64 v[56:57], v[52:53], s[28:29]
	v_add_f64 v[58:59], v[54:55], v[56:57]
	v_add_f64 v[60:61], v[60:61], -v[54:55]
	v_add_f64 v[54:55], v[54:55], -v[58:59]
	v_add_f64 v[50:51], v[50:51], v[60:61]
	v_add_f64 v[54:55], v[54:55], v[56:57]
	;; [unrolled: 1-line block ×4, first 2 shown]
	v_pk_mov_b32 v[62:63], v[18:19], v[18:19] op_sel:[0,1]
	v_fmac_f64_e32 v[62:63], s[30:31], v[54:55]
	v_pk_mov_b32 v[64:65], v[20:21], v[20:21] op_sel:[0,1]
	v_fmac_f64_e32 v[64:65], v[54:55], v[62:63]
	;; [unrolled: 2-line block ×4, first 2 shown]
	v_pk_mov_b32 v[62:63], v[26:27], v[26:27] op_sel:[0,1]
	v_add_f64 v[58:59], v[58:59], -v[54:55]
	v_fmac_f64_e32 v[62:63], v[54:55], v[64:65]
	v_pk_mov_b32 v[64:65], v[28:29], v[28:29] op_sel:[0,1]
	v_mul_f64 v[56:57], v[54:55], v[54:55]
	v_add_f64 v[50:51], v[50:51], v[58:59]
	v_fmac_f64_e32 v[64:65], v[54:55], v[62:63]
	v_pk_mov_b32 v[62:63], v[30:31], v[30:31] op_sel:[0,1]
	v_add_f64 v[58:59], v[50:51], v[50:51]
	v_fma_f64 v[60:61], v[54:55], v[54:55], -v[56:57]
	v_fmac_f64_e32 v[62:63], v[54:55], v[64:65]
	v_pk_mov_b32 v[64:65], v[32:33], v[32:33] op_sel:[0,1]
	v_fmac_f64_e32 v[60:61], v[54:55], v[58:59]
	v_fmac_f64_e32 v[64:65], v[54:55], v[62:63]
	v_pk_mov_b32 v[62:63], v[34:35], v[34:35] op_sel:[0,1]
	v_add_f64 v[58:59], v[56:57], v[60:61]
	v_fmac_f64_e32 v[62:63], v[54:55], v[64:65]
	v_mul_f64 v[64:65], v[58:59], v[62:63]
	v_add_f64 v[56:57], v[58:59], -v[56:57]
	v_add_f64 v[56:57], v[60:61], -v[56:57]
	v_fma_f64 v[58:59], v[58:59], v[62:63], -v[64:65]
	v_fmac_f64_e32 v[58:59], v[56:57], v[62:63]
	v_add_f64 v[56:57], v[64:65], v[58:59]
	v_add_f64 v[60:61], v[54:55], v[56:57]
	v_add_f64 v[62:63], v[56:57], -v[64:65]
	v_add_f64 v[58:59], v[58:59], -v[62:63]
	;; [unrolled: 1-line block ×3, first 2 shown]
	v_add_f64 v[50:51], v[50:51], v[58:59]
	v_add_f64 v[54:55], v[56:57], -v[54:55]
	v_add_f64 v[50:51], v[50:51], v[54:55]
	v_add_f64 v[54:55], v[60:61], v[50:51]
	v_add_f64 v[56:57], v[54:55], 1.0
	v_add_f64 v[58:59], v[54:55], -v[60:61]
	v_add_f64 v[50:51], v[50:51], -v[58:59]
	v_add_f64 v[58:59], v[56:57], -1.0
	v_add_f64 v[54:55], v[54:55], -v[58:59]
	v_add_f64 v[50:51], v[50:51], v[54:55]
	v_add_f64 v[54:55], v[56:57], v[50:51]
	v_cvt_i32_f64_e32 v62, v[52:53]
	v_ldexp_f64 v[52:53], v[54:55], v62
	v_rcp_f64_e32 v[58:59], v[52:53]
	v_add_f64 v[54:55], v[54:55], -v[56:57]
	v_add_f64 v[50:51], v[50:51], -v[54:55]
	v_ldexp_f64 v[50:51], v[50:51], v62
	v_fma_f64 v[60:61], -v[52:53], v[58:59], 1.0
	v_fmac_f64_e32 v[58:59], v[60:61], v[58:59]
	v_fma_f64 v[60:61], -v[52:53], v[58:59], 1.0
	v_fmac_f64_e32 v[58:59], v[60:61], v[58:59]
	v_mul_f64 v[60:61], v[52:53], v[58:59]
	v_fma_f64 v[54:55], v[58:59], v[52:53], -v[60:61]
	v_fmac_f64_e32 v[54:55], v[58:59], v[50:51]
	v_add_f64 v[56:57], v[60:61], v[54:55]
	v_add_f64 v[62:63], -v[56:57], 1.0
	v_add_f64 v[60:61], v[56:57], -v[60:61]
	v_add_f64 v[54:55], v[60:61], -v[54:55]
	v_add_f64 v[60:61], -v[62:63], 1.0
	v_add_f64 v[56:57], v[60:61], -v[56:57]
	v_add_f64 v[54:55], v[54:55], v[56:57]
	v_add_f64 v[56:57], v[62:63], v[54:55]
	v_mul_f64 v[60:61], v[58:59], v[56:57]
	v_mul_f64 v[68:69], v[52:53], v[60:61]
	v_add_f64 v[64:65], v[58:59], v[60:61]
	v_fma_f64 v[70:71], v[60:61], v[52:53], -v[68:69]
	v_add_f64 v[66:67], v[64:65], -v[58:59]
	v_fmac_f64_e32 v[70:71], v[60:61], v[50:51]
	v_add_f64 v[66:67], v[60:61], -v[66:67]
	v_add_f64 v[60:61], v[68:69], v[70:71]
	v_add_f64 v[72:73], v[56:57], -v[60:61]
	v_add_f64 v[62:63], v[62:63], -v[56:57]
	;; [unrolled: 1-line block ×4, first 2 shown]
	v_add_f64 v[54:55], v[54:55], v[62:63]
	v_add_f64 v[56:57], v[56:57], -v[60:61]
	v_add_f64 v[68:69], v[68:69], -v[70:71]
	v_add_f64 v[54:55], v[54:55], v[56:57]
	v_add_f64 v[54:55], v[68:69], v[54:55]
	;; [unrolled: 1-line block ×3, first 2 shown]
	v_mul_f64 v[54:55], v[58:59], v[54:55]
	v_add_f64 v[54:55], v[66:67], v[54:55]
	v_add_f64 v[56:57], v[64:65], v[54:55]
	v_ldexp_f64 v[58:59], v[56:57], -2
	v_add_f64 v[56:57], v[56:57], -v[64:65]
	v_add_f64 v[60:61], v[52:53], v[58:59]
	v_add_f64 v[54:55], v[54:55], -v[56:57]
	v_ldexp_f64 v[54:55], v[54:55], -2
	v_add_f64 v[52:53], v[60:61], -v[52:53]
	v_add_f64 v[50:51], v[50:51], v[54:55]
	v_add_f64 v[52:53], v[58:59], -v[52:53]
	v_add_f64 v[50:51], v[50:51], v[52:53]
	v_add_f64 v[50:51], v[60:61], v[50:51]
	v_cmp_nge_f64_e64 s[4:5], |v[42:43]|, s[34:35]
	v_cndmask_b32_e64 v43, v49, v51, s[4:5]
	v_cndmask_b32_e64 v42, 0, v50, s[4:5]
	v_mov_b32_e32 v51, s9
	v_add_co_u32_e64 v50, s[4:5], s8, v4
	v_addc_co_u32_e64 v51, s[4:5], v3, v51, s[4:5]
	global_store_dwordx2 v[50:51], v[42:43], off
	s_or_b64 exec, exec, s[6:7]
	s_and_saveexec_b64 s[4:5], s[2:3]
	s_cbranch_execz .LBB78_18
.LBB78_22:                              ;   in Loop: Header=BB78_9 Depth=1
	s_waitcnt vmcnt(0)
	v_add_f64 v[42:43], |v[40:41]|, s[16:17]
	v_add_f64 v[50:51], v[42:43], -|v[40:41]|
	v_add_f64 v[52:53], v[50:51], -v[42:43]
	s_mov_b32 s18, s16
	v_add_f64 v[52:53], |v[40:41]|, v[52:53]
	v_add_f64 v[50:51], v[50:51], s[18:19]
	v_add_f64 v[50:51], v[52:53], -v[50:51]
	v_add_f64 v[50:51], v[50:51], s[20:21]
	v_add_f64 v[52:53], v[42:43], v[50:51]
	v_add_f64 v[42:43], v[42:43], -v[52:53]
	v_add_f64 v[42:43], v[50:51], v[42:43]
	v_mul_f64 v[50:51], v[52:53], s[22:23]
	v_rndne_f64_e32 v[50:51], v[50:51]
	s_mov_b32 s25, s17
	v_fmac_f64_e32 v[52:53], s[24:25], v[50:51]
	v_add_f64 v[54:55], v[42:43], v[52:53]
	v_add_f64 v[52:53], v[52:53], -v[54:55]
	v_add_f64 v[42:43], v[42:43], v[52:53]
	v_mul_f64 v[52:53], v[50:51], s[26:27]
	v_add_f64 v[56:57], v[54:55], v[52:53]
	v_add_f64 v[54:55], v[54:55], -v[56:57]
	v_add_f64 v[52:53], v[54:55], v[52:53]
	v_add_f64 v[42:43], v[42:43], v[52:53]
	;; [unrolled: 1-line block ×3, first 2 shown]
	v_add_f64 v[54:55], v[56:57], -v[52:53]
	v_add_f64 v[42:43], v[42:43], v[54:55]
	v_mul_f64 v[54:55], v[50:51], s[28:29]
	v_add_f64 v[56:57], v[52:53], v[54:55]
	v_add_f64 v[52:53], v[52:53], -v[56:57]
	v_add_f64 v[52:53], v[52:53], v[54:55]
	v_add_f64 v[42:43], v[42:43], v[52:53]
	;; [unrolled: 1-line block ×3, first 2 shown]
	v_add_f64 v[54:55], v[56:57], -v[52:53]
	v_add_f64 v[42:43], v[42:43], v[54:55]
	v_pk_mov_b32 v[54:55], v[18:19], v[18:19] op_sel:[0,1]
	v_fmac_f64_e32 v[54:55], s[30:31], v[52:53]
	v_pk_mov_b32 v[56:57], v[20:21], v[20:21] op_sel:[0,1]
	v_fmac_f64_e32 v[56:57], v[52:53], v[54:55]
	v_pk_mov_b32 v[54:55], v[22:23], v[22:23] op_sel:[0,1]
	v_fmac_f64_e32 v[54:55], v[52:53], v[56:57]
	v_pk_mov_b32 v[56:57], v[24:25], v[24:25] op_sel:[0,1]
	v_fmac_f64_e32 v[56:57], v[52:53], v[54:55]
	v_pk_mov_b32 v[54:55], v[26:27], v[26:27] op_sel:[0,1]
	v_fmac_f64_e32 v[54:55], v[52:53], v[56:57]
	v_pk_mov_b32 v[56:57], v[28:29], v[28:29] op_sel:[0,1]
	v_fmac_f64_e32 v[56:57], v[52:53], v[54:55]
	v_pk_mov_b32 v[54:55], v[30:31], v[30:31] op_sel:[0,1]
	v_fmac_f64_e32 v[54:55], v[52:53], v[56:57]
	v_pk_mov_b32 v[56:57], v[32:33], v[32:33] op_sel:[0,1]
	v_fmac_f64_e32 v[56:57], v[52:53], v[54:55]
	v_pk_mov_b32 v[54:55], v[34:35], v[34:35] op_sel:[0,1]
	v_fmac_f64_e32 v[54:55], v[52:53], v[56:57]
	v_mul_f64 v[56:57], v[52:53], v[52:53]
	v_fma_f64 v[58:59], v[52:53], v[52:53], -v[56:57]
	v_add_f64 v[60:61], v[42:43], v[42:43]
	v_fmac_f64_e32 v[58:59], v[52:53], v[60:61]
	v_add_f64 v[60:61], v[56:57], v[58:59]
	v_add_f64 v[56:57], v[60:61], -v[56:57]
	v_add_f64 v[56:57], v[58:59], -v[56:57]
	v_mul_f64 v[58:59], v[60:61], v[54:55]
	v_fma_f64 v[60:61], v[60:61], v[54:55], -v[58:59]
	v_fmac_f64_e32 v[60:61], v[56:57], v[54:55]
	v_add_f64 v[54:55], v[58:59], v[60:61]
	v_add_f64 v[56:57], v[54:55], -v[58:59]
	v_add_f64 v[58:59], v[52:53], v[54:55]
	v_add_f64 v[56:57], v[60:61], -v[56:57]
	v_add_f64 v[52:53], v[58:59], -v[52:53]
	;; [unrolled: 1-line block ×3, first 2 shown]
	v_add_f64 v[42:43], v[42:43], v[56:57]
	v_add_f64 v[42:43], v[42:43], v[52:53]
	;; [unrolled: 1-line block ×3, first 2 shown]
	v_add_f64 v[54:55], v[52:53], -v[58:59]
	v_add_f64 v[42:43], v[42:43], -v[54:55]
	v_add_f64 v[54:55], v[52:53], 1.0
	v_add_f64 v[56:57], v[54:55], -1.0
	v_add_f64 v[52:53], v[52:53], -v[56:57]
	v_add_f64 v[42:43], v[42:43], v[52:53]
	v_add_f64 v[52:53], v[54:55], v[42:43]
	v_cvt_i32_f64_e32 v58, v[50:51]
	v_ldexp_f64 v[50:51], v[52:53], v58
	v_rcp_f64_e32 v[56:57], v[50:51]
	v_add_f64 v[52:53], v[52:53], -v[54:55]
	v_add_f64 v[42:43], v[42:43], -v[52:53]
	v_ldexp_f64 v[42:43], v[42:43], v58
	v_fma_f64 v[52:53], -v[50:51], v[56:57], 1.0
	v_fmac_f64_e32 v[56:57], v[52:53], v[56:57]
	v_fma_f64 v[52:53], -v[50:51], v[56:57], 1.0
	v_fmac_f64_e32 v[56:57], v[52:53], v[56:57]
	v_mul_f64 v[52:53], v[50:51], v[56:57]
	v_fma_f64 v[54:55], v[56:57], v[50:51], -v[52:53]
	v_fmac_f64_e32 v[54:55], v[56:57], v[42:43]
	v_add_f64 v[58:59], v[52:53], v[54:55]
	v_add_f64 v[60:61], -v[58:59], 1.0
	v_add_f64 v[52:53], v[58:59], -v[52:53]
	v_add_f64 v[62:63], -v[60:61], 1.0
	v_add_f64 v[58:59], v[62:63], -v[58:59]
	v_add_f64 v[52:53], v[52:53], -v[54:55]
	v_add_f64 v[52:53], v[52:53], v[58:59]
	v_add_f64 v[54:55], v[60:61], v[52:53]
	v_add_f64 v[58:59], v[60:61], -v[54:55]
	v_add_f64 v[52:53], v[52:53], v[58:59]
	v_mul_f64 v[58:59], v[56:57], v[54:55]
	v_mul_f64 v[60:61], v[50:51], v[58:59]
	v_fma_f64 v[62:63], v[58:59], v[50:51], -v[60:61]
	v_fmac_f64_e32 v[62:63], v[58:59], v[42:43]
	v_add_f64 v[64:65], v[60:61], v[62:63]
	v_add_f64 v[66:67], v[54:55], -v[64:65]
	v_add_f64 v[54:55], v[54:55], -v[66:67]
	;; [unrolled: 1-line block ×4, first 2 shown]
	v_add_f64 v[52:53], v[52:53], v[54:55]
	v_add_f64 v[54:55], v[60:61], -v[62:63]
	v_add_f64 v[52:53], v[54:55], v[52:53]
	v_add_f64 v[52:53], v[66:67], v[52:53]
	;; [unrolled: 1-line block ×3, first 2 shown]
	v_mul_f64 v[52:53], v[56:57], v[52:53]
	v_add_f64 v[56:57], v[54:55], -v[56:57]
	v_add_f64 v[56:57], v[58:59], -v[56:57]
	v_add_f64 v[52:53], v[56:57], v[52:53]
	v_add_f64 v[56:57], v[54:55], v[52:53]
	v_add_f64 v[54:55], v[56:57], -v[54:55]
	v_add_f64 v[52:53], v[52:53], -v[54:55]
	v_ldexp_f64 v[54:55], v[56:57], -2
	v_add_f64 v[56:57], v[50:51], v[54:55]
	v_ldexp_f64 v[52:53], v[52:53], -2
	v_add_f64 v[50:51], v[56:57], -v[50:51]
	v_add_f64 v[50:51], v[54:55], -v[50:51]
	v_add_f64 v[42:43], v[42:43], v[52:53]
	v_add_f64 v[42:43], v[42:43], v[50:51]
	;; [unrolled: 1-line block ×3, first 2 shown]
	v_cmp_nge_f64_e64 s[2:3], |v[40:41]|, s[34:35]
	v_cndmask_b32_e64 v41, v49, v43, s[2:3]
	v_cndmask_b32_e64 v40, 0, v42, s[2:3]
	v_mov_b32_e32 v43, s9
	v_add_co_u32_e64 v42, s[2:3], s8, v16
	v_addc_co_u32_e64 v43, s[2:3], v15, v43, s[2:3]
	global_store_dwordx2 v[42:43], v[40:41], off
	s_or_b64 exec, exec, s[4:5]
	s_and_saveexec_b64 s[2:3], s[0:1]
	s_cbranch_execz .LBB78_19
.LBB78_23:                              ;   in Loop: Header=BB78_9 Depth=1
	s_waitcnt vmcnt(0)
	v_add_f64 v[40:41], |v[38:39]|, s[16:17]
	v_add_f64 v[42:43], v[40:41], -|v[38:39]|
	v_add_f64 v[50:51], v[42:43], -v[40:41]
	s_mov_b32 s18, s16
	v_add_f64 v[50:51], |v[38:39]|, v[50:51]
	v_add_f64 v[42:43], v[42:43], s[18:19]
	v_add_f64 v[42:43], v[50:51], -v[42:43]
	v_add_f64 v[42:43], v[42:43], s[20:21]
	v_add_f64 v[50:51], v[40:41], v[42:43]
	v_add_f64 v[40:41], v[40:41], -v[50:51]
	v_add_f64 v[40:41], v[42:43], v[40:41]
	v_mul_f64 v[42:43], v[50:51], s[22:23]
	v_rndne_f64_e32 v[42:43], v[42:43]
	s_mov_b32 s25, s17
	v_fmac_f64_e32 v[50:51], s[24:25], v[42:43]
	v_add_f64 v[52:53], v[40:41], v[50:51]
	v_add_f64 v[50:51], v[50:51], -v[52:53]
	v_add_f64 v[40:41], v[40:41], v[50:51]
	v_mul_f64 v[50:51], v[42:43], s[26:27]
	v_add_f64 v[54:55], v[52:53], v[50:51]
	v_add_f64 v[52:53], v[52:53], -v[54:55]
	v_add_f64 v[50:51], v[52:53], v[50:51]
	v_add_f64 v[40:41], v[40:41], v[50:51]
	;; [unrolled: 1-line block ×3, first 2 shown]
	v_add_f64 v[52:53], v[54:55], -v[50:51]
	v_add_f64 v[40:41], v[40:41], v[52:53]
	v_mul_f64 v[52:53], v[42:43], s[28:29]
	v_add_f64 v[54:55], v[50:51], v[52:53]
	v_add_f64 v[50:51], v[50:51], -v[54:55]
	v_add_f64 v[50:51], v[50:51], v[52:53]
	v_add_f64 v[40:41], v[40:41], v[50:51]
	;; [unrolled: 1-line block ×3, first 2 shown]
	v_add_f64 v[52:53], v[54:55], -v[50:51]
	v_add_f64 v[40:41], v[40:41], v[52:53]
	v_pk_mov_b32 v[52:53], v[18:19], v[18:19] op_sel:[0,1]
	v_fmac_f64_e32 v[52:53], s[30:31], v[50:51]
	v_pk_mov_b32 v[54:55], v[20:21], v[20:21] op_sel:[0,1]
	v_fmac_f64_e32 v[54:55], v[50:51], v[52:53]
	v_pk_mov_b32 v[52:53], v[22:23], v[22:23] op_sel:[0,1]
	v_fmac_f64_e32 v[52:53], v[50:51], v[54:55]
	v_pk_mov_b32 v[54:55], v[24:25], v[24:25] op_sel:[0,1]
	v_fmac_f64_e32 v[54:55], v[50:51], v[52:53]
	v_pk_mov_b32 v[52:53], v[26:27], v[26:27] op_sel:[0,1]
	v_fmac_f64_e32 v[52:53], v[50:51], v[54:55]
	v_pk_mov_b32 v[54:55], v[28:29], v[28:29] op_sel:[0,1]
	v_fmac_f64_e32 v[54:55], v[50:51], v[52:53]
	v_pk_mov_b32 v[52:53], v[30:31], v[30:31] op_sel:[0,1]
	v_fmac_f64_e32 v[52:53], v[50:51], v[54:55]
	v_pk_mov_b32 v[54:55], v[32:33], v[32:33] op_sel:[0,1]
	v_fmac_f64_e32 v[54:55], v[50:51], v[52:53]
	v_pk_mov_b32 v[52:53], v[34:35], v[34:35] op_sel:[0,1]
	v_fmac_f64_e32 v[52:53], v[50:51], v[54:55]
	v_mul_f64 v[54:55], v[50:51], v[50:51]
	v_fma_f64 v[56:57], v[50:51], v[50:51], -v[54:55]
	v_add_f64 v[58:59], v[40:41], v[40:41]
	v_fmac_f64_e32 v[56:57], v[50:51], v[58:59]
	v_add_f64 v[58:59], v[54:55], v[56:57]
	v_add_f64 v[54:55], v[58:59], -v[54:55]
	v_add_f64 v[54:55], v[56:57], -v[54:55]
	v_mul_f64 v[56:57], v[58:59], v[52:53]
	v_fma_f64 v[58:59], v[58:59], v[52:53], -v[56:57]
	v_fmac_f64_e32 v[58:59], v[54:55], v[52:53]
	v_add_f64 v[52:53], v[56:57], v[58:59]
	v_add_f64 v[54:55], v[52:53], -v[56:57]
	v_add_f64 v[56:57], v[50:51], v[52:53]
	v_add_f64 v[54:55], v[58:59], -v[54:55]
	v_add_f64 v[50:51], v[56:57], -v[50:51]
	;; [unrolled: 1-line block ×3, first 2 shown]
	v_add_f64 v[40:41], v[40:41], v[54:55]
	v_add_f64 v[40:41], v[40:41], v[50:51]
	;; [unrolled: 1-line block ×3, first 2 shown]
	v_add_f64 v[52:53], v[50:51], -v[56:57]
	v_add_f64 v[40:41], v[40:41], -v[52:53]
	v_add_f64 v[52:53], v[50:51], 1.0
	v_add_f64 v[54:55], v[52:53], -1.0
	v_add_f64 v[50:51], v[50:51], -v[54:55]
	v_add_f64 v[40:41], v[40:41], v[50:51]
	v_add_f64 v[50:51], v[52:53], v[40:41]
	v_cvt_i32_f64_e32 v56, v[42:43]
	v_ldexp_f64 v[42:43], v[50:51], v56
	v_rcp_f64_e32 v[54:55], v[42:43]
	v_add_f64 v[50:51], v[50:51], -v[52:53]
	v_add_f64 v[40:41], v[40:41], -v[50:51]
	v_ldexp_f64 v[40:41], v[40:41], v56
	v_fma_f64 v[50:51], -v[42:43], v[54:55], 1.0
	v_fmac_f64_e32 v[54:55], v[50:51], v[54:55]
	v_fma_f64 v[50:51], -v[42:43], v[54:55], 1.0
	v_fmac_f64_e32 v[54:55], v[50:51], v[54:55]
	v_mul_f64 v[50:51], v[42:43], v[54:55]
	v_fma_f64 v[52:53], v[54:55], v[42:43], -v[50:51]
	v_fmac_f64_e32 v[52:53], v[54:55], v[40:41]
	v_add_f64 v[56:57], v[50:51], v[52:53]
	v_add_f64 v[58:59], -v[56:57], 1.0
	v_add_f64 v[50:51], v[56:57], -v[50:51]
	v_add_f64 v[60:61], -v[58:59], 1.0
	v_add_f64 v[56:57], v[60:61], -v[56:57]
	v_add_f64 v[50:51], v[50:51], -v[52:53]
	v_add_f64 v[50:51], v[50:51], v[56:57]
	v_add_f64 v[52:53], v[58:59], v[50:51]
	v_add_f64 v[56:57], v[58:59], -v[52:53]
	v_add_f64 v[50:51], v[50:51], v[56:57]
	v_mul_f64 v[56:57], v[54:55], v[52:53]
	v_mul_f64 v[58:59], v[42:43], v[56:57]
	v_fma_f64 v[60:61], v[56:57], v[42:43], -v[58:59]
	v_fmac_f64_e32 v[60:61], v[56:57], v[40:41]
	v_add_f64 v[62:63], v[58:59], v[60:61]
	v_add_f64 v[64:65], v[52:53], -v[62:63]
	v_add_f64 v[52:53], v[52:53], -v[64:65]
	;; [unrolled: 1-line block ×4, first 2 shown]
	v_add_f64 v[50:51], v[50:51], v[52:53]
	v_add_f64 v[52:53], v[58:59], -v[60:61]
	v_add_f64 v[50:51], v[52:53], v[50:51]
	v_add_f64 v[50:51], v[64:65], v[50:51]
	;; [unrolled: 1-line block ×3, first 2 shown]
	v_mul_f64 v[50:51], v[54:55], v[50:51]
	v_add_f64 v[54:55], v[52:53], -v[54:55]
	v_add_f64 v[54:55], v[56:57], -v[54:55]
	v_add_f64 v[50:51], v[54:55], v[50:51]
	v_add_f64 v[54:55], v[52:53], v[50:51]
	v_add_f64 v[52:53], v[54:55], -v[52:53]
	v_add_f64 v[50:51], v[50:51], -v[52:53]
	v_ldexp_f64 v[52:53], v[54:55], -2
	v_add_f64 v[54:55], v[42:43], v[52:53]
	v_ldexp_f64 v[50:51], v[50:51], -2
	v_add_f64 v[42:43], v[54:55], -v[42:43]
	v_add_f64 v[42:43], v[52:53], -v[42:43]
	v_add_f64 v[40:41], v[40:41], v[50:51]
	v_add_f64 v[40:41], v[40:41], v[42:43]
	;; [unrolled: 1-line block ×3, first 2 shown]
	v_cmp_nge_f64_e64 s[0:1], |v[38:39]|, s[34:35]
	v_cndmask_b32_e64 v39, v49, v41, s[0:1]
	v_cndmask_b32_e64 v38, 0, v40, s[0:1]
	v_mov_b32_e32 v41, s9
	v_add_co_u32_e64 v40, s[0:1], s8, v12
	v_addc_co_u32_e64 v41, s[0:1], v11, v41, s[0:1]
	global_store_dwordx2 v[40:41], v[38:39], off
	s_or_b64 exec, exec, s[2:3]
	s_and_saveexec_b64 s[0:1], vcc
	s_cbranch_execz .LBB78_8
.LBB78_24:                              ;   in Loop: Header=BB78_9 Depth=1
	s_waitcnt vmcnt(0)
	v_add_f64 v[38:39], |v[36:37]|, s[16:17]
	v_add_f64 v[40:41], v[38:39], -|v[36:37]|
	v_add_f64 v[42:43], v[40:41], -v[38:39]
	s_mov_b32 s18, s16
	v_add_f64 v[42:43], |v[36:37]|, v[42:43]
	v_add_f64 v[40:41], v[40:41], s[18:19]
	v_add_f64 v[40:41], v[42:43], -v[40:41]
	v_add_f64 v[40:41], v[40:41], s[20:21]
	v_add_f64 v[42:43], v[38:39], v[40:41]
	v_add_f64 v[38:39], v[38:39], -v[42:43]
	v_add_f64 v[38:39], v[40:41], v[38:39]
	v_mul_f64 v[40:41], v[42:43], s[22:23]
	v_rndne_f64_e32 v[40:41], v[40:41]
	s_mov_b32 s25, s17
	v_fmac_f64_e32 v[42:43], s[24:25], v[40:41]
	v_add_f64 v[50:51], v[38:39], v[42:43]
	v_add_f64 v[42:43], v[42:43], -v[50:51]
	v_add_f64 v[38:39], v[38:39], v[42:43]
	v_mul_f64 v[42:43], v[40:41], s[26:27]
	v_add_f64 v[52:53], v[50:51], v[42:43]
	v_add_f64 v[50:51], v[50:51], -v[52:53]
	v_add_f64 v[42:43], v[50:51], v[42:43]
	v_add_f64 v[38:39], v[38:39], v[42:43]
	v_add_f64 v[42:43], v[52:53], v[38:39]
	v_add_f64 v[50:51], v[52:53], -v[42:43]
	v_add_f64 v[38:39], v[38:39], v[50:51]
	v_mul_f64 v[50:51], v[40:41], s[28:29]
	v_add_f64 v[52:53], v[42:43], v[50:51]
	v_add_f64 v[42:43], v[42:43], -v[52:53]
	v_add_f64 v[42:43], v[42:43], v[50:51]
	v_add_f64 v[38:39], v[38:39], v[42:43]
	;; [unrolled: 1-line block ×3, first 2 shown]
	v_add_f64 v[50:51], v[52:53], -v[42:43]
	v_add_f64 v[38:39], v[38:39], v[50:51]
	v_pk_mov_b32 v[50:51], v[18:19], v[18:19] op_sel:[0,1]
	v_fmac_f64_e32 v[50:51], s[30:31], v[42:43]
	v_pk_mov_b32 v[52:53], v[20:21], v[20:21] op_sel:[0,1]
	v_fmac_f64_e32 v[52:53], v[42:43], v[50:51]
	v_pk_mov_b32 v[50:51], v[22:23], v[22:23] op_sel:[0,1]
	v_fmac_f64_e32 v[50:51], v[42:43], v[52:53]
	v_pk_mov_b32 v[52:53], v[24:25], v[24:25] op_sel:[0,1]
	v_fmac_f64_e32 v[52:53], v[42:43], v[50:51]
	v_pk_mov_b32 v[50:51], v[26:27], v[26:27] op_sel:[0,1]
	v_fmac_f64_e32 v[50:51], v[42:43], v[52:53]
	v_pk_mov_b32 v[52:53], v[28:29], v[28:29] op_sel:[0,1]
	v_fmac_f64_e32 v[52:53], v[42:43], v[50:51]
	v_pk_mov_b32 v[50:51], v[30:31], v[30:31] op_sel:[0,1]
	v_fmac_f64_e32 v[50:51], v[42:43], v[52:53]
	v_pk_mov_b32 v[52:53], v[32:33], v[32:33] op_sel:[0,1]
	v_fmac_f64_e32 v[52:53], v[42:43], v[50:51]
	v_pk_mov_b32 v[50:51], v[34:35], v[34:35] op_sel:[0,1]
	v_fmac_f64_e32 v[50:51], v[42:43], v[52:53]
	v_mul_f64 v[52:53], v[42:43], v[42:43]
	v_fma_f64 v[54:55], v[42:43], v[42:43], -v[52:53]
	v_add_f64 v[56:57], v[38:39], v[38:39]
	v_fmac_f64_e32 v[54:55], v[42:43], v[56:57]
	v_add_f64 v[56:57], v[52:53], v[54:55]
	v_add_f64 v[52:53], v[56:57], -v[52:53]
	v_add_f64 v[52:53], v[54:55], -v[52:53]
	v_mul_f64 v[54:55], v[56:57], v[50:51]
	v_fma_f64 v[56:57], v[56:57], v[50:51], -v[54:55]
	v_fmac_f64_e32 v[56:57], v[52:53], v[50:51]
	v_add_f64 v[50:51], v[54:55], v[56:57]
	v_add_f64 v[52:53], v[50:51], -v[54:55]
	v_add_f64 v[54:55], v[42:43], v[50:51]
	v_add_f64 v[52:53], v[56:57], -v[52:53]
	v_add_f64 v[42:43], v[54:55], -v[42:43]
	;; [unrolled: 1-line block ×3, first 2 shown]
	v_add_f64 v[38:39], v[38:39], v[52:53]
	v_add_f64 v[38:39], v[38:39], v[42:43]
	;; [unrolled: 1-line block ×3, first 2 shown]
	v_add_f64 v[50:51], v[42:43], -v[54:55]
	v_add_f64 v[38:39], v[38:39], -v[50:51]
	v_add_f64 v[50:51], v[42:43], 1.0
	v_add_f64 v[52:53], v[50:51], -1.0
	v_add_f64 v[42:43], v[42:43], -v[52:53]
	v_add_f64 v[38:39], v[38:39], v[42:43]
	v_add_f64 v[42:43], v[50:51], v[38:39]
	v_cvt_i32_f64_e32 v54, v[40:41]
	v_ldexp_f64 v[40:41], v[42:43], v54
	v_rcp_f64_e32 v[52:53], v[40:41]
	v_add_f64 v[42:43], v[42:43], -v[50:51]
	v_add_f64 v[38:39], v[38:39], -v[42:43]
	v_ldexp_f64 v[38:39], v[38:39], v54
	v_fma_f64 v[42:43], -v[40:41], v[52:53], 1.0
	v_fmac_f64_e32 v[52:53], v[42:43], v[52:53]
	v_fma_f64 v[42:43], -v[40:41], v[52:53], 1.0
	v_fmac_f64_e32 v[52:53], v[42:43], v[52:53]
	v_mul_f64 v[42:43], v[40:41], v[52:53]
	v_fma_f64 v[50:51], v[52:53], v[40:41], -v[42:43]
	v_fmac_f64_e32 v[50:51], v[52:53], v[38:39]
	v_add_f64 v[54:55], v[42:43], v[50:51]
	v_add_f64 v[56:57], -v[54:55], 1.0
	v_add_f64 v[42:43], v[54:55], -v[42:43]
	v_add_f64 v[58:59], -v[56:57], 1.0
	v_add_f64 v[54:55], v[58:59], -v[54:55]
	v_add_f64 v[42:43], v[42:43], -v[50:51]
	v_add_f64 v[42:43], v[42:43], v[54:55]
	v_add_f64 v[50:51], v[56:57], v[42:43]
	v_add_f64 v[54:55], v[56:57], -v[50:51]
	v_add_f64 v[42:43], v[42:43], v[54:55]
	v_mul_f64 v[54:55], v[52:53], v[50:51]
	v_mul_f64 v[56:57], v[40:41], v[54:55]
	v_fma_f64 v[58:59], v[54:55], v[40:41], -v[56:57]
	v_fmac_f64_e32 v[58:59], v[54:55], v[38:39]
	v_add_f64 v[60:61], v[56:57], v[58:59]
	v_add_f64 v[62:63], v[50:51], -v[60:61]
	v_add_f64 v[50:51], v[50:51], -v[62:63]
	;; [unrolled: 1-line block ×4, first 2 shown]
	v_add_f64 v[42:43], v[42:43], v[50:51]
	v_add_f64 v[50:51], v[56:57], -v[58:59]
	v_add_f64 v[42:43], v[50:51], v[42:43]
	v_add_f64 v[42:43], v[62:63], v[42:43]
	;; [unrolled: 1-line block ×3, first 2 shown]
	v_mul_f64 v[42:43], v[52:53], v[42:43]
	v_add_f64 v[52:53], v[50:51], -v[52:53]
	v_add_f64 v[52:53], v[54:55], -v[52:53]
	v_add_f64 v[42:43], v[52:53], v[42:43]
	v_add_f64 v[52:53], v[50:51], v[42:43]
	v_add_f64 v[50:51], v[52:53], -v[50:51]
	v_add_f64 v[42:43], v[42:43], -v[50:51]
	v_ldexp_f64 v[50:51], v[52:53], -2
	v_add_f64 v[52:53], v[40:41], v[50:51]
	v_ldexp_f64 v[42:43], v[42:43], -2
	v_add_f64 v[40:41], v[52:53], -v[40:41]
	v_add_f64 v[40:41], v[50:51], -v[40:41]
	v_add_f64 v[38:39], v[38:39], v[42:43]
	v_add_f64 v[38:39], v[38:39], v[40:41]
	;; [unrolled: 1-line block ×3, first 2 shown]
	v_cmp_nge_f64_e64 vcc, |v[36:37]|, s[34:35]
	v_cndmask_b32_e32 v37, v49, v39, vcc
	v_cndmask_b32_e32 v36, 0, v38, vcc
	v_mov_b32_e32 v39, s9
	v_add_co_u32_e32 v38, vcc, s8, v8
	v_addc_co_u32_e32 v39, vcc, v7, v39, vcc
	global_store_dwordx2 v[38:39], v[36:37], off
	s_branch .LBB78_8
.LBB78_25:
	s_endpgm
	.section	.rodata,"a",@progbits
	.p2align	6, 0x0
	.amdhsa_kernel _ZN2at6native12_GLOBAL__N_125multi_tensor_apply_kernelINS1_18TensorListMetadataILi2EEENS1_14UnaryOpFunctorIdLi2ELi1ELi1EEEJNS0_4CoshIdEEEEEvT_T0_DpT1_
		.amdhsa_group_segment_fixed_size 0
		.amdhsa_private_segment_fixed_size 0
		.amdhsa_kernarg_size 3408
		.amdhsa_user_sgpr_count 6
		.amdhsa_user_sgpr_private_segment_buffer 1
		.amdhsa_user_sgpr_dispatch_ptr 0
		.amdhsa_user_sgpr_queue_ptr 0
		.amdhsa_user_sgpr_kernarg_segment_ptr 1
		.amdhsa_user_sgpr_dispatch_id 0
		.amdhsa_user_sgpr_flat_scratch_init 0
		.amdhsa_user_sgpr_kernarg_preload_length 0
		.amdhsa_user_sgpr_kernarg_preload_offset 0
		.amdhsa_user_sgpr_private_segment_size 0
		.amdhsa_uses_dynamic_stack 0
		.amdhsa_system_sgpr_private_segment_wavefront_offset 0
		.amdhsa_system_sgpr_workgroup_id_x 1
		.amdhsa_system_sgpr_workgroup_id_y 0
		.amdhsa_system_sgpr_workgroup_id_z 0
		.amdhsa_system_sgpr_workgroup_info 0
		.amdhsa_system_vgpr_workitem_id 0
		.amdhsa_next_free_vgpr 74
		.amdhsa_next_free_sgpr 59
		.amdhsa_accum_offset 76
		.amdhsa_reserve_vcc 1
		.amdhsa_reserve_flat_scratch 0
		.amdhsa_float_round_mode_32 0
		.amdhsa_float_round_mode_16_64 0
		.amdhsa_float_denorm_mode_32 3
		.amdhsa_float_denorm_mode_16_64 3
		.amdhsa_dx10_clamp 1
		.amdhsa_ieee_mode 1
		.amdhsa_fp16_overflow 0
		.amdhsa_tg_split 0
		.amdhsa_exception_fp_ieee_invalid_op 0
		.amdhsa_exception_fp_denorm_src 0
		.amdhsa_exception_fp_ieee_div_zero 0
		.amdhsa_exception_fp_ieee_overflow 0
		.amdhsa_exception_fp_ieee_underflow 0
		.amdhsa_exception_fp_ieee_inexact 0
		.amdhsa_exception_int_div_zero 0
	.end_amdhsa_kernel
	.section	.text._ZN2at6native12_GLOBAL__N_125multi_tensor_apply_kernelINS1_18TensorListMetadataILi2EEENS1_14UnaryOpFunctorIdLi2ELi1ELi1EEEJNS0_4CoshIdEEEEEvT_T0_DpT1_,"axG",@progbits,_ZN2at6native12_GLOBAL__N_125multi_tensor_apply_kernelINS1_18TensorListMetadataILi2EEENS1_14UnaryOpFunctorIdLi2ELi1ELi1EEEJNS0_4CoshIdEEEEEvT_T0_DpT1_,comdat
.Lfunc_end78:
	.size	_ZN2at6native12_GLOBAL__N_125multi_tensor_apply_kernelINS1_18TensorListMetadataILi2EEENS1_14UnaryOpFunctorIdLi2ELi1ELi1EEEJNS0_4CoshIdEEEEEvT_T0_DpT1_, .Lfunc_end78-_ZN2at6native12_GLOBAL__N_125multi_tensor_apply_kernelINS1_18TensorListMetadataILi2EEENS1_14UnaryOpFunctorIdLi2ELi1ELi1EEEJNS0_4CoshIdEEEEEvT_T0_DpT1_
                                        ; -- End function
	.section	.AMDGPU.csdata,"",@progbits
; Kernel info:
; codeLenInByte = 9408
; NumSgprs: 63
; NumVgprs: 74
; NumAgprs: 0
; TotalNumVgprs: 74
; ScratchSize: 0
; MemoryBound: 0
; FloatMode: 240
; IeeeMode: 1
; LDSByteSize: 0 bytes/workgroup (compile time only)
; SGPRBlocks: 7
; VGPRBlocks: 9
; NumSGPRsForWavesPerEU: 63
; NumVGPRsForWavesPerEU: 74
; AccumOffset: 76
; Occupancy: 6
; WaveLimiterHint : 0
; COMPUTE_PGM_RSRC2:SCRATCH_EN: 0
; COMPUTE_PGM_RSRC2:USER_SGPR: 6
; COMPUTE_PGM_RSRC2:TRAP_HANDLER: 0
; COMPUTE_PGM_RSRC2:TGID_X_EN: 1
; COMPUTE_PGM_RSRC2:TGID_Y_EN: 0
; COMPUTE_PGM_RSRC2:TGID_Z_EN: 0
; COMPUTE_PGM_RSRC2:TIDIG_COMP_CNT: 0
; COMPUTE_PGM_RSRC3_GFX90A:ACCUM_OFFSET: 18
; COMPUTE_PGM_RSRC3_GFX90A:TG_SPLIT: 0
	.section	.text._ZN2at6native12_GLOBAL__N_125multi_tensor_apply_kernelINS1_18TensorListMetadataILi2EEENS1_14UnaryOpFunctorIfLi2ELi1ELi1EEEJNS0_4CoshIfEEEEEvT_T0_DpT1_,"axG",@progbits,_ZN2at6native12_GLOBAL__N_125multi_tensor_apply_kernelINS1_18TensorListMetadataILi2EEENS1_14UnaryOpFunctorIfLi2ELi1ELi1EEEJNS0_4CoshIfEEEEEvT_T0_DpT1_,comdat
	.globl	_ZN2at6native12_GLOBAL__N_125multi_tensor_apply_kernelINS1_18TensorListMetadataILi2EEENS1_14UnaryOpFunctorIfLi2ELi1ELi1EEEJNS0_4CoshIfEEEEEvT_T0_DpT1_ ; -- Begin function _ZN2at6native12_GLOBAL__N_125multi_tensor_apply_kernelINS1_18TensorListMetadataILi2EEENS1_14UnaryOpFunctorIfLi2ELi1ELi1EEEJNS0_4CoshIfEEEEEvT_T0_DpT1_
	.p2align	8
	.type	_ZN2at6native12_GLOBAL__N_125multi_tensor_apply_kernelINS1_18TensorListMetadataILi2EEENS1_14UnaryOpFunctorIfLi2ELi1ELi1EEEJNS0_4CoshIfEEEEEvT_T0_DpT1_,@function
_ZN2at6native12_GLOBAL__N_125multi_tensor_apply_kernelINS1_18TensorListMetadataILi2EEENS1_14UnaryOpFunctorIfLi2ELi1ELi1EEEJNS0_4CoshIfEEEEEvT_T0_DpT1_: ; @_ZN2at6native12_GLOBAL__N_125multi_tensor_apply_kernelINS1_18TensorListMetadataILi2EEENS1_14UnaryOpFunctorIfLi2ELi1ELi1EEEJNS0_4CoshIfEEEEEvT_T0_DpT1_
; %bb.0:
	v_mov_b32_e32 v1, s6
	global_load_ubyte v1, v1, s[4:5] offset:1536
	s_add_u32 s0, s4, s6
	s_mul_hi_u32 s2, s6, 3
	s_mul_i32 s6, s6, 3
	s_addc_u32 s7, s5, 0
	s_add_u32 s8, s0, s6
	s_addc_u32 s9, s7, s2
	s_mov_b32 s1, 0
	s_mov_b32 s17, s1
	;; [unrolled: 1-line block ×3, first 2 shown]
	s_waitcnt vmcnt(0)
	v_readfirstlane_b32 s0, v1
	s_lshl_b32 s0, s0, 3
	s_load_dword s10, s[8:9], 0x740
	s_load_dwordx2 s[12:13], s[4:5], s0 offset:0x0
	s_load_dwordx2 s[14:15], s[4:5], s0 offset:0x400
	s_load_dwordx2 s[6:7], s[4:5], s0 offset:0x200
	s_waitcnt lgkmcnt(0)
	s_ashr_i32 s11, s10, 31
	s_and_b32 s0, s12, 15
	s_and_b32 s16, s14, 3
	;; [unrolled: 1-line block ×3, first 2 shown]
	s_or_b64 s[16:17], s[0:1], s[16:17]
	s_lshl_b64 s[8:9], s[10:11], 18
	s_or_b64 s[2:3], s[2:3], s[16:17]
	s_lshl_b64 s[10:11], s[10:11], 16
	s_sub_u32 s10, s14, s10
	s_subb_u32 s11, s15, s11
	s_cmp_eq_u64 s[2:3], 0
	s_mov_b64 s[2:3], -1
	s_cbranch_scc0 .LBB79_5
; %bb.1:
	v_mov_b32_e32 v7, 0
	v_lshlrev_b32_e32 v6, 2, v0
	v_cmp_gt_i64_e32 vcc, s[10:11], v[6:7]
	s_and_saveexec_b64 s[14:15], vcc
	s_cbranch_execz .LBB79_4
; %bb.2:
	s_load_dword s0, s[4:5], 0xc5c
	v_lshlrev_b32_e32 v1, 4, v0
	v_mov_b32_e32 v2, s9
	v_add_co_u32_e32 v1, vcc, s8, v1
	v_addc_co_u32_e32 v2, vcc, 0, v2, vcc
	s_waitcnt lgkmcnt(0)
	s_and_b32 s0, s0, 0xffff
	v_add_co_u32_e32 v8, vcc, 8, v1
	v_add_lshl_u32 v6, v0, s0, 2
	s_lshl_b32 s18, s0, 2
	v_addc_co_u32_e32 v1, vcc, 0, v2, vcc
	s_lshl_b32 s22, s0, 4
	s_mov_b64 s[16:17], 0
	v_mov_b32_e32 v9, s13
	v_mov_b32_e32 v18, s7
	s_mov_b32 s23, 0xbf317218
	v_mov_b32_e32 v19, 0x3d2aadcc
	v_mov_b32_e32 v20, 0x3e2aaa47
	;; [unrolled: 1-line block ×3, first 2 shown]
	s_mov_b32 s19, -1.0
	s_mov_b32 s24, 0x42b2d4fc
	v_mov_b32_e32 v22, 0x7f800000
	s_mov_b64 s[20:21], 0xffff
	v_mov_b32_e32 v23, s1
	v_mov_b32_e32 v24, s1
	;; [unrolled: 1-line block ×3, first 2 shown]
	v_mov_b32_e32 v13, -1.0
	v_mov_b32_e32 v15, 1.0
.LBB79_3:                               ; =>This Inner Loop Header: Depth=1
	v_add_co_u32_e32 v2, vcc, s12, v8
	v_addc_co_u32_e32 v3, vcc, v9, v1, vcc
	global_load_dwordx4 v[2:5], v[2:3], off offset:-8
	v_mov_b32_e32 v12, 0x3c091de6
	v_mov_b32_e32 v14, 0x3c091de6
	;; [unrolled: 1-line block ×4, first 2 shown]
	v_add_co_u32_e32 v16, vcc, s6, v8
	v_addc_co_u32_e32 v17, vcc, v18, v1, vcc
	v_cmp_le_i64_e32 vcc, s[10:11], v[6:7]
	v_cmp_lt_u64_e64 s[0:1], s[20:21], v[6:7]
	s_or_b64 s[0:1], vcc, s[0:1]
	s_and_b64 s[0:1], exec, s[0:1]
	v_add_co_u32_e64 v6, s[2:3], s18, v6
	s_or_b64 s[16:17], s[0:1], s[16:17]
	v_addc_co_u32_e64 v7, s[2:3], v7, v23, s[2:3]
	v_add_co_u32_e64 v8, s[2:3], s22, v8
	v_addc_co_u32_e64 v1, s[2:3], v1, v24, s[2:3]
	s_waitcnt vmcnt(0)
	v_add_f32_e64 v34, |v2|, s23
	v_sub_f32_e64 v27, v34, |v2|
	v_and_b32_e32 v10, 0x7fffffff, v2
	v_add_f32_e64 v35, |v3|, s23
	v_sub_f32_e32 v26, v27, v34
	v_add_f32_e64 v36, |v4|, s23
	v_sub_f32_e64 v29, v35, |v3|
	v_pk_add_f32 v[26:27], v[10:11], v[26:27]
	v_add_f32_e64 v37, |v5|, s23
	v_sub_f32_e64 v31, v36, |v4|
	v_sub_f32_e32 v28, v29, v35
	v_and_b32_e32 v10, 0x7fffffff, v3
	v_sub_f32_e32 v38, v26, v27
	v_sub_f32_e64 v33, v37, |v5|
	v_sub_f32_e32 v30, v31, v36
	v_pk_add_f32 v[26:27], v[10:11], v[28:29]
	v_and_b32_e32 v10, 0x7fffffff, v4
	v_add_f32_e32 v28, 0x3102e308, v38
	v_sub_f32_e32 v32, v33, v37
	v_sub_f32_e32 v29, v26, v27
	v_pk_add_f32 v[26:27], v[10:11], v[30:31]
	v_and_b32_e32 v10, 0x7fffffff, v5
	v_add_f32_e32 v30, v34, v28
	v_add_f32_e32 v29, 0x3102e308, v29
	v_sub_f32_e32 v31, v26, v27
	v_pk_add_f32 v[26:27], v[10:11], v[32:33]
	v_sub_f32_e32 v10, v34, v30
	v_mul_f32_e32 v32, 0x3fb8aa3b, v30
	v_add_f32_e32 v34, v35, v29
	v_add_f32_e32 v31, 0x3102e308, v31
	v_sub_f32_e32 v26, v26, v27
	v_add_f32_e32 v10, v28, v10
	v_rndne_f32_e32 v28, v32
	v_sub_f32_e32 v32, v35, v34
	v_mul_f32_e32 v33, 0x3fb8aa3b, v34
	v_add_f32_e32 v35, v36, v31
	v_add_f32_e32 v26, 0x3102e308, v26
	v_fmac_f32_e32 v30, 0xbf317200, v28
	v_mul_f32_e32 v38, 0x35bfbc00, v28
	v_mul_f32_e32 v27, 0x2ea39ef3, v28
	v_cvt_i32_f32_e32 v45, v28
	v_add_f32_e32 v28, v29, v32
	v_rndne_f32_e32 v32, v33
	v_sub_f32_e32 v33, v36, v35
	v_mul_f32_e32 v36, 0x3fb8aa3b, v35
	v_add_f32_e32 v39, v37, v26
	v_add_f32_e32 v40, v10, v30
	v_fmac_f32_e32 v34, 0xbf317200, v32
	v_mul_f32_e32 v41, 0x35bfbc00, v32
	v_mul_f32_e32 v29, 0x2ea39ef3, v32
	v_cvt_i32_f32_e32 v46, v32
	v_rndne_f32_e32 v32, v36
	v_sub_f32_e32 v36, v37, v39
	v_mul_f32_e32 v37, 0x3fb8aa3b, v39
	v_sub_f32_e32 v42, v30, v40
	v_sub_f32_e32 v30, v40, v38
	v_add_f32_e32 v31, v31, v33
	v_add_f32_e32 v43, v28, v34
	v_fmac_f32_e32 v35, 0xbf317200, v32
	v_mul_f32_e32 v47, 0x35bfbc00, v32
	v_mul_f32_e32 v33, 0x2ea39ef3, v32
	v_cvt_i32_f32_e32 v48, v32
	v_add_f32_e32 v26, v26, v36
	v_rndne_f32_e32 v32, v37
	v_sub_f32_e32 v36, v40, v30
	v_add_f32_e32 v10, v10, v42
	v_sub_f32_e32 v40, v34, v43
	v_sub_f32_e32 v34, v43, v41
	v_add_f32_e32 v42, v31, v35
	v_fmac_f32_e32 v39, 0xbf317200, v32
	v_mul_f32_e32 v49, 0x35bfbc00, v32
	v_mul_f32_e32 v37, 0x2ea39ef3, v32
	v_cvt_i32_f32_e32 v50, v32
	v_sub_f32_e32 v32, v36, v38
	v_sub_f32_e32 v36, v43, v34
	;; [unrolled: 1-line block ×4, first 2 shown]
	v_add_f32_e32 v10, v10, v32
	v_add_f32_e32 v32, v26, v39
	;; [unrolled: 1-line block ×3, first 2 shown]
	v_sub_f32_e32 v36, v36, v41
	v_add_f32_e32 v41, v31, v35
	v_sub_f32_e32 v35, v42, v38
	v_sub_f32_e32 v39, v39, v32
	;; [unrolled: 1-line block ×3, first 2 shown]
	v_add_f32_e32 v31, v30, v10
	v_add_f32_e32 v36, v28, v36
	v_sub_f32_e32 v28, v35, v47
	v_add_f32_e32 v47, v26, v39
	v_sub_f32_e32 v32, v32, v40
	v_mov_b32_e32 v26, v31
	v_add_f32_e32 v35, v34, v36
	v_add_f32_e32 v51, v41, v28
	v_sub_f32_e32 v32, v32, v49
	v_pk_add_f32 v[42:43], v[30:31], v[26:27] neg_lo:[0,1] neg_hi:[0,1]
	v_mov_b32_e32 v28, v35
	v_add_f32_e32 v39, v38, v51
	v_add_f32_e32 v47, v47, v32
	v_sub_f32_e32 v26, v31, v43
	v_add_f32_e32 v10, v10, v42
	v_pk_add_f32 v[30:31], v[34:35], v[28:29] neg_lo:[0,1] neg_hi:[0,1]
	v_mov_b32_e32 v32, v39
	v_add_f32_e32 v41, v40, v47
	v_sub_f32_e32 v28, v26, v27
	v_sub_f32_e32 v34, v35, v31
	v_add_f32_e32 v30, v36, v30
	v_pk_add_f32 v[26:27], v[38:39], v[32:33] neg_lo:[0,1] neg_hi:[0,1]
	v_mov_b32_e32 v36, v41
	v_add_f32_e32 v10, v10, v28
	v_sub_f32_e32 v32, v34, v29
	v_sub_f32_e32 v34, v39, v27
	v_pk_add_f32 v[28:29], v[40:41], v[36:37] neg_lo:[0,1] neg_hi:[0,1]
	v_add_f32_e32 v35, v43, v10
	v_add_f32_e32 v26, v51, v26
	;; [unrolled: 1-line block ×3, first 2 shown]
	v_sub_f32_e32 v32, v34, v33
	v_sub_f32_e32 v33, v41, v29
	;; [unrolled: 1-line block ×3, first 2 shown]
	v_add_f32_e32 v28, v47, v28
	v_fmac_f32_e32 v12, 0x3ab42872, v35
	v_mul_f32_e32 v36, v35, v35
	v_add_f32_e32 v38, v31, v30
	v_add_f32_e32 v26, v26, v32
	v_sub_f32_e32 v32, v33, v37
	v_add_f32_e32 v10, v10, v34
	v_fma_f32 v12, v35, v12, v19
	v_fma_f32 v33, v35, v35, -v36
	v_sub_f32_e32 v31, v31, v38
	v_add_f32_e32 v37, v27, v26
	v_add_f32_e32 v28, v28, v32
	v_add_f32_e32 v32, v10, v10
	v_fmac_f32_e32 v14, 0x3ab42872, v38
	v_mul_f32_e32 v34, v38, v38
	v_fma_f32 v12, v35, v12, v20
	v_add_f32_e32 v30, v30, v31
	v_sub_f32_e32 v27, v27, v37
	v_add_f32_e32 v40, v29, v28
	v_fmac_f32_e32 v33, v35, v32
	v_fma_f32 v14, v38, v14, v19
	v_fma_f32 v31, v38, v38, -v34
	v_fmac_f32_e32 v25, 0x3ab42872, v37
	v_mul_f32_e32 v39, v37, v37
	v_fma_f32 v12, v35, v12, v21
	v_add_f32_e32 v32, v30, v30
	v_add_f32_e32 v27, v26, v27
	v_fmac_f32_e32 v44, 0x3ab42872, v40
	v_sub_f32_e32 v29, v29, v40
	v_add_f32_e32 v42, v36, v33
	v_fma_f32 v14, v38, v14, v20
	v_fma_f32 v25, v37, v25, v19
	v_fma_f32 v26, v37, v37, -v39
	v_mul_f32_e32 v41, v40, v40
	v_fmac_f32_e32 v31, v38, v32
	v_add_f32_e32 v32, v27, v27
	v_fma_f32 v43, v40, v44, v19
	v_add_f32_e32 v44, v28, v29
	v_sub_f32_e32 v29, v42, v36
	v_mul_f32_e32 v36, v12, v42
	v_fma_f32 v14, v38, v14, v21
	v_fma_f32 v25, v37, v25, v20
	v_fma_f32 v28, v40, v40, -v41
	v_add_f32_e32 v47, v34, v31
	v_fmac_f32_e32 v26, v37, v32
	v_fma_f32 v32, v40, v43, v20
	v_add_f32_e32 v43, v44, v44
	v_sub_f32_e32 v29, v33, v29
	v_fma_f32 v33, v42, v12, -v36
	v_fma_f32 v25, v37, v25, v21
	v_sub_f32_e32 v34, v47, v34
	v_mul_f32_e32 v42, v14, v47
	v_add_f32_e32 v49, v39, v26
	v_fmac_f32_e32 v28, v40, v43
	v_fmac_f32_e32 v33, v29, v12
	v_fma_f32 v32, v40, v32, v21
	v_sub_f32_e32 v12, v31, v34
	v_fma_f32 v29, v47, v14, -v42
	v_sub_f32_e32 v31, v49, v39
	v_mul_f32_e32 v34, v25, v49
	v_add_f32_e32 v39, v41, v28
	v_add_f32_e32 v43, v36, v33
	v_fmac_f32_e32 v29, v12, v14
	v_sub_f32_e32 v14, v26, v31
	v_fma_f32 v31, v49, v25, -v34
	v_sub_f32_e32 v26, v39, v41
	v_mul_f32_e32 v41, v32, v39
	v_sub_f32_e32 v36, v43, v36
	v_add_f32_e32 v12, v35, v43
	v_add_f32_e32 v47, v42, v29
	v_fmac_f32_e32 v31, v14, v25
	v_sub_f32_e32 v14, v28, v26
	v_fma_f32 v25, v39, v32, -v41
	v_sub_f32_e32 v26, v33, v36
	v_sub_f32_e32 v28, v12, v35
	;; [unrolled: 1-line block ×3, first 2 shown]
	v_add_f32_e32 v35, v34, v31
	v_fmac_f32_e32 v25, v14, v32
	v_sub_f32_e32 v14, v43, v28
	v_add_f32_e32 v10, v10, v26
	v_sub_f32_e32 v28, v29, v33
	v_sub_f32_e32 v29, v35, v34
	v_add_f32_e32 v34, v41, v25
	v_add_f32_e32 v26, v10, v14
	;; [unrolled: 1-line block ×3, first 2 shown]
	v_sub_f32_e32 v14, v31, v29
	v_sub_f32_e32 v29, v34, v41
	v_add_f32_e32 v28, v12, v26
	v_sub_f32_e32 v25, v25, v29
	v_add_f32_e32 v29, 1.0, v28
	v_pk_add_f32 v[30:31], v[28:29], v[12:13] neg_lo:[0,1] neg_hi:[0,1]
	v_pk_add_f32 v[32:33], v[28:29], s[18:19]
	v_add_f32_e32 v14, v27, v14
	v_mov_b32_e32 v27, v28
	v_add_f32_e32 v12, v38, v47
	v_mov_b32_e32 v31, v33
	v_sub_f32_e32 v28, v12, v38
	v_pk_add_f32 v[26:27], v[26:27], v[30:31] neg_lo:[0,1] neg_hi:[0,1]
	v_sub_f32_e32 v28, v47, v28
	v_add_f32_e32 v30, v26, v27
	v_add_f32_e32 v26, v10, v28
	v_add_f32_e32 v10, v29, v30
	v_add_f32_e32 v28, v12, v26
	v_sub_f32_e32 v31, v10, v29
	v_ldexp_f32 v10, v10, v45
	v_add_f32_e32 v29, 1.0, v28
	v_rcp_f32_e32 v42, v10
	v_sub_f32_e32 v36, v30, v31
	v_pk_add_f32 v[30:31], v[28:29], v[12:13] neg_lo:[0,1] neg_hi:[0,1]
	v_pk_add_f32 v[32:33], v[28:29], s[18:19]
	v_add_f32_e32 v12, v37, v35
	v_mov_b32_e32 v27, v28
	v_mov_b32_e32 v31, v33
	v_sub_f32_e32 v28, v12, v37
	v_pk_add_f32 v[26:27], v[26:27], v[30:31] neg_lo:[0,1] neg_hi:[0,1]
	v_sub_f32_e32 v28, v35, v28
	v_add_f32_e32 v33, v26, v27
	v_add_f32_e32 v26, v14, v28
	v_mul_f32_e32 v28, v10, v42
	v_ldexp_f32 v43, v36, v45
	v_add_f32_e32 v14, v29, v33
	v_add_f32_e32 v30, v12, v26
	v_fma_f32 v32, v42, v10, -v28
	v_sub_f32_e32 v29, v14, v29
	v_ldexp_f32 v35, v14, v46
	v_add_f32_e32 v31, 1.0, v30
	v_fmac_f32_e32 v32, v42, v43
	v_add_f32_e32 v25, v44, v25
	v_sub_f32_e32 v29, v33, v29
	v_rcp_f32_e32 v44, v35
	v_pk_add_f32 v[36:37], v[30:31], v[12:13] neg_lo:[0,1] neg_hi:[0,1]
	v_pk_add_f32 v[38:39], v[30:31], s[18:19]
	v_add_f32_e32 v12, v40, v34
	v_add_f32_e32 v14, v28, v32
	v_mov_b32_e32 v27, v30
	v_ldexp_f32 v45, v29, v46
	v_mov_b32_e32 v37, v39
	v_sub_f32_e32 v30, v12, v40
	v_sub_f32_e32 v29, 1.0, v14
	v_mov_b32_e32 v33, v14
	v_pk_add_f32 v[26:27], v[26:27], v[36:37] neg_lo:[0,1] neg_hi:[0,1]
	v_sub_f32_e32 v30, v34, v30
	v_pk_add_f32 v[36:37], v[14:15], v[28:29] neg_lo:[0,1] neg_hi:[0,1]
	v_add_f32_e32 v14, v26, v27
	v_add_f32_e32 v26, v25, v30
	v_pk_add_f32 v[32:33], v[36:37], v[32:33] neg_lo:[0,1] neg_hi:[0,1]
	v_mul_f32_e32 v28, v35, v44
	v_add_f32_e32 v25, v31, v14
	v_add_f32_e32 v30, v12, v26
	;; [unrolled: 1-line block ×3, first 2 shown]
	v_fma_f32 v32, v44, v35, -v28
	v_sub_f32_e32 v34, v25, v31
	v_add_f32_e32 v31, 1.0, v30
	v_add_f32_e32 v37, v29, v33
	v_ldexp_f32 v25, v25, v48
	v_fmac_f32_e32 v32, v44, v45
	v_pk_add_f32 v[38:39], v[30:31], v[12:13] neg_lo:[0,1] neg_hi:[0,1]
	v_pk_add_f32 v[40:41], v[30:31], s[18:19]
	v_mul_f32_e32 v12, v42, v37
	v_mov_b32_e32 v27, v30
	v_sub_f32_e32 v34, v14, v34
	v_rcp_f32_e32 v46, v25
	v_sub_f32_e32 v29, v29, v37
	v_add_f32_e32 v14, v28, v32
	v_mov_b32_e32 v39, v41
	v_mul_f32_e32 v30, v10, v12
	v_ldexp_f32 v47, v34, v48
	v_add_f32_e32 v34, v33, v29
	v_add_f32_e32 v48, v42, v12
	v_sub_f32_e32 v29, 1.0, v14
	v_pk_add_f32 v[26:27], v[26:27], v[38:39] neg_lo:[0,1] neg_hi:[0,1]
	v_fma_f32 v38, v12, v10, -v30
	v_mov_b32_e32 v33, v14
	v_sub_f32_e32 v36, v48, v42
	v_pk_add_f32 v[40:41], v[14:15], v[28:29] neg_lo:[0,1] neg_hi:[0,1]
	v_add_f32_e32 v14, v26, v27
	v_fmac_f32_e32 v38, v12, v43
	v_sub_f32_e32 v12, v12, v36
	v_pk_add_f32 v[26:27], v[40:41], v[32:33] neg_lo:[0,1] neg_hi:[0,1]
	v_add_f32_e32 v32, v31, v14
	v_add_f32_e32 v36, v30, v38
	v_mul_f32_e32 v28, v25, v46
	v_add_f32_e32 v27, v26, v27
	v_sub_f32_e32 v40, v32, v31
	v_sub_f32_e32 v31, v37, v36
	v_fma_f32 v26, v46, v25, -v28
	v_ldexp_f32 v33, v32, v50
	v_mov_b32_e32 v39, v36
	v_add_f32_e32 v41, v29, v27
	v_pk_add_f32 v[36:37], v[36:37], v[30:31] neg_lo:[0,1] neg_hi:[0,1]
	v_fmac_f32_e32 v26, v46, v47
	v_sub_f32_e32 v32, v14, v40
	v_rcp_f32_e32 v49, v33
	v_mul_f32_e32 v40, v44, v41
	v_pk_add_f32 v[36:37], v[36:37], v[38:39] neg_lo:[0,1] neg_hi:[0,1]
	v_sub_f32_e32 v29, v29, v41
	v_add_f32_e32 v14, v28, v26
	v_mul_f32_e32 v30, v35, v40
	v_add_f32_e32 v51, v44, v40
	v_add_f32_e32 v34, v34, v37
	v_ldexp_f32 v50, v32, v50
	v_add_f32_e32 v32, v27, v29
	v_sub_f32_e32 v29, 1.0, v14
	v_fma_f32 v38, v40, v35, -v30
	v_add_f32_e32 v34, v36, v34
	v_sub_f32_e32 v36, v51, v44
	v_mov_b32_e32 v27, v14
	v_fmac_f32_e32 v38, v40, v45
	v_sub_f32_e32 v52, v40, v36
	v_pk_add_f32 v[36:37], v[14:15], v[28:29] neg_lo:[0,1] neg_hi:[0,1]
	v_pk_add_f32 v[26:27], v[36:37], v[26:27] neg_lo:[0,1] neg_hi:[0,1]
	v_mul_f32_e32 v28, v33, v49
	v_add_f32_e32 v40, v30, v38
	v_add_f32_e32 v14, v31, v34
	;; [unrolled: 1-line block ×3, first 2 shown]
	v_fma_f32 v26, v49, v33, -v28
	v_sub_f32_e32 v31, v41, v40
	v_mul_f32_e32 v14, v42, v14
	v_mov_b32_e32 v39, v40
	v_add_f32_e32 v37, v29, v27
	v_fmac_f32_e32 v26, v49, v50
	v_pk_add_f32 v[40:41], v[40:41], v[30:31] neg_lo:[0,1] neg_hi:[0,1]
	v_add_f32_e32 v12, v12, v14
	v_sub_f32_e32 v29, v29, v37
	v_add_f32_e32 v14, v28, v26
	v_pk_add_f32 v[38:39], v[40:41], v[38:39] neg_lo:[0,1] neg_hi:[0,1]
	v_mul_f32_e32 v34, v46, v37
	v_add_f32_e32 v40, v27, v29
	v_sub_f32_e32 v29, 1.0, v14
	v_add_f32_e32 v32, v32, v39
	v_add_f32_e32 v36, v48, v12
	v_mul_f32_e32 v30, v25, v34
	v_mov_b32_e32 v27, v14
	v_add_f32_e32 v32, v38, v32
	v_pk_add_f32 v[38:39], v[14:15], v[28:29] neg_lo:[0,1] neg_hi:[0,1]
	v_ldexp_f32 v42, v36, -2
	v_pk_add_f32 v[26:27], v[38:39], v[26:27] neg_lo:[0,1] neg_hi:[0,1]
	v_fma_f32 v38, v34, v25, -v30
	v_sub_f32_e32 v41, v36, v48
	v_add_f32_e32 v28, v10, v42
	v_fmac_f32_e32 v38, v34, v47
	v_add_f32_e32 v53, v46, v34
	v_sub_f32_e32 v12, v12, v41
	v_add_f32_e32 v31, v31, v32
	v_sub_f32_e32 v10, v28, v10
	v_add_f32_e32 v36, v30, v38
	v_add_f32_e32 v27, v26, v27
	v_sub_f32_e32 v14, v53, v46
	v_ldexp_f32 v12, v12, -2
	v_sub_f32_e32 v26, v42, v10
	v_mul_f32_e32 v10, v44, v31
	v_sub_f32_e32 v31, v37, v36
	v_add_f32_e32 v41, v29, v27
	v_sub_f32_e32 v14, v34, v14
	v_add_f32_e32 v34, v43, v12
	v_mov_b32_e32 v39, v36
	v_add_f32_e32 v10, v52, v10
	v_pk_add_f32 v[36:37], v[36:37], v[30:31] neg_lo:[0,1] neg_hi:[0,1]
	v_mul_f32_e32 v12, v49, v41
	v_sub_f32_e32 v29, v29, v41
	v_add_f32_e32 v32, v51, v10
	v_pk_add_f32 v[36:37], v[36:37], v[38:39] neg_lo:[0,1] neg_hi:[0,1]
	v_mul_f32_e32 v30, v33, v12
	v_add_f32_e32 v44, v27, v29
	v_sub_f32_e32 v29, v32, v51
	v_ldexp_f32 v27, v32, -2
	v_add_f32_e32 v32, v40, v37
	v_fma_f32 v38, v12, v33, -v30
	v_sub_f32_e32 v10, v10, v29
	v_pk_add_f32 v[42:43], v[34:35], v[26:27]
	v_add_f32_e32 v26, v36, v32
	v_fmac_f32_e32 v38, v12, v50
	v_ldexp_f32 v10, v10, -2
	v_sub_f32_e32 v29, v43, v35
	v_add_f32_e32 v26, v31, v26
	v_add_f32_e32 v40, v30, v38
	v_sub_f32_e32 v27, v27, v29
	v_add_f32_e32 v10, v45, v10
	v_mul_f32_e32 v26, v46, v26
	v_sub_f32_e32 v31, v41, v40
	v_mov_b32_e32 v39, v40
	v_add_f32_e32 v29, v10, v27
	v_add_f32_e32 v10, v14, v26
	v_pk_add_f32 v[26:27], v[40:41], v[30:31] neg_lo:[0,1] neg_hi:[0,1]
	v_pk_add_f32 v[28:29], v[42:43], v[28:29]
	v_cmp_ngt_f32_e64 vcc, |v2|, s24
	v_add_f32_e32 v14, v53, v10
	v_pk_add_f32 v[26:27], v[26:27], v[38:39] neg_lo:[0,1] neg_hi:[0,1]
	v_cndmask_b32_e32 v2, v22, v28, vcc
	v_sub_f32_e32 v28, v14, v53
	v_add_f32_e32 v27, v44, v27
	v_add_f32_e32 v48, v49, v12
	v_sub_f32_e32 v10, v10, v28
	v_add_f32_e32 v26, v26, v27
	v_sub_f32_e32 v37, v48, v49
	v_ldexp_f32 v10, v10, -2
	v_add_f32_e32 v27, v31, v26
	v_sub_f32_e32 v12, v12, v37
	v_ldexp_f32 v14, v14, -2
	v_add_f32_e32 v32, v47, v10
	v_mul_f32_e32 v10, v49, v27
	v_add_f32_e32 v28, v25, v14
	v_add_f32_e32 v10, v12, v10
	v_sub_f32_e32 v25, v28, v25
	v_add_f32_e32 v12, v48, v10
	v_sub_f32_e32 v26, v14, v25
	v_sub_f32_e32 v14, v12, v48
	v_ldexp_f32 v27, v12, -2
	v_sub_f32_e32 v10, v10, v14
	v_pk_add_f32 v[30:31], v[32:33], v[26:27]
	v_ldexp_f32 v10, v10, -2
	v_sub_f32_e32 v12, v31, v33
	v_cmp_ngt_f32_e64 s[0:1], |v3|, s24
	v_sub_f32_e32 v12, v27, v12
	v_add_f32_e32 v10, v50, v10
	v_cndmask_b32_e64 v3, v22, v29, s[0:1]
	v_add_f32_e32 v29, v10, v12
	v_pk_add_f32 v[26:27], v[30:31], v[28:29]
	v_cmp_ngt_f32_e64 vcc, |v4|, s24
	v_cmp_ngt_f32_e64 s[0:1], |v5|, s24
	v_cndmask_b32_e64 v5, v22, v27, s[0:1]
	v_cndmask_b32_e32 v4, v22, v26, vcc
	global_store_dwordx4 v[16:17], v[2:5], off offset:-8
	s_andn2_b64 exec, exec, s[16:17]
	s_cbranch_execnz .LBB79_3
.LBB79_4:
	s_or_b64 exec, exec, s[14:15]
	s_mov_b64 s[2:3], 0
.LBB79_5:
	s_andn2_b64 vcc, exec, s[2:3]
	s_cbranch_vccnz .LBB79_25
; %bb.6:
	v_cmp_lt_i64_e64 s[0:1], s[10:11], 1
	s_and_b64 vcc, exec, s[0:1]
	s_cbranch_vccnz .LBB79_25
; %bb.7:
	s_load_dword s0, s[4:5], 0xc5c
	v_mov_b32_e32 v2, 0x10000
	v_mov_b32_e32 v3, 0
	v_cmp_lt_u64_e32 vcc, s[10:11], v[2:3]
	v_lshlrev_b32_e32 v10, 2, v0
	s_waitcnt lgkmcnt(0)
	s_and_b32 s2, s0, 0xffff
	s_and_b64 s[0:1], vcc, exec
	v_mov_b32_e32 v13, s13
	v_add_co_u32_e32 v2, vcc, s12, v10
	v_addc_co_u32_e32 v1, vcc, 0, v13, vcc
	v_mov_b32_e32 v11, 0
	v_mov_b32_e32 v15, s7
	v_add_co_u32_e32 v4, vcc, s6, v10
	v_addc_co_u32_e32 v3, vcc, 0, v15, vcc
	v_mad_u64_u32 v[8:9], s[0:1], s2, 12, v[10:11]
	v_add_co_u32_e32 v6, vcc, s12, v8
	v_addc_co_u32_e32 v5, vcc, v13, v9, vcc
	v_add_co_u32_e32 v8, vcc, s6, v8
	s_mul_i32 s4, s2, 3
	v_addc_co_u32_e32 v7, vcc, v15, v9, vcc
	v_add_co_u32_e32 v17, vcc, s4, v0
	v_addc_co_u32_e64 v24, s[0:1], 0, 0, vcc
	s_cselect_b32 s15, s11, 0
	s_cselect_b32 s14, s10, 0x10000
	s_lshl_b32 s0, s2, 3
	v_add_co_u32_e32 v11, vcc, s0, v10
	v_addc_co_u32_e64 v14, s[0:1], 0, 0, vcc
	v_add_co_u32_e32 v10, vcc, s12, v11
	v_addc_co_u32_e32 v9, vcc, v13, v14, vcc
	v_add_co_u32_e32 v12, vcc, s6, v11
	s_lshl_b32 s3, s2, 1
	v_addc_co_u32_e32 v11, vcc, v15, v14, vcc
	v_add_co_u32_e32 v25, vcc, s3, v0
	v_addc_co_u32_e64 v26, s[0:1], 0, 0, vcc
	v_add_co_u32_e32 v27, vcc, s2, v0
	v_lshlrev_b32_e32 v16, 2, v27
	v_addc_co_u32_e64 v28, s[0:1], 0, 0, vcc
	v_add_co_u32_e32 v14, vcc, s12, v16
	v_addc_co_u32_e32 v13, vcc, 0, v13, vcc
	v_add_co_u32_e32 v16, vcc, s6, v16
	s_mov_b32 s16, 0
	s_lshl_b32 s20, s2, 2
	s_lshl_b32 s21, s2, 4
	v_addc_co_u32_e32 v15, vcc, 0, v15, vcc
	s_mov_b64 s[12:13], 0
	s_mov_b32 s22, 0xbf317218
	v_mov_b32_e32 v19, 0x3f317218
	v_mov_b32_e32 v29, 0x3d2aadcc
	;; [unrolled: 1-line block ×4, first 2 shown]
	s_mov_b32 s17, -1.0
	s_mov_b32 s23, 0x42b2d4fc
	v_mov_b32_e32 v21, -1.0
	v_mov_b32_e32 v23, 1.0
	v_mov_b32_e32 v32, 0x7f800000
	s_branch .LBB79_9
.LBB79_8:                               ;   in Loop: Header=BB79_9 Depth=1
	s_or_b64 exec, exec, s[0:1]
	s_add_u32 s12, s12, s20
	s_addc_u32 s13, s13, 0
	s_waitcnt vmcnt(0)
	v_pk_mov_b32 v[34:35], s[10:11], s[10:11] op_sel:[0,1]
	v_cmp_ge_i64_e32 vcc, s[12:13], v[34:35]
	v_mov_b32_e32 v34, 0xffff
	v_mov_b32_e32 v35, 0
	v_cmp_gt_u64_e64 s[0:1], s[12:13], v[34:35]
	s_or_b64 s[0:1], vcc, s[0:1]
	v_mov_b32_e32 v18, s16
	v_add_co_u32_e32 v2, vcc, s21, v2
	v_addc_co_u32_e32 v1, vcc, v1, v18, vcc
	v_add_co_u32_e32 v4, vcc, s21, v4
	v_addc_co_u32_e32 v3, vcc, v3, v18, vcc
	;; [unrolled: 2-line block ×8, first 2 shown]
	s_and_b64 vcc, exec, s[0:1]
	s_cbranch_vccnz .LBB79_25
.LBB79_9:                               ; =>This Inner Loop Header: Depth=1
	v_mov_b32_e32 v18, s13
	v_add_co_u32_e32 v34, vcc, s12, v0
	v_addc_co_u32_e32 v35, vcc, 0, v18, vcc
	v_cmp_gt_u64_e64 s[4:5], s[14:15], v[34:35]
	v_mov_b32_e32 v36, 0
	s_and_saveexec_b64 s[0:1], s[4:5]
	s_cbranch_execz .LBB79_11
; %bb.10:                               ;   in Loop: Header=BB79_9 Depth=1
	v_mov_b32_e32 v18, s9
	v_add_co_u32_e32 v34, vcc, s8, v2
	v_addc_co_u32_e32 v35, vcc, v1, v18, vcc
	global_load_dword v36, v[34:35], off
.LBB79_11:                              ;   in Loop: Header=BB79_9 Depth=1
	s_or_b64 exec, exec, s[0:1]
	v_mov_b32_e32 v18, s13
	v_add_co_u32_e32 v34, vcc, s12, v27
	v_addc_co_u32_e32 v35, vcc, v28, v18, vcc
	v_cmp_gt_u64_e64 s[2:3], s[14:15], v[34:35]
	v_mov_b32_e32 v35, 0
	s_and_saveexec_b64 s[0:1], s[2:3]
	s_cbranch_execz .LBB79_13
; %bb.12:                               ;   in Loop: Header=BB79_9 Depth=1
	v_mov_b32_e32 v18, s9
	v_add_co_u32_e32 v34, vcc, s8, v14
	v_addc_co_u32_e32 v35, vcc, v13, v18, vcc
	global_load_dword v35, v[34:35], off
.LBB79_13:                              ;   in Loop: Header=BB79_9 Depth=1
	s_or_b64 exec, exec, s[0:1]
	v_mov_b32_e32 v18, s13
	v_add_co_u32_e32 v38, vcc, s12, v25
	v_addc_co_u32_e32 v39, vcc, v26, v18, vcc
	v_cmp_gt_u64_e64 s[0:1], s[14:15], v[38:39]
	v_mov_b32_e32 v33, 0
	v_mov_b32_e32 v34, 0
	s_and_saveexec_b64 s[6:7], s[0:1]
	s_cbranch_execz .LBB79_15
; %bb.14:                               ;   in Loop: Header=BB79_9 Depth=1
	v_mov_b32_e32 v18, s9
	v_add_co_u32_e32 v38, vcc, s8, v10
	v_addc_co_u32_e32 v39, vcc, v9, v18, vcc
	global_load_dword v34, v[38:39], off
.LBB79_15:                              ;   in Loop: Header=BB79_9 Depth=1
	s_or_b64 exec, exec, s[6:7]
	v_mov_b32_e32 v18, s13
	v_add_co_u32_e32 v38, vcc, s12, v17
	v_addc_co_u32_e32 v39, vcc, v24, v18, vcc
	v_cmp_gt_u64_e32 vcc, s[14:15], v[38:39]
	s_and_saveexec_b64 s[18:19], vcc
	s_cbranch_execnz .LBB79_20
; %bb.16:                               ;   in Loop: Header=BB79_9 Depth=1
	s_or_b64 exec, exec, s[18:19]
	s_and_saveexec_b64 s[6:7], s[4:5]
	s_cbranch_execnz .LBB79_21
.LBB79_17:                              ;   in Loop: Header=BB79_9 Depth=1
	s_or_b64 exec, exec, s[6:7]
	s_and_saveexec_b64 s[4:5], s[2:3]
	s_cbranch_execnz .LBB79_22
.LBB79_18:                              ;   in Loop: Header=BB79_9 Depth=1
	s_or_b64 exec, exec, s[4:5]
	s_and_saveexec_b64 s[2:3], s[0:1]
	s_cbranch_execnz .LBB79_23
.LBB79_19:                              ;   in Loop: Header=BB79_9 Depth=1
	s_or_b64 exec, exec, s[2:3]
	s_and_saveexec_b64 s[0:1], vcc
	s_cbranch_execz .LBB79_8
	s_branch .LBB79_24
.LBB79_20:                              ;   in Loop: Header=BB79_9 Depth=1
	v_mov_b32_e32 v18, s9
	v_add_co_u32_e64 v38, s[6:7], s8, v6
	v_addc_co_u32_e64 v39, s[6:7], v5, v18, s[6:7]
	global_load_dword v33, v[38:39], off
	s_or_b64 exec, exec, s[18:19]
	s_and_saveexec_b64 s[6:7], s[4:5]
	s_cbranch_execz .LBB79_17
.LBB79_21:                              ;   in Loop: Header=BB79_9 Depth=1
	s_waitcnt vmcnt(0)
	v_add_f32_e64 v20, |v36|, s22
	v_sub_f32_e64 v39, v20, |v36|
	v_and_b32_e32 v18, 0x7fffffff, v36
	v_sub_f32_e32 v38, v39, v20
	v_pk_add_f32 v[38:39], v[18:19], v[38:39]
	v_sub_f32_e32 v18, v38, v39
	v_add_f32_e32 v18, 0x3102e308, v18
	v_add_f32_e32 v22, v20, v18
	v_sub_f32_e32 v20, v20, v22
	v_add_f32_e32 v18, v18, v20
	v_mul_f32_e32 v20, 0x3fb8aa3b, v22
	v_rndne_f32_e32 v37, v20
	v_fmac_f32_e32 v22, 0xbf317200, v37
	v_add_f32_e32 v20, v18, v22
	v_mul_f32_e32 v38, 0x35bfbc00, v37
	v_sub_f32_e32 v40, v20, v38
	v_sub_f32_e32 v22, v22, v20
	;; [unrolled: 1-line block ×3, first 2 shown]
	v_add_f32_e32 v18, v18, v22
	v_sub_f32_e32 v20, v20, v38
	v_add_f32_e32 v18, v18, v20
	v_add_f32_e32 v41, v40, v18
	v_mul_f32_e32 v39, 0x2ea39ef3, v37
	v_mov_b32_e32 v38, v41
	v_pk_add_f32 v[42:43], v[40:41], v[38:39] neg_lo:[0,1] neg_hi:[0,1]
	v_sub_f32_e32 v20, v41, v43
	v_sub_f32_e32 v20, v20, v39
	v_add_f32_e32 v18, v18, v42
	v_add_f32_e32 v18, v18, v20
	;; [unrolled: 1-line block ×3, first 2 shown]
	v_mov_b32_e32 v20, 0x3c091de6
	v_sub_f32_e32 v39, v43, v22
	v_fmac_f32_e32 v20, 0x3ab42872, v22
	v_mul_f32_e32 v38, v22, v22
	v_add_f32_e32 v18, v18, v39
	v_fma_f32 v20, v22, v20, v29
	v_add_f32_e32 v39, v18, v18
	v_fma_f32 v40, v22, v22, -v38
	v_fma_f32 v20, v22, v20, v30
	v_fmac_f32_e32 v40, v22, v39
	v_fma_f32 v20, v22, v20, v31
	v_add_f32_e32 v39, v38, v40
	v_mul_f32_e32 v41, v20, v39
	v_sub_f32_e32 v38, v39, v38
	v_sub_f32_e32 v38, v40, v38
	v_fma_f32 v39, v39, v20, -v41
	v_fmac_f32_e32 v39, v38, v20
	v_add_f32_e32 v38, v41, v39
	v_add_f32_e32 v20, v22, v38
	v_sub_f32_e32 v40, v38, v41
	v_sub_f32_e32 v39, v39, v40
	;; [unrolled: 1-line block ×3, first 2 shown]
	v_add_f32_e32 v18, v18, v39
	v_sub_f32_e32 v22, v38, v22
	v_add_f32_e32 v38, v18, v22
	v_add_f32_e32 v40, v20, v38
	v_add_f32_e32 v41, 1.0, v40
	v_pk_add_f32 v[42:43], v[40:41], v[20:21] neg_lo:[0,1] neg_hi:[0,1]
	v_pk_add_f32 v[44:45], v[40:41], s[16:17]
	v_mov_b32_e32 v43, v45
	v_mov_b32_e32 v39, v40
	v_cvt_i32_f32_e32 v18, v37
	v_pk_add_f32 v[38:39], v[38:39], v[42:43] neg_lo:[0,1] neg_hi:[0,1]
	v_add_f32_e32 v20, v38, v39
	v_add_f32_e32 v22, v41, v20
	v_ldexp_f32 v37, v22, v18
	v_rcp_f32_e32 v46, v37
	v_sub_f32_e32 v22, v22, v41
	v_sub_f32_e32 v20, v20, v22
	v_ldexp_f32 v18, v20, v18
	v_mul_f32_e32 v38, v37, v46
	v_fma_f32 v40, v46, v37, -v38
	v_fmac_f32_e32 v40, v46, v18
	v_add_f32_e32 v22, v38, v40
	v_sub_f32_e32 v39, 1.0, v22
	v_pk_add_f32 v[42:43], v[22:23], v[38:39] neg_lo:[0,1] neg_hi:[0,1]
	v_mov_b32_e32 v41, v22
	v_pk_add_f32 v[40:41], v[42:43], v[40:41] neg_lo:[0,1] neg_hi:[0,1]
	v_add_f32_e32 v20, v40, v41
	v_add_f32_e32 v41, v39, v20
	v_mul_f32_e32 v22, v46, v41
	v_add_f32_e32 v47, v46, v22
	v_sub_f32_e32 v38, v47, v46
	v_mul_f32_e32 v42, v37, v22
	v_sub_f32_e32 v48, v22, v38
	v_fma_f32 v38, v22, v37, -v42
	v_fmac_f32_e32 v38, v22, v18
	v_add_f32_e32 v40, v42, v38
	v_sub_f32_e32 v43, v41, v40
	v_sub_f32_e32 v22, v39, v41
	v_pk_add_f32 v[44:45], v[40:41], v[42:43] neg_lo:[0,1] neg_hi:[0,1]
	v_mov_b32_e32 v39, v40
	v_add_f32_e32 v20, v20, v22
	v_pk_add_f32 v[38:39], v[44:45], v[38:39] neg_lo:[0,1] neg_hi:[0,1]
	v_add_f32_e32 v20, v20, v39
	v_add_f32_e32 v20, v38, v20
	;; [unrolled: 1-line block ×3, first 2 shown]
	v_mul_f32_e32 v20, v46, v20
	v_add_f32_e32 v20, v48, v20
	v_add_f32_e32 v22, v47, v20
	v_ldexp_f32 v38, v22, -2
	v_sub_f32_e32 v22, v22, v47
	v_sub_f32_e32 v20, v20, v22
	v_add_f32_e32 v39, v37, v38
	v_ldexp_f32 v20, v20, -2
	v_add_f32_e32 v18, v18, v20
	v_sub_f32_e32 v20, v39, v37
	v_sub_f32_e32 v20, v38, v20
	v_add_f32_e32 v18, v18, v20
	v_add_f32_e32 v18, v39, v18
	v_cmp_ngt_f32_e64 s[4:5], |v36|, s23
	v_cndmask_b32_e64 v18, v32, v18, s[4:5]
	v_mov_b32_e32 v20, s9
	v_add_co_u32_e64 v36, s[4:5], s8, v4
	v_addc_co_u32_e64 v37, s[4:5], v3, v20, s[4:5]
	global_store_dword v[36:37], v18, off
	s_or_b64 exec, exec, s[6:7]
	s_and_saveexec_b64 s[4:5], s[2:3]
	s_cbranch_execz .LBB79_18
.LBB79_22:                              ;   in Loop: Header=BB79_9 Depth=1
	s_waitcnt vmcnt(0)
	v_add_f32_e64 v18, |v35|, s22
	v_sub_f32_e64 v20, v18, |v35|
	v_sub_f32_e32 v22, v20, v18
	v_add_f32_e64 v22, |v35|, v22
	v_add_f32_e32 v20, 0x3f317218, v20
	v_sub_f32_e32 v20, v22, v20
	v_add_f32_e32 v20, 0x3102e308, v20
	v_add_f32_e32 v22, v18, v20
	v_sub_f32_e32 v18, v18, v22
	v_add_f32_e32 v18, v20, v18
	v_mul_f32_e32 v20, 0x3fb8aa3b, v22
	v_rndne_f32_e32 v20, v20
	v_fmac_f32_e32 v22, 0xbf317200, v20
	v_add_f32_e32 v36, v18, v22
	v_sub_f32_e32 v22, v22, v36
	v_add_f32_e32 v18, v18, v22
	v_mul_f32_e32 v22, 0x35bfbc00, v20
	v_sub_f32_e32 v37, v36, v22
	v_sub_f32_e32 v36, v36, v37
	;; [unrolled: 1-line block ×3, first 2 shown]
	v_add_f32_e32 v18, v18, v22
	v_add_f32_e32 v22, v37, v18
	v_sub_f32_e32 v36, v37, v22
	v_add_f32_e32 v18, v18, v36
	v_mul_f32_e32 v36, 0x2ea39ef3, v20
	v_sub_f32_e32 v37, v22, v36
	v_sub_f32_e32 v22, v22, v37
	;; [unrolled: 1-line block ×3, first 2 shown]
	v_add_f32_e32 v18, v18, v22
	v_add_f32_e32 v22, v37, v18
	v_sub_f32_e32 v37, v37, v22
	v_mov_b32_e32 v36, 0x3c091de6
	v_add_f32_e32 v18, v18, v37
	v_mul_f32_e32 v38, v22, v22
	v_fmac_f32_e32 v36, 0x3ab42872, v22
	v_add_f32_e32 v37, v18, v18
	v_fma_f32 v39, v22, v22, -v38
	v_fma_f32 v36, v22, v36, v29
	v_fmac_f32_e32 v39, v22, v37
	v_fma_f32 v36, v22, v36, v30
	v_add_f32_e32 v37, v38, v39
	v_fma_f32 v36, v22, v36, v31
	v_sub_f32_e32 v38, v37, v38
	v_sub_f32_e32 v38, v39, v38
	v_mul_f32_e32 v39, v36, v37
	v_fma_f32 v37, v37, v36, -v39
	v_fmac_f32_e32 v37, v38, v36
	v_add_f32_e32 v36, v39, v37
	v_sub_f32_e32 v38, v36, v39
	v_sub_f32_e32 v37, v37, v38
	v_add_f32_e32 v38, v22, v36
	v_sub_f32_e32 v22, v38, v22
	v_sub_f32_e32 v22, v36, v22
	v_add_f32_e32 v18, v18, v37
	v_add_f32_e32 v18, v18, v22
	;; [unrolled: 1-line block ×3, first 2 shown]
	v_sub_f32_e32 v36, v22, v38
	v_sub_f32_e32 v18, v18, v36
	v_add_f32_e32 v36, 1.0, v22
	v_add_f32_e32 v37, -1.0, v36
	v_cvt_i32_f32_e32 v20, v20
	v_sub_f32_e32 v22, v22, v37
	v_add_f32_e32 v18, v18, v22
	v_add_f32_e32 v22, v36, v18
	v_ldexp_f32 v37, v22, v20
	v_rcp_f32_e32 v38, v37
	v_sub_f32_e32 v22, v22, v36
	v_sub_f32_e32 v18, v18, v22
	v_ldexp_f32 v18, v18, v20
	v_mul_f32_e32 v20, v37, v38
	v_fma_f32 v22, v38, v37, -v20
	v_fmac_f32_e32 v22, v38, v18
	v_add_f32_e32 v36, v20, v22
	v_sub_f32_e32 v39, 1.0, v36
	v_sub_f32_e32 v40, 1.0, v39
	v_sub_f32_e32 v20, v36, v20
	v_sub_f32_e32 v40, v40, v36
	;; [unrolled: 1-line block ×3, first 2 shown]
	v_add_f32_e32 v20, v20, v40
	v_add_f32_e32 v22, v39, v20
	v_mul_f32_e32 v36, v38, v22
	v_mul_f32_e32 v40, v37, v36
	v_fma_f32 v41, v36, v37, -v40
	v_fmac_f32_e32 v41, v36, v18
	v_sub_f32_e32 v39, v39, v22
	v_add_f32_e32 v20, v20, v39
	v_add_f32_e32 v39, v40, v41
	v_sub_f32_e32 v42, v22, v39
	v_sub_f32_e32 v22, v22, v42
	;; [unrolled: 1-line block ×4, first 2 shown]
	v_add_f32_e32 v20, v20, v22
	v_sub_f32_e32 v22, v40, v41
	v_add_f32_e32 v20, v22, v20
	v_add_f32_e32 v20, v42, v20
	;; [unrolled: 1-line block ×3, first 2 shown]
	v_mul_f32_e32 v20, v38, v20
	v_sub_f32_e32 v38, v22, v38
	v_sub_f32_e32 v36, v36, v38
	v_add_f32_e32 v20, v36, v20
	v_add_f32_e32 v36, v22, v20
	v_sub_f32_e32 v22, v36, v22
	v_sub_f32_e32 v20, v20, v22
	v_ldexp_f32 v22, v36, -2
	v_add_f32_e32 v36, v37, v22
	v_ldexp_f32 v20, v20, -2
	v_sub_f32_e32 v37, v36, v37
	v_sub_f32_e32 v22, v22, v37
	v_add_f32_e32 v18, v18, v20
	v_add_f32_e32 v18, v18, v22
	;; [unrolled: 1-line block ×3, first 2 shown]
	v_cmp_ngt_f32_e64 s[2:3], |v35|, s23
	v_cndmask_b32_e64 v18, v32, v18, s[2:3]
	v_mov_b32_e32 v20, s9
	v_add_co_u32_e64 v36, s[2:3], s8, v16
	v_addc_co_u32_e64 v37, s[2:3], v15, v20, s[2:3]
	global_store_dword v[36:37], v18, off
	s_or_b64 exec, exec, s[4:5]
	s_and_saveexec_b64 s[2:3], s[0:1]
	s_cbranch_execz .LBB79_19
.LBB79_23:                              ;   in Loop: Header=BB79_9 Depth=1
	s_waitcnt vmcnt(0)
	v_add_f32_e64 v18, |v34|, s22
	v_sub_f32_e64 v20, v18, |v34|
	v_sub_f32_e32 v22, v20, v18
	v_add_f32_e64 v22, |v34|, v22
	v_add_f32_e32 v20, 0x3f317218, v20
	v_sub_f32_e32 v20, v22, v20
	v_add_f32_e32 v20, 0x3102e308, v20
	v_add_f32_e32 v22, v18, v20
	v_sub_f32_e32 v18, v18, v22
	v_add_f32_e32 v18, v20, v18
	v_mul_f32_e32 v20, 0x3fb8aa3b, v22
	v_rndne_f32_e32 v20, v20
	v_fmac_f32_e32 v22, 0xbf317200, v20
	v_add_f32_e32 v35, v18, v22
	v_sub_f32_e32 v22, v22, v35
	v_add_f32_e32 v18, v18, v22
	v_mul_f32_e32 v22, 0x35bfbc00, v20
	v_sub_f32_e32 v36, v35, v22
	v_sub_f32_e32 v35, v35, v36
	;; [unrolled: 1-line block ×3, first 2 shown]
	v_add_f32_e32 v18, v18, v22
	v_add_f32_e32 v22, v36, v18
	v_sub_f32_e32 v35, v36, v22
	v_add_f32_e32 v18, v18, v35
	v_mul_f32_e32 v35, 0x2ea39ef3, v20
	v_sub_f32_e32 v36, v22, v35
	v_sub_f32_e32 v22, v22, v36
	;; [unrolled: 1-line block ×3, first 2 shown]
	v_add_f32_e32 v18, v18, v22
	v_add_f32_e32 v22, v36, v18
	v_sub_f32_e32 v36, v36, v22
	v_mov_b32_e32 v35, 0x3c091de6
	v_add_f32_e32 v18, v18, v36
	v_mul_f32_e32 v37, v22, v22
	v_fmac_f32_e32 v35, 0x3ab42872, v22
	v_add_f32_e32 v36, v18, v18
	v_fma_f32 v38, v22, v22, -v37
	v_fma_f32 v35, v22, v35, v29
	v_fmac_f32_e32 v38, v22, v36
	v_fma_f32 v35, v22, v35, v30
	v_add_f32_e32 v36, v37, v38
	v_fma_f32 v35, v22, v35, v31
	v_sub_f32_e32 v37, v36, v37
	v_sub_f32_e32 v37, v38, v37
	v_mul_f32_e32 v38, v35, v36
	v_fma_f32 v36, v36, v35, -v38
	v_fmac_f32_e32 v36, v37, v35
	v_add_f32_e32 v35, v38, v36
	v_sub_f32_e32 v37, v35, v38
	v_sub_f32_e32 v36, v36, v37
	v_add_f32_e32 v37, v22, v35
	v_sub_f32_e32 v22, v37, v22
	v_sub_f32_e32 v22, v35, v22
	v_add_f32_e32 v18, v18, v36
	v_add_f32_e32 v18, v18, v22
	;; [unrolled: 1-line block ×3, first 2 shown]
	v_sub_f32_e32 v35, v22, v37
	v_sub_f32_e32 v18, v18, v35
	v_add_f32_e32 v35, 1.0, v22
	v_add_f32_e32 v36, -1.0, v35
	v_cvt_i32_f32_e32 v20, v20
	v_sub_f32_e32 v22, v22, v36
	v_add_f32_e32 v18, v18, v22
	v_add_f32_e32 v22, v35, v18
	v_ldexp_f32 v36, v22, v20
	v_rcp_f32_e32 v37, v36
	v_sub_f32_e32 v22, v22, v35
	v_sub_f32_e32 v18, v18, v22
	v_ldexp_f32 v18, v18, v20
	v_mul_f32_e32 v20, v36, v37
	v_fma_f32 v22, v37, v36, -v20
	v_fmac_f32_e32 v22, v37, v18
	v_add_f32_e32 v35, v20, v22
	v_sub_f32_e32 v38, 1.0, v35
	v_sub_f32_e32 v39, 1.0, v38
	v_sub_f32_e32 v20, v35, v20
	v_sub_f32_e32 v39, v39, v35
	;; [unrolled: 1-line block ×3, first 2 shown]
	v_add_f32_e32 v20, v20, v39
	v_add_f32_e32 v22, v38, v20
	v_mul_f32_e32 v35, v37, v22
	v_mul_f32_e32 v39, v36, v35
	v_fma_f32 v40, v35, v36, -v39
	v_fmac_f32_e32 v40, v35, v18
	v_sub_f32_e32 v38, v38, v22
	v_add_f32_e32 v20, v20, v38
	v_add_f32_e32 v38, v39, v40
	v_sub_f32_e32 v41, v22, v38
	v_sub_f32_e32 v22, v22, v41
	;; [unrolled: 1-line block ×4, first 2 shown]
	v_add_f32_e32 v20, v20, v22
	v_sub_f32_e32 v22, v39, v40
	v_add_f32_e32 v20, v22, v20
	v_add_f32_e32 v20, v41, v20
	v_add_f32_e32 v22, v37, v35
	v_mul_f32_e32 v20, v37, v20
	v_sub_f32_e32 v37, v22, v37
	v_sub_f32_e32 v35, v35, v37
	v_add_f32_e32 v20, v35, v20
	v_add_f32_e32 v35, v22, v20
	v_sub_f32_e32 v22, v35, v22
	v_sub_f32_e32 v20, v20, v22
	v_ldexp_f32 v22, v35, -2
	v_add_f32_e32 v35, v36, v22
	v_ldexp_f32 v20, v20, -2
	v_sub_f32_e32 v36, v35, v36
	v_sub_f32_e32 v22, v22, v36
	v_add_f32_e32 v18, v18, v20
	v_add_f32_e32 v18, v18, v22
	;; [unrolled: 1-line block ×3, first 2 shown]
	v_cmp_ngt_f32_e64 s[0:1], |v34|, s23
	v_cndmask_b32_e64 v18, v32, v18, s[0:1]
	v_mov_b32_e32 v20, s9
	v_add_co_u32_e64 v34, s[0:1], s8, v12
	v_addc_co_u32_e64 v35, s[0:1], v11, v20, s[0:1]
	global_store_dword v[34:35], v18, off
	s_or_b64 exec, exec, s[2:3]
	s_and_saveexec_b64 s[0:1], vcc
	s_cbranch_execz .LBB79_8
.LBB79_24:                              ;   in Loop: Header=BB79_9 Depth=1
	s_waitcnt vmcnt(0)
	v_add_f32_e64 v18, |v33|, s22
	v_sub_f32_e64 v20, v18, |v33|
	v_sub_f32_e32 v22, v20, v18
	v_add_f32_e64 v22, |v33|, v22
	v_add_f32_e32 v20, 0x3f317218, v20
	v_sub_f32_e32 v20, v22, v20
	v_add_f32_e32 v20, 0x3102e308, v20
	v_add_f32_e32 v22, v18, v20
	v_sub_f32_e32 v18, v18, v22
	v_add_f32_e32 v18, v20, v18
	v_mul_f32_e32 v20, 0x3fb8aa3b, v22
	v_rndne_f32_e32 v20, v20
	v_fmac_f32_e32 v22, 0xbf317200, v20
	v_add_f32_e32 v34, v18, v22
	v_sub_f32_e32 v22, v22, v34
	v_add_f32_e32 v18, v18, v22
	v_mul_f32_e32 v22, 0x35bfbc00, v20
	v_sub_f32_e32 v35, v34, v22
	v_sub_f32_e32 v34, v34, v35
	;; [unrolled: 1-line block ×3, first 2 shown]
	v_add_f32_e32 v18, v18, v22
	v_add_f32_e32 v22, v35, v18
	v_sub_f32_e32 v34, v35, v22
	v_add_f32_e32 v18, v18, v34
	v_mul_f32_e32 v34, 0x2ea39ef3, v20
	v_sub_f32_e32 v35, v22, v34
	v_sub_f32_e32 v22, v22, v35
	;; [unrolled: 1-line block ×3, first 2 shown]
	v_add_f32_e32 v18, v18, v22
	v_add_f32_e32 v22, v35, v18
	v_sub_f32_e32 v35, v35, v22
	v_mov_b32_e32 v34, 0x3c091de6
	v_add_f32_e32 v18, v18, v35
	v_mul_f32_e32 v36, v22, v22
	v_fmac_f32_e32 v34, 0x3ab42872, v22
	v_add_f32_e32 v35, v18, v18
	v_fma_f32 v37, v22, v22, -v36
	v_fma_f32 v34, v22, v34, v29
	v_fmac_f32_e32 v37, v22, v35
	v_fma_f32 v34, v22, v34, v30
	v_add_f32_e32 v35, v36, v37
	v_fma_f32 v34, v22, v34, v31
	v_sub_f32_e32 v36, v35, v36
	v_sub_f32_e32 v36, v37, v36
	v_mul_f32_e32 v37, v34, v35
	v_fma_f32 v35, v35, v34, -v37
	v_fmac_f32_e32 v35, v36, v34
	v_add_f32_e32 v34, v37, v35
	v_sub_f32_e32 v36, v34, v37
	v_sub_f32_e32 v35, v35, v36
	v_add_f32_e32 v36, v22, v34
	v_sub_f32_e32 v22, v36, v22
	v_sub_f32_e32 v22, v34, v22
	v_add_f32_e32 v18, v18, v35
	v_add_f32_e32 v18, v18, v22
	;; [unrolled: 1-line block ×3, first 2 shown]
	v_sub_f32_e32 v34, v22, v36
	v_sub_f32_e32 v18, v18, v34
	v_add_f32_e32 v34, 1.0, v22
	v_add_f32_e32 v35, -1.0, v34
	v_cvt_i32_f32_e32 v20, v20
	v_sub_f32_e32 v22, v22, v35
	v_add_f32_e32 v18, v18, v22
	v_add_f32_e32 v22, v34, v18
	v_ldexp_f32 v35, v22, v20
	v_rcp_f32_e32 v36, v35
	v_sub_f32_e32 v22, v22, v34
	v_sub_f32_e32 v18, v18, v22
	v_ldexp_f32 v18, v18, v20
	v_mul_f32_e32 v20, v35, v36
	v_fma_f32 v22, v36, v35, -v20
	v_fmac_f32_e32 v22, v36, v18
	v_add_f32_e32 v34, v20, v22
	v_sub_f32_e32 v37, 1.0, v34
	v_sub_f32_e32 v38, 1.0, v37
	v_sub_f32_e32 v20, v34, v20
	v_sub_f32_e32 v38, v38, v34
	;; [unrolled: 1-line block ×3, first 2 shown]
	v_add_f32_e32 v20, v20, v38
	v_add_f32_e32 v22, v37, v20
	v_mul_f32_e32 v34, v36, v22
	v_mul_f32_e32 v38, v35, v34
	v_fma_f32 v39, v34, v35, -v38
	v_fmac_f32_e32 v39, v34, v18
	v_sub_f32_e32 v37, v37, v22
	v_add_f32_e32 v20, v20, v37
	v_add_f32_e32 v37, v38, v39
	v_sub_f32_e32 v40, v22, v37
	v_sub_f32_e32 v22, v22, v40
	;; [unrolled: 1-line block ×4, first 2 shown]
	v_add_f32_e32 v20, v20, v22
	v_sub_f32_e32 v22, v38, v39
	v_add_f32_e32 v20, v22, v20
	v_add_f32_e32 v20, v40, v20
	;; [unrolled: 1-line block ×3, first 2 shown]
	v_mul_f32_e32 v20, v36, v20
	v_sub_f32_e32 v36, v22, v36
	v_sub_f32_e32 v34, v34, v36
	v_add_f32_e32 v20, v34, v20
	v_add_f32_e32 v34, v22, v20
	v_sub_f32_e32 v22, v34, v22
	v_sub_f32_e32 v20, v20, v22
	v_ldexp_f32 v22, v34, -2
	v_add_f32_e32 v34, v35, v22
	v_ldexp_f32 v20, v20, -2
	v_sub_f32_e32 v35, v34, v35
	v_sub_f32_e32 v22, v22, v35
	v_add_f32_e32 v18, v18, v20
	v_add_f32_e32 v18, v18, v22
	v_add_f32_e32 v18, v34, v18
	v_cmp_ngt_f32_e64 vcc, |v33|, s23
	v_cndmask_b32_e32 v18, v32, v18, vcc
	v_mov_b32_e32 v20, s9
	v_add_co_u32_e32 v34, vcc, s8, v8
	v_addc_co_u32_e32 v35, vcc, v7, v20, vcc
	global_store_dword v[34:35], v18, off
	s_branch .LBB79_8
.LBB79_25:
	s_endpgm
	.section	.rodata,"a",@progbits
	.p2align	6, 0x0
	.amdhsa_kernel _ZN2at6native12_GLOBAL__N_125multi_tensor_apply_kernelINS1_18TensorListMetadataILi2EEENS1_14UnaryOpFunctorIfLi2ELi1ELi1EEEJNS0_4CoshIfEEEEEvT_T0_DpT1_
		.amdhsa_group_segment_fixed_size 0
		.amdhsa_private_segment_fixed_size 0
		.amdhsa_kernarg_size 3408
		.amdhsa_user_sgpr_count 6
		.amdhsa_user_sgpr_private_segment_buffer 1
		.amdhsa_user_sgpr_dispatch_ptr 0
		.amdhsa_user_sgpr_queue_ptr 0
		.amdhsa_user_sgpr_kernarg_segment_ptr 1
		.amdhsa_user_sgpr_dispatch_id 0
		.amdhsa_user_sgpr_flat_scratch_init 0
		.amdhsa_user_sgpr_kernarg_preload_length 0
		.amdhsa_user_sgpr_kernarg_preload_offset 0
		.amdhsa_user_sgpr_private_segment_size 0
		.amdhsa_uses_dynamic_stack 0
		.amdhsa_system_sgpr_private_segment_wavefront_offset 0
		.amdhsa_system_sgpr_workgroup_id_x 1
		.amdhsa_system_sgpr_workgroup_id_y 0
		.amdhsa_system_sgpr_workgroup_id_z 0
		.amdhsa_system_sgpr_workgroup_info 0
		.amdhsa_system_vgpr_workitem_id 0
		.amdhsa_next_free_vgpr 54
		.amdhsa_next_free_sgpr 25
		.amdhsa_accum_offset 56
		.amdhsa_reserve_vcc 1
		.amdhsa_reserve_flat_scratch 0
		.amdhsa_float_round_mode_32 0
		.amdhsa_float_round_mode_16_64 0
		.amdhsa_float_denorm_mode_32 3
		.amdhsa_float_denorm_mode_16_64 3
		.amdhsa_dx10_clamp 1
		.amdhsa_ieee_mode 1
		.amdhsa_fp16_overflow 0
		.amdhsa_tg_split 0
		.amdhsa_exception_fp_ieee_invalid_op 0
		.amdhsa_exception_fp_denorm_src 0
		.amdhsa_exception_fp_ieee_div_zero 0
		.amdhsa_exception_fp_ieee_overflow 0
		.amdhsa_exception_fp_ieee_underflow 0
		.amdhsa_exception_fp_ieee_inexact 0
		.amdhsa_exception_int_div_zero 0
	.end_amdhsa_kernel
	.section	.text._ZN2at6native12_GLOBAL__N_125multi_tensor_apply_kernelINS1_18TensorListMetadataILi2EEENS1_14UnaryOpFunctorIfLi2ELi1ELi1EEEJNS0_4CoshIfEEEEEvT_T0_DpT1_,"axG",@progbits,_ZN2at6native12_GLOBAL__N_125multi_tensor_apply_kernelINS1_18TensorListMetadataILi2EEENS1_14UnaryOpFunctorIfLi2ELi1ELi1EEEJNS0_4CoshIfEEEEEvT_T0_DpT1_,comdat
.Lfunc_end79:
	.size	_ZN2at6native12_GLOBAL__N_125multi_tensor_apply_kernelINS1_18TensorListMetadataILi2EEENS1_14UnaryOpFunctorIfLi2ELi1ELi1EEEJNS0_4CoshIfEEEEEvT_T0_DpT1_, .Lfunc_end79-_ZN2at6native12_GLOBAL__N_125multi_tensor_apply_kernelINS1_18TensorListMetadataILi2EEENS1_14UnaryOpFunctorIfLi2ELi1ELi1EEEJNS0_4CoshIfEEEEEvT_T0_DpT1_
                                        ; -- End function
	.section	.AMDGPU.csdata,"",@progbits
; Kernel info:
; codeLenInByte = 5840
; NumSgprs: 29
; NumVgprs: 54
; NumAgprs: 0
; TotalNumVgprs: 54
; ScratchSize: 0
; MemoryBound: 0
; FloatMode: 240
; IeeeMode: 1
; LDSByteSize: 0 bytes/workgroup (compile time only)
; SGPRBlocks: 3
; VGPRBlocks: 6
; NumSGPRsForWavesPerEU: 29
; NumVGPRsForWavesPerEU: 54
; AccumOffset: 56
; Occupancy: 8
; WaveLimiterHint : 0
; COMPUTE_PGM_RSRC2:SCRATCH_EN: 0
; COMPUTE_PGM_RSRC2:USER_SGPR: 6
; COMPUTE_PGM_RSRC2:TRAP_HANDLER: 0
; COMPUTE_PGM_RSRC2:TGID_X_EN: 1
; COMPUTE_PGM_RSRC2:TGID_Y_EN: 0
; COMPUTE_PGM_RSRC2:TGID_Z_EN: 0
; COMPUTE_PGM_RSRC2:TIDIG_COMP_CNT: 0
; COMPUTE_PGM_RSRC3_GFX90A:ACCUM_OFFSET: 13
; COMPUTE_PGM_RSRC3_GFX90A:TG_SPLIT: 0
	.text
	.p2align	2                               ; -- Begin function _ZN6thrust23THRUST_200600_302600_NS6detail7complex5ccoshERKNS0_7complexIdEE
	.type	_ZN6thrust23THRUST_200600_302600_NS6detail7complex5ccoshERKNS0_7complexIdEE,@function
_ZN6thrust23THRUST_200600_302600_NS6detail7complex5ccoshERKNS0_7complexIdEE: ; @_ZN6thrust23THRUST_200600_302600_NS6detail7complex5ccoshERKNS0_7complexIdEE
; %bb.0:
	s_waitcnt vmcnt(0) expcnt(0) lgkmcnt(0)
	s_or_saveexec_b64 s[4:5], -1
	buffer_store_dword v40, off, s[0:3], s32 ; 4-byte Folded Spill
	s_mov_b64 exec, s[4:5]
	v_writelane_b32 v40, s34, 0
	v_writelane_b32 v40, s35, 1
	;; [unrolled: 1-line block ×8, first 2 shown]
	v_and_b32_e32 v8, 0x7fffffff, v1
	v_and_b32_e32 v9, 0x7fffffff, v3
	s_mov_b32 s6, 0x7ff00000
	v_max_u32_e32 v4, v8, v9
	s_mov_b32 s7, 0x7fefffff
	v_cmp_gt_u32_e64 s[4:5], s6, v8
	v_cmp_lt_u32_e32 vcc, s7, v4
                                        ; implicit-def: $vgpr6_vgpr7
                                        ; implicit-def: $vgpr4_vgpr5
	s_and_saveexec_b64 s[8:9], vcc
	s_xor_b64 s[12:13], exec, s[8:9]
	s_cbranch_execz .LBB80_36
; %bb.1:
	v_or_b32_e32 v4, v8, v0
	v_cmp_gt_u32_e32 vcc, s6, v9
	v_cmp_lt_u32_e64 s[6:7], s7, v9
	v_cmp_ne_u32_e64 s[8:9], 0, v4
	s_xor_b64 s[10:11], s[6:7], -1
	s_or_b64 s[8:9], s[8:9], s[10:11]
                                        ; implicit-def: $vgpr6_vgpr7
                                        ; implicit-def: $vgpr4_vgpr5
	s_and_saveexec_b64 s[10:11], s[8:9]
	s_xor_b64 s[14:15], exec, s[10:11]
	s_cbranch_execz .LBB80_33
; %bb.2:
	v_or_b32_e32 v4, v9, v2
	s_mov_b32 s16, 0x7ff00000
	v_cmp_ne_u32_e64 s[10:11], 0, v4
	s_mov_b32 s8, 0x7fefffff
	v_cmp_gt_u32_e64 s[16:17], s16, v8
	v_cmp_lt_u32_e64 s[8:9], s8, v8
	s_or_b64 s[10:11], s[16:17], s[10:11]
                                        ; implicit-def: $vgpr6_vgpr7
                                        ; implicit-def: $vgpr4_vgpr5
	s_and_saveexec_b64 s[18:19], s[10:11]
	s_xor_b64 s[10:11], exec, s[18:19]
	s_cbranch_execz .LBB80_26
; %bb.3:
	s_and_b64 s[4:5], s[4:5], s[6:7]
	s_xor_b64 s[4:5], s[4:5], -1
                                        ; implicit-def: $vgpr6_vgpr7
                                        ; implicit-def: $vgpr4_vgpr5
	s_and_saveexec_b64 s[6:7], s[4:5]
	s_xor_b64 s[6:7], exec, s[6:7]
	s_cbranch_execz .LBB80_23
; %bb.4:
	s_mov_b64 s[18:19], 0
	s_and_saveexec_b64 s[20:21], s[8:9]
; %bb.5:
	s_mov_b32 s4, 0xfffff
	v_and_or_b32 v4, v1, s4, v0
	v_cmp_ne_u32_e64 s[4:5], 0, v4
	s_andn2_b64 s[8:9], s[16:17], exec
	s_and_b64 s[4:5], s[4:5], exec
	s_mov_b64 s[18:19], exec
	s_or_b64 s[16:17], s[8:9], s[4:5]
; %bb.6:
	s_or_b64 exec, exec, s[20:21]
                                        ; implicit-def: $vgpr6_vgpr7
                                        ; implicit-def: $vgpr4_vgpr5
	s_and_saveexec_b64 s[4:5], s[16:17]
	s_xor_b64 s[4:5], exec, s[4:5]
	s_cbranch_execz .LBB80_8
; %bb.7:
	v_mul_f64 v[4:5], v[0:1], v[0:1]
	v_add_f64 v[6:7], v[2:3], -v[2:3]
	v_add_f64 v[8:9], v[0:1], v[0:1]
	v_mul_f64 v[4:5], v[4:5], v[6:7]
	v_mul_f64 v[6:7], v[8:9], v[6:7]
	s_andn2_b64 s[18:19], s[18:19], exec
	s_or_b64 exec, exec, s[4:5]
	s_and_saveexec_b64 s[8:9], s[18:19]
	s_cbranch_execz .LBB80_22
	s_branch .LBB80_9
.LBB80_8:
	s_or_b64 exec, exec, s[4:5]
	s_and_saveexec_b64 s[8:9], s[18:19]
	s_cbranch_execz .LBB80_22
.LBB80_9:
	v_mul_f64 v[4:5], v[0:1], v[0:1]
                                        ; implicit-def: $vgpr6_vgpr7
	s_and_saveexec_b64 s[4:5], vcc
	s_xor_b64 s[16:17], exec, s[4:5]
	s_cbranch_execz .LBB80_19
; %bb.10:
	s_mov_b32 s4, 0
	s_mov_b32 s5, 0x41d00000
	v_cmp_nlt_f64_e64 s[18:19], |v[2:3]|, s[4:5]
                                        ; implicit-def: $vgpr14
                                        ; implicit-def: $vgpr6_vgpr7
                                        ; implicit-def: $vgpr8_vgpr9
	s_and_saveexec_b64 s[4:5], s[18:19]
	s_xor_b64 s[20:21], exec, s[4:5]
	s_cbranch_execz .LBB80_12
; %bb.11:
	s_mov_b32 s4, 0
	s_mov_b32 s5, 0x7b000000
	s_movk_i32 s22, 0xff80
	v_and_b32_e32 v12, 0x7fffffff, v3
	v_ldexp_f64 v[10:11], |v[2:3]|, s22
	v_cmp_ge_f64_e64 vcc, |v[2:3]|, s[4:5]
	v_trig_preop_f64 v[6:7], |v[2:3]|, 0
	v_cndmask_b32_e32 v11, v12, v11, vcc
	v_cndmask_b32_e32 v10, v2, v10, vcc
	v_trig_preop_f64 v[8:9], |v[2:3]|, 1
	v_mul_f64 v[14:15], v[6:7], v[10:11]
	v_mul_f64 v[12:13], v[8:9], v[10:11]
	v_fma_f64 v[6:7], v[6:7], v[10:11], -v[14:15]
	v_add_f64 v[16:17], v[12:13], v[6:7]
	v_add_f64 v[18:19], v[14:15], v[16:17]
	s_mov_b32 s4, 0
	v_ldexp_f64 v[20:21], v[18:19], -2
	s_mov_b32 s5, 0x7ff00000
	v_fract_f64_e32 v[22:23], v[20:21]
	v_cmp_neq_f64_e64 vcc, |v[20:21]|, s[4:5]
	v_cndmask_b32_e32 v21, 0, v23, vcc
	v_cndmask_b32_e32 v20, 0, v22, vcc
	v_add_f64 v[22:23], v[16:17], -v[12:13]
	v_add_f64 v[6:7], v[6:7], -v[22:23]
	;; [unrolled: 1-line block ×4, first 2 shown]
	v_fma_f64 v[8:9], v[8:9], v[10:11], -v[12:13]
	v_trig_preop_f64 v[12:13], |v[2:3]|, 2
	v_add_f64 v[6:7], v[6:7], v[22:23]
	v_mul_f64 v[22:23], v[12:13], v[10:11]
	v_add_f64 v[26:27], v[22:23], v[8:9]
	v_add_f64 v[28:29], v[26:27], v[6:7]
	v_add_f64 v[14:15], v[18:19], -v[14:15]
	v_add_f64 v[18:19], v[28:29], -v[26:27]
	;; [unrolled: 1-line block ×5, first 2 shown]
	v_add_f64 v[6:7], v[6:7], v[18:19]
	v_add_f64 v[18:19], v[26:27], -v[22:23]
	v_add_f64 v[8:9], v[8:9], -v[18:19]
	;; [unrolled: 1-line block ×4, first 2 shown]
	v_add_f64 v[8:9], v[8:9], v[18:19]
	v_add_f64 v[14:15], v[16:17], -v[14:15]
	v_add_f64 v[6:7], v[8:9], v[6:7]
	v_fma_f64 v[8:9], v[12:13], v[10:11], -v[22:23]
	v_add_f64 v[16:17], v[14:15], v[28:29]
	v_add_f64 v[6:7], v[8:9], v[6:7]
	v_ldexp_f64 v[8:9], v[20:21], 2
	v_add_f64 v[10:11], v[16:17], v[8:9]
	v_mov_b32_e32 v12, 0x40100000
	v_cmp_gt_f64_e32 vcc, 0, v[10:11]
	v_mov_b32_e32 v24, 0
	v_cndmask_b32_e32 v25, 0, v12, vcc
	v_add_f64 v[8:9], v[8:9], v[24:25]
	v_add_f64 v[10:11], v[16:17], v[8:9]
	v_cvt_i32_f64_e32 v12, v[10:11]
	v_cvt_f64_i32_e32 v[10:11], v12
	v_add_f64 v[8:9], v[8:9], -v[10:11]
	v_add_f64 v[14:15], v[16:17], -v[14:15]
	v_add_f64 v[10:11], v[16:17], v[8:9]
	v_add_f64 v[14:15], v[28:29], -v[14:15]
	v_add_f64 v[8:9], v[10:11], -v[8:9]
	v_add_f64 v[6:7], v[14:15], v[6:7]
	v_add_f64 v[8:9], v[16:17], -v[8:9]
	v_add_f64 v[6:7], v[6:7], v[8:9]
	v_cmp_le_f64_e32 vcc, 0.5, v[10:11]
	v_mov_b32_e32 v8, 0x3ff00000
	v_cndmask_b32_e32 v25, 0, v8, vcc
	v_addc_co_u32_e64 v14, s[4:5], 0, v12, vcc
	v_add_f64 v[8:9], v[10:11], -v[24:25]
	v_add_f64 v[10:11], v[8:9], v[6:7]
	s_mov_b32 s4, 0x54442d18
	v_add_f64 v[8:9], v[10:11], -v[8:9]
	s_mov_b32 s5, 0x3ff921fb
	v_add_f64 v[6:7], v[6:7], -v[8:9]
	v_mul_f64 v[8:9], v[10:11], s[4:5]
	s_mov_b32 s22, 0x33145c07
	v_fma_f64 v[12:13], v[10:11], s[4:5], -v[8:9]
	s_mov_b32 s23, 0x3c91a626
	v_fmac_f64_e32 v[12:13], s[22:23], v[10:11]
	v_fmac_f64_e32 v[12:13], s[4:5], v[6:7]
	v_add_f64 v[6:7], v[8:9], v[12:13]
	v_add_f64 v[8:9], v[6:7], -v[8:9]
	v_add_f64 v[8:9], v[12:13], -v[8:9]
	s_andn2_saveexec_b64 s[4:5], s[20:21]
	s_cbranch_execz .LBB80_14
	s_branch .LBB80_13
.LBB80_12:
	s_andn2_saveexec_b64 s[4:5], s[20:21]
	s_cbranch_execz .LBB80_14
.LBB80_13:
	s_mov_b32 s20, 0x6dc9c883
	s_mov_b32 s21, 0x3fe45f30
	v_mul_f64 v[6:7], |v[2:3]|, s[20:21]
	s_mov_b32 s20, 0x54442d18
	v_rndne_f64_e32 v[10:11], v[6:7]
	s_mov_b32 s21, 0xbff921fb
	v_fma_f64 v[6:7], v[10:11], s[20:21], |v[2:3]|
	s_mov_b32 s21, 0xbc91a626
	s_mov_b32 s20, 0x33145c00
	v_mul_f64 v[12:13], v[10:11], s[20:21]
	v_add_f64 v[16:17], v[6:7], v[12:13]
	v_fma_f64 v[8:9], s[20:21], v[10:11], v[6:7]
	s_mov_b32 s21, 0x3c91a626
	v_add_f64 v[6:7], v[6:7], -v[16:17]
	v_fma_f64 v[14:15], s[20:21], v[10:11], v[12:13]
	v_add_f64 v[6:7], v[6:7], v[12:13]
	v_add_f64 v[12:13], v[16:17], -v[8:9]
	v_add_f64 v[6:7], v[12:13], v[6:7]
	s_mov_b32 s20, 0x252049c0
	v_add_f64 v[12:13], v[6:7], -v[14:15]
	s_mov_b32 s21, 0xb97b839a
	v_fmac_f64_e32 v[12:13], s[20:21], v[10:11]
	v_add_f64 v[6:7], v[8:9], v[12:13]
	v_add_f64 v[8:9], v[6:7], -v[8:9]
	v_add_f64 v[8:9], v[12:13], -v[8:9]
	v_cvt_i32_f64_e32 v14, v[10:11]
.LBB80_14:
	s_or_b64 exec, exec, s[4:5]
                                        ; implicit-def: $vgpr15
                                        ; implicit-def: $vgpr10_vgpr11
                                        ; implicit-def: $vgpr12_vgpr13
	s_and_saveexec_b64 s[4:5], s[18:19]
	s_xor_b64 s[18:19], exec, s[4:5]
	s_cbranch_execz .LBB80_16
; %bb.15:
	s_mov_b32 s4, 0
	s_mov_b32 s5, 0x7b000000
	s_movk_i32 s20, 0xff80
	v_and_b32_e32 v15, 0x7fffffff, v3
	v_ldexp_f64 v[16:17], |v[2:3]|, s20
	v_cmp_ge_f64_e64 vcc, |v[2:3]|, s[4:5]
	v_trig_preop_f64 v[10:11], |v[2:3]|, 0
	v_cndmask_b32_e32 v17, v15, v17, vcc
	v_cndmask_b32_e32 v16, v2, v16, vcc
	v_trig_preop_f64 v[12:13], |v[2:3]|, 1
	v_mul_f64 v[20:21], v[10:11], v[16:17]
	v_mul_f64 v[18:19], v[12:13], v[16:17]
	v_fma_f64 v[10:11], v[10:11], v[16:17], -v[20:21]
	v_add_f64 v[22:23], v[18:19], v[10:11]
	v_add_f64 v[24:25], v[20:21], v[22:23]
	s_mov_b32 s4, 0
	v_ldexp_f64 v[26:27], v[24:25], -2
	s_mov_b32 s5, 0x7ff00000
	v_fract_f64_e32 v[28:29], v[26:27]
	v_cmp_neq_f64_e64 vcc, |v[26:27]|, s[4:5]
	v_cndmask_b32_e32 v27, 0, v29, vcc
	v_cndmask_b32_e32 v26, 0, v28, vcc
	v_add_f64 v[28:29], v[22:23], -v[18:19]
	v_add_f64 v[10:11], v[10:11], -v[28:29]
	;; [unrolled: 1-line block ×4, first 2 shown]
	v_fma_f64 v[12:13], v[12:13], v[16:17], -v[18:19]
	v_trig_preop_f64 v[18:19], |v[2:3]|, 2
	v_add_f64 v[10:11], v[10:11], v[28:29]
	v_mul_f64 v[28:29], v[18:19], v[16:17]
	v_add_f64 v[32:33], v[28:29], v[12:13]
	v_add_f64 v[34:35], v[32:33], v[10:11]
	v_add_f64 v[20:21], v[24:25], -v[20:21]
	v_add_f64 v[24:25], v[34:35], -v[32:33]
	;; [unrolled: 1-line block ×5, first 2 shown]
	v_add_f64 v[10:11], v[10:11], v[24:25]
	v_add_f64 v[24:25], v[32:33], -v[28:29]
	v_add_f64 v[12:13], v[12:13], -v[24:25]
	;; [unrolled: 1-line block ×4, first 2 shown]
	v_add_f64 v[12:13], v[12:13], v[24:25]
	v_add_f64 v[20:21], v[22:23], -v[20:21]
	v_add_f64 v[10:11], v[12:13], v[10:11]
	v_fma_f64 v[12:13], v[18:19], v[16:17], -v[28:29]
	v_add_f64 v[22:23], v[20:21], v[34:35]
	v_add_f64 v[10:11], v[12:13], v[10:11]
	v_ldexp_f64 v[12:13], v[26:27], 2
	v_add_f64 v[16:17], v[22:23], v[12:13]
	v_mov_b32_e32 v15, 0x40100000
	v_cmp_gt_f64_e32 vcc, 0, v[16:17]
	v_mov_b32_e32 v30, 0
	v_cndmask_b32_e32 v31, 0, v15, vcc
	v_add_f64 v[12:13], v[12:13], v[30:31]
	v_add_f64 v[16:17], v[22:23], v[12:13]
	v_cvt_i32_f64_e32 v15, v[16:17]
	v_cvt_f64_i32_e32 v[16:17], v15
	v_add_f64 v[12:13], v[12:13], -v[16:17]
	v_add_f64 v[20:21], v[22:23], -v[20:21]
	v_add_f64 v[16:17], v[22:23], v[12:13]
	v_add_f64 v[20:21], v[34:35], -v[20:21]
	v_add_f64 v[12:13], v[16:17], -v[12:13]
	v_add_f64 v[10:11], v[20:21], v[10:11]
	v_add_f64 v[12:13], v[22:23], -v[12:13]
	v_add_f64 v[10:11], v[10:11], v[12:13]
	v_cmp_le_f64_e32 vcc, 0.5, v[16:17]
	v_mov_b32_e32 v12, 0x3ff00000
	v_cndmask_b32_e32 v31, 0, v12, vcc
	v_addc_co_u32_e64 v15, s[4:5], 0, v15, vcc
	v_add_f64 v[12:13], v[16:17], -v[30:31]
	v_add_f64 v[16:17], v[12:13], v[10:11]
	s_mov_b32 s4, 0x54442d18
	v_add_f64 v[12:13], v[16:17], -v[12:13]
	s_mov_b32 s5, 0x3ff921fb
	v_add_f64 v[10:11], v[10:11], -v[12:13]
	v_mul_f64 v[12:13], v[16:17], s[4:5]
	s_mov_b32 s20, 0x33145c07
	v_fma_f64 v[18:19], v[16:17], s[4:5], -v[12:13]
	s_mov_b32 s21, 0x3c91a626
	v_fmac_f64_e32 v[18:19], s[20:21], v[16:17]
	v_fmac_f64_e32 v[18:19], s[4:5], v[10:11]
	v_add_f64 v[10:11], v[12:13], v[18:19]
	v_add_f64 v[12:13], v[10:11], -v[12:13]
	v_add_f64 v[12:13], v[18:19], -v[12:13]
	s_andn2_saveexec_b64 s[4:5], s[18:19]
	s_cbranch_execnz .LBB80_17
	s_branch .LBB80_18
.LBB80_16:
	s_andn2_saveexec_b64 s[4:5], s[18:19]
	s_cbranch_execz .LBB80_18
.LBB80_17:
	s_mov_b32 s18, 0x6dc9c883
	s_mov_b32 s19, 0x3fe45f30
	v_mul_f64 v[10:11], |v[2:3]|, s[18:19]
	s_mov_b32 s18, 0x54442d18
	v_rndne_f64_e32 v[16:17], v[10:11]
	s_mov_b32 s19, 0xbff921fb
	v_fma_f64 v[10:11], v[16:17], s[18:19], |v[2:3]|
	s_mov_b32 s19, 0xbc91a626
	s_mov_b32 s18, 0x33145c00
	v_mul_f64 v[18:19], v[16:17], s[18:19]
	v_add_f64 v[22:23], v[10:11], v[18:19]
	v_fma_f64 v[12:13], s[18:19], v[16:17], v[10:11]
	s_mov_b32 s19, 0x3c91a626
	v_add_f64 v[10:11], v[10:11], -v[22:23]
	v_fma_f64 v[20:21], s[18:19], v[16:17], v[18:19]
	v_add_f64 v[10:11], v[10:11], v[18:19]
	v_add_f64 v[18:19], v[22:23], -v[12:13]
	v_add_f64 v[10:11], v[18:19], v[10:11]
	s_mov_b32 s18, 0x252049c0
	v_add_f64 v[18:19], v[10:11], -v[20:21]
	s_mov_b32 s19, 0xb97b839a
	v_fmac_f64_e32 v[18:19], s[18:19], v[16:17]
	v_add_f64 v[10:11], v[12:13], v[18:19]
	v_add_f64 v[12:13], v[10:11], -v[12:13]
	v_add_f64 v[12:13], v[18:19], -v[12:13]
	v_cvt_i32_f64_e32 v15, v[16:17]
.LBB80_18:
	s_or_b64 exec, exec, s[4:5]
	s_mov_b32 s18, 0x9037ab78
	s_mov_b32 s19, 0x3e21eeb6
	;; [unrolled: 1-line block ×3, first 2 shown]
	v_mul_f64 v[16:17], v[6:7], v[6:7]
	s_mov_b32 s5, 0xbda907db
	v_pk_mov_b32 v[24:25], s[18:19], s[18:19] op_sel:[0,1]
	s_mov_b32 s18, 0xa17f65f6
	v_mul_f64 v[18:19], v[16:17], 0.5
	v_fma_f64 v[26:27], s[4:5], v[16:17], v[24:25]
	s_mov_b32 s19, 0xbe927e4f
	s_mov_b32 s20, 0x19f4ec90
	v_add_f64 v[20:21], -v[18:19], 1.0
	v_fma_f64 v[26:27], v[16:17], v[26:27], s[18:19]
	s_mov_b32 s21, 0x3efa01a0
	s_mov_b32 s22, 0x16c16967
	v_add_f64 v[22:23], -v[20:21], 1.0
	v_fma_f64 v[26:27], v[16:17], v[26:27], s[20:21]
	s_mov_b32 s23, 0xbf56c16c
	s_mov_b32 s24, 0x55555555
	v_add_f64 v[18:19], v[22:23], -v[18:19]
	v_fma_f64 v[26:27], v[16:17], v[26:27], s[22:23]
	s_mov_b32 s25, 0x3fa55555
	v_mul_f64 v[22:23], v[16:17], v[16:17]
	v_fma_f64 v[26:27], v[16:17], v[26:27], s[24:25]
	v_fma_f64 v[18:19], v[6:7], -v[8:9], v[18:19]
	s_mov_b32 s26, 0xb42fdfa7
	v_fmac_f64_e32 v[18:19], v[22:23], v[26:27]
	s_mov_b32 s27, 0xbe5ae600
	s_mov_b32 s28, 0xf9a43bb8
	v_add_f64 v[18:19], v[20:21], v[18:19]
	s_mov_b32 s29, 0x3de5e0b2
	v_pk_mov_b32 v[20:21], s[26:27], s[26:27] op_sel:[0,1]
	s_mov_b32 s26, 0x796cde01
	v_fma_f64 v[22:23], s[28:29], v[16:17], v[20:21]
	s_mov_b32 s27, 0x3ec71de3
	s_mov_b32 s30, 0x19e83e5c
	v_fma_f64 v[22:23], v[16:17], v[22:23], s[26:27]
	s_mov_b32 s31, 0xbf2a01a0
	;; [unrolled: 3-line block ×3, first 2 shown]
	v_fma_f64 v[22:23], v[16:17], v[22:23], s[34:35]
	v_mul_f64 v[26:27], v[6:7], -v[16:17]
	v_mul_f64 v[28:29], v[8:9], 0.5
	v_fmac_f64_e32 v[28:29], v[26:27], v[22:23]
	v_fma_f64 v[8:9], v[16:17], v[28:29], -v[8:9]
	s_mov_b32 s37, 0xbfc55555
	s_mov_b32 s36, s24
	v_fmac_f64_e32 v[8:9], s[36:37], v[26:27]
	v_add_f64 v[6:7], v[6:7], -v[8:9]
	v_and_b32_e32 v8, 1, v14
	v_xor_b32_e32 v7, 0x80000000, v7
	v_cmp_eq_u32_e32 vcc, 0, v8
	v_lshlrev_b32_e32 v8, 30, v14
	v_cndmask_b32_e32 v6, v6, v18, vcc
	v_cndmask_b32_e32 v7, v7, v19, vcc
	v_and_b32_e32 v8, 0x80000000, v8
	s_movk_i32 vcc_lo, 0x1f8
	v_xor_b32_e32 v7, v7, v8
	v_cmp_class_f64_e64 vcc, v[2:3], vcc_lo
	v_mov_b32_e32 v14, 0x7ff80000
	v_cndmask_b32_e32 v6, 0, v6, vcc
	v_cndmask_b32_e32 v7, v14, v7, vcc
	v_mul_f64 v[4:5], v[4:5], v[6:7]
	v_mul_f64 v[6:7], v[10:11], v[10:11]
	v_mul_f64 v[8:9], v[6:7], 0.5
	v_fmac_f64_e32 v[24:25], s[4:5], v[6:7]
	v_add_f64 v[16:17], -v[8:9], 1.0
	v_fma_f64 v[22:23], v[6:7], v[24:25], s[18:19]
	v_add_f64 v[18:19], -v[16:17], 1.0
	v_fma_f64 v[22:23], v[6:7], v[22:23], s[20:21]
	v_add_f64 v[8:9], v[18:19], -v[8:9]
	v_fma_f64 v[22:23], v[6:7], v[22:23], s[22:23]
	v_mul_f64 v[18:19], v[6:7], v[6:7]
	v_fma_f64 v[22:23], v[6:7], v[22:23], s[24:25]
	v_fma_f64 v[8:9], v[10:11], -v[12:13], v[8:9]
	v_fmac_f64_e32 v[8:9], v[18:19], v[22:23]
	v_fmac_f64_e32 v[20:21], s[28:29], v[6:7]
	v_add_f64 v[8:9], v[16:17], v[8:9]
	v_fma_f64 v[16:17], v[6:7], v[20:21], s[26:27]
	v_fma_f64 v[16:17], v[6:7], v[16:17], s[30:31]
	v_fma_f64 v[16:17], v[6:7], v[16:17], s[34:35]
	v_mul_f64 v[18:19], v[10:11], -v[6:7]
	v_mul_f64 v[20:21], v[12:13], 0.5
	v_fmac_f64_e32 v[20:21], v[18:19], v[16:17]
	v_fma_f64 v[6:7], v[6:7], v[20:21], -v[12:13]
	v_fmac_f64_e32 v[6:7], s[36:37], v[18:19]
	v_and_b32_e32 v2, 1, v15
	v_add_f64 v[6:7], v[10:11], -v[6:7]
	v_cmp_eq_u32_e64 s[4:5], 0, v2
	v_cndmask_b32_e64 v2, v8, v6, s[4:5]
	v_cndmask_b32_e64 v6, v9, v7, s[4:5]
	v_lshlrev_b32_e32 v7, 30, v15
	v_xor_b32_e32 v3, v7, v3
	v_and_b32_e32 v3, 0x80000000, v3
	v_xor_b32_e32 v3, v6, v3
	v_cndmask_b32_e32 v2, 0, v2, vcc
	v_cndmask_b32_e32 v3, v14, v3, vcc
	v_mul_f64 v[6:7], v[2:3], v[0:1]
                                        ; implicit-def: $vgpr2_vgpr3
                                        ; implicit-def: $vgpr0_vgpr1
.LBB80_19:
	s_andn2_saveexec_b64 s[4:5], s[16:17]
; %bb.20:
	v_add_f64 v[2:3], v[2:3], -v[2:3]
	v_mul_f64 v[6:7], v[2:3], v[0:1]
; %bb.21:
	s_or_b64 exec, exec, s[4:5]
.LBB80_22:
	s_or_b64 exec, exec, s[8:9]
                                        ; implicit-def: $vgpr2_vgpr3
                                        ; implicit-def: $vgpr0_vgpr1
.LBB80_23:
	s_andn2_saveexec_b64 s[4:5], s[6:7]
; %bb.24:
	v_add_f64 v[4:5], v[2:3], -v[2:3]
	v_mul_f64 v[6:7], v[4:5], v[0:1]
; %bb.25:
	s_or_b64 exec, exec, s[4:5]
                                        ; implicit-def: $vgpr0_vgpr1
                                        ; implicit-def: $vgpr2_vgpr3
.LBB80_26:
	s_andn2_saveexec_b64 s[4:5], s[10:11]
	s_cbranch_execz .LBB80_32
; %bb.27:
	s_mov_b32 s6, 0xfffff
	v_and_or_b32 v4, v1, s6, v0
	v_cmp_ne_u32_e32 vcc, 0, v4
	v_mul_f64 v[4:5], v[0:1], v[0:1]
                                        ; implicit-def: $vgpr6_vgpr7
	s_and_saveexec_b64 s[6:7], vcc
	s_xor_b64 s[6:7], exec, s[6:7]
; %bb.28:
	v_add_f64 v[0:1], v[0:1], v[0:1]
	v_mul_f64 v[0:1], v[0:1], v[2:3]
	s_brev_b32 s8, -2
	v_mov_b32_e32 v6, 0
	v_bfi_b32 v7, s8, 0, v1
                                        ; implicit-def: $vgpr0_vgpr1
                                        ; implicit-def: $vgpr2_vgpr3
; %bb.29:
	s_andn2_saveexec_b64 s[6:7], s[6:7]
; %bb.30:
	s_brev_b32 s8, -2
	v_mov_b32_e32 v0, 0
	v_bfi_b32 v1, s8, 0, v1
	v_mul_f64 v[6:7], v[0:1], v[2:3]
; %bb.31:
	s_or_b64 exec, exec, s[6:7]
.LBB80_32:
	s_or_b64 exec, exec, s[4:5]
                                        ; implicit-def: $vgpr2_vgpr3
                                        ; implicit-def: $vgpr0_vgpr1
.LBB80_33:
	s_andn2_saveexec_b64 s[4:5], s[14:15]
; %bb.34:
	v_add_f64 v[4:5], v[2:3], -v[2:3]
	v_mul_f64 v[0:1], v[4:5], v[0:1]
	s_brev_b32 s6, -2
	v_mov_b32_e32 v6, 0
	v_bfi_b32 v7, s6, 0, v1
; %bb.35:
	s_or_b64 exec, exec, s[4:5]
                                        ; implicit-def: $vgpr0_vgpr1
                                        ; implicit-def: $vgpr2_vgpr3
                                        ; implicit-def: $vgpr9
                                        ; implicit-def: $vgpr8
.LBB80_36:
	s_andn2_saveexec_b64 s[8:9], s[12:13]
	s_cbranch_execz .LBB80_86
; %bb.37:
	v_or_b32_e32 v4, v9, v2
	v_cmp_ne_u32_e32 vcc, 0, v4
                                        ; implicit-def: $vgpr6_vgpr7
                                        ; implicit-def: $vgpr4_vgpr5
	s_and_saveexec_b64 s[4:5], vcc
	s_xor_b64 s[10:11], exec, s[4:5]
	s_cbranch_execz .LBB80_83
; %bb.38:
	s_mov_b32 s4, 0x4035ffff
	v_cmp_lt_u32_e32 vcc, s4, v8
                                        ; implicit-def: $vgpr6_vgpr7
                                        ; implicit-def: $vgpr4_vgpr5
	s_and_saveexec_b64 s[4:5], vcc
	s_xor_b64 s[12:13], exec, s[4:5]
	s_cbranch_execz .LBB80_72
; %bb.39:
	s_mov_b32 s4, 0x40862e41
	v_cmp_lt_u32_e32 vcc, s4, v8
	;; [unrolled: 8-line block ×3, first 2 shown]
                                        ; implicit-def: $vgpr6_vgpr7
                                        ; implicit-def: $vgpr4_vgpr5
	s_and_saveexec_b64 s[4:5], vcc
	s_xor_b64 s[6:7], exec, s[4:5]
	s_cbranch_execz .LBB80_50
; %bb.41:
	s_mov_b32 s4, 0
	s_mov_b32 s5, 0x41d00000
	v_cmp_nlt_f64_e64 s[16:17], |v[2:3]|, s[4:5]
                                        ; implicit-def: $vgpr12
                                        ; implicit-def: $vgpr4_vgpr5
                                        ; implicit-def: $vgpr6_vgpr7
	s_and_saveexec_b64 s[4:5], s[16:17]
	s_xor_b64 s[18:19], exec, s[4:5]
	s_cbranch_execz .LBB80_43
; %bb.42:
	s_mov_b32 s4, 0
	s_mov_b32 s5, 0x7b000000
	s_movk_i32 s20, 0xff80
	v_and_b32_e32 v10, 0x7fffffff, v3
	v_ldexp_f64 v[8:9], |v[2:3]|, s20
	v_cmp_ge_f64_e64 vcc, |v[2:3]|, s[4:5]
	v_trig_preop_f64 v[4:5], |v[2:3]|, 0
	v_cndmask_b32_e32 v9, v10, v9, vcc
	v_cndmask_b32_e32 v8, v2, v8, vcc
	v_trig_preop_f64 v[6:7], |v[2:3]|, 1
	v_mul_f64 v[12:13], v[4:5], v[8:9]
	v_mul_f64 v[10:11], v[6:7], v[8:9]
	v_fma_f64 v[4:5], v[4:5], v[8:9], -v[12:13]
	v_add_f64 v[14:15], v[10:11], v[4:5]
	v_add_f64 v[16:17], v[12:13], v[14:15]
	s_mov_b32 s4, 0
	v_ldexp_f64 v[18:19], v[16:17], -2
	s_mov_b32 s5, 0x7ff00000
	v_fract_f64_e32 v[20:21], v[18:19]
	v_cmp_neq_f64_e64 vcc, |v[18:19]|, s[4:5]
	v_cndmask_b32_e32 v19, 0, v21, vcc
	v_cndmask_b32_e32 v18, 0, v20, vcc
	v_add_f64 v[20:21], v[14:15], -v[10:11]
	v_add_f64 v[4:5], v[4:5], -v[20:21]
	v_add_f64 v[20:21], v[14:15], -v[20:21]
	v_add_f64 v[20:21], v[10:11], -v[20:21]
	v_fma_f64 v[6:7], v[6:7], v[8:9], -v[10:11]
	v_trig_preop_f64 v[10:11], |v[2:3]|, 2
	v_add_f64 v[4:5], v[4:5], v[20:21]
	v_mul_f64 v[20:21], v[10:11], v[8:9]
	v_add_f64 v[24:25], v[20:21], v[6:7]
	v_add_f64 v[26:27], v[24:25], v[4:5]
	v_add_f64 v[12:13], v[16:17], -v[12:13]
	v_add_f64 v[16:17], v[26:27], -v[24:25]
	;; [unrolled: 1-line block ×5, first 2 shown]
	v_add_f64 v[4:5], v[4:5], v[16:17]
	v_add_f64 v[16:17], v[24:25], -v[20:21]
	v_add_f64 v[6:7], v[6:7], -v[16:17]
	;; [unrolled: 1-line block ×4, first 2 shown]
	v_add_f64 v[6:7], v[6:7], v[16:17]
	v_add_f64 v[12:13], v[14:15], -v[12:13]
	v_add_f64 v[4:5], v[6:7], v[4:5]
	v_fma_f64 v[6:7], v[10:11], v[8:9], -v[20:21]
	v_add_f64 v[14:15], v[12:13], v[26:27]
	v_add_f64 v[4:5], v[6:7], v[4:5]
	v_ldexp_f64 v[6:7], v[18:19], 2
	v_add_f64 v[8:9], v[14:15], v[6:7]
	v_mov_b32_e32 v10, 0x40100000
	v_cmp_gt_f64_e32 vcc, 0, v[8:9]
	v_mov_b32_e32 v22, 0
	v_cndmask_b32_e32 v23, 0, v10, vcc
	v_add_f64 v[6:7], v[6:7], v[22:23]
	v_add_f64 v[8:9], v[14:15], v[6:7]
	v_cvt_i32_f64_e32 v10, v[8:9]
	v_cvt_f64_i32_e32 v[8:9], v10
	v_add_f64 v[6:7], v[6:7], -v[8:9]
	v_add_f64 v[12:13], v[14:15], -v[12:13]
	v_add_f64 v[8:9], v[14:15], v[6:7]
	v_add_f64 v[12:13], v[26:27], -v[12:13]
	v_add_f64 v[6:7], v[8:9], -v[6:7]
	v_add_f64 v[4:5], v[12:13], v[4:5]
	v_add_f64 v[6:7], v[14:15], -v[6:7]
	v_add_f64 v[4:5], v[4:5], v[6:7]
	v_cmp_le_f64_e32 vcc, 0.5, v[8:9]
	v_mov_b32_e32 v6, 0x3ff00000
	v_cndmask_b32_e32 v23, 0, v6, vcc
	v_addc_co_u32_e64 v12, s[4:5], 0, v10, vcc
	v_add_f64 v[6:7], v[8:9], -v[22:23]
	v_add_f64 v[8:9], v[6:7], v[4:5]
	s_mov_b32 s4, 0x54442d18
	v_add_f64 v[6:7], v[8:9], -v[6:7]
	s_mov_b32 s5, 0x3ff921fb
	v_add_f64 v[4:5], v[4:5], -v[6:7]
	v_mul_f64 v[6:7], v[8:9], s[4:5]
	s_mov_b32 s20, 0x33145c07
	v_fma_f64 v[10:11], v[8:9], s[4:5], -v[6:7]
	s_mov_b32 s21, 0x3c91a626
	v_fmac_f64_e32 v[10:11], s[20:21], v[8:9]
	v_fmac_f64_e32 v[10:11], s[4:5], v[4:5]
	v_add_f64 v[4:5], v[6:7], v[10:11]
	v_add_f64 v[6:7], v[4:5], -v[6:7]
	v_add_f64 v[6:7], v[10:11], -v[6:7]
	s_andn2_saveexec_b64 s[4:5], s[18:19]
	s_cbranch_execz .LBB80_45
	s_branch .LBB80_44
.LBB80_43:
	s_andn2_saveexec_b64 s[4:5], s[18:19]
	s_cbranch_execz .LBB80_45
.LBB80_44:
	s_mov_b32 s18, 0x6dc9c883
	s_mov_b32 s19, 0x3fe45f30
	v_mul_f64 v[4:5], |v[2:3]|, s[18:19]
	s_mov_b32 s18, 0x54442d18
	v_rndne_f64_e32 v[8:9], v[4:5]
	s_mov_b32 s19, 0xbff921fb
	v_fma_f64 v[4:5], v[8:9], s[18:19], |v[2:3]|
	s_mov_b32 s19, 0xbc91a626
	s_mov_b32 s18, 0x33145c00
	v_mul_f64 v[10:11], v[8:9], s[18:19]
	v_add_f64 v[14:15], v[4:5], v[10:11]
	v_fma_f64 v[6:7], s[18:19], v[8:9], v[4:5]
	s_mov_b32 s19, 0x3c91a626
	v_add_f64 v[4:5], v[4:5], -v[14:15]
	v_fma_f64 v[12:13], s[18:19], v[8:9], v[10:11]
	v_add_f64 v[4:5], v[4:5], v[10:11]
	v_add_f64 v[10:11], v[14:15], -v[6:7]
	v_add_f64 v[4:5], v[10:11], v[4:5]
	s_mov_b32 s18, 0x252049c0
	v_add_f64 v[10:11], v[4:5], -v[12:13]
	s_mov_b32 s19, 0xb97b839a
	v_fmac_f64_e32 v[10:11], s[18:19], v[8:9]
	v_add_f64 v[4:5], v[6:7], v[10:11]
	v_add_f64 v[6:7], v[4:5], -v[6:7]
	v_add_f64 v[6:7], v[10:11], -v[6:7]
	v_cvt_i32_f64_e32 v12, v[8:9]
.LBB80_45:
	s_or_b64 exec, exec, s[4:5]
                                        ; implicit-def: $vgpr13
                                        ; implicit-def: $vgpr8_vgpr9
                                        ; implicit-def: $vgpr10_vgpr11
	s_and_saveexec_b64 s[4:5], s[16:17]
	s_xor_b64 s[16:17], exec, s[4:5]
	s_cbranch_execz .LBB80_47
; %bb.46:
	s_mov_b32 s4, 0
	s_mov_b32 s5, 0x7b000000
	s_movk_i32 s18, 0xff80
	v_and_b32_e32 v13, 0x7fffffff, v3
	v_ldexp_f64 v[14:15], |v[2:3]|, s18
	v_cmp_ge_f64_e64 vcc, |v[2:3]|, s[4:5]
	v_trig_preop_f64 v[8:9], |v[2:3]|, 0
	v_cndmask_b32_e32 v15, v13, v15, vcc
	v_cndmask_b32_e32 v14, v2, v14, vcc
	v_trig_preop_f64 v[10:11], |v[2:3]|, 1
	v_mul_f64 v[18:19], v[8:9], v[14:15]
	v_mul_f64 v[16:17], v[10:11], v[14:15]
	v_fma_f64 v[8:9], v[8:9], v[14:15], -v[18:19]
	v_add_f64 v[20:21], v[16:17], v[8:9]
	v_add_f64 v[22:23], v[18:19], v[20:21]
	s_mov_b32 s4, 0
	v_ldexp_f64 v[24:25], v[22:23], -2
	s_mov_b32 s5, 0x7ff00000
	v_fract_f64_e32 v[26:27], v[24:25]
	v_cmp_neq_f64_e64 vcc, |v[24:25]|, s[4:5]
	v_cndmask_b32_e32 v25, 0, v27, vcc
	v_cndmask_b32_e32 v24, 0, v26, vcc
	v_add_f64 v[26:27], v[20:21], -v[16:17]
	v_add_f64 v[8:9], v[8:9], -v[26:27]
	;; [unrolled: 1-line block ×4, first 2 shown]
	v_fma_f64 v[10:11], v[10:11], v[14:15], -v[16:17]
	v_trig_preop_f64 v[16:17], |v[2:3]|, 2
	v_add_f64 v[8:9], v[8:9], v[26:27]
	v_mul_f64 v[26:27], v[16:17], v[14:15]
	v_add_f64 v[30:31], v[26:27], v[10:11]
	v_add_f64 v[32:33], v[30:31], v[8:9]
	v_add_f64 v[18:19], v[22:23], -v[18:19]
	v_add_f64 v[22:23], v[32:33], -v[30:31]
	;; [unrolled: 1-line block ×5, first 2 shown]
	v_add_f64 v[8:9], v[8:9], v[22:23]
	v_add_f64 v[22:23], v[30:31], -v[26:27]
	v_add_f64 v[10:11], v[10:11], -v[22:23]
	;; [unrolled: 1-line block ×4, first 2 shown]
	v_add_f64 v[10:11], v[10:11], v[22:23]
	v_add_f64 v[18:19], v[20:21], -v[18:19]
	v_add_f64 v[8:9], v[10:11], v[8:9]
	v_fma_f64 v[10:11], v[16:17], v[14:15], -v[26:27]
	v_add_f64 v[20:21], v[18:19], v[32:33]
	v_add_f64 v[8:9], v[10:11], v[8:9]
	v_ldexp_f64 v[10:11], v[24:25], 2
	v_add_f64 v[14:15], v[20:21], v[10:11]
	v_mov_b32_e32 v13, 0x40100000
	v_cmp_gt_f64_e32 vcc, 0, v[14:15]
	v_mov_b32_e32 v28, 0
	v_cndmask_b32_e32 v29, 0, v13, vcc
	v_add_f64 v[10:11], v[10:11], v[28:29]
	v_add_f64 v[14:15], v[20:21], v[10:11]
	v_cvt_i32_f64_e32 v13, v[14:15]
	v_cvt_f64_i32_e32 v[14:15], v13
	v_add_f64 v[10:11], v[10:11], -v[14:15]
	v_add_f64 v[18:19], v[20:21], -v[18:19]
	v_add_f64 v[14:15], v[20:21], v[10:11]
	v_add_f64 v[18:19], v[32:33], -v[18:19]
	v_add_f64 v[10:11], v[14:15], -v[10:11]
	v_add_f64 v[8:9], v[18:19], v[8:9]
	v_add_f64 v[10:11], v[20:21], -v[10:11]
	v_add_f64 v[8:9], v[8:9], v[10:11]
	v_cmp_le_f64_e32 vcc, 0.5, v[14:15]
	v_mov_b32_e32 v10, 0x3ff00000
	v_cndmask_b32_e32 v29, 0, v10, vcc
	v_addc_co_u32_e64 v13, s[4:5], 0, v13, vcc
	v_add_f64 v[10:11], v[14:15], -v[28:29]
	v_add_f64 v[14:15], v[10:11], v[8:9]
	s_mov_b32 s4, 0x54442d18
	v_add_f64 v[10:11], v[14:15], -v[10:11]
	s_mov_b32 s5, 0x3ff921fb
	v_add_f64 v[8:9], v[8:9], -v[10:11]
	v_mul_f64 v[10:11], v[14:15], s[4:5]
	s_mov_b32 s18, 0x33145c07
	v_fma_f64 v[16:17], v[14:15], s[4:5], -v[10:11]
	s_mov_b32 s19, 0x3c91a626
	v_fmac_f64_e32 v[16:17], s[18:19], v[14:15]
	v_fmac_f64_e32 v[16:17], s[4:5], v[8:9]
	v_add_f64 v[8:9], v[10:11], v[16:17]
	v_add_f64 v[10:11], v[8:9], -v[10:11]
	v_add_f64 v[10:11], v[16:17], -v[10:11]
	s_andn2_saveexec_b64 s[4:5], s[16:17]
	s_cbranch_execnz .LBB80_48
	s_branch .LBB80_49
.LBB80_47:
	s_andn2_saveexec_b64 s[4:5], s[16:17]
	s_cbranch_execz .LBB80_49
.LBB80_48:
	s_mov_b32 s16, 0x6dc9c883
	s_mov_b32 s17, 0x3fe45f30
	v_mul_f64 v[8:9], |v[2:3]|, s[16:17]
	s_mov_b32 s16, 0x54442d18
	v_rndne_f64_e32 v[14:15], v[8:9]
	s_mov_b32 s17, 0xbff921fb
	v_fma_f64 v[8:9], v[14:15], s[16:17], |v[2:3]|
	s_mov_b32 s17, 0xbc91a626
	s_mov_b32 s16, 0x33145c00
	v_mul_f64 v[16:17], v[14:15], s[16:17]
	v_add_f64 v[20:21], v[8:9], v[16:17]
	v_fma_f64 v[10:11], s[16:17], v[14:15], v[8:9]
	s_mov_b32 s17, 0x3c91a626
	v_add_f64 v[8:9], v[8:9], -v[20:21]
	v_fma_f64 v[18:19], s[16:17], v[14:15], v[16:17]
	v_add_f64 v[8:9], v[8:9], v[16:17]
	v_add_f64 v[16:17], v[20:21], -v[10:11]
	v_add_f64 v[8:9], v[16:17], v[8:9]
	s_mov_b32 s16, 0x252049c0
	v_add_f64 v[16:17], v[8:9], -v[18:19]
	s_mov_b32 s17, 0xb97b839a
	v_fmac_f64_e32 v[16:17], s[16:17], v[14:15]
	v_add_f64 v[8:9], v[10:11], v[16:17]
	v_add_f64 v[10:11], v[8:9], -v[10:11]
	v_add_f64 v[10:11], v[16:17], -v[10:11]
	v_cvt_i32_f64_e32 v13, v[14:15]
.LBB80_49:
	s_or_b64 exec, exec, s[4:5]
	s_movk_i32 s4, 0x3ff
	s_mov_b32 s16, 0x9037ab78
	v_ldexp_f64 v[0:1], v[0:1], s4
	s_mov_b32 s17, 0x3e21eeb6
	s_mov_b32 s4, 0x46cc5e42
	v_mul_f64 v[16:17], v[4:5], v[4:5]
	s_mov_b32 s5, 0xbda907db
	v_pk_mov_b32 v[24:25], s[16:17], s[16:17] op_sel:[0,1]
	s_mov_b32 s16, 0xa17f65f6
	v_mul_f64 v[18:19], v[16:17], 0.5
	v_fma_f64 v[26:27], s[4:5], v[16:17], v[24:25]
	s_mov_b32 s17, 0xbe927e4f
	s_mov_b32 s18, 0x19f4ec90
	v_add_f64 v[20:21], -v[18:19], 1.0
	v_fma_f64 v[26:27], v[16:17], v[26:27], s[16:17]
	s_mov_b32 s19, 0x3efa01a0
	s_mov_b32 s20, 0x16c16967
	v_add_f64 v[22:23], -v[20:21], 1.0
	v_fma_f64 v[26:27], v[16:17], v[26:27], s[18:19]
	s_mov_b32 s21, 0xbf56c16c
	s_mov_b32 s22, 0x55555555
	v_add_f64 v[18:19], v[22:23], -v[18:19]
	v_fma_f64 v[26:27], v[16:17], v[26:27], s[20:21]
	s_mov_b32 s23, 0x3fa55555
	v_mul_f64 v[22:23], v[16:17], v[16:17]
	v_fma_f64 v[26:27], v[16:17], v[26:27], s[22:23]
	v_fma_f64 v[18:19], v[4:5], -v[6:7], v[18:19]
	s_mov_b32 s24, 0xb42fdfa7
	v_fmac_f64_e32 v[18:19], v[22:23], v[26:27]
	s_mov_b32 s25, 0xbe5ae600
	s_mov_b32 s26, 0xf9a43bb8
	v_add_f64 v[18:19], v[20:21], v[18:19]
	s_mov_b32 s27, 0x3de5e0b2
	v_pk_mov_b32 v[20:21], s[24:25], s[24:25] op_sel:[0,1]
	s_mov_b32 s24, 0x796cde01
	v_fma_f64 v[22:23], s[26:27], v[16:17], v[20:21]
	s_mov_b32 s25, 0x3ec71de3
	s_mov_b32 s28, 0x19e83e5c
	v_fma_f64 v[22:23], v[16:17], v[22:23], s[24:25]
	s_mov_b32 s29, 0xbf2a01a0
	;; [unrolled: 3-line block ×3, first 2 shown]
	v_fma_f64 v[22:23], v[16:17], v[22:23], s[30:31]
	v_mul_f64 v[26:27], v[4:5], -v[16:17]
	v_mul_f64 v[28:29], v[6:7], 0.5
	v_fmac_f64_e32 v[28:29], v[26:27], v[22:23]
	v_fma_f64 v[6:7], v[16:17], v[28:29], -v[6:7]
	s_mov_b32 s35, 0xbfc55555
	s_mov_b32 s34, s22
	v_fmac_f64_e32 v[6:7], s[34:35], v[26:27]
	v_add_f64 v[4:5], v[4:5], -v[6:7]
	v_and_b32_e32 v6, 1, v12
	v_xor_b32_e32 v5, 0x80000000, v5
	v_cmp_eq_u32_e32 vcc, 0, v6
	v_lshlrev_b32_e32 v6, 30, v12
	v_cndmask_b32_e32 v4, v4, v18, vcc
	v_cndmask_b32_e32 v5, v5, v19, vcc
	v_and_b32_e32 v6, 0x80000000, v6
	s_movk_i32 vcc_lo, 0x1f8
	v_xor_b32_e32 v5, v5, v6
	v_cmp_class_f64_e64 vcc, v[2:3], vcc_lo
	v_mov_b32_e32 v12, 0x7ff80000
	v_mul_f64 v[14:15], v[0:1], v[0:1]
	v_cndmask_b32_e32 v4, 0, v4, vcc
	v_cndmask_b32_e32 v5, v12, v5, vcc
	v_mul_f64 v[6:7], v[8:9], v[8:9]
	v_mul_f64 v[4:5], v[14:15], v[4:5]
	v_mul_f64 v[14:15], v[6:7], 0.5
	v_fmac_f64_e32 v[24:25], s[4:5], v[6:7]
	v_add_f64 v[16:17], -v[14:15], 1.0
	v_fma_f64 v[22:23], v[6:7], v[24:25], s[16:17]
	v_add_f64 v[18:19], -v[16:17], 1.0
	v_fma_f64 v[22:23], v[6:7], v[22:23], s[18:19]
	v_add_f64 v[14:15], v[18:19], -v[14:15]
	v_fma_f64 v[22:23], v[6:7], v[22:23], s[20:21]
	v_mul_f64 v[18:19], v[6:7], v[6:7]
	v_fma_f64 v[22:23], v[6:7], v[22:23], s[22:23]
	v_fma_f64 v[14:15], v[8:9], -v[10:11], v[14:15]
	v_fmac_f64_e32 v[14:15], v[18:19], v[22:23]
	v_fmac_f64_e32 v[20:21], s[26:27], v[6:7]
	v_add_f64 v[14:15], v[16:17], v[14:15]
	v_fma_f64 v[16:17], v[6:7], v[20:21], s[24:25]
	v_fma_f64 v[16:17], v[6:7], v[16:17], s[28:29]
	v_fma_f64 v[16:17], v[6:7], v[16:17], s[30:31]
	v_mul_f64 v[18:19], v[8:9], -v[6:7]
	v_mul_f64 v[20:21], v[10:11], 0.5
	v_fmac_f64_e32 v[20:21], v[18:19], v[16:17]
	v_fma_f64 v[6:7], v[6:7], v[20:21], -v[10:11]
	v_fmac_f64_e32 v[6:7], s[34:35], v[18:19]
	v_and_b32_e32 v2, 1, v13
	v_add_f64 v[6:7], v[8:9], -v[6:7]
	v_cmp_eq_u32_e64 s[4:5], 0, v2
	v_cndmask_b32_e64 v2, v14, v6, s[4:5]
	v_cndmask_b32_e64 v6, v15, v7, s[4:5]
	v_lshlrev_b32_e32 v7, 30, v13
	v_xor_b32_e32 v3, v7, v3
	v_and_b32_e32 v3, 0x80000000, v3
	v_xor_b32_e32 v3, v6, v3
	v_cndmask_b32_e32 v2, 0, v2, vcc
	v_cndmask_b32_e32 v3, v12, v3, vcc
	v_mul_f64 v[6:7], v[0:1], v[2:3]
                                        ; implicit-def: $vgpr2_vgpr3
                                        ; implicit-def: $vgpr0_vgpr1
.LBB80_50:
	s_andn2_saveexec_b64 s[16:17], s[6:7]
	s_cbranch_execz .LBB80_60
; %bb.51:
	s_mov_b32 s4, 0
	s_mov_b32 s5, 0x41d00000
	v_cmp_nlt_f64_e64 s[6:7], |v[2:3]|, s[4:5]
                                        ; implicit-def: $vgpr16
                                        ; implicit-def: $vgpr4_vgpr5
                                        ; implicit-def: $vgpr6_vgpr7
	s_and_saveexec_b64 s[4:5], s[6:7]
	s_xor_b64 s[18:19], exec, s[4:5]
	s_cbranch_execz .LBB80_53
; %bb.52:
	s_mov_b32 s4, 0
	s_mov_b32 s5, 0x7b000000
	s_movk_i32 s20, 0xff80
	v_and_b32_e32 v10, 0x7fffffff, v3
	v_ldexp_f64 v[8:9], |v[2:3]|, s20
	v_cmp_ge_f64_e64 vcc, |v[2:3]|, s[4:5]
	v_trig_preop_f64 v[4:5], |v[2:3]|, 0
	v_cndmask_b32_e32 v9, v10, v9, vcc
	v_cndmask_b32_e32 v8, v2, v8, vcc
	v_trig_preop_f64 v[6:7], |v[2:3]|, 1
	v_mul_f64 v[12:13], v[4:5], v[8:9]
	v_mul_f64 v[10:11], v[6:7], v[8:9]
	v_fma_f64 v[4:5], v[4:5], v[8:9], -v[12:13]
	v_add_f64 v[14:15], v[10:11], v[4:5]
	v_add_f64 v[16:17], v[12:13], v[14:15]
	s_mov_b32 s4, 0
	v_ldexp_f64 v[18:19], v[16:17], -2
	s_mov_b32 s5, 0x7ff00000
	v_fract_f64_e32 v[20:21], v[18:19]
	v_cmp_neq_f64_e64 vcc, |v[18:19]|, s[4:5]
	v_cndmask_b32_e32 v19, 0, v21, vcc
	v_cndmask_b32_e32 v18, 0, v20, vcc
	v_add_f64 v[20:21], v[14:15], -v[10:11]
	v_add_f64 v[4:5], v[4:5], -v[20:21]
	;; [unrolled: 1-line block ×4, first 2 shown]
	v_fma_f64 v[6:7], v[6:7], v[8:9], -v[10:11]
	v_trig_preop_f64 v[10:11], |v[2:3]|, 2
	v_add_f64 v[4:5], v[4:5], v[20:21]
	v_mul_f64 v[20:21], v[10:11], v[8:9]
	v_add_f64 v[24:25], v[20:21], v[6:7]
	v_add_f64 v[26:27], v[24:25], v[4:5]
	v_add_f64 v[12:13], v[16:17], -v[12:13]
	v_add_f64 v[16:17], v[26:27], -v[24:25]
	;; [unrolled: 1-line block ×5, first 2 shown]
	v_add_f64 v[4:5], v[4:5], v[16:17]
	v_add_f64 v[16:17], v[24:25], -v[20:21]
	v_add_f64 v[6:7], v[6:7], -v[16:17]
	;; [unrolled: 1-line block ×4, first 2 shown]
	v_add_f64 v[6:7], v[6:7], v[16:17]
	v_add_f64 v[12:13], v[14:15], -v[12:13]
	v_add_f64 v[4:5], v[6:7], v[4:5]
	v_fma_f64 v[6:7], v[10:11], v[8:9], -v[20:21]
	v_add_f64 v[14:15], v[12:13], v[26:27]
	v_add_f64 v[4:5], v[6:7], v[4:5]
	v_ldexp_f64 v[6:7], v[18:19], 2
	v_add_f64 v[8:9], v[14:15], v[6:7]
	v_mov_b32_e32 v10, 0x40100000
	v_cmp_gt_f64_e32 vcc, 0, v[8:9]
	v_mov_b32_e32 v22, 0
	v_cndmask_b32_e32 v23, 0, v10, vcc
	v_add_f64 v[6:7], v[6:7], v[22:23]
	v_add_f64 v[8:9], v[14:15], v[6:7]
	v_cvt_i32_f64_e32 v10, v[8:9]
	v_cvt_f64_i32_e32 v[8:9], v10
	v_add_f64 v[6:7], v[6:7], -v[8:9]
	v_add_f64 v[12:13], v[14:15], -v[12:13]
	v_add_f64 v[8:9], v[14:15], v[6:7]
	v_add_f64 v[12:13], v[26:27], -v[12:13]
	v_add_f64 v[6:7], v[8:9], -v[6:7]
	v_add_f64 v[4:5], v[12:13], v[4:5]
	v_add_f64 v[6:7], v[14:15], -v[6:7]
	v_add_f64 v[4:5], v[4:5], v[6:7]
	v_cmp_le_f64_e32 vcc, 0.5, v[8:9]
	v_mov_b32_e32 v6, 0x3ff00000
	v_cndmask_b32_e32 v23, 0, v6, vcc
	v_addc_co_u32_e64 v16, s[4:5], 0, v10, vcc
	v_add_f64 v[6:7], v[8:9], -v[22:23]
	v_add_f64 v[8:9], v[6:7], v[4:5]
	s_mov_b32 s4, 0x54442d18
	v_add_f64 v[6:7], v[8:9], -v[6:7]
	s_mov_b32 s5, 0x3ff921fb
	v_add_f64 v[4:5], v[4:5], -v[6:7]
	v_mul_f64 v[6:7], v[8:9], s[4:5]
	s_mov_b32 s20, 0x33145c07
	v_fma_f64 v[10:11], v[8:9], s[4:5], -v[6:7]
	s_mov_b32 s21, 0x3c91a626
	v_fmac_f64_e32 v[10:11], s[20:21], v[8:9]
	v_fmac_f64_e32 v[10:11], s[4:5], v[4:5]
	v_add_f64 v[4:5], v[6:7], v[10:11]
	v_add_f64 v[6:7], v[4:5], -v[6:7]
	v_add_f64 v[6:7], v[10:11], -v[6:7]
	s_andn2_saveexec_b64 s[4:5], s[18:19]
	s_cbranch_execz .LBB80_55
	s_branch .LBB80_54
.LBB80_53:
	s_andn2_saveexec_b64 s[4:5], s[18:19]
	s_cbranch_execz .LBB80_55
.LBB80_54:
	s_mov_b32 s18, 0x6dc9c883
	s_mov_b32 s19, 0x3fe45f30
	v_mul_f64 v[4:5], |v[2:3]|, s[18:19]
	s_mov_b32 s18, 0x54442d18
	v_rndne_f64_e32 v[8:9], v[4:5]
	s_mov_b32 s19, 0xbff921fb
	v_fma_f64 v[4:5], v[8:9], s[18:19], |v[2:3]|
	s_mov_b32 s19, 0xbc91a626
	s_mov_b32 s18, 0x33145c00
	v_mul_f64 v[10:11], v[8:9], s[18:19]
	v_add_f64 v[14:15], v[4:5], v[10:11]
	v_fma_f64 v[6:7], s[18:19], v[8:9], v[4:5]
	s_mov_b32 s19, 0x3c91a626
	v_add_f64 v[4:5], v[4:5], -v[14:15]
	v_fma_f64 v[12:13], s[18:19], v[8:9], v[10:11]
	v_add_f64 v[4:5], v[4:5], v[10:11]
	v_add_f64 v[10:11], v[14:15], -v[6:7]
	v_add_f64 v[4:5], v[10:11], v[4:5]
	s_mov_b32 s18, 0x252049c0
	v_add_f64 v[10:11], v[4:5], -v[12:13]
	s_mov_b32 s19, 0xb97b839a
	v_fmac_f64_e32 v[10:11], s[18:19], v[8:9]
	v_add_f64 v[4:5], v[6:7], v[10:11]
	v_add_f64 v[6:7], v[4:5], -v[6:7]
	v_add_f64 v[6:7], v[10:11], -v[6:7]
	v_cvt_i32_f64_e32 v16, v[8:9]
.LBB80_55:
	s_or_b64 exec, exec, s[4:5]
                                        ; implicit-def: $vgpr17
                                        ; implicit-def: $vgpr8_vgpr9
                                        ; implicit-def: $vgpr10_vgpr11
	s_and_saveexec_b64 s[4:5], s[6:7]
	s_xor_b64 s[6:7], exec, s[4:5]
	s_cbranch_execz .LBB80_57
; %bb.56:
	s_mov_b32 s4, 0
	s_mov_b32 s5, 0x7b000000
	s_movk_i32 s18, 0xff80
	v_and_b32_e32 v14, 0x7fffffff, v3
	v_ldexp_f64 v[12:13], |v[2:3]|, s18
	v_cmp_ge_f64_e64 vcc, |v[2:3]|, s[4:5]
	v_trig_preop_f64 v[8:9], |v[2:3]|, 0
	v_cndmask_b32_e32 v13, v14, v13, vcc
	v_cndmask_b32_e32 v12, v2, v12, vcc
	v_trig_preop_f64 v[10:11], |v[2:3]|, 1
	v_mul_f64 v[18:19], v[8:9], v[12:13]
	v_mul_f64 v[14:15], v[10:11], v[12:13]
	v_fma_f64 v[8:9], v[8:9], v[12:13], -v[18:19]
	v_add_f64 v[20:21], v[14:15], v[8:9]
	v_add_f64 v[22:23], v[18:19], v[20:21]
	s_mov_b32 s4, 0
	v_ldexp_f64 v[24:25], v[22:23], -2
	s_mov_b32 s5, 0x7ff00000
	v_fract_f64_e32 v[26:27], v[24:25]
	v_cmp_neq_f64_e64 vcc, |v[24:25]|, s[4:5]
	v_cndmask_b32_e32 v25, 0, v27, vcc
	v_cndmask_b32_e32 v24, 0, v26, vcc
	v_add_f64 v[26:27], v[20:21], -v[14:15]
	v_add_f64 v[8:9], v[8:9], -v[26:27]
	;; [unrolled: 1-line block ×4, first 2 shown]
	v_fma_f64 v[10:11], v[10:11], v[12:13], -v[14:15]
	v_trig_preop_f64 v[14:15], |v[2:3]|, 2
	v_add_f64 v[8:9], v[8:9], v[26:27]
	v_mul_f64 v[26:27], v[14:15], v[12:13]
	v_add_f64 v[30:31], v[26:27], v[10:11]
	v_add_f64 v[32:33], v[30:31], v[8:9]
	v_add_f64 v[18:19], v[22:23], -v[18:19]
	v_add_f64 v[22:23], v[32:33], -v[30:31]
	;; [unrolled: 1-line block ×5, first 2 shown]
	v_add_f64 v[8:9], v[8:9], v[22:23]
	v_add_f64 v[22:23], v[30:31], -v[26:27]
	v_add_f64 v[10:11], v[10:11], -v[22:23]
	;; [unrolled: 1-line block ×4, first 2 shown]
	v_add_f64 v[10:11], v[10:11], v[22:23]
	v_add_f64 v[18:19], v[20:21], -v[18:19]
	v_add_f64 v[8:9], v[10:11], v[8:9]
	v_fma_f64 v[10:11], v[14:15], v[12:13], -v[26:27]
	v_add_f64 v[20:21], v[18:19], v[32:33]
	v_add_f64 v[8:9], v[10:11], v[8:9]
	v_ldexp_f64 v[10:11], v[24:25], 2
	v_add_f64 v[12:13], v[20:21], v[10:11]
	v_mov_b32_e32 v14, 0x40100000
	v_cmp_gt_f64_e32 vcc, 0, v[12:13]
	v_mov_b32_e32 v28, 0
	v_cndmask_b32_e32 v29, 0, v14, vcc
	v_add_f64 v[10:11], v[10:11], v[28:29]
	v_add_f64 v[12:13], v[20:21], v[10:11]
	v_cvt_i32_f64_e32 v14, v[12:13]
	v_cvt_f64_i32_e32 v[12:13], v14
	v_add_f64 v[10:11], v[10:11], -v[12:13]
	v_add_f64 v[18:19], v[20:21], -v[18:19]
	v_add_f64 v[12:13], v[20:21], v[10:11]
	v_add_f64 v[18:19], v[32:33], -v[18:19]
	v_add_f64 v[10:11], v[12:13], -v[10:11]
	v_add_f64 v[8:9], v[18:19], v[8:9]
	v_add_f64 v[10:11], v[20:21], -v[10:11]
	v_add_f64 v[8:9], v[8:9], v[10:11]
	v_cmp_le_f64_e32 vcc, 0.5, v[12:13]
	v_mov_b32_e32 v10, 0x3ff00000
	v_cndmask_b32_e32 v29, 0, v10, vcc
	v_addc_co_u32_e64 v17, s[4:5], 0, v14, vcc
	v_add_f64 v[10:11], v[12:13], -v[28:29]
	v_add_f64 v[12:13], v[10:11], v[8:9]
	s_mov_b32 s4, 0x54442d18
	v_add_f64 v[10:11], v[12:13], -v[10:11]
	s_mov_b32 s5, 0x3ff921fb
	v_add_f64 v[8:9], v[8:9], -v[10:11]
	v_mul_f64 v[10:11], v[12:13], s[4:5]
	s_mov_b32 s18, 0x33145c07
	v_fma_f64 v[14:15], v[12:13], s[4:5], -v[10:11]
	s_mov_b32 s19, 0x3c91a626
	v_fmac_f64_e32 v[14:15], s[18:19], v[12:13]
	v_fmac_f64_e32 v[14:15], s[4:5], v[8:9]
	v_add_f64 v[8:9], v[10:11], v[14:15]
	v_add_f64 v[10:11], v[8:9], -v[10:11]
	v_add_f64 v[10:11], v[14:15], -v[10:11]
	s_andn2_saveexec_b64 s[4:5], s[6:7]
	s_cbranch_execnz .LBB80_58
	s_branch .LBB80_59
.LBB80_57:
	s_andn2_saveexec_b64 s[4:5], s[6:7]
	s_cbranch_execz .LBB80_59
.LBB80_58:
	s_mov_b32 s6, 0x6dc9c883
	s_mov_b32 s7, 0x3fe45f30
	v_mul_f64 v[8:9], |v[2:3]|, s[6:7]
	s_mov_b32 s6, 0x54442d18
	v_rndne_f64_e32 v[12:13], v[8:9]
	s_mov_b32 s7, 0xbff921fb
	v_fma_f64 v[8:9], v[12:13], s[6:7], |v[2:3]|
	s_mov_b32 s7, 0xbc91a626
	s_mov_b32 s6, 0x33145c00
	v_mul_f64 v[14:15], v[12:13], s[6:7]
	v_add_f64 v[20:21], v[8:9], v[14:15]
	v_fma_f64 v[10:11], s[6:7], v[12:13], v[8:9]
	s_mov_b32 s7, 0x3c91a626
	v_add_f64 v[8:9], v[8:9], -v[20:21]
	v_fma_f64 v[18:19], s[6:7], v[12:13], v[14:15]
	v_add_f64 v[8:9], v[8:9], v[14:15]
	v_add_f64 v[14:15], v[20:21], -v[10:11]
	v_add_f64 v[8:9], v[14:15], v[8:9]
	s_mov_b32 s6, 0x252049c0
	v_add_f64 v[14:15], v[8:9], -v[18:19]
	s_mov_b32 s7, 0xb97b839a
	v_fmac_f64_e32 v[14:15], s[6:7], v[12:13]
	v_add_f64 v[8:9], v[10:11], v[14:15]
	v_add_f64 v[10:11], v[8:9], -v[10:11]
	v_add_f64 v[10:11], v[14:15], -v[10:11]
	v_cvt_i32_f64_e32 v17, v[12:13]
.LBB80_59:
	s_or_b64 exec, exec, s[4:5]
	s_mov_b32 s4, 0x9037ab78
	s_mov_b32 s5, 0x3e21eeb6
	;; [unrolled: 1-line block ×3, first 2 shown]
	v_mul_f64 v[18:19], v[4:5], v[4:5]
	s_mov_b32 s19, 0xbda907db
	v_pk_mov_b32 v[12:13], s[4:5], s[4:5] op_sel:[0,1]
	s_mov_b32 s20, 0xa17f65f6
	v_mul_f64 v[14:15], v[18:19], 0.5
	v_fma_f64 v[24:25], s[18:19], v[18:19], v[12:13]
	s_mov_b32 s21, 0xbe927e4f
	s_mov_b32 s22, 0x19f4ec90
	v_add_f64 v[20:21], -v[14:15], 1.0
	v_fma_f64 v[24:25], v[18:19], v[24:25], s[20:21]
	s_mov_b32 s23, 0x3efa01a0
	s_mov_b32 s24, 0x16c16967
	v_fma_f64 v[24:25], v[18:19], v[24:25], s[22:23]
	s_mov_b32 s25, 0xbf56c16c
	s_mov_b32 s26, 0x55555555
	v_add_f64 v[26:27], -v[20:21], 1.0
	v_fma_f64 v[24:25], v[18:19], v[24:25], s[24:25]
	s_mov_b32 s27, 0x3fa55555
	v_add_f64 v[14:15], v[26:27], -v[14:15]
	v_mul_f64 v[22:23], v[18:19], v[18:19]
	v_fma_f64 v[24:25], v[18:19], v[24:25], s[26:27]
	v_fma_f64 v[14:15], v[4:5], -v[6:7], v[14:15]
	s_mov_b32 s4, 0xb42fdfa7
	v_fmac_f64_e32 v[14:15], v[22:23], v[24:25]
	s_mov_b32 s5, 0xbe5ae600
	s_mov_b32 s28, 0xf9a43bb8
	v_add_f64 v[20:21], v[20:21], v[14:15]
	s_mov_b32 s29, 0x3de5e0b2
	v_pk_mov_b32 v[14:15], s[4:5], s[4:5] op_sel:[0,1]
	s_mov_b32 s30, 0x796cde01
	v_fma_f64 v[24:25], s[28:29], v[18:19], v[14:15]
	s_mov_b32 s31, 0x3ec71de3
	s_mov_b32 s34, 0x19e83e5c
	v_fma_f64 v[24:25], v[18:19], v[24:25], s[30:31]
	s_mov_b32 s35, 0xbf2a01a0
	;; [unrolled: 3-line block ×3, first 2 shown]
	v_mul_f64 v[22:23], v[4:5], -v[18:19]
	v_fma_f64 v[24:25], v[18:19], v[24:25], s[36:37]
	v_mul_f64 v[26:27], v[6:7], 0.5
	v_fmac_f64_e32 v[26:27], v[22:23], v[24:25]
	v_fma_f64 v[6:7], v[18:19], v[26:27], -v[6:7]
	s_mov_b32 s39, 0xbfc55555
	s_mov_b32 s38, s26
	;; [unrolled: 1-line block ×3, first 2 shown]
	v_fmac_f64_e32 v[6:7], s[38:39], v[22:23]
	s_mov_b32 s5, 0xc0937be3
	v_and_b32_e32 v28, 1, v16
	v_add_f64 v[4:5], v[4:5], -v[6:7]
	v_add_f64 v[18:19], |v[0:1]|, s[4:5]
	s_mov_b32 s4, 0x652b82fe
	v_xor_b32_e32 v5, 0x80000000, v5
	v_cmp_eq_u32_e32 vcc, 0, v28
	s_mov_b32 s5, 0x3ff71547
	v_cndmask_b32_e32 v4, v4, v20, vcc
	v_cndmask_b32_e32 v5, v5, v21, vcc
	v_mul_f64 v[20:21], v[18:19], s[4:5]
	s_mov_b32 s4, 0xfefa39ef
	v_rndne_f64_e32 v[20:21], v[20:21]
	s_mov_b32 s5, 0xbfe62e42
	v_fma_f64 v[22:23], s[4:5], v[20:21], v[18:19]
	s_mov_b32 s4, 0x3b39803f
	s_mov_b32 s5, 0xbc7abc9e
	v_fmac_f64_e32 v[22:23], s[4:5], v[20:21]
	s_mov_b32 s4, 0x6a5dcb37
	v_mov_b32_e32 v24, 0xfca7ab0c
	v_mov_b32_e32 v25, 0x3e928af3
	s_mov_b32 s5, 0x3e5ade15
	v_fmac_f64_e32 v[24:25], s[4:5], v[22:23]
	v_mov_b32_e32 v26, 0x623fde64
	v_mov_b32_e32 v27, 0x3ec71dee
	v_fmac_f64_e32 v[26:27], v[22:23], v[24:25]
	v_mov_b32_e32 v24, 0x7c89e6b0
	v_mov_b32_e32 v25, 0x3efa0199
	v_fmac_f64_e32 v[24:25], v[22:23], v[26:27]
	v_mov_b32_e32 v26, 0x14761f6e
	v_mov_b32_e32 v27, 0x3f2a01a0
	v_fmac_f64_e32 v[26:27], v[22:23], v[24:25]
	v_mov_b32_e32 v24, 0x1852b7b0
	v_mov_b32_e32 v25, 0x3f56c16c
	v_fmac_f64_e32 v[24:25], v[22:23], v[26:27]
	v_mov_b32_e32 v26, 0x11122322
	v_mov_b32_e32 v27, 0x3f811111
	v_fmac_f64_e32 v[26:27], v[22:23], v[24:25]
	v_mov_b32_e32 v24, 0x555502a1
	v_mov_b32_e32 v25, 0x3fa55555
	v_fmac_f64_e32 v[24:25], v[22:23], v[26:27]
	v_mov_b32_e32 v26, 0x55555511
	v_mov_b32_e32 v27, 0x3fc55555
	v_fmac_f64_e32 v[26:27], v[22:23], v[24:25]
	v_mov_b32_e32 v24, 11
	v_mov_b32_e32 v25, 0x3fe00000
	v_fmac_f64_e32 v[24:25], v[22:23], v[26:27]
	s_movk_i32 s6, 0x1f8
	v_fma_f64 v[24:25], v[22:23], v[24:25], 1.0
	s_mov_b32 s4, 0
	v_cmp_class_f64_e64 vcc, v[2:3], s6
	v_fma_f64 v[22:23], v[22:23], v[24:25], 1.0
	v_cvt_i32_f64_e32 v0, v[20:21]
	s_mov_b32 s5, 0x40900000
	s_mov_b32 s6, 0
	v_ldexp_f64 v[20:21], v[22:23], v0
	v_mov_b32_e32 v0, 0x7ff00000
	v_cmp_nlt_f64_e64 s[4:5], s[4:5], v[18:19]
	s_mov_b32 s7, 0xc090cc00
	v_mul_f64 v[22:23], v[8:9], v[8:9]
	v_cndmask_b32_e64 v0, v0, v21, s[4:5]
	v_cmp_ngt_f64_e64 s[6:7], s[6:7], v[18:19]
	v_mul_f64 v[24:25], v[22:23], 0.5
	v_fmac_f64_e32 v[12:13], s[18:19], v[22:23]
	v_cndmask_b32_e64 v0, 0, v0, s[6:7]
	v_add_f64 v[26:27], -v[24:25], 1.0
	v_fma_f64 v[12:13], v[22:23], v[12:13], s[20:21]
	v_and_b32_e32 v2, 0xfffff, v0
	v_lshrrev_b32_e32 v0, 20, v0
	v_add_f64 v[28:29], -v[26:27], 1.0
	v_fma_f64 v[12:13], v[22:23], v[12:13], s[22:23]
	v_add_u32_e32 v0, 0xffffff08, v0
	v_add_f64 v[24:25], v[28:29], -v[24:25]
	v_fma_f64 v[12:13], v[22:23], v[12:13], s[24:25]
	v_fmac_f64_e32 v[14:15], s[28:29], v[22:23]
	v_or_b32_e32 v19, 0x7fe00000, v2
	v_lshrrev_b16_e32 v2, 15, v0
	v_mul_f64 v[28:29], v[22:23], v[22:23]
	v_fma_f64 v[12:13], v[22:23], v[12:13], s[26:27]
	v_fma_f64 v[24:25], v[8:9], -v[10:11], v[24:25]
	v_fma_f64 v[14:15], v[22:23], v[14:15], s[30:31]
	v_add_u16_e32 v2, v0, v2
	v_fmac_f64_e32 v[24:25], v[28:29], v[12:13]
	v_fma_f64 v[14:15], v[22:23], v[14:15], s[34:35]
	v_ashrrev_i16_e32 v2, 1, v2
	v_add_f64 v[12:13], v[26:27], v[24:25]
	v_fma_f64 v[14:15], v[22:23], v[14:15], s[36:37]
	v_mul_f64 v[24:25], v[8:9], -v[22:23]
	v_mul_f64 v[26:27], v[10:11], 0.5
	v_bfe_i32 v2, v2, 0, 16
	v_fmac_f64_e32 v[26:27], v[24:25], v[14:15]
	v_mov_b32_e32 v30, 0x3ff00000
	v_sub_u32_e32 v0, v0, v2
	v_fma_f64 v[10:11], v[22:23], v[26:27], -v[10:11]
	s_and_b64 s[4:5], s[6:7], s[4:5]
	v_lshl_add_u32 v21, v0, 20, v30
	v_fmac_f64_e32 v[10:11], s[38:39], v[24:25]
	v_and_b32_e32 v0, 1, v17
	v_cndmask_b32_e64 v18, 0, v20, s[4:5]
	v_add_f64 v[8:9], v[8:9], -v[10:11]
	v_cmp_eq_u32_e64 s[4:5], 0, v0
	v_cndmask_b32_e64 v0, v12, v8, s[4:5]
	v_lshlrev_b32_e32 v8, 30, v17
	v_xor_b32_e32 v3, v8, v3
	v_lshlrev_b32_e32 v6, 30, v16
	v_lshl_add_u32 v7, v2, 20, v30
	v_cndmask_b32_e64 v2, v13, v9, s[4:5]
	v_and_b32_e32 v3, 0x80000000, v3
	v_and_b32_e32 v6, 0x80000000, v6
	v_mov_b32_e32 v16, 0x7ff80000
	v_xor_b32_e32 v3, v2, v3
	v_xor_b32_e32 v5, v5, v6
	v_cndmask_b32_e32 v2, 0, v0, vcc
	v_cndmask_b32_e32 v3, v16, v3, vcc
	v_mov_b32_e32 v6, 0
	v_cndmask_b32_e32 v4, 0, v4, vcc
	v_cndmask_b32_e32 v5, v16, v5, vcc
	v_mul_f64 v[2:3], v[18:19], v[2:3]
	v_mul_f64 v[4:5], v[18:19], v[4:5]
	v_mov_b32_e32 v20, v6
	v_mul_f64 v[2:3], v[2:3], v[6:7]
	s_brev_b32 s4, -2
	v_mul_f64 v[4:5], v[4:5], v[6:7]
	v_mul_f64 v[2:3], v[2:3], v[20:21]
	v_bfi_b32 v7, s4, v30, v1
	v_mul_f64 v[4:5], v[4:5], v[20:21]
	v_mul_f64 v[6:7], v[6:7], v[2:3]
.LBB80_60:
	s_or_b64 exec, exec, s[16:17]
                                        ; implicit-def: $vgpr0_vgpr1
                                        ; implicit-def: $vgpr2_vgpr3
.LBB80_61:
	s_andn2_saveexec_b64 s[6:7], s[14:15]
	s_cbranch_execz .LBB80_71
; %bb.62:
	s_mov_b32 s4, 0
	s_mov_b32 s5, 0x41d00000
	v_cmp_nlt_f64_e64 s[14:15], |v[2:3]|, s[4:5]
                                        ; implicit-def: $vgpr14
                                        ; implicit-def: $vgpr4_vgpr5
                                        ; implicit-def: $vgpr6_vgpr7
	s_and_saveexec_b64 s[4:5], s[14:15]
	s_xor_b64 s[16:17], exec, s[4:5]
	s_cbranch_execz .LBB80_64
; %bb.63:
	s_mov_b32 s4, 0
	s_mov_b32 s5, 0x7b000000
	s_movk_i32 s18, 0xff80
	v_and_b32_e32 v10, 0x7fffffff, v3
	v_ldexp_f64 v[8:9], |v[2:3]|, s18
	v_cmp_ge_f64_e64 vcc, |v[2:3]|, s[4:5]
	v_trig_preop_f64 v[4:5], |v[2:3]|, 0
	v_cndmask_b32_e32 v9, v10, v9, vcc
	v_cndmask_b32_e32 v8, v2, v8, vcc
	v_trig_preop_f64 v[6:7], |v[2:3]|, 1
	v_mul_f64 v[12:13], v[4:5], v[8:9]
	v_mul_f64 v[10:11], v[6:7], v[8:9]
	v_fma_f64 v[4:5], v[4:5], v[8:9], -v[12:13]
	v_add_f64 v[14:15], v[10:11], v[4:5]
	v_add_f64 v[16:17], v[12:13], v[14:15]
	s_mov_b32 s4, 0
	v_ldexp_f64 v[18:19], v[16:17], -2
	s_mov_b32 s5, 0x7ff00000
	v_fract_f64_e32 v[20:21], v[18:19]
	v_cmp_neq_f64_e64 vcc, |v[18:19]|, s[4:5]
	v_cndmask_b32_e32 v19, 0, v21, vcc
	v_cndmask_b32_e32 v18, 0, v20, vcc
	v_add_f64 v[20:21], v[14:15], -v[10:11]
	v_add_f64 v[4:5], v[4:5], -v[20:21]
	;; [unrolled: 1-line block ×4, first 2 shown]
	v_fma_f64 v[6:7], v[6:7], v[8:9], -v[10:11]
	v_trig_preop_f64 v[10:11], |v[2:3]|, 2
	v_add_f64 v[4:5], v[4:5], v[20:21]
	v_mul_f64 v[20:21], v[10:11], v[8:9]
	v_add_f64 v[24:25], v[20:21], v[6:7]
	v_add_f64 v[26:27], v[24:25], v[4:5]
	v_add_f64 v[12:13], v[16:17], -v[12:13]
	v_add_f64 v[16:17], v[26:27], -v[24:25]
	;; [unrolled: 1-line block ×5, first 2 shown]
	v_add_f64 v[4:5], v[4:5], v[16:17]
	v_add_f64 v[16:17], v[24:25], -v[20:21]
	v_add_f64 v[6:7], v[6:7], -v[16:17]
	;; [unrolled: 1-line block ×4, first 2 shown]
	v_add_f64 v[6:7], v[6:7], v[16:17]
	v_add_f64 v[12:13], v[14:15], -v[12:13]
	v_add_f64 v[4:5], v[6:7], v[4:5]
	v_fma_f64 v[6:7], v[10:11], v[8:9], -v[20:21]
	v_add_f64 v[14:15], v[12:13], v[26:27]
	v_add_f64 v[4:5], v[6:7], v[4:5]
	v_ldexp_f64 v[6:7], v[18:19], 2
	v_add_f64 v[8:9], v[14:15], v[6:7]
	v_mov_b32_e32 v10, 0x40100000
	v_cmp_gt_f64_e32 vcc, 0, v[8:9]
	v_mov_b32_e32 v22, 0
	v_cndmask_b32_e32 v23, 0, v10, vcc
	v_add_f64 v[6:7], v[6:7], v[22:23]
	v_add_f64 v[8:9], v[14:15], v[6:7]
	v_cvt_i32_f64_e32 v10, v[8:9]
	v_cvt_f64_i32_e32 v[8:9], v10
	v_add_f64 v[6:7], v[6:7], -v[8:9]
	v_add_f64 v[12:13], v[14:15], -v[12:13]
	v_add_f64 v[8:9], v[14:15], v[6:7]
	v_add_f64 v[12:13], v[26:27], -v[12:13]
	v_add_f64 v[6:7], v[8:9], -v[6:7]
	v_add_f64 v[4:5], v[12:13], v[4:5]
	v_add_f64 v[6:7], v[14:15], -v[6:7]
	v_add_f64 v[4:5], v[4:5], v[6:7]
	v_cmp_le_f64_e32 vcc, 0.5, v[8:9]
	v_mov_b32_e32 v6, 0x3ff00000
	v_cndmask_b32_e32 v23, 0, v6, vcc
	v_addc_co_u32_e64 v14, s[4:5], 0, v10, vcc
	v_add_f64 v[6:7], v[8:9], -v[22:23]
	v_add_f64 v[8:9], v[6:7], v[4:5]
	s_mov_b32 s4, 0x54442d18
	v_add_f64 v[6:7], v[8:9], -v[6:7]
	s_mov_b32 s5, 0x3ff921fb
	v_add_f64 v[4:5], v[4:5], -v[6:7]
	v_mul_f64 v[6:7], v[8:9], s[4:5]
	s_mov_b32 s18, 0x33145c07
	v_fma_f64 v[10:11], v[8:9], s[4:5], -v[6:7]
	s_mov_b32 s19, 0x3c91a626
	v_fmac_f64_e32 v[10:11], s[18:19], v[8:9]
	v_fmac_f64_e32 v[10:11], s[4:5], v[4:5]
	v_add_f64 v[4:5], v[6:7], v[10:11]
	v_add_f64 v[6:7], v[4:5], -v[6:7]
	v_add_f64 v[6:7], v[10:11], -v[6:7]
	s_andn2_saveexec_b64 s[4:5], s[16:17]
	s_cbranch_execz .LBB80_66
	s_branch .LBB80_65
.LBB80_64:
	s_andn2_saveexec_b64 s[4:5], s[16:17]
	s_cbranch_execz .LBB80_66
.LBB80_65:
	s_mov_b32 s16, 0x6dc9c883
	s_mov_b32 s17, 0x3fe45f30
	v_mul_f64 v[4:5], |v[2:3]|, s[16:17]
	s_mov_b32 s16, 0x54442d18
	v_rndne_f64_e32 v[8:9], v[4:5]
	s_mov_b32 s17, 0xbff921fb
	v_fma_f64 v[4:5], v[8:9], s[16:17], |v[2:3]|
	s_mov_b32 s17, 0xbc91a626
	s_mov_b32 s16, 0x33145c00
	v_mul_f64 v[10:11], v[8:9], s[16:17]
	v_add_f64 v[14:15], v[4:5], v[10:11]
	v_fma_f64 v[6:7], s[16:17], v[8:9], v[4:5]
	s_mov_b32 s17, 0x3c91a626
	v_add_f64 v[4:5], v[4:5], -v[14:15]
	v_fma_f64 v[12:13], s[16:17], v[8:9], v[10:11]
	v_add_f64 v[4:5], v[4:5], v[10:11]
	v_add_f64 v[10:11], v[14:15], -v[6:7]
	v_add_f64 v[4:5], v[10:11], v[4:5]
	s_mov_b32 s16, 0x252049c0
	v_add_f64 v[10:11], v[4:5], -v[12:13]
	s_mov_b32 s17, 0xb97b839a
	v_fmac_f64_e32 v[10:11], s[16:17], v[8:9]
	v_add_f64 v[4:5], v[6:7], v[10:11]
	v_add_f64 v[6:7], v[4:5], -v[6:7]
	v_add_f64 v[6:7], v[10:11], -v[6:7]
	v_cvt_i32_f64_e32 v14, v[8:9]
.LBB80_66:
	s_or_b64 exec, exec, s[4:5]
                                        ; implicit-def: $vgpr15
                                        ; implicit-def: $vgpr8_vgpr9
                                        ; implicit-def: $vgpr10_vgpr11
	s_and_saveexec_b64 s[4:5], s[14:15]
	s_xor_b64 s[14:15], exec, s[4:5]
	s_cbranch_execz .LBB80_68
; %bb.67:
	s_mov_b32 s4, 0
	s_mov_b32 s5, 0x7b000000
	s_movk_i32 s16, 0xff80
	v_and_b32_e32 v15, 0x7fffffff, v3
	v_ldexp_f64 v[12:13], |v[2:3]|, s16
	v_cmp_ge_f64_e64 vcc, |v[2:3]|, s[4:5]
	v_trig_preop_f64 v[8:9], |v[2:3]|, 0
	v_cndmask_b32_e32 v13, v15, v13, vcc
	v_cndmask_b32_e32 v12, v2, v12, vcc
	v_trig_preop_f64 v[10:11], |v[2:3]|, 1
	v_mul_f64 v[18:19], v[8:9], v[12:13]
	v_mul_f64 v[16:17], v[10:11], v[12:13]
	v_fma_f64 v[8:9], v[8:9], v[12:13], -v[18:19]
	v_add_f64 v[20:21], v[16:17], v[8:9]
	v_add_f64 v[22:23], v[18:19], v[20:21]
	s_mov_b32 s4, 0
	v_ldexp_f64 v[24:25], v[22:23], -2
	s_mov_b32 s5, 0x7ff00000
	v_fract_f64_e32 v[26:27], v[24:25]
	v_cmp_neq_f64_e64 vcc, |v[24:25]|, s[4:5]
	v_cndmask_b32_e32 v25, 0, v27, vcc
	v_cndmask_b32_e32 v24, 0, v26, vcc
	v_add_f64 v[26:27], v[20:21], -v[16:17]
	v_add_f64 v[8:9], v[8:9], -v[26:27]
	;; [unrolled: 1-line block ×4, first 2 shown]
	v_fma_f64 v[10:11], v[10:11], v[12:13], -v[16:17]
	v_trig_preop_f64 v[16:17], |v[2:3]|, 2
	v_add_f64 v[8:9], v[8:9], v[26:27]
	v_mul_f64 v[26:27], v[16:17], v[12:13]
	v_add_f64 v[30:31], v[26:27], v[10:11]
	v_add_f64 v[32:33], v[30:31], v[8:9]
	v_add_f64 v[18:19], v[22:23], -v[18:19]
	v_add_f64 v[22:23], v[32:33], -v[30:31]
	;; [unrolled: 1-line block ×5, first 2 shown]
	v_add_f64 v[8:9], v[8:9], v[22:23]
	v_add_f64 v[22:23], v[30:31], -v[26:27]
	v_add_f64 v[10:11], v[10:11], -v[22:23]
	v_add_f64 v[22:23], v[30:31], -v[22:23]
	v_add_f64 v[22:23], v[26:27], -v[22:23]
	v_add_f64 v[10:11], v[10:11], v[22:23]
	v_add_f64 v[18:19], v[20:21], -v[18:19]
	v_add_f64 v[8:9], v[10:11], v[8:9]
	v_fma_f64 v[10:11], v[16:17], v[12:13], -v[26:27]
	v_add_f64 v[20:21], v[18:19], v[32:33]
	v_add_f64 v[8:9], v[10:11], v[8:9]
	v_ldexp_f64 v[10:11], v[24:25], 2
	v_add_f64 v[12:13], v[20:21], v[10:11]
	v_mov_b32_e32 v15, 0x40100000
	v_cmp_gt_f64_e32 vcc, 0, v[12:13]
	v_mov_b32_e32 v28, 0
	v_cndmask_b32_e32 v29, 0, v15, vcc
	v_add_f64 v[10:11], v[10:11], v[28:29]
	v_add_f64 v[12:13], v[20:21], v[10:11]
	v_cvt_i32_f64_e32 v15, v[12:13]
	v_cvt_f64_i32_e32 v[12:13], v15
	v_add_f64 v[10:11], v[10:11], -v[12:13]
	v_add_f64 v[18:19], v[20:21], -v[18:19]
	v_add_f64 v[12:13], v[20:21], v[10:11]
	v_add_f64 v[18:19], v[32:33], -v[18:19]
	v_add_f64 v[10:11], v[12:13], -v[10:11]
	v_add_f64 v[8:9], v[18:19], v[8:9]
	v_add_f64 v[10:11], v[20:21], -v[10:11]
	v_add_f64 v[8:9], v[8:9], v[10:11]
	v_cmp_le_f64_e32 vcc, 0.5, v[12:13]
	v_mov_b32_e32 v10, 0x3ff00000
	v_cndmask_b32_e32 v29, 0, v10, vcc
	v_addc_co_u32_e64 v15, s[4:5], 0, v15, vcc
	v_add_f64 v[10:11], v[12:13], -v[28:29]
	v_add_f64 v[12:13], v[10:11], v[8:9]
	s_mov_b32 s4, 0x54442d18
	v_add_f64 v[10:11], v[12:13], -v[10:11]
	s_mov_b32 s5, 0x3ff921fb
	v_add_f64 v[8:9], v[8:9], -v[10:11]
	v_mul_f64 v[10:11], v[12:13], s[4:5]
	s_mov_b32 s16, 0x33145c07
	v_fma_f64 v[16:17], v[12:13], s[4:5], -v[10:11]
	s_mov_b32 s17, 0x3c91a626
	v_fmac_f64_e32 v[16:17], s[16:17], v[12:13]
	v_fmac_f64_e32 v[16:17], s[4:5], v[8:9]
	v_add_f64 v[8:9], v[10:11], v[16:17]
	v_add_f64 v[10:11], v[8:9], -v[10:11]
	v_add_f64 v[10:11], v[16:17], -v[10:11]
	s_andn2_saveexec_b64 s[4:5], s[14:15]
	s_cbranch_execnz .LBB80_69
	s_branch .LBB80_70
.LBB80_68:
	s_andn2_saveexec_b64 s[4:5], s[14:15]
	s_cbranch_execz .LBB80_70
.LBB80_69:
	s_mov_b32 s14, 0x6dc9c883
	s_mov_b32 s15, 0x3fe45f30
	v_mul_f64 v[8:9], |v[2:3]|, s[14:15]
	s_mov_b32 s14, 0x54442d18
	v_rndne_f64_e32 v[12:13], v[8:9]
	s_mov_b32 s15, 0xbff921fb
	v_fma_f64 v[8:9], v[12:13], s[14:15], |v[2:3]|
	s_mov_b32 s15, 0xbc91a626
	s_mov_b32 s14, 0x33145c00
	v_mul_f64 v[16:17], v[12:13], s[14:15]
	v_add_f64 v[20:21], v[8:9], v[16:17]
	v_fma_f64 v[10:11], s[14:15], v[12:13], v[8:9]
	s_mov_b32 s15, 0x3c91a626
	v_add_f64 v[8:9], v[8:9], -v[20:21]
	v_fma_f64 v[18:19], s[14:15], v[12:13], v[16:17]
	v_add_f64 v[8:9], v[8:9], v[16:17]
	v_add_f64 v[16:17], v[20:21], -v[10:11]
	v_add_f64 v[8:9], v[16:17], v[8:9]
	s_mov_b32 s14, 0x252049c0
	v_add_f64 v[16:17], v[8:9], -v[18:19]
	s_mov_b32 s15, 0xb97b839a
	v_fmac_f64_e32 v[16:17], s[14:15], v[12:13]
	v_add_f64 v[8:9], v[10:11], v[16:17]
	v_add_f64 v[10:11], v[8:9], -v[10:11]
	v_add_f64 v[10:11], v[16:17], -v[10:11]
	v_cvt_i32_f64_e32 v15, v[12:13]
.LBB80_70:
	s_or_b64 exec, exec, s[4:5]
	s_mov_b32 s4, 0x652b82fe
	s_mov_b32 s5, 0x3ff71547
	v_mul_f64 v[12:13], |v[0:1]|, s[4:5]
	s_mov_b32 s4, 0xfefa39ef
	v_rndne_f64_e32 v[12:13], v[12:13]
	s_mov_b32 s5, 0xbfe62e42
	v_fma_f64 v[16:17], v[12:13], s[4:5], |v[0:1]|
	s_mov_b32 s4, 0x3b39803f
	s_mov_b32 s5, 0xbc7abc9e
	v_fmac_f64_e32 v[16:17], s[4:5], v[12:13]
	s_mov_b32 s4, 0x6a5dcb37
	v_mov_b32_e32 v18, 0xfca7ab0c
	v_mov_b32_e32 v19, 0x3e928af3
	s_mov_b32 s5, 0x3e5ade15
	v_fmac_f64_e32 v[18:19], s[4:5], v[16:17]
	v_mov_b32_e32 v20, 0x623fde64
	v_mov_b32_e32 v21, 0x3ec71dee
	v_fmac_f64_e32 v[20:21], v[16:17], v[18:19]
	v_mov_b32_e32 v18, 0x7c89e6b0
	v_mov_b32_e32 v19, 0x3efa0199
	;; [unrolled: 3-line block ×8, first 2 shown]
	v_fmac_f64_e32 v[18:19], v[16:17], v[20:21]
	v_fma_f64 v[18:19], v[16:17], v[18:19], 1.0
	v_fma_f64 v[16:17], v[16:17], v[18:19], 1.0
	v_cvt_i32_f64_e32 v12, v[12:13]
	s_mov_b32 s16, 0
	v_ldexp_f64 v[12:13], v[16:17], v12
	s_mov_b32 s17, 0x40900000
	s_mov_b32 s18, 0x9037ab78
	v_mul_f64 v[12:13], v[12:13], 0.5
	v_mov_b32_e32 v16, 0x7ff00000
	v_cmp_ngt_f64_e64 vcc, |v[0:1]|, s[16:17]
	s_mov_b32 s19, 0x3e21eeb6
	s_mov_b32 s16, 0x46cc5e42
	v_cndmask_b32_e32 v13, v16, v13, vcc
	v_mul_f64 v[16:17], v[4:5], v[4:5]
	s_mov_b32 s17, 0xbda907db
	v_pk_mov_b32 v[24:25], s[18:19], s[18:19] op_sel:[0,1]
	s_mov_b32 s18, 0xa17f65f6
	v_mul_f64 v[18:19], v[16:17], 0.5
	v_fma_f64 v[26:27], s[16:17], v[16:17], v[24:25]
	s_mov_b32 s19, 0xbe927e4f
	s_mov_b32 s20, 0x19f4ec90
	v_add_f64 v[20:21], -v[18:19], 1.0
	v_fma_f64 v[26:27], v[16:17], v[26:27], s[18:19]
	s_mov_b32 s21, 0x3efa01a0
	s_mov_b32 s22, 0x16c16967
	s_mov_b32 s14, 0x55555555
	v_add_f64 v[22:23], -v[20:21], 1.0
	v_fma_f64 v[26:27], v[16:17], v[26:27], s[20:21]
	s_mov_b32 s23, 0xbf56c16c
	s_mov_b32 s15, 0x3fa55555
	v_add_f64 v[18:19], v[22:23], -v[18:19]
	v_fma_f64 v[26:27], v[16:17], v[26:27], s[22:23]
	v_mul_f64 v[22:23], v[16:17], v[16:17]
	v_fma_f64 v[26:27], v[16:17], v[26:27], s[14:15]
	v_fma_f64 v[18:19], v[4:5], -v[6:7], v[18:19]
	s_mov_b32 s24, 0xb42fdfa7
	v_fmac_f64_e32 v[18:19], v[22:23], v[26:27]
	s_mov_b32 s25, 0xbe5ae600
	s_mov_b32 s26, 0xf9a43bb8
	v_add_f64 v[18:19], v[20:21], v[18:19]
	s_mov_b32 s27, 0x3de5e0b2
	v_pk_mov_b32 v[20:21], s[24:25], s[24:25] op_sel:[0,1]
	s_mov_b32 s24, 0x796cde01
	v_fma_f64 v[22:23], s[26:27], v[16:17], v[20:21]
	s_mov_b32 s25, 0x3ec71de3
	s_mov_b32 s28, 0x19e83e5c
	;; [unrolled: 1-line block ×3, first 2 shown]
	v_fma_f64 v[22:23], v[16:17], v[22:23], s[24:25]
	s_mov_b32 s29, 0xbf2a01a0
	s_mov_b32 s5, 0x3f811111
	v_fma_f64 v[22:23], v[16:17], v[22:23], s[28:29]
	v_fma_f64 v[22:23], v[16:17], v[22:23], s[4:5]
	v_mul_f64 v[26:27], v[4:5], -v[16:17]
	v_mul_f64 v[28:29], v[6:7], 0.5
	v_fmac_f64_e32 v[28:29], v[26:27], v[22:23]
	v_fma_f64 v[6:7], v[16:17], v[28:29], -v[6:7]
	s_mov_b32 s31, 0xbfc55555
	s_mov_b32 s30, s14
	v_fmac_f64_e32 v[6:7], s[30:31], v[26:27]
	v_add_f64 v[4:5], v[4:5], -v[6:7]
	v_xor_b32_e32 v0, 0x80000000, v5
	v_and_b32_e32 v5, 1, v14
	v_cndmask_b32_e32 v12, 0, v12, vcc
	v_cmp_eq_u32_e32 vcc, 0, v5
	v_lshlrev_b32_e32 v5, 30, v14
	v_cndmask_b32_e32 v4, v4, v18, vcc
	v_cndmask_b32_e32 v0, v0, v19, vcc
	v_and_b32_e32 v5, 0x80000000, v5
	s_movk_i32 vcc_lo, 0x1f8
	v_xor_b32_e32 v0, v0, v5
	v_cmp_class_f64_e64 vcc, v[2:3], vcc_lo
	v_mov_b32_e32 v2, 0x7ff80000
	v_cndmask_b32_e32 v4, 0, v4, vcc
	v_cndmask_b32_e32 v5, v2, v0, vcc
	s_brev_b32 s34, -2
	v_mul_f64 v[4:5], v[12:13], v[4:5]
	v_bfi_b32 v13, s34, v13, v1
	v_mul_f64 v[0:1], v[8:9], v[8:9]
	v_mul_f64 v[6:7], v[0:1], 0.5
	v_fmac_f64_e32 v[24:25], s[16:17], v[0:1]
	v_add_f64 v[16:17], -v[6:7], 1.0
	v_fma_f64 v[22:23], v[0:1], v[24:25], s[18:19]
	v_add_f64 v[18:19], -v[16:17], 1.0
	v_fma_f64 v[22:23], v[0:1], v[22:23], s[20:21]
	v_add_f64 v[6:7], v[18:19], -v[6:7]
	v_fma_f64 v[22:23], v[0:1], v[22:23], s[22:23]
	v_mul_f64 v[18:19], v[0:1], v[0:1]
	v_fma_f64 v[22:23], v[0:1], v[22:23], s[14:15]
	v_fma_f64 v[6:7], v[8:9], -v[10:11], v[6:7]
	v_fmac_f64_e32 v[6:7], v[18:19], v[22:23]
	v_fmac_f64_e32 v[20:21], s[26:27], v[0:1]
	v_add_f64 v[6:7], v[16:17], v[6:7]
	v_fma_f64 v[16:17], v[0:1], v[20:21], s[24:25]
	v_fma_f64 v[16:17], v[0:1], v[16:17], s[28:29]
	;; [unrolled: 1-line block ×3, first 2 shown]
	v_mul_f64 v[18:19], v[8:9], -v[0:1]
	v_mul_f64 v[20:21], v[10:11], 0.5
	v_fmac_f64_e32 v[20:21], v[18:19], v[16:17]
	v_fma_f64 v[0:1], v[0:1], v[20:21], -v[10:11]
	v_fmac_f64_e32 v[0:1], s[30:31], v[18:19]
	v_add_f64 v[0:1], v[8:9], -v[0:1]
	v_and_b32_e32 v8, 1, v15
	v_cmp_eq_u32_e64 s[4:5], 0, v8
	v_cndmask_b32_e64 v0, v6, v0, s[4:5]
	v_lshlrev_b32_e32 v6, 30, v15
	v_xor_b32_e32 v3, v6, v3
	v_cndmask_b32_e64 v1, v7, v1, s[4:5]
	v_and_b32_e32 v3, 0x80000000, v3
	v_xor_b32_e32 v1, v1, v3
	v_cndmask_b32_e32 v0, 0, v0, vcc
	v_cndmask_b32_e32 v1, v2, v1, vcc
	v_mul_f64 v[6:7], v[12:13], v[0:1]
.LBB80_71:
	s_or_b64 exec, exec, s[6:7]
                                        ; implicit-def: $vgpr0_vgpr1
                                        ; implicit-def: $vgpr2_vgpr3
.LBB80_72:
	s_andn2_saveexec_b64 s[6:7], s[12:13]
	s_cbranch_execz .LBB80_82
; %bb.73:
	s_mov_b32 s4, 0
	s_mov_b32 s5, 0x41d00000
	v_cmp_nlt_f64_e64 s[12:13], |v[2:3]|, s[4:5]
	v_trig_preop_f64 v[16:17], |v[2:3]|, 0
	v_trig_preop_f64 v[14:15], |v[2:3]|, 1
	;; [unrolled: 1-line block ×3, first 2 shown]
                                        ; implicit-def: $vgpr18
                                        ; implicit-def: $vgpr4_vgpr5
                                        ; implicit-def: $vgpr6_vgpr7
	s_and_saveexec_b64 s[4:5], s[12:13]
	s_xor_b64 s[14:15], exec, s[4:5]
	s_cbranch_execz .LBB80_75
; %bb.74:
	s_mov_b32 s4, 0
	s_mov_b32 s5, 0x7b000000
	s_movk_i32 s16, 0xff80
	v_and_b32_e32 v6, 0x7fffffff, v3
	v_ldexp_f64 v[4:5], |v[2:3]|, s16
	v_cmp_ge_f64_e64 vcc, |v[2:3]|, s[4:5]
	v_cndmask_b32_e32 v5, v6, v5, vcc
	v_cndmask_b32_e32 v4, v2, v4, vcc
	v_mul_f64 v[8:9], v[16:17], v[4:5]
	v_mul_f64 v[6:7], v[14:15], v[4:5]
	v_fma_f64 v[10:11], v[16:17], v[4:5], -v[8:9]
	v_add_f64 v[18:19], v[6:7], v[10:11]
	v_add_f64 v[20:21], v[8:9], v[18:19]
	s_mov_b32 s4, 0
	v_ldexp_f64 v[22:23], v[20:21], -2
	s_mov_b32 s5, 0x7ff00000
	v_fract_f64_e32 v[24:25], v[22:23]
	v_cmp_neq_f64_e64 vcc, |v[22:23]|, s[4:5]
	v_cndmask_b32_e32 v23, 0, v25, vcc
	v_cndmask_b32_e32 v22, 0, v24, vcc
	v_add_f64 v[24:25], v[18:19], -v[6:7]
	v_add_f64 v[10:11], v[10:11], -v[24:25]
	;; [unrolled: 1-line block ×4, first 2 shown]
	v_add_f64 v[10:11], v[10:11], v[24:25]
	v_fma_f64 v[6:7], v[14:15], v[4:5], -v[6:7]
	v_mul_f64 v[24:25], v[12:13], v[4:5]
	v_add_f64 v[28:29], v[24:25], v[6:7]
	v_add_f64 v[30:31], v[28:29], v[10:11]
	v_add_f64 v[8:9], v[20:21], -v[8:9]
	v_add_f64 v[20:21], v[30:31], -v[28:29]
	;; [unrolled: 1-line block ×5, first 2 shown]
	v_add_f64 v[10:11], v[10:11], v[20:21]
	v_add_f64 v[20:21], v[28:29], -v[24:25]
	v_add_f64 v[6:7], v[6:7], -v[20:21]
	;; [unrolled: 1-line block ×5, first 2 shown]
	v_add_f64 v[18:19], v[8:9], v[30:31]
	v_add_f64 v[6:7], v[6:7], v[20:21]
	v_add_f64 v[8:9], v[18:19], -v[8:9]
	v_add_f64 v[6:7], v[6:7], v[10:11]
	v_fma_f64 v[4:5], v[12:13], v[4:5], -v[24:25]
	v_add_f64 v[8:9], v[30:31], -v[8:9]
	v_add_f64 v[4:5], v[4:5], v[6:7]
	v_ldexp_f64 v[6:7], v[22:23], 2
	v_add_f64 v[4:5], v[8:9], v[4:5]
	v_add_f64 v[8:9], v[18:19], v[6:7]
	v_mov_b32_e32 v10, 0x40100000
	v_cmp_gt_f64_e32 vcc, 0, v[8:9]
	v_mov_b32_e32 v26, 0
	v_cndmask_b32_e32 v27, 0, v10, vcc
	v_add_f64 v[6:7], v[6:7], v[26:27]
	v_add_f64 v[8:9], v[18:19], v[6:7]
	v_cvt_i32_f64_e32 v10, v[8:9]
	v_cvt_f64_i32_e32 v[8:9], v10
	v_add_f64 v[6:7], v[6:7], -v[8:9]
	v_add_f64 v[8:9], v[18:19], v[6:7]
	v_add_f64 v[6:7], v[8:9], -v[6:7]
	v_add_f64 v[6:7], v[18:19], -v[6:7]
	v_add_f64 v[4:5], v[4:5], v[6:7]
	v_cmp_le_f64_e32 vcc, 0.5, v[8:9]
	v_mov_b32_e32 v6, 0x3ff00000
	v_cndmask_b32_e32 v27, 0, v6, vcc
	v_addc_co_u32_e64 v18, s[4:5], 0, v10, vcc
	v_add_f64 v[6:7], v[8:9], -v[26:27]
	v_add_f64 v[8:9], v[6:7], v[4:5]
	s_mov_b32 s4, 0x54442d18
	v_add_f64 v[6:7], v[8:9], -v[6:7]
	s_mov_b32 s5, 0x3ff921fb
	v_add_f64 v[4:5], v[4:5], -v[6:7]
	v_mul_f64 v[6:7], v[8:9], s[4:5]
	s_mov_b32 s16, 0x33145c07
	v_fma_f64 v[10:11], v[8:9], s[4:5], -v[6:7]
	s_mov_b32 s17, 0x3c91a626
	v_fmac_f64_e32 v[10:11], s[16:17], v[8:9]
	v_fmac_f64_e32 v[10:11], s[4:5], v[4:5]
	v_add_f64 v[4:5], v[6:7], v[10:11]
	v_add_f64 v[6:7], v[4:5], -v[6:7]
	v_add_f64 v[6:7], v[10:11], -v[6:7]
	s_andn2_saveexec_b64 s[4:5], s[14:15]
	s_cbranch_execz .LBB80_77
	s_branch .LBB80_76
.LBB80_75:
	s_andn2_saveexec_b64 s[4:5], s[14:15]
	s_cbranch_execz .LBB80_77
.LBB80_76:
	s_mov_b32 s14, 0x6dc9c883
	s_mov_b32 s15, 0x3fe45f30
	v_mul_f64 v[4:5], |v[2:3]|, s[14:15]
	s_mov_b32 s14, 0x54442d18
	v_rndne_f64_e32 v[8:9], v[4:5]
	s_mov_b32 s15, 0xbff921fb
	v_fma_f64 v[4:5], v[8:9], s[14:15], |v[2:3]|
	s_mov_b32 s15, 0xbc91a626
	s_mov_b32 s14, 0x33145c00
	v_mul_f64 v[10:11], v[8:9], s[14:15]
	v_add_f64 v[20:21], v[4:5], v[10:11]
	v_fma_f64 v[6:7], s[14:15], v[8:9], v[4:5]
	s_mov_b32 s15, 0x3c91a626
	v_add_f64 v[4:5], v[4:5], -v[20:21]
	v_fma_f64 v[18:19], s[14:15], v[8:9], v[10:11]
	v_add_f64 v[4:5], v[4:5], v[10:11]
	v_add_f64 v[10:11], v[20:21], -v[6:7]
	v_add_f64 v[4:5], v[10:11], v[4:5]
	s_mov_b32 s14, 0x252049c0
	v_add_f64 v[10:11], v[4:5], -v[18:19]
	s_mov_b32 s15, 0xb97b839a
	v_fmac_f64_e32 v[10:11], s[14:15], v[8:9]
	v_add_f64 v[4:5], v[6:7], v[10:11]
	v_add_f64 v[6:7], v[4:5], -v[6:7]
	v_add_f64 v[6:7], v[10:11], -v[6:7]
	v_cvt_i32_f64_e32 v18, v[8:9]
.LBB80_77:
	s_or_b64 exec, exec, s[4:5]
                                        ; implicit-def: $vgpr19
                                        ; implicit-def: $vgpr8_vgpr9
                                        ; implicit-def: $vgpr10_vgpr11
	s_and_saveexec_b64 s[4:5], s[12:13]
	s_xor_b64 s[12:13], exec, s[4:5]
	s_cbranch_execz .LBB80_79
; %bb.78:
	s_mov_b32 s4, 0
	s_mov_b32 s5, 0x7b000000
	s_movk_i32 s14, 0xff80
	v_and_b32_e32 v10, 0x7fffffff, v3
	v_ldexp_f64 v[8:9], |v[2:3]|, s14
	v_cmp_ge_f64_e64 vcc, |v[2:3]|, s[4:5]
	v_cndmask_b32_e32 v9, v10, v9, vcc
	v_cndmask_b32_e32 v8, v2, v8, vcc
	v_mul_f64 v[20:21], v[16:17], v[8:9]
	v_mul_f64 v[10:11], v[14:15], v[8:9]
	v_fma_f64 v[16:17], v[16:17], v[8:9], -v[20:21]
	v_add_f64 v[22:23], v[10:11], v[16:17]
	v_add_f64 v[24:25], v[20:21], v[22:23]
	s_mov_b32 s4, 0
	v_ldexp_f64 v[26:27], v[24:25], -2
	s_mov_b32 s5, 0x7ff00000
	v_fract_f64_e32 v[28:29], v[26:27]
	v_cmp_neq_f64_e64 vcc, |v[26:27]|, s[4:5]
	v_cndmask_b32_e32 v27, 0, v29, vcc
	v_cndmask_b32_e32 v26, 0, v28, vcc
	v_add_f64 v[28:29], v[22:23], -v[10:11]
	v_add_f64 v[16:17], v[16:17], -v[28:29]
	;; [unrolled: 1-line block ×4, first 2 shown]
	v_fma_f64 v[10:11], v[14:15], v[8:9], -v[10:11]
	v_mul_f64 v[14:15], v[12:13], v[8:9]
	v_add_f64 v[16:17], v[16:17], v[28:29]
	v_add_f64 v[28:29], v[14:15], v[10:11]
	;; [unrolled: 1-line block ×3, first 2 shown]
	v_add_f64 v[20:21], v[24:25], -v[20:21]
	v_add_f64 v[24:25], v[32:33], -v[28:29]
	;; [unrolled: 1-line block ×5, first 2 shown]
	v_add_f64 v[16:17], v[16:17], v[24:25]
	v_add_f64 v[24:25], v[28:29], -v[14:15]
	v_add_f64 v[10:11], v[10:11], -v[24:25]
	;; [unrolled: 1-line block ×4, first 2 shown]
	v_add_f64 v[10:11], v[10:11], v[24:25]
	v_add_f64 v[20:21], v[22:23], -v[20:21]
	v_add_f64 v[10:11], v[10:11], v[16:17]
	v_fma_f64 v[8:9], v[12:13], v[8:9], -v[14:15]
	v_add_f64 v[22:23], v[20:21], v[32:33]
	v_add_f64 v[8:9], v[8:9], v[10:11]
	v_ldexp_f64 v[10:11], v[26:27], 2
	v_add_f64 v[12:13], v[22:23], v[10:11]
	v_mov_b32_e32 v14, 0x40100000
	v_cmp_gt_f64_e32 vcc, 0, v[12:13]
	v_mov_b32_e32 v30, 0
	v_cndmask_b32_e32 v31, 0, v14, vcc
	v_add_f64 v[10:11], v[10:11], v[30:31]
	v_add_f64 v[12:13], v[22:23], v[10:11]
	v_cvt_i32_f64_e32 v14, v[12:13]
	v_cvt_f64_i32_e32 v[12:13], v14
	v_add_f64 v[10:11], v[10:11], -v[12:13]
	v_add_f64 v[20:21], v[22:23], -v[20:21]
	v_add_f64 v[12:13], v[22:23], v[10:11]
	v_add_f64 v[20:21], v[32:33], -v[20:21]
	v_add_f64 v[10:11], v[12:13], -v[10:11]
	v_add_f64 v[8:9], v[20:21], v[8:9]
	v_add_f64 v[10:11], v[22:23], -v[10:11]
	v_add_f64 v[8:9], v[8:9], v[10:11]
	v_cmp_le_f64_e32 vcc, 0.5, v[12:13]
	v_mov_b32_e32 v10, 0x3ff00000
	v_cndmask_b32_e32 v31, 0, v10, vcc
	v_addc_co_u32_e64 v19, s[4:5], 0, v14, vcc
	v_add_f64 v[10:11], v[12:13], -v[30:31]
	v_add_f64 v[12:13], v[10:11], v[8:9]
	s_mov_b32 s4, 0x54442d18
	v_add_f64 v[10:11], v[12:13], -v[10:11]
	s_mov_b32 s5, 0x3ff921fb
	v_add_f64 v[8:9], v[8:9], -v[10:11]
	v_mul_f64 v[10:11], v[12:13], s[4:5]
	s_mov_b32 s14, 0x33145c07
	v_fma_f64 v[14:15], v[12:13], s[4:5], -v[10:11]
	s_mov_b32 s15, 0x3c91a626
	v_fmac_f64_e32 v[14:15], s[14:15], v[12:13]
	v_fmac_f64_e32 v[14:15], s[4:5], v[8:9]
	v_add_f64 v[8:9], v[10:11], v[14:15]
	v_add_f64 v[10:11], v[8:9], -v[10:11]
	v_add_f64 v[10:11], v[14:15], -v[10:11]
	s_andn2_saveexec_b64 s[4:5], s[12:13]
	s_cbranch_execnz .LBB80_80
	s_branch .LBB80_81
.LBB80_79:
	s_andn2_saveexec_b64 s[4:5], s[12:13]
	s_cbranch_execz .LBB80_81
.LBB80_80:
	s_mov_b32 s12, 0x6dc9c883
	s_mov_b32 s13, 0x3fe45f30
	v_mul_f64 v[8:9], |v[2:3]|, s[12:13]
	s_mov_b32 s12, 0x54442d18
	v_rndne_f64_e32 v[12:13], v[8:9]
	s_mov_b32 s13, 0xbff921fb
	v_fma_f64 v[8:9], v[12:13], s[12:13], |v[2:3]|
	s_mov_b32 s13, 0xbc91a626
	s_mov_b32 s12, 0x33145c00
	v_mul_f64 v[14:15], v[12:13], s[12:13]
	v_add_f64 v[20:21], v[8:9], v[14:15]
	v_fma_f64 v[10:11], s[12:13], v[12:13], v[8:9]
	s_mov_b32 s13, 0x3c91a626
	v_add_f64 v[8:9], v[8:9], -v[20:21]
	v_fma_f64 v[16:17], s[12:13], v[12:13], v[14:15]
	v_add_f64 v[8:9], v[8:9], v[14:15]
	v_add_f64 v[14:15], v[20:21], -v[10:11]
	v_add_f64 v[8:9], v[14:15], v[8:9]
	s_mov_b32 s12, 0x252049c0
	v_add_f64 v[14:15], v[8:9], -v[16:17]
	s_mov_b32 s13, 0xb97b839a
	v_fmac_f64_e32 v[14:15], s[12:13], v[12:13]
	v_add_f64 v[8:9], v[10:11], v[14:15]
	v_add_f64 v[10:11], v[8:9], -v[10:11]
	v_add_f64 v[10:11], v[14:15], -v[10:11]
	v_cvt_i32_f64_e32 v19, v[12:13]
.LBB80_81:
	s_or_b64 exec, exec, s[4:5]
	s_mov_b32 s5, 0xbfe62e42
	s_mov_b32 s4, 0xfefa39ef
	v_add_f64 v[12:13], |v[0:1]|, s[4:5]
	v_add_f64 v[14:15], v[12:13], -|v[0:1]|
	v_add_f64 v[20:21], v[14:15], -v[12:13]
	s_mov_b32 s13, 0x3fe62e42
	s_mov_b32 s12, s4
	v_add_f64 v[20:21], |v[0:1]|, v[20:21]
	v_add_f64 v[14:15], v[14:15], s[12:13]
	s_mov_b32 s12, 0x3b39803f
	v_add_f64 v[14:15], v[20:21], -v[14:15]
	s_mov_b32 s13, 0xbc7abc9e
	v_add_f64 v[14:15], v[14:15], s[12:13]
	v_add_f64 v[20:21], v[12:13], v[14:15]
	s_mov_b32 s12, 0x652b82fe
	v_add_f64 v[12:13], v[12:13], -v[20:21]
	s_mov_b32 s13, 0x3ff71547
	v_add_f64 v[14:15], v[14:15], v[12:13]
	v_mul_f64 v[12:13], v[20:21], s[12:13]
	v_rndne_f64_e32 v[12:13], v[12:13]
	s_mov_b32 s4, 0xfefa3000
	v_fmac_f64_e32 v[20:21], s[4:5], v[12:13]
	v_add_f64 v[22:23], v[14:15], v[20:21]
	s_mov_b32 s4, 0xf278e000
	v_add_f64 v[20:21], v[20:21], -v[22:23]
	s_mov_b32 s5, 0xbd53de6a
	v_add_f64 v[14:15], v[14:15], v[20:21]
	v_mul_f64 v[20:21], v[12:13], s[4:5]
	v_add_f64 v[24:25], v[22:23], v[20:21]
	v_add_f64 v[22:23], v[22:23], -v[24:25]
	v_add_f64 v[20:21], v[22:23], v[20:21]
	v_add_f64 v[14:15], v[14:15], v[20:21]
	;; [unrolled: 1-line block ×3, first 2 shown]
	s_mov_b32 s4, 0xf97b57a0
	v_add_f64 v[22:23], v[24:25], -v[20:21]
	s_mov_b32 s5, 0xbac9cc01
	v_add_f64 v[14:15], v[14:15], v[22:23]
	v_mul_f64 v[22:23], v[12:13], s[4:5]
	v_add_f64 v[24:25], v[20:21], v[22:23]
	v_add_f64 v[20:21], v[20:21], -v[24:25]
	v_add_f64 v[20:21], v[20:21], v[22:23]
	v_add_f64 v[14:15], v[14:15], v[20:21]
	;; [unrolled: 1-line block ×3, first 2 shown]
	v_add_f64 v[22:23], v[24:25], -v[20:21]
	s_mov_b32 s4, 0x6a5dcb37
	v_add_f64 v[14:15], v[14:15], v[22:23]
	v_mov_b32_e32 v22, 0xfca7ab0c
	v_mov_b32_e32 v23, 0x3e928af3
	s_mov_b32 s5, 0x3e5ade15
	v_fmac_f64_e32 v[22:23], s[4:5], v[20:21]
	v_mov_b32_e32 v24, 0x623fde64
	v_mov_b32_e32 v25, 0x3ec71dee
	v_fmac_f64_e32 v[24:25], v[20:21], v[22:23]
	v_mov_b32_e32 v22, 0x7c89e6b0
	v_mov_b32_e32 v23, 0x3efa0199
	v_fmac_f64_e32 v[22:23], v[20:21], v[24:25]
	v_mov_b32_e32 v24, 0x14761f6e
	v_mov_b32_e32 v25, 0x3f2a01a0
	v_fmac_f64_e32 v[24:25], v[20:21], v[22:23]
	v_mov_b32_e32 v22, 0x1852b7b0
	v_mov_b32_e32 v23, 0x3f56c16c
	v_fmac_f64_e32 v[22:23], v[20:21], v[24:25]
	v_mov_b32_e32 v24, 0x11122322
	v_mov_b32_e32 v25, 0x3f811111
	v_fmac_f64_e32 v[24:25], v[20:21], v[22:23]
	v_mov_b32_e32 v22, 0x555502a1
	v_mov_b32_e32 v23, 0x3fa55555
	v_fmac_f64_e32 v[22:23], v[20:21], v[24:25]
	v_mov_b32_e32 v24, 0x55555511
	v_mov_b32_e32 v25, 0x3fc55555
	v_fmac_f64_e32 v[24:25], v[20:21], v[22:23]
	v_mov_b32_e32 v22, 11
	v_mov_b32_e32 v23, 0x3fe00000
	v_fmac_f64_e32 v[22:23], v[20:21], v[24:25]
	v_mul_f64 v[24:25], v[20:21], v[20:21]
	v_fma_f64 v[26:27], v[20:21], v[20:21], -v[24:25]
	v_add_f64 v[28:29], v[14:15], v[14:15]
	v_fmac_f64_e32 v[26:27], v[20:21], v[28:29]
	v_add_f64 v[28:29], v[24:25], v[26:27]
	v_add_f64 v[24:25], v[28:29], -v[24:25]
	v_add_f64 v[24:25], v[26:27], -v[24:25]
	v_mul_f64 v[26:27], v[28:29], v[22:23]
	v_fma_f64 v[28:29], v[28:29], v[22:23], -v[26:27]
	v_fmac_f64_e32 v[28:29], v[24:25], v[22:23]
	v_add_f64 v[22:23], v[26:27], v[28:29]
	v_add_f64 v[24:25], v[22:23], -v[26:27]
	v_add_f64 v[26:27], v[20:21], v[22:23]
	v_add_f64 v[24:25], v[28:29], -v[24:25]
	v_add_f64 v[20:21], v[26:27], -v[20:21]
	;; [unrolled: 1-line block ×3, first 2 shown]
	v_add_f64 v[14:15], v[14:15], v[24:25]
	v_add_f64 v[14:15], v[14:15], v[20:21]
	;; [unrolled: 1-line block ×3, first 2 shown]
	v_add_f64 v[22:23], v[20:21], -v[26:27]
	v_add_f64 v[14:15], v[14:15], -v[22:23]
	v_add_f64 v[22:23], v[20:21], 1.0
	v_add_f64 v[24:25], v[22:23], -1.0
	v_add_f64 v[20:21], v[20:21], -v[24:25]
	v_add_f64 v[14:15], v[14:15], v[20:21]
	v_add_f64 v[20:21], v[22:23], v[14:15]
	v_cvt_i32_f64_e32 v17, v[12:13]
	v_ldexp_f64 v[12:13], v[20:21], v17
	v_rcp_f64_e32 v[24:25], v[12:13]
	v_add_f64 v[20:21], v[20:21], -v[22:23]
	v_add_f64 v[14:15], v[14:15], -v[20:21]
	v_ldexp_f64 v[14:15], v[14:15], v17
	v_fma_f64 v[20:21], -v[12:13], v[24:25], 1.0
	v_fmac_f64_e32 v[24:25], v[20:21], v[24:25]
	v_fma_f64 v[20:21], -v[12:13], v[24:25], 1.0
	v_fmac_f64_e32 v[24:25], v[20:21], v[24:25]
	v_mul_f64 v[20:21], v[12:13], v[24:25]
	v_fma_f64 v[22:23], v[24:25], v[12:13], -v[20:21]
	v_fmac_f64_e32 v[22:23], v[24:25], v[14:15]
	v_add_f64 v[26:27], v[20:21], v[22:23]
	v_add_f64 v[28:29], -v[26:27], 1.0
	v_add_f64 v[20:21], v[26:27], -v[20:21]
	v_add_f64 v[30:31], -v[28:29], 1.0
	v_add_f64 v[26:27], v[30:31], -v[26:27]
	v_add_f64 v[20:21], v[20:21], -v[22:23]
	v_add_f64 v[20:21], v[20:21], v[26:27]
	v_add_f64 v[22:23], v[28:29], v[20:21]
	v_add_f64 v[26:27], v[28:29], -v[22:23]
	v_add_f64 v[20:21], v[20:21], v[26:27]
	v_mul_f64 v[26:27], v[24:25], v[22:23]
	v_mul_f64 v[28:29], v[12:13], v[26:27]
	v_fma_f64 v[30:31], v[26:27], v[12:13], -v[28:29]
	v_fmac_f64_e32 v[30:31], v[26:27], v[14:15]
	v_add_f64 v[32:33], v[28:29], v[30:31]
	v_add_f64 v[34:35], v[22:23], -v[32:33]
	v_add_f64 v[22:23], v[22:23], -v[34:35]
	;; [unrolled: 1-line block ×4, first 2 shown]
	v_add_f64 v[20:21], v[20:21], v[22:23]
	v_add_f64 v[22:23], v[28:29], -v[30:31]
	v_add_f64 v[20:21], v[22:23], v[20:21]
	v_add_f64 v[20:21], v[34:35], v[20:21]
	v_add_f64 v[22:23], v[24:25], v[26:27]
	v_mul_f64 v[20:21], v[24:25], v[20:21]
	v_add_f64 v[24:25], v[22:23], -v[24:25]
	v_add_f64 v[24:25], v[26:27], -v[24:25]
	v_add_f64 v[20:21], v[24:25], v[20:21]
	v_add_f64 v[24:25], v[22:23], v[20:21]
	v_add_f64 v[22:23], v[24:25], -v[22:23]
	v_add_f64 v[20:21], v[20:21], -v[22:23]
	v_ldexp_f64 v[22:23], v[24:25], -2
	v_add_f64 v[24:25], v[12:13], v[22:23]
	s_mov_b32 s4, 0x8fb9f87e
	v_ldexp_f64 v[20:21], v[20:21], -2
	v_add_f64 v[26:27], v[24:25], -v[12:13]
	s_mov_b32 s5, 0x408633ce
	v_add_f64 v[26:27], v[22:23], -v[26:27]
	v_add_f64 v[28:29], v[14:15], v[20:21]
	v_cmp_ge_f64_e64 vcc, |v[0:1]|, s[4:5]
	s_mov_b32 s4, 0x9037ab78
	v_add_f64 v[26:27], v[28:29], v[26:27]
	s_mov_b32 s5, 0x3e21eeb6
	s_mov_b32 s16, 0x46cc5e42
	v_add_f64 v[24:25], v[24:25], v[26:27]
	v_mul_f64 v[26:27], v[4:5], v[4:5]
	s_mov_b32 s17, 0xbda907db
	v_pk_mov_b32 v[34:35], s[4:5], s[4:5] op_sel:[0,1]
	s_mov_b32 s18, 0xa17f65f6
	v_mul_f64 v[28:29], v[26:27], 0.5
	v_fma_f64 v[36:37], s[16:17], v[26:27], v[34:35]
	s_mov_b32 s19, 0xbe927e4f
	s_mov_b32 s20, 0x19f4ec90
	v_add_f64 v[30:31], -v[28:29], 1.0
	v_fma_f64 v[36:37], v[26:27], v[36:37], s[18:19]
	s_mov_b32 s21, 0x3efa01a0
	s_mov_b32 s24, 0x16c16967
	;; [unrolled: 1-line block ×3, first 2 shown]
	v_add_f64 v[32:33], -v[30:31], 1.0
	v_fma_f64 v[36:37], v[26:27], v[36:37], s[20:21]
	s_mov_b32 s25, 0xbf56c16c
	s_mov_b32 s15, 0x3fa55555
	v_add_f64 v[28:29], v[32:33], -v[28:29]
	v_fma_f64 v[36:37], v[26:27], v[36:37], s[24:25]
	v_mul_f64 v[32:33], v[26:27], v[26:27]
	v_fma_f64 v[36:37], v[26:27], v[36:37], s[14:15]
	v_fma_f64 v[28:29], v[4:5], -v[6:7], v[28:29]
	s_mov_b32 s4, 0xb42fdfa7
	v_fmac_f64_e32 v[28:29], v[32:33], v[36:37]
	s_mov_b32 s5, 0xbe5ae600
	s_mov_b32 s26, 0xf9a43bb8
	v_add_f64 v[28:29], v[30:31], v[28:29]
	s_mov_b32 s27, 0x3de5e0b2
	v_pk_mov_b32 v[30:31], s[4:5], s[4:5] op_sel:[0,1]
	s_mov_b32 s28, 0x796cde01
	v_fma_f64 v[32:33], s[26:27], v[26:27], v[30:31]
	s_mov_b32 s29, 0x3ec71de3
	s_mov_b32 s30, 0x19e83e5c
	;; [unrolled: 1-line block ×3, first 2 shown]
	v_fma_f64 v[32:33], v[26:27], v[32:33], s[28:29]
	s_mov_b32 s31, 0xbf2a01a0
	s_mov_b32 s13, 0x3f811111
	v_fma_f64 v[32:33], v[26:27], v[32:33], s[30:31]
	v_fma_f64 v[32:33], v[26:27], v[32:33], s[12:13]
	v_mul_f64 v[36:37], v[4:5], -v[26:27]
	v_mul_f64 v[38:39], v[6:7], 0.5
	v_fmac_f64_e32 v[38:39], v[36:37], v[32:33]
	v_fma_f64 v[6:7], v[26:27], v[38:39], -v[6:7]
	s_mov_b32 s35, 0xbfc55555
	s_mov_b32 s34, s14
	v_fmac_f64_e32 v[6:7], s[34:35], v[36:37]
	v_add_f64 v[4:5], v[4:5], -v[6:7]
	v_and_b32_e32 v6, 1, v18
	v_xor_b32_e32 v5, 0x80000000, v5
	v_cmp_eq_u32_e64 s[4:5], 0, v6
	v_lshlrev_b32_e32 v6, 30, v18
	v_cndmask_b32_e64 v5, v5, v29, s[4:5]
	v_and_b32_e32 v6, 0x80000000, v6
	v_xor_b32_e32 v5, v5, v6
	v_add_f64 v[6:7], v[12:13], -v[22:23]
	v_add_f64 v[12:13], v[12:13], -v[6:7]
	v_add_f64 v[12:13], v[12:13], -v[22:23]
	v_add_f64 v[12:13], v[14:15], v[12:13]
	v_add_f64 v[12:13], v[12:13], -v[20:21]
	v_mov_b32_e32 v17, 0x7ff00000
	v_cndmask_b32_e64 v4, v4, v28, s[4:5]
	s_movk_i32 s4, 0x1f8
	v_add_f64 v[6:7], v[6:7], v[12:13]
	v_cndmask_b32_e32 v25, v25, v17, vcc
	v_cndmask_b32_e64 v24, v24, 0, vcc
	v_cmp_class_f64_e64 s[4:5], v[2:3], s4
	v_cndmask_b32_e32 v2, v7, v17, vcc
	v_cndmask_b32_e64 v6, v6, 0, vcc
	s_mov_b32 vcc_lo, 0
	s_mov_b32 vcc_hi, 0x3e400000
	v_cmp_lt_f64_e64 vcc, |v[0:1]|, vcc
	v_cndmask_b32_e32 v0, v6, v0, vcc
	v_mul_f64 v[6:7], v[8:9], v[8:9]
	v_mul_f64 v[12:13], v[6:7], 0.5
	v_fmac_f64_e32 v[34:35], s[16:17], v[6:7]
	v_and_b32_e32 v16, 0x7fffffff, v1
	v_add_f64 v[14:15], -v[12:13], 1.0
	v_fma_f64 v[20:21], v[6:7], v[34:35], s[18:19]
	v_cndmask_b32_e32 v2, v2, v16, vcc
	v_add_f64 v[16:17], -v[14:15], 1.0
	v_fma_f64 v[20:21], v[6:7], v[20:21], s[20:21]
	v_add_f64 v[12:13], v[16:17], -v[12:13]
	v_fma_f64 v[20:21], v[6:7], v[20:21], s[24:25]
	v_mul_f64 v[16:17], v[6:7], v[6:7]
	v_fma_f64 v[20:21], v[6:7], v[20:21], s[14:15]
	v_fma_f64 v[12:13], v[8:9], -v[10:11], v[12:13]
	v_fmac_f64_e32 v[12:13], v[16:17], v[20:21]
	v_fmac_f64_e32 v[30:31], s[26:27], v[6:7]
	v_add_f64 v[12:13], v[14:15], v[12:13]
	v_fma_f64 v[14:15], v[6:7], v[30:31], s[28:29]
	v_fma_f64 v[14:15], v[6:7], v[14:15], s[30:31]
	;; [unrolled: 1-line block ×3, first 2 shown]
	v_mul_f64 v[16:17], v[8:9], -v[6:7]
	v_mul_f64 v[20:21], v[10:11], 0.5
	v_fmac_f64_e32 v[20:21], v[16:17], v[14:15]
	s_brev_b32 s22, -2
	v_fma_f64 v[6:7], v[6:7], v[20:21], -v[10:11]
	v_bfi_b32 v1, s22, v2, v1
	v_fmac_f64_e32 v[6:7], s[34:35], v[16:17]
	v_and_b32_e32 v2, 1, v19
	v_add_f64 v[6:7], v[8:9], -v[6:7]
	v_cmp_eq_u32_e32 vcc, 0, v2
	v_cndmask_b32_e32 v2, v12, v6, vcc
	v_cndmask_b32_e32 v6, v13, v7, vcc
	v_lshlrev_b32_e32 v7, 30, v19
	v_xor_b32_e32 v3, v7, v3
	v_and_b32_e32 v3, 0x80000000, v3
	v_mov_b32_e32 v18, 0x7ff80000
	v_xor_b32_e32 v3, v6, v3
	v_cndmask_b32_e64 v4, 0, v4, s[4:5]
	v_cndmask_b32_e64 v5, v18, v5, s[4:5]
	v_cndmask_b32_e64 v2, 0, v2, s[4:5]
	v_cndmask_b32_e64 v3, v18, v3, s[4:5]
	v_mul_f64 v[4:5], v[24:25], v[4:5]
	v_mul_f64 v[6:7], v[0:1], v[2:3]
.LBB80_82:
	s_or_b64 exec, exec, s[6:7]
                                        ; implicit-def: $vgpr0_vgpr1
                                        ; implicit-def: $vgpr2_vgpr3
.LBB80_83:
	s_andn2_saveexec_b64 s[4:5], s[10:11]
	s_cbranch_execz .LBB80_85
; %bb.84:
	s_mov_b32 s7, 0xbfe62e42
	s_mov_b32 s6, 0xfefa39ef
	v_add_f64 v[4:5], |v[0:1]|, s[6:7]
	v_add_f64 v[6:7], v[4:5], -|v[0:1]|
	v_add_f64 v[8:9], v[6:7], -v[4:5]
	s_mov_b32 s11, 0x3fe62e42
	s_mov_b32 s10, s6
	v_add_f64 v[8:9], |v[0:1]|, v[8:9]
	v_add_f64 v[6:7], v[6:7], s[10:11]
	s_mov_b32 s10, 0x3b39803f
	v_add_f64 v[6:7], v[8:9], -v[6:7]
	s_mov_b32 s11, 0xbc7abc9e
	v_add_f64 v[6:7], v[6:7], s[10:11]
	v_add_f64 v[8:9], v[4:5], v[6:7]
	s_mov_b32 s10, 0x652b82fe
	v_add_f64 v[4:5], v[4:5], -v[8:9]
	s_mov_b32 s11, 0x3ff71547
	v_add_f64 v[4:5], v[6:7], v[4:5]
	v_mul_f64 v[6:7], v[8:9], s[10:11]
	v_rndne_f64_e32 v[6:7], v[6:7]
	s_mov_b32 s6, 0xfefa3000
	v_fmac_f64_e32 v[8:9], s[6:7], v[6:7]
	v_add_f64 v[10:11], v[4:5], v[8:9]
	s_mov_b32 s6, 0xf278e000
	v_add_f64 v[8:9], v[8:9], -v[10:11]
	s_mov_b32 s7, 0xbd53de6a
	v_add_f64 v[4:5], v[4:5], v[8:9]
	v_mul_f64 v[8:9], v[6:7], s[6:7]
	v_add_f64 v[12:13], v[10:11], v[8:9]
	v_add_f64 v[10:11], v[10:11], -v[12:13]
	v_add_f64 v[8:9], v[10:11], v[8:9]
	v_add_f64 v[4:5], v[4:5], v[8:9]
	;; [unrolled: 1-line block ×3, first 2 shown]
	s_mov_b32 s6, 0xf97b57a0
	v_add_f64 v[10:11], v[12:13], -v[8:9]
	s_mov_b32 s7, 0xbac9cc01
	v_add_f64 v[4:5], v[4:5], v[10:11]
	v_mul_f64 v[10:11], v[6:7], s[6:7]
	v_add_f64 v[12:13], v[8:9], v[10:11]
	v_add_f64 v[8:9], v[8:9], -v[12:13]
	v_add_f64 v[8:9], v[8:9], v[10:11]
	v_add_f64 v[4:5], v[4:5], v[8:9]
	;; [unrolled: 1-line block ×3, first 2 shown]
	v_add_f64 v[10:11], v[12:13], -v[8:9]
	s_mov_b32 s6, 0x6a5dcb37
	v_add_f64 v[4:5], v[4:5], v[10:11]
	v_mov_b32_e32 v10, 0xfca7ab0c
	v_mov_b32_e32 v11, 0x3e928af3
	s_mov_b32 s7, 0x3e5ade15
	v_fmac_f64_e32 v[10:11], s[6:7], v[8:9]
	v_mov_b32_e32 v12, 0x623fde64
	v_mov_b32_e32 v13, 0x3ec71dee
	v_fmac_f64_e32 v[12:13], v[8:9], v[10:11]
	v_mov_b32_e32 v10, 0x7c89e6b0
	v_mov_b32_e32 v11, 0x3efa0199
	;; [unrolled: 3-line block ×8, first 2 shown]
	v_fmac_f64_e32 v[10:11], v[8:9], v[12:13]
	v_mul_f64 v[12:13], v[8:9], v[8:9]
	v_fma_f64 v[14:15], v[8:9], v[8:9], -v[12:13]
	v_add_f64 v[16:17], v[4:5], v[4:5]
	v_fmac_f64_e32 v[14:15], v[8:9], v[16:17]
	v_add_f64 v[16:17], v[12:13], v[14:15]
	v_add_f64 v[12:13], v[16:17], -v[12:13]
	v_add_f64 v[12:13], v[14:15], -v[12:13]
	v_mul_f64 v[14:15], v[16:17], v[10:11]
	v_fma_f64 v[16:17], v[16:17], v[10:11], -v[14:15]
	v_fmac_f64_e32 v[16:17], v[12:13], v[10:11]
	v_add_f64 v[10:11], v[14:15], v[16:17]
	v_add_f64 v[12:13], v[10:11], -v[14:15]
	v_add_f64 v[14:15], v[8:9], v[10:11]
	v_add_f64 v[12:13], v[16:17], -v[12:13]
	v_add_f64 v[8:9], v[14:15], -v[8:9]
	;; [unrolled: 1-line block ×3, first 2 shown]
	v_add_f64 v[4:5], v[4:5], v[12:13]
	v_add_f64 v[4:5], v[4:5], v[8:9]
	;; [unrolled: 1-line block ×3, first 2 shown]
	v_add_f64 v[10:11], v[8:9], -v[14:15]
	v_add_f64 v[4:5], v[4:5], -v[10:11]
	v_add_f64 v[10:11], v[8:9], 1.0
	v_add_f64 v[12:13], v[10:11], -1.0
	v_add_f64 v[8:9], v[8:9], -v[12:13]
	v_add_f64 v[4:5], v[4:5], v[8:9]
	v_add_f64 v[8:9], v[10:11], v[4:5]
	v_cvt_i32_f64_e32 v14, v[6:7]
	v_ldexp_f64 v[6:7], v[8:9], v14
	v_rcp_f64_e32 v[12:13], v[6:7]
	v_add_f64 v[8:9], v[8:9], -v[10:11]
	v_add_f64 v[4:5], v[4:5], -v[8:9]
	v_ldexp_f64 v[4:5], v[4:5], v14
	v_fma_f64 v[8:9], -v[6:7], v[12:13], 1.0
	v_fmac_f64_e32 v[12:13], v[8:9], v[12:13]
	v_fma_f64 v[8:9], -v[6:7], v[12:13], 1.0
	v_fmac_f64_e32 v[12:13], v[8:9], v[12:13]
	v_mul_f64 v[8:9], v[6:7], v[12:13]
	v_fma_f64 v[10:11], v[12:13], v[6:7], -v[8:9]
	v_fmac_f64_e32 v[10:11], v[12:13], v[4:5]
	v_add_f64 v[14:15], v[8:9], v[10:11]
	v_add_f64 v[16:17], -v[14:15], 1.0
	v_add_f64 v[8:9], v[14:15], -v[8:9]
	v_add_f64 v[18:19], -v[16:17], 1.0
	v_add_f64 v[14:15], v[18:19], -v[14:15]
	v_add_f64 v[8:9], v[8:9], -v[10:11]
	v_add_f64 v[8:9], v[8:9], v[14:15]
	v_add_f64 v[10:11], v[16:17], v[8:9]
	v_add_f64 v[14:15], v[16:17], -v[10:11]
	v_add_f64 v[8:9], v[8:9], v[14:15]
	v_mul_f64 v[14:15], v[12:13], v[10:11]
	v_mul_f64 v[16:17], v[6:7], v[14:15]
	v_fma_f64 v[18:19], v[14:15], v[6:7], -v[16:17]
	v_fmac_f64_e32 v[18:19], v[14:15], v[4:5]
	v_add_f64 v[20:21], v[16:17], v[18:19]
	v_add_f64 v[22:23], v[10:11], -v[20:21]
	v_add_f64 v[10:11], v[10:11], -v[22:23]
	;; [unrolled: 1-line block ×4, first 2 shown]
	v_add_f64 v[8:9], v[8:9], v[10:11]
	v_add_f64 v[10:11], v[16:17], -v[18:19]
	v_add_f64 v[8:9], v[10:11], v[8:9]
	v_add_f64 v[8:9], v[22:23], v[8:9]
	;; [unrolled: 1-line block ×3, first 2 shown]
	v_mul_f64 v[8:9], v[12:13], v[8:9]
	v_add_f64 v[12:13], v[10:11], -v[12:13]
	v_add_f64 v[12:13], v[14:15], -v[12:13]
	v_add_f64 v[8:9], v[12:13], v[8:9]
	v_add_f64 v[12:13], v[10:11], v[8:9]
	v_add_f64 v[10:11], v[12:13], -v[10:11]
	v_add_f64 v[8:9], v[8:9], -v[10:11]
	v_ldexp_f64 v[10:11], v[12:13], -2
	v_add_f64 v[12:13], v[6:7], v[10:11]
	v_ldexp_f64 v[8:9], v[8:9], -2
	v_add_f64 v[6:7], v[12:13], -v[6:7]
	v_add_f64 v[6:7], v[10:11], -v[6:7]
	v_add_f64 v[4:5], v[4:5], v[8:9]
	s_mov_b32 s6, 0x8fb9f87e
	v_add_f64 v[4:5], v[4:5], v[6:7]
	s_mov_b32 s7, 0x408633ce
	v_add_f64 v[4:5], v[12:13], v[4:5]
	v_mov_b32_e32 v6, 0x7ff00000
	v_cmp_nge_f64_e64 vcc, |v[0:1]|, s[6:7]
	v_cndmask_b32_e32 v5, v6, v5, vcc
	v_cndmask_b32_e32 v4, 0, v4, vcc
	v_mul_f64 v[6:7], v[0:1], v[2:3]
.LBB80_85:
	s_or_b64 exec, exec, s[4:5]
.LBB80_86:
	s_or_b64 exec, exec, s[8:9]
	v_readlane_b32 s30, v40, 6
	v_mov_b32_e32 v0, v4
	v_mov_b32_e32 v1, v5
	;; [unrolled: 1-line block ×4, first 2 shown]
	v_readlane_b32 s31, v40, 7
	v_readlane_b32 s39, v40, 5
	;; [unrolled: 1-line block ×7, first 2 shown]
	s_or_saveexec_b64 s[4:5], -1
	buffer_load_dword v40, off, s[0:3], s32 ; 4-byte Folded Reload
	s_mov_b64 exec, s[4:5]
	s_waitcnt vmcnt(0)
	s_setpc_b64 s[30:31]
.Lfunc_end80:
	.size	_ZN6thrust23THRUST_200600_302600_NS6detail7complex5ccoshERKNS0_7complexIdEE, .Lfunc_end80-_ZN6thrust23THRUST_200600_302600_NS6detail7complex5ccoshERKNS0_7complexIdEE
                                        ; -- End function
	.section	.AMDGPU.csdata,"",@progbits
; Function info:
; codeLenInByte = 16256
; NumSgprs: 44
; NumVgprs: 41
; NumAgprs: 0
; TotalNumVgprs: 41
; ScratchSize: 8
; MemoryBound: 0
	.section	.text._ZN2at6native12_GLOBAL__N_125multi_tensor_apply_kernelINS1_18TensorListMetadataILi2EEENS1_14UnaryOpFunctorIN3c107complexIdEELi2ELi1ELi1EEEJNS0_4CoshIS8_EEEEEvT_T0_DpT1_,"axG",@progbits,_ZN2at6native12_GLOBAL__N_125multi_tensor_apply_kernelINS1_18TensorListMetadataILi2EEENS1_14UnaryOpFunctorIN3c107complexIdEELi2ELi1ELi1EEEJNS0_4CoshIS8_EEEEEvT_T0_DpT1_,comdat
	.globl	_ZN2at6native12_GLOBAL__N_125multi_tensor_apply_kernelINS1_18TensorListMetadataILi2EEENS1_14UnaryOpFunctorIN3c107complexIdEELi2ELi1ELi1EEEJNS0_4CoshIS8_EEEEEvT_T0_DpT1_ ; -- Begin function _ZN2at6native12_GLOBAL__N_125multi_tensor_apply_kernelINS1_18TensorListMetadataILi2EEENS1_14UnaryOpFunctorIN3c107complexIdEELi2ELi1ELi1EEEJNS0_4CoshIS8_EEEEEvT_T0_DpT1_
	.p2align	8
	.type	_ZN2at6native12_GLOBAL__N_125multi_tensor_apply_kernelINS1_18TensorListMetadataILi2EEENS1_14UnaryOpFunctorIN3c107complexIdEELi2ELi1ELi1EEEJNS0_4CoshIS8_EEEEEvT_T0_DpT1_,@function
_ZN2at6native12_GLOBAL__N_125multi_tensor_apply_kernelINS1_18TensorListMetadataILi2EEENS1_14UnaryOpFunctorIN3c107complexIdEELi2ELi1ELi1EEEJNS0_4CoshIS8_EEEEEvT_T0_DpT1_: ; @_ZN2at6native12_GLOBAL__N_125multi_tensor_apply_kernelINS1_18TensorListMetadataILi2EEENS1_14UnaryOpFunctorIN3c107complexIdEELi2ELi1ELi1EEEJNS0_4CoshIS8_EEEEEvT_T0_DpT1_
; %bb.0:
	v_mov_b32_e32 v54, v0
	v_mov_b32_e32 v0, s8
	global_load_ubyte v0, v0, s[4:5] offset:1536
	s_add_u32 flat_scratch_lo, s6, s9
	s_addc_u32 flat_scratch_hi, s7, 0
	s_add_u32 s0, s0, s9
	s_addc_u32 s1, s1, 0
	s_mov_b64 s[40:41], s[4:5]
	s_add_u32 s4, s40, s8
	s_mul_hi_u32 s6, s8, 3
	s_mul_i32 s8, s8, 3
	s_addc_u32 s9, s41, 0
	s_add_u32 s8, s4, s8
	s_addc_u32 s9, s9, s6
	s_load_dword s8, s[8:9], 0x740
	s_mov_b32 s5, 0
	s_mov_b32 s7, s5
	;; [unrolled: 1-line block ×4, first 2 shown]
	s_waitcnt lgkmcnt(0)
	s_ashr_i32 s9, s8, 31
	s_lshl_b64 s[46:47], s[8:9], 20
	s_waitcnt vmcnt(0)
	v_readfirstlane_b32 s4, v0
	s_lshl_b32 s4, s4, 3
	s_load_dwordx2 s[44:45], s[40:41], s4 offset:0x0
	s_load_dwordx2 s[10:11], s[40:41], s4 offset:0x400
	;; [unrolled: 1-line block ×3, first 2 shown]
	s_waitcnt lgkmcnt(0)
	s_add_u32 s33, s44, s46
	s_addc_u32 s56, s45, s47
	s_add_u32 s57, s42, s46
	s_addc_u32 s58, s43, s47
	s_and_b32 s6, s33, 63
	s_and_b32 s12, s10, 3
	;; [unrolled: 1-line block ×3, first 2 shown]
	s_or_b64 s[6:7], s[6:7], s[12:13]
	s_lshl_b64 s[8:9], s[8:9], 16
	s_or_b64 s[6:7], s[4:5], s[6:7]
	s_sub_u32 s48, s10, s8
	s_subb_u32 s49, s11, s9
	s_cmp_eq_u64 s[6:7], 0
	s_mov_b64 s[6:7], -1
	s_cbranch_scc0 .LBB81_5
; %bb.1:
	v_mov_b32_e32 v61, 0
	v_lshlrev_b32_e32 v60, 2, v54
	v_cmp_gt_i64_e32 vcc, s[48:49], v[60:61]
	s_and_saveexec_b64 s[50:51], vcc
	s_cbranch_execz .LBB81_4
; %bb.2:
	s_load_dword s4, s[40:41], 0xc5c
	v_lshlrev_b32_e32 v62, 6, v54
	s_mov_b64 s[52:53], 0
	s_mov_b64 s[54:55], 0xffff
	v_mov_b32_e32 v41, s5
	s_waitcnt lgkmcnt(0)
	s_and_b32 s4, s4, 0xffff
	v_add_lshl_u32 v60, v54, s4, 2
	s_lshl_b32 s59, s4, 2
	s_lshl_b32 s60, s4, 6
.LBB81_3:                               ; =>This Inner Loop Header: Depth=1
	v_mov_b32_e32 v0, s56
	v_add_co_u32_e32 v4, vcc, s33, v62
	v_addc_co_u32_e32 v5, vcc, 0, v0, vcc
	global_load_dwordx4 v[0:3], v[4:5], off
	global_load_dwordx4 v[42:45], v[4:5], off offset:16
	global_load_dwordx4 v[46:49], v[4:5], off offset:48
	;; [unrolled: 1-line block ×3, first 2 shown]
	s_getpc_b64 s[62:63]
	s_add_u32 s62, s62, _ZN6thrust23THRUST_200600_302600_NS6detail7complex5ccoshERKNS0_7complexIdEE@rel32@lo+4
	s_addc_u32 s63, s63, _ZN6thrust23THRUST_200600_302600_NS6detail7complex5ccoshERKNS0_7complexIdEE@rel32@hi+12
	s_swappc_b64 s[30:31], s[62:63]
	v_mov_b32_e32 v56, v0
	v_mov_b32_e32 v57, v1
	v_mov_b32_e32 v58, v2
	v_mov_b32_e32 v59, v3
	v_mov_b32_e32 v0, v42
	v_mov_b32_e32 v1, v43
	v_mov_b32_e32 v2, v44
	v_mov_b32_e32 v3, v45
	s_swappc_b64 s[30:31], s[62:63]
	v_mov_b32_e32 v42, v0
	v_mov_b32_e32 v43, v1
	v_mov_b32_e32 v44, v2
	v_mov_b32_e32 v45, v3
	v_mov_b32_e32 v0, v50
	v_mov_b32_e32 v1, v51
	v_mov_b32_e32 v2, v52
	v_mov_b32_e32 v3, v53
	;; [unrolled: 9-line block ×3, first 2 shown]
	s_swappc_b64 s[30:31], s[62:63]
	v_cmp_le_i64_e32 vcc, s[48:49], v[60:61]
	v_cmp_lt_u64_e64 s[4:5], s[54:55], v[60:61]
	s_or_b64 s[4:5], vcc, s[4:5]
	v_add_co_u32_e64 v60, s[6:7], s59, v60
	s_add_u32 s33, s33, s60
	v_addc_co_u32_e64 v61, s[6:7], v61, v41, s[6:7]
	s_addc_u32 s56, s56, 0
	v_add_co_u32_e64 v4, s[6:7], s57, v62
	s_add_u32 s57, s57, s60
	v_mov_b32_e32 v5, s58
	s_addc_u32 s58, s58, 0
	s_and_b64 s[4:5], exec, s[4:5]
	v_addc_co_u32_e64 v5, s[6:7], 0, v5, s[6:7]
	s_or_b64 s[52:53], s[4:5], s[52:53]
	global_store_dwordx4 v[4:5], v[56:59], off
	global_store_dwordx4 v[4:5], v[42:45], off offset:16
	global_store_dwordx4 v[4:5], v[50:53], off offset:32
	;; [unrolled: 1-line block ×3, first 2 shown]
	s_andn2_b64 exec, exec, s[52:53]
	s_cbranch_execnz .LBB81_3
.LBB81_4:
	s_or_b64 exec, exec, s[50:51]
	s_mov_b64 s[6:7], 0
.LBB81_5:
	s_andn2_b64 vcc, exec, s[6:7]
	s_cbranch_vccnz .LBB81_25
; %bb.6:
	v_cmp_lt_i64_e64 s[4:5], s[48:49], 1
	s_and_b64 vcc, exec, s[4:5]
	s_cbranch_vccnz .LBB81_25
; %bb.7:
	s_load_dword s4, s[40:41], 0xc5c
	v_mov_b32_e32 v0, 0x10000
	v_mov_b32_e32 v1, 0
	v_cmp_lt_u64_e32 vcc, s[48:49], v[0:1]
	v_lshl_or_b32 v0, v54, 4, 8
	s_waitcnt lgkmcnt(0)
	s_and_b32 s58, s4, 0xffff
	s_and_b64 s[4:5], vcc, exec
	v_mov_b32_e32 v4, s45
	v_add_co_u32_e32 v56, vcc, s44, v0
	v_addc_co_u32_e32 v57, vcc, 0, v4, vcc
	v_mov_b32_e32 v5, s43
	v_add_co_u32_e32 v58, vcc, s42, v0
	v_mov_b32_e32 v55, 0
	v_addc_co_u32_e32 v59, vcc, 0, v5, vcc
	v_add_lshl_u32 v6, v54, s58, 4
	v_mov_b32_e32 v1, v55
	v_add_co_u32_e32 v60, vcc, s42, v6
	v_addc_co_u32_e32 v61, vcc, 0, v5, vcc
	v_mad_u64_u32 v[2:3], s[4:5], s58, 48, v[0:1]
	v_add_co_u32_e32 v62, vcc, s44, v2
	v_addc_co_u32_e32 v63, vcc, v4, v3, vcc
	v_add_co_u32_e32 v64, vcc, s44, v6
	v_addc_co_u32_e32 v65, vcc, 0, v4, vcc
	v_add_co_u32_e32 v66, vcc, s42, v2
	s_cselect_b32 s51, s49, 0
	s_cselect_b32 s50, s48, 0x10000
	v_addc_co_u32_e32 v67, vcc, v5, v3, vcc
	s_lshl_b32 s4, s58, 5
	v_add_co_u32_e32 v0, vcc, s4, v0
	v_addc_co_u32_e64 v1, s[4:5], 0, 0, vcc
	v_add_co_u32_e32 v68, vcc, s44, v0
	s_mov_b32 s33, 0
	v_addc_co_u32_e32 v69, vcc, v4, v1, vcc
	s_lshl_b32 s52, s58, 2
	s_mov_b32 s53, s33
	v_add_co_u32_e32 v70, vcc, s42, v0
	s_lshl_b32 s59, s58, 1
	s_mov_b32 s60, s33
	s_mul_i32 s61, s58, 3
	s_mov_b32 s62, s33
	s_lshl_b32 s63, s58, 6
	s_mov_b32 s64, s33
	v_addc_co_u32_e32 v71, vcc, v5, v1, vcc
	s_mov_b64 s[54:55], s[52:53]
	s_branch .LBB81_9
.LBB81_8:                               ;   in Loop: Header=BB81_9 Depth=1
	s_or_b64 exec, exec, s[40:41]
	s_waitcnt vmcnt(0)
	v_pk_mov_b32 v[0:1], s[48:49], s[48:49] op_sel:[0,1]
	v_cmp_ge_i64_e32 vcc, s[54:55], v[0:1]
	v_mov_b32_e32 v0, 0xffff
	v_mov_b32_e32 v1, 0
	v_cmp_gt_u64_e64 s[4:5], s[54:55], v[0:1]
	s_or_b64 s[4:5], vcc, s[4:5]
	v_mov_b32_e32 v0, s53
	v_add_co_u32_e32 v54, vcc, s52, v54
	v_addc_co_u32_e32 v55, vcc, v55, v0, vcc
	v_mov_b32_e32 v0, s64
	v_add_co_u32_e32 v56, vcc, s63, v56
	v_addc_co_u32_e32 v57, vcc, v57, v0, vcc
	v_add_co_u32_e32 v58, vcc, s63, v58
	v_addc_co_u32_e32 v59, vcc, v59, v0, vcc
	;; [unrolled: 2-line block ×7, first 2 shown]
	v_add_co_u32_e32 v70, vcc, s63, v70
	s_add_u32 s54, s54, s52
	v_addc_co_u32_e32 v71, vcc, v71, v0, vcc
	s_addc_u32 s55, s55, 0
	s_and_b64 vcc, exec, s[4:5]
	s_cbranch_vccnz .LBB81_25
.LBB81_9:                               ; =>This Inner Loop Header: Depth=1
	v_pk_mov_b32 v[48:49], 0, 0
	v_cmp_gt_u64_e32 vcc, s[50:51], v[54:55]
	v_pk_mov_b32 v[2:3], v[48:49], v[48:49] op_sel:[0,1]
	v_pk_mov_b32 v[0:1], v[48:49], v[48:49] op_sel:[0,1]
	s_and_saveexec_b64 s[6:7], vcc
	s_cbranch_execz .LBB81_11
; %bb.10:                               ;   in Loop: Header=BB81_9 Depth=1
	v_mov_b32_e32 v1, s47
	v_add_co_u32_e64 v0, s[4:5], s46, v56
	v_addc_co_u32_e64 v1, s[4:5], v57, v1, s[4:5]
	global_load_dwordx4 v[0:3], v[0:1], off offset:-8
.LBB81_11:                              ;   in Loop: Header=BB81_9 Depth=1
	s_or_b64 exec, exec, s[6:7]
	v_mov_b32_e32 v5, s33
	v_add_co_u32_e64 v4, s[4:5], s58, v54
	v_addc_co_u32_e64 v5, s[4:5], v5, v55, s[4:5]
	v_cmp_gt_u64_e64 s[44:45], s[50:51], v[4:5]
	v_pk_mov_b32 v[46:47], v[48:49], v[48:49] op_sel:[0,1]
	s_and_saveexec_b64 s[6:7], s[44:45]
	s_cbranch_execz .LBB81_13
; %bb.12:                               ;   in Loop: Header=BB81_9 Depth=1
	v_mov_b32_e32 v5, s47
	v_add_co_u32_e64 v4, s[4:5], s46, v64
	v_addc_co_u32_e64 v5, s[4:5], v65, v5, s[4:5]
	global_load_dwordx4 v[46:49], v[4:5], off
.LBB81_13:                              ;   in Loop: Header=BB81_9 Depth=1
	s_or_b64 exec, exec, s[6:7]
	v_mov_b32_e32 v5, s60
	v_add_co_u32_e64 v4, s[4:5], s59, v54
	v_addc_co_u32_e64 v5, s[4:5], v5, v55, s[4:5]
	v_pk_mov_b32 v[44:45], 0, 0
	v_cmp_gt_u64_e64 s[40:41], s[50:51], v[4:5]
	v_pk_mov_b32 v[52:53], v[44:45], v[44:45] op_sel:[0,1]
	v_pk_mov_b32 v[50:51], v[44:45], v[44:45] op_sel:[0,1]
	s_and_saveexec_b64 s[6:7], s[40:41]
	s_cbranch_execz .LBB81_15
; %bb.14:                               ;   in Loop: Header=BB81_9 Depth=1
	v_mov_b32_e32 v5, s47
	v_add_co_u32_e64 v4, s[4:5], s46, v68
	v_addc_co_u32_e64 v5, s[4:5], v69, v5, s[4:5]
	global_load_dwordx4 v[50:53], v[4:5], off offset:-8
.LBB81_15:                              ;   in Loop: Header=BB81_9 Depth=1
	s_or_b64 exec, exec, s[6:7]
	v_mov_b32_e32 v5, s62
	v_add_co_u32_e64 v4, s[4:5], s61, v54
	v_addc_co_u32_e64 v5, s[4:5], v5, v55, s[4:5]
	v_cmp_gt_u64_e64 s[42:43], s[50:51], v[4:5]
	v_pk_mov_b32 v[42:43], v[44:45], v[44:45] op_sel:[0,1]
	s_and_saveexec_b64 s[6:7], s[42:43]
	s_cbranch_execnz .LBB81_20
; %bb.16:                               ;   in Loop: Header=BB81_9 Depth=1
	s_or_b64 exec, exec, s[6:7]
	s_and_saveexec_b64 s[56:57], vcc
	s_cbranch_execnz .LBB81_21
.LBB81_17:                              ;   in Loop: Header=BB81_9 Depth=1
	s_or_b64 exec, exec, s[56:57]
	s_and_saveexec_b64 s[56:57], s[44:45]
	s_cbranch_execnz .LBB81_22
.LBB81_18:                              ;   in Loop: Header=BB81_9 Depth=1
	s_or_b64 exec, exec, s[56:57]
	s_and_saveexec_b64 s[44:45], s[40:41]
	s_cbranch_execnz .LBB81_23
.LBB81_19:                              ;   in Loop: Header=BB81_9 Depth=1
	s_or_b64 exec, exec, s[44:45]
	s_and_saveexec_b64 s[40:41], s[42:43]
	s_cbranch_execz .LBB81_8
	s_branch .LBB81_24
.LBB81_20:                              ;   in Loop: Header=BB81_9 Depth=1
	v_mov_b32_e32 v5, s47
	v_add_co_u32_e64 v4, s[4:5], s46, v62
	v_addc_co_u32_e64 v5, s[4:5], v63, v5, s[4:5]
	global_load_dwordx4 v[42:45], v[4:5], off offset:-8
	s_or_b64 exec, exec, s[6:7]
	s_and_saveexec_b64 s[56:57], vcc
	s_cbranch_execz .LBB81_17
.LBB81_21:                              ;   in Loop: Header=BB81_9 Depth=1
	s_getpc_b64 s[4:5]
	s_add_u32 s4, s4, _ZN6thrust23THRUST_200600_302600_NS6detail7complex5ccoshERKNS0_7complexIdEE@rel32@lo+4
	s_addc_u32 s5, s5, _ZN6thrust23THRUST_200600_302600_NS6detail7complex5ccoshERKNS0_7complexIdEE@rel32@hi+12
	s_swappc_b64 s[30:31], s[4:5]
	v_mov_b32_e32 v5, s47
	v_add_co_u32_e32 v4, vcc, s46, v58
	v_addc_co_u32_e32 v5, vcc, v59, v5, vcc
	global_store_dwordx4 v[4:5], v[0:3], off offset:-8
	s_or_b64 exec, exec, s[56:57]
	s_and_saveexec_b64 s[56:57], s[44:45]
	s_cbranch_execz .LBB81_18
.LBB81_22:                              ;   in Loop: Header=BB81_9 Depth=1
	s_waitcnt vmcnt(0)
	v_mov_b32_e32 v0, v46
	v_mov_b32_e32 v1, v47
	v_mov_b32_e32 v2, v48
	v_mov_b32_e32 v3, v49
	s_getpc_b64 s[4:5]
	s_add_u32 s4, s4, _ZN6thrust23THRUST_200600_302600_NS6detail7complex5ccoshERKNS0_7complexIdEE@rel32@lo+4
	s_addc_u32 s5, s5, _ZN6thrust23THRUST_200600_302600_NS6detail7complex5ccoshERKNS0_7complexIdEE@rel32@hi+12
	s_swappc_b64 s[30:31], s[4:5]
	v_mov_b32_e32 v5, s47
	v_add_co_u32_e32 v4, vcc, s46, v60
	v_addc_co_u32_e32 v5, vcc, v61, v5, vcc
	global_store_dwordx4 v[4:5], v[0:3], off
	s_or_b64 exec, exec, s[56:57]
	s_and_saveexec_b64 s[44:45], s[40:41]
	s_cbranch_execz .LBB81_19
.LBB81_23:                              ;   in Loop: Header=BB81_9 Depth=1
	s_waitcnt vmcnt(0)
	v_mov_b32_e32 v0, v50
	v_mov_b32_e32 v1, v51
	;; [unrolled: 1-line block ×4, first 2 shown]
	s_getpc_b64 s[4:5]
	s_add_u32 s4, s4, _ZN6thrust23THRUST_200600_302600_NS6detail7complex5ccoshERKNS0_7complexIdEE@rel32@lo+4
	s_addc_u32 s5, s5, _ZN6thrust23THRUST_200600_302600_NS6detail7complex5ccoshERKNS0_7complexIdEE@rel32@hi+12
	s_swappc_b64 s[30:31], s[4:5]
	v_mov_b32_e32 v5, s47
	v_add_co_u32_e32 v4, vcc, s46, v70
	v_addc_co_u32_e32 v5, vcc, v71, v5, vcc
	global_store_dwordx4 v[4:5], v[0:3], off offset:-8
	s_or_b64 exec, exec, s[44:45]
	s_and_saveexec_b64 s[40:41], s[42:43]
	s_cbranch_execz .LBB81_8
.LBB81_24:                              ;   in Loop: Header=BB81_9 Depth=1
	s_waitcnt vmcnt(0)
	v_mov_b32_e32 v0, v42
	v_mov_b32_e32 v1, v43
	;; [unrolled: 1-line block ×4, first 2 shown]
	s_getpc_b64 s[4:5]
	s_add_u32 s4, s4, _ZN6thrust23THRUST_200600_302600_NS6detail7complex5ccoshERKNS0_7complexIdEE@rel32@lo+4
	s_addc_u32 s5, s5, _ZN6thrust23THRUST_200600_302600_NS6detail7complex5ccoshERKNS0_7complexIdEE@rel32@hi+12
	s_swappc_b64 s[30:31], s[4:5]
	v_mov_b32_e32 v5, s47
	v_add_co_u32_e32 v4, vcc, s46, v66
	v_addc_co_u32_e32 v5, vcc, v67, v5, vcc
	global_store_dwordx4 v[4:5], v[0:3], off offset:-8
	s_branch .LBB81_8
.LBB81_25:
	s_endpgm
	.section	.rodata,"a",@progbits
	.p2align	6, 0x0
	.amdhsa_kernel _ZN2at6native12_GLOBAL__N_125multi_tensor_apply_kernelINS1_18TensorListMetadataILi2EEENS1_14UnaryOpFunctorIN3c107complexIdEELi2ELi1ELi1EEEJNS0_4CoshIS8_EEEEEvT_T0_DpT1_
		.amdhsa_group_segment_fixed_size 0
		.amdhsa_private_segment_fixed_size 8
		.amdhsa_kernarg_size 3408
		.amdhsa_user_sgpr_count 8
		.amdhsa_user_sgpr_private_segment_buffer 1
		.amdhsa_user_sgpr_dispatch_ptr 0
		.amdhsa_user_sgpr_queue_ptr 0
		.amdhsa_user_sgpr_kernarg_segment_ptr 1
		.amdhsa_user_sgpr_dispatch_id 0
		.amdhsa_user_sgpr_flat_scratch_init 1
		.amdhsa_user_sgpr_kernarg_preload_length 0
		.amdhsa_user_sgpr_kernarg_preload_offset 0
		.amdhsa_user_sgpr_private_segment_size 0
		.amdhsa_uses_dynamic_stack 0
		.amdhsa_system_sgpr_private_segment_wavefront_offset 1
		.amdhsa_system_sgpr_workgroup_id_x 1
		.amdhsa_system_sgpr_workgroup_id_y 0
		.amdhsa_system_sgpr_workgroup_id_z 0
		.amdhsa_system_sgpr_workgroup_info 0
		.amdhsa_system_vgpr_workitem_id 0
		.amdhsa_next_free_vgpr 72
		.amdhsa_next_free_sgpr 65
		.amdhsa_accum_offset 72
		.amdhsa_reserve_vcc 1
		.amdhsa_reserve_flat_scratch 1
		.amdhsa_float_round_mode_32 0
		.amdhsa_float_round_mode_16_64 0
		.amdhsa_float_denorm_mode_32 3
		.amdhsa_float_denorm_mode_16_64 3
		.amdhsa_dx10_clamp 1
		.amdhsa_ieee_mode 1
		.amdhsa_fp16_overflow 0
		.amdhsa_tg_split 0
		.amdhsa_exception_fp_ieee_invalid_op 0
		.amdhsa_exception_fp_denorm_src 0
		.amdhsa_exception_fp_ieee_div_zero 0
		.amdhsa_exception_fp_ieee_overflow 0
		.amdhsa_exception_fp_ieee_underflow 0
		.amdhsa_exception_fp_ieee_inexact 0
		.amdhsa_exception_int_div_zero 0
	.end_amdhsa_kernel
	.section	.text._ZN2at6native12_GLOBAL__N_125multi_tensor_apply_kernelINS1_18TensorListMetadataILi2EEENS1_14UnaryOpFunctorIN3c107complexIdEELi2ELi1ELi1EEEJNS0_4CoshIS8_EEEEEvT_T0_DpT1_,"axG",@progbits,_ZN2at6native12_GLOBAL__N_125multi_tensor_apply_kernelINS1_18TensorListMetadataILi2EEENS1_14UnaryOpFunctorIN3c107complexIdEELi2ELi1ELi1EEEJNS0_4CoshIS8_EEEEEvT_T0_DpT1_,comdat
.Lfunc_end81:
	.size	_ZN2at6native12_GLOBAL__N_125multi_tensor_apply_kernelINS1_18TensorListMetadataILi2EEENS1_14UnaryOpFunctorIN3c107complexIdEELi2ELi1ELi1EEEJNS0_4CoshIS8_EEEEEvT_T0_DpT1_, .Lfunc_end81-_ZN2at6native12_GLOBAL__N_125multi_tensor_apply_kernelINS1_18TensorListMetadataILi2EEENS1_14UnaryOpFunctorIN3c107complexIdEELi2ELi1ELi1EEEJNS0_4CoshIS8_EEEEEvT_T0_DpT1_
                                        ; -- End function
	.section	.AMDGPU.csdata,"",@progbits
; Kernel info:
; codeLenInByte = 1604
; NumSgprs: 71
; NumVgprs: 72
; NumAgprs: 0
; TotalNumVgprs: 72
; ScratchSize: 8
; MemoryBound: 1
; FloatMode: 240
; IeeeMode: 1
; LDSByteSize: 0 bytes/workgroup (compile time only)
; SGPRBlocks: 8
; VGPRBlocks: 8
; NumSGPRsForWavesPerEU: 71
; NumVGPRsForWavesPerEU: 72
; AccumOffset: 72
; Occupancy: 7
; WaveLimiterHint : 0
; COMPUTE_PGM_RSRC2:SCRATCH_EN: 1
; COMPUTE_PGM_RSRC2:USER_SGPR: 8
; COMPUTE_PGM_RSRC2:TRAP_HANDLER: 0
; COMPUTE_PGM_RSRC2:TGID_X_EN: 1
; COMPUTE_PGM_RSRC2:TGID_Y_EN: 0
; COMPUTE_PGM_RSRC2:TGID_Z_EN: 0
; COMPUTE_PGM_RSRC2:TIDIG_COMP_CNT: 0
; COMPUTE_PGM_RSRC3_GFX90A:ACCUM_OFFSET: 17
; COMPUTE_PGM_RSRC3_GFX90A:TG_SPLIT: 0
	.text
	.p2align	2                               ; -- Begin function _ZN6thrust23THRUST_200600_302600_NS6detail7complex6ccoshfERKNS0_7complexIfEE
	.type	_ZN6thrust23THRUST_200600_302600_NS6detail7complex6ccoshfERKNS0_7complexIfEE,@function
_ZN6thrust23THRUST_200600_302600_NS6detail7complex6ccoshfERKNS0_7complexIfEE: ; @_ZN6thrust23THRUST_200600_302600_NS6detail7complex6ccoshfERKNS0_7complexIfEE
; %bb.0:
	s_waitcnt vmcnt(0) expcnt(0) lgkmcnt(0)
	v_and_b32_e32 v5, 0x7fffffff, v0
	v_and_b32_e32 v4, 0x7fffffff, v1
	s_mov_b32 s10, 0x7f800000
	v_max_u32_e32 v2, v5, v4
	s_mov_b32 s6, 0x7f7fffff
	v_cmp_gt_u32_e64 s[4:5], s10, v5
	v_cmp_lt_u32_e32 vcc, s6, v2
                                        ; implicit-def: $vgpr3
	s_and_saveexec_b64 s[8:9], vcc
	s_xor_b64 s[14:15], exec, s[8:9]
	s_cbranch_execz .LBB82_10
; %bb.1:
	v_cmp_ne_u32_e64 s[8:9], 0, v5
	v_cmp_gt_u32_e32 vcc, s10, v4
	v_cmp_lt_u32_e64 s[6:7], s6, v4
	s_or_b64 s[8:9], s[8:9], vcc
                                        ; implicit-def: $vgpr3
	s_and_saveexec_b64 s[10:11], s[8:9]
	s_xor_b64 s[16:17], exec, s[10:11]
	s_cbranch_execz .LBB82_81
; %bb.2:
	s_mov_b32 s12, 0x7f800000
	v_cmp_ne_u32_e64 s[10:11], 0, v4
	s_mov_b32 s8, 0x7f7fffff
	v_cmp_gt_u32_e64 s[12:13], s12, v5
	v_cmp_lt_u32_e64 s[8:9], s8, v5
	s_or_b64 s[10:11], s[12:13], s[10:11]
                                        ; implicit-def: $vgpr3
	s_and_saveexec_b64 s[12:13], s[10:11]
	s_xor_b64 s[10:11], exec, s[12:13]
	s_cbranch_execz .LBB82_74
; %bb.3:
	s_and_b64 s[4:5], s[4:5], s[6:7]
	s_xor_b64 s[4:5], s[4:5], -1
                                        ; implicit-def: $vgpr3
	s_and_saveexec_b64 s[6:7], s[4:5]
	s_xor_b64 s[12:13], exec, s[6:7]
	s_cbranch_execz .LBB82_71
; %bb.4:
	v_and_b32_e32 v2, 0x7fffff, v0
	v_cmp_ne_u32_e64 s[4:5], 0, v2
	s_xor_b64 s[6:7], s[8:9], -1
	s_or_b64 s[4:5], s[6:7], s[4:5]
	v_mul_f32_e32 v3, v0, v0
	s_and_saveexec_b64 s[6:7], s[4:5]
	s_xor_b64 s[4:5], exec, s[6:7]
; %bb.5:
	v_sub_f32_e32 v4, v1, v1
	v_add_f32_e32 v2, v0, v0
	v_pk_mul_f32 v[2:3], v[2:3], v[4:5] op_sel_hi:[1,0]
                                        ; implicit-def: $vgpr1
                                        ; implicit-def: $vgpr0
                                        ; implicit-def: $vgpr4
; %bb.6:
	s_andn2_saveexec_b64 s[18:19], s[4:5]
	s_cbranch_execz .LBB82_70
; %bb.7:
	s_and_saveexec_b64 s[4:5], vcc
	s_xor_b64 s[20:21], exec, s[4:5]
	s_cbranch_execz .LBB82_67
; %bb.8:
	s_brev_b32 s4, 18
	v_cmp_nlt_f32_e64 s[22:23], |v1|, s4
                                        ; implicit-def: $vgpr2
                                        ; implicit-def: $vgpr5
	s_and_saveexec_b64 s[4:5], s[22:23]
	s_xor_b64 s[24:25], exec, s[4:5]
	s_cbranch_execz .LBB82_60
; %bb.9:
	v_lshrrev_b32_e32 v2, 23, v4
	v_add_u32_e32 v2, 0xffffff88, v2
	v_not_b32_e32 v5, 63
	v_cmp_lt_u32_e32 vcc, 63, v2
	v_cndmask_b32_e32 v5, 0, v5, vcc
	v_add_u32_e32 v2, v5, v2
	v_not_b32_e32 v5, 31
	v_cmp_lt_u32_e64 s[4:5], 31, v2
	v_cndmask_b32_e64 v6, 0, v5, s[4:5]
	v_add_u32_e32 v2, v6, v2
	v_cmp_lt_u32_e64 s[6:7], 31, v2
	v_cndmask_b32_e64 v5, 0, v5, s[6:7]
	v_add_u32_e32 v2, v5, v2
	v_and_b32_e32 v5, 0x7fffff, v4
	v_or_b32_e32 v5, 0x800000, v5
	s_mov_b32 s8, 0xfe5163ab
	v_mad_u64_u32 v[8:9], s[8:9], v5, s8, 0
	v_mov_b32_e32 v7, 0
	v_mov_b32_e32 v6, v9
	s_mov_b32 s8, 0x3c439041
	v_mad_u64_u32 v[10:11], s[8:9], v5, s8, v[6:7]
	v_mov_b32_e32 v6, v11
	s_mov_b32 s8, 0xdb629599
	v_mad_u64_u32 v[12:13], s[8:9], v5, s8, v[6:7]
	;; [unrolled: 3-line block ×6, first 2 shown]
	v_cndmask_b32_e32 v9, v18, v14, vcc
	v_cndmask_b32_e32 v5, v6, v16, vcc
	;; [unrolled: 1-line block ×3, first 2 shown]
	v_cndmask_b32_e64 v6, v5, v9, s[4:5]
	v_cndmask_b32_e64 v5, v7, v5, s[4:5]
	v_cndmask_b32_e32 v7, v16, v12, vcc
	v_cndmask_b32_e64 v9, v9, v7, s[4:5]
	v_cndmask_b32_e64 v5, v5, v6, s[6:7]
	;; [unrolled: 1-line block ×3, first 2 shown]
	v_sub_u32_e32 v11, 32, v2
	v_alignbit_b32 v13, v5, v6, v11
	v_cmp_eq_u32_e64 s[8:9], 0, v2
	v_cndmask_b32_e64 v2, v13, v5, s[8:9]
	v_cndmask_b32_e32 v5, v14, v10, vcc
	v_cndmask_b32_e64 v7, v7, v5, s[4:5]
	v_cndmask_b32_e64 v9, v9, v7, s[6:7]
	v_alignbit_b32 v10, v6, v9, v11
	v_cndmask_b32_e64 v6, v10, v6, s[8:9]
	v_bfe_u32 v14, v2, 29, 1
	v_cndmask_b32_e32 v8, v12, v8, vcc
	v_alignbit_b32 v10, v2, v6, 30
	v_sub_u32_e32 v15, 0, v14
	v_cndmask_b32_e64 v5, v5, v8, s[4:5]
	v_xor_b32_e32 v16, v10, v15
	v_cndmask_b32_e64 v5, v7, v5, s[6:7]
	v_alignbit_b32 v7, v9, v5, v11
	v_ffbh_u32_e32 v8, v16
	v_cndmask_b32_e64 v7, v7, v9, s[8:9]
	v_add_u32_e32 v8, 1, v8
	v_cmp_ne_u32_e32 vcc, v10, v15
	v_alignbit_b32 v6, v6, v7, 30
	v_cndmask_b32_e32 v8, 33, v8, vcc
	v_alignbit_b32 v5, v7, v5, 30
	v_xor_b32_e32 v6, v6, v15
	v_sub_u32_e32 v9, 32, v8
	v_xor_b32_e32 v5, v5, v15
	v_alignbit_b32 v10, v16, v6, v9
	v_alignbit_b32 v5, v6, v5, v9
	v_alignbit_b32 v6, v10, v5, 9
	v_ffbh_u32_e32 v7, v6
	v_min_u32_e32 v7, 32, v7
	v_lshrrev_b32_e32 v13, 29, v2
	v_sub_u32_e32 v9, 31, v7
	v_alignbit_b32 v5, v6, v5, v9
	v_lshlrev_b32_e32 v6, 31, v13
	v_or_b32_e32 v9, 0x33800000, v6
	v_add_lshl_u32 v7, v7, v8, 23
	v_lshrrev_b32_e32 v5, 9, v5
	v_sub_u32_e32 v7, v9, v7
	v_or_b32_e32 v5, v7, v5
	v_alignbit_b32 v7, v8, v10, 9
	v_or_b32_e32 v6, v7, v6
	v_xor_b32_e32 v6, 1.0, v6
	s_mov_b32 s4, 0x3fc90fda
	v_mul_f32_e32 v7, 0x3fc90fda, v6
	v_fma_f32 v8, v6, s4, -v7
	v_fmac_f32_e32 v8, 0x33a22168, v6
	v_fmac_f32_e32 v8, 0x3fc90fda, v5
	v_lshrrev_b32_e32 v2, 30, v2
	v_add_f32_e32 v5, v7, v8
	v_add_u32_e32 v2, v14, v2
	s_andn2_saveexec_b64 s[4:5], s[24:25]
	s_branch .LBB82_61
.LBB82_10:
	s_andn2_saveexec_b64 s[10:11], s[14:15]
	s_cbranch_execz .LBB82_84
.LBB82_11:
	v_cmp_ne_u32_e32 vcc, 0, v4
                                        ; implicit-def: $vgpr3
	s_and_saveexec_b64 s[4:5], vcc
	s_xor_b64 s[12:13], exec, s[4:5]
	s_cbranch_execz .LBB82_57
; %bb.12:
	s_mov_b32 s4, 0x410fffff
	v_cmp_lt_u32_e32 vcc, s4, v5
                                        ; implicit-def: $vgpr3
	s_and_saveexec_b64 s[4:5], vcc
	s_xor_b64 s[14:15], exec, s[4:5]
	s_cbranch_execz .LBB82_46
; %bb.13:
	s_mov_b32 s4, 0x42b17217
	v_cmp_lt_u32_e32 vcc, s4, v5
	;; [unrolled: 7-line block ×3, first 2 shown]
                                        ; implicit-def: $vgpr3
	s_and_saveexec_b64 s[4:5], vcc
	s_xor_b64 s[18:19], exec, s[4:5]
	s_cbranch_execz .LBB82_24
; %bb.15:
	s_brev_b32 s4, 18
	v_cmp_nlt_f32_e64 s[20:21], |v1|, s4
                                        ; implicit-def: $vgpr2
                                        ; implicit-def: $vgpr3
	s_and_saveexec_b64 s[4:5], s[20:21]
	s_xor_b64 s[22:23], exec, s[4:5]
	s_cbranch_execz .LBB82_17
; %bb.16:
	v_lshrrev_b32_e32 v2, 23, v4
	v_add_u32_e32 v2, 0xffffff88, v2
	v_not_b32_e32 v5, 63
	v_cmp_lt_u32_e32 vcc, 63, v2
	v_cndmask_b32_e32 v5, 0, v5, vcc
	v_add_u32_e32 v2, v5, v2
	v_not_b32_e32 v5, 31
	v_cmp_lt_u32_e64 s[4:5], 31, v2
	v_cndmask_b32_e64 v6, 0, v5, s[4:5]
	v_add_u32_e32 v2, v6, v2
	v_cmp_lt_u32_e64 s[6:7], 31, v2
	v_cndmask_b32_e64 v5, 0, v5, s[6:7]
	v_add_u32_e32 v5, v5, v2
	v_and_b32_e32 v2, 0x7fffff, v4
	v_or_b32_e32 v18, 0x800000, v2
	s_mov_b32 s8, 0xfe5163ab
	v_mad_u64_u32 v[6:7], s[8:9], v18, s8, 0
	v_mov_b32_e32 v3, 0
	v_mov_b32_e32 v2, v7
	s_mov_b32 s8, 0x3c439041
	v_mad_u64_u32 v[8:9], s[8:9], v18, s8, v[2:3]
	v_mov_b32_e32 v2, v9
	s_mov_b32 s8, 0xdb629599
	v_mad_u64_u32 v[10:11], s[8:9], v18, s8, v[2:3]
	;; [unrolled: 3-line block ×6, first 2 shown]
	v_cndmask_b32_e32 v7, v16, v12, vcc
	v_cndmask_b32_e32 v2, v2, v14, vcc
	;; [unrolled: 1-line block ×3, first 2 shown]
	v_cndmask_b32_e64 v9, v2, v7, s[4:5]
	v_cndmask_b32_e64 v2, v3, v2, s[4:5]
	v_cndmask_b32_e32 v3, v14, v10, vcc
	v_cndmask_b32_e64 v7, v7, v3, s[4:5]
	v_sub_u32_e32 v11, 32, v5
	v_cmp_eq_u32_e64 s[8:9], 0, v5
	v_cndmask_b32_e32 v5, v12, v8, vcc
	v_cndmask_b32_e64 v2, v2, v9, s[6:7]
	v_cndmask_b32_e64 v9, v9, v7, s[6:7]
	;; [unrolled: 1-line block ×3, first 2 shown]
	v_alignbit_b32 v13, v2, v9, v11
	v_cndmask_b32_e64 v7, v7, v3, s[6:7]
	v_cndmask_b32_e64 v2, v13, v2, s[8:9]
	v_alignbit_b32 v8, v9, v7, v11
	v_cndmask_b32_e32 v6, v10, v6, vcc
	v_cndmask_b32_e64 v8, v8, v9, s[8:9]
	v_bfe_u32 v13, v2, 29, 1
	v_cndmask_b32_e64 v5, v5, v6, s[4:5]
	v_alignbit_b32 v9, v2, v8, 30
	v_sub_u32_e32 v14, 0, v13
	v_cndmask_b32_e64 v3, v3, v5, s[6:7]
	v_xor_b32_e32 v15, v9, v14
	v_alignbit_b32 v5, v7, v3, v11
	v_cndmask_b32_e64 v5, v5, v7, s[8:9]
	v_ffbh_u32_e32 v7, v15
	v_add_u32_e32 v7, 1, v7
	v_cmp_ne_u32_e32 vcc, v9, v14
	v_alignbit_b32 v6, v8, v5, 30
	v_cndmask_b32_e32 v7, 33, v7, vcc
	v_alignbit_b32 v3, v5, v3, 30
	v_xor_b32_e32 v6, v6, v14
	v_sub_u32_e32 v8, 32, v7
	v_xor_b32_e32 v3, v3, v14
	v_alignbit_b32 v9, v15, v6, v8
	v_alignbit_b32 v3, v6, v3, v8
	;; [unrolled: 1-line block ×3, first 2 shown]
	v_ffbh_u32_e32 v6, v5
	v_min_u32_e32 v6, 32, v6
	v_lshrrev_b32_e32 v12, 29, v2
	v_sub_u32_e32 v8, 31, v6
	v_alignbit_b32 v3, v5, v3, v8
	v_lshlrev_b32_e32 v5, 31, v12
	v_or_b32_e32 v8, 0x33800000, v5
	v_add_lshl_u32 v6, v6, v7, 23
	v_lshrrev_b32_e32 v3, 9, v3
	v_sub_u32_e32 v6, v8, v6
	v_or_b32_e32 v3, v6, v3
	v_alignbit_b32 v6, v7, v9, 9
	v_or_b32_e32 v5, v6, v5
	v_xor_b32_e32 v5, 1.0, v5
	s_mov_b32 s4, 0x3fc90fda
	v_mul_f32_e32 v6, 0x3fc90fda, v5
	v_fma_f32 v7, v5, s4, -v6
	v_fmac_f32_e32 v7, 0x33a22168, v5
	v_fmac_f32_e32 v7, 0x3fc90fda, v3
	v_lshrrev_b32_e32 v2, 30, v2
	v_add_f32_e32 v3, v6, v7
	v_add_u32_e32 v2, v13, v2
	s_andn2_saveexec_b64 s[4:5], s[22:23]
	s_branch .LBB82_18
.LBB82_17:
	s_andn2_saveexec_b64 s[4:5], s[22:23]
.LBB82_18:
	s_mov_b32 s6, 0x3f22f983
	v_mul_f32_e64 v2, |v1|, s6
	v_rndne_f32_e32 v5, v2
	s_mov_b32 s6, 0xbfc90fda
	v_cvt_i32_f32_e32 v2, v5
	v_fma_f32 v3, v5, s6, |v1|
	v_fmac_f32_e32 v3, 0xb3a22168, v5
	v_fmac_f32_e32 v3, 0xa7c234c4, v5
; %bb.19:
	s_or_b64 exec, exec, s[4:5]
                                        ; implicit-def: $vgpr5
                                        ; implicit-def: $vgpr6
	s_and_saveexec_b64 s[4:5], s[20:21]
	s_xor_b64 s[20:21], exec, s[4:5]
	s_cbranch_execz .LBB82_21
; %bb.20:
	v_lshrrev_b32_e32 v5, 23, v4
	v_add_u32_e32 v5, 0xffffff88, v5
	v_not_b32_e32 v6, 63
	v_cmp_lt_u32_e32 vcc, 63, v5
	v_cndmask_b32_e32 v6, 0, v6, vcc
	v_add_u32_e32 v5, v6, v5
	v_not_b32_e32 v6, 31
	v_cmp_lt_u32_e64 s[4:5], 31, v5
	v_cndmask_b32_e64 v8, 0, v6, s[4:5]
	v_add_u32_e32 v5, v8, v5
	v_cmp_lt_u32_e64 s[6:7], 31, v5
	v_cndmask_b32_e64 v6, 0, v6, s[6:7]
	v_add_u32_e32 v5, v6, v5
	v_and_b32_e32 v6, 0x7fffff, v4
	v_or_b32_e32 v20, 0x800000, v6
	s_mov_b32 s8, 0xfe5163ab
	v_mad_u64_u32 v[8:9], s[8:9], v20, s8, 0
	v_mov_b32_e32 v7, 0
	v_mov_b32_e32 v6, v9
	s_mov_b32 s8, 0x3c439041
	v_mad_u64_u32 v[10:11], s[8:9], v20, s8, v[6:7]
	v_mov_b32_e32 v6, v11
	s_mov_b32 s8, 0xdb629599
	v_mad_u64_u32 v[12:13], s[8:9], v20, s8, v[6:7]
	;; [unrolled: 3-line block ×6, first 2 shown]
	v_cndmask_b32_e32 v9, v18, v14, vcc
	v_cndmask_b32_e32 v6, v6, v16, vcc
	;; [unrolled: 1-line block ×3, first 2 shown]
	v_cndmask_b32_e64 v11, v6, v9, s[4:5]
	v_cndmask_b32_e64 v6, v7, v6, s[4:5]
	v_cndmask_b32_e32 v7, v16, v12, vcc
	v_cndmask_b32_e64 v9, v9, v7, s[4:5]
	v_cndmask_b32_e64 v6, v6, v11, s[6:7]
	;; [unrolled: 1-line block ×3, first 2 shown]
	v_sub_u32_e32 v13, 32, v5
	v_alignbit_b32 v15, v6, v11, v13
	v_cmp_eq_u32_e64 s[8:9], 0, v5
	v_cndmask_b32_e64 v5, v15, v6, s[8:9]
	v_cndmask_b32_e32 v6, v14, v10, vcc
	v_cndmask_b32_e64 v7, v7, v6, s[4:5]
	v_cndmask_b32_e64 v9, v9, v7, s[6:7]
	v_alignbit_b32 v10, v11, v9, v13
	v_cndmask_b32_e32 v8, v12, v8, vcc
	v_cndmask_b32_e64 v10, v10, v11, s[8:9]
	v_bfe_u32 v15, v5, 29, 1
	v_cndmask_b32_e64 v6, v6, v8, s[4:5]
	v_alignbit_b32 v11, v5, v10, 30
	v_sub_u32_e32 v16, 0, v15
	v_cndmask_b32_e64 v6, v7, v6, s[6:7]
	v_xor_b32_e32 v17, v11, v16
	v_alignbit_b32 v7, v9, v6, v13
	v_cndmask_b32_e64 v7, v7, v9, s[8:9]
	v_ffbh_u32_e32 v9, v17
	v_add_u32_e32 v9, 1, v9
	v_cmp_ne_u32_e32 vcc, v11, v16
	v_alignbit_b32 v8, v10, v7, 30
	v_cndmask_b32_e32 v9, 33, v9, vcc
	v_alignbit_b32 v6, v7, v6, 30
	v_xor_b32_e32 v8, v8, v16
	v_sub_u32_e32 v10, 32, v9
	v_xor_b32_e32 v6, v6, v16
	v_alignbit_b32 v11, v17, v8, v10
	v_alignbit_b32 v6, v8, v6, v10
	;; [unrolled: 1-line block ×3, first 2 shown]
	v_ffbh_u32_e32 v8, v7
	v_min_u32_e32 v8, 32, v8
	v_lshrrev_b32_e32 v14, 29, v5
	v_sub_u32_e32 v10, 31, v8
	v_alignbit_b32 v6, v7, v6, v10
	v_lshlrev_b32_e32 v7, 31, v14
	v_or_b32_e32 v10, 0x33800000, v7
	v_add_lshl_u32 v8, v8, v9, 23
	v_lshrrev_b32_e32 v6, 9, v6
	v_sub_u32_e32 v8, v10, v8
	v_or_b32_e32 v6, v8, v6
	v_alignbit_b32 v8, v9, v11, 9
	v_or_b32_e32 v7, v8, v7
	v_xor_b32_e32 v7, 1.0, v7
	s_mov_b32 s4, 0x3fc90fda
	v_mul_f32_e32 v8, 0x3fc90fda, v7
	v_fma_f32 v9, v7, s4, -v8
	v_fmac_f32_e32 v9, 0x33a22168, v7
	v_fmac_f32_e32 v9, 0x3fc90fda, v6
	v_lshrrev_b32_e32 v5, 30, v5
	v_add_f32_e32 v6, v8, v9
	v_add_u32_e32 v5, v15, v5
	s_andn2_saveexec_b64 s[4:5], s[20:21]
	s_cbranch_execnz .LBB82_22
	s_branch .LBB82_23
.LBB82_21:
	s_andn2_saveexec_b64 s[4:5], s[20:21]
.LBB82_22:
	s_mov_b32 s6, 0x3f22f983
	v_mul_f32_e64 v5, |v1|, s6
	v_rndne_f32_e32 v7, v5
	s_mov_b32 s6, 0xbfc90fda
	v_cvt_i32_f32_e32 v5, v7
	v_fma_f32 v6, v7, s6, |v1|
	v_fmac_f32_e32 v6, 0xb3a22168, v7
	v_fmac_f32_e32 v6, 0xa7c234c4, v7
.LBB82_23:
	s_or_b64 exec, exec, s[4:5]
	v_mul_f32_e32 v8, v3, v3
	v_mov_b32_e32 v12, 0xbab64f3b
	v_mov_b32_e32 v10, 0x3c0881c4
	v_fmac_f32_e32 v12, 0x37d75334, v8
	v_mov_b32_e32 v13, 0x3d2aabf7
	v_fmac_f32_e32 v10, 0xb94c1982, v8
	v_mov_b32_e32 v11, 0xbe2aaa9d
	v_fma_f32 v12, v8, v12, v13
	v_mov_b32_e32 v14, 0xbf000004
	v_fma_f32 v10, v8, v10, v11
	v_fma_f32 v12, v8, v12, v14
	v_mul_f32_e32 v10, v8, v10
	v_fma_f32 v8, v8, v12, 1.0
	v_and_b32_e32 v12, 1, v2
	v_fmac_f32_e32 v3, v3, v10
	v_cmp_eq_u32_e32 vcc, 0, v12
	v_lshlrev_b32_e32 v2, 30, v2
	v_cndmask_b32_e64 v3, -v3, v8, vcc
	v_and_b32_e32 v2, 0x80000000, v2
	s_movk_i32 s4, 0x1f8
	v_mul_f32_e32 v0, 0x7f000000, v0
	v_xor_b32_e32 v2, v2, v3
	v_mov_b32_e32 v8, 0x7fc00000
	v_cmp_class_f32_e64 vcc, v1, s4
	v_mul_f32_e32 v7, v0, v0
	v_cndmask_b32_e32 v2, v8, v2, vcc
	v_mov_b32_e32 v9, 0x3c0881c4
	v_mul_f32_e32 v3, v7, v2
	v_mul_f32_e32 v2, v6, v6
	v_mov_b32_e32 v10, 0xbab64f3b
	v_fmac_f32_e32 v9, 0xb94c1982, v2
	v_fmac_f32_e32 v11, v2, v9
	;; [unrolled: 1-line block ×3, first 2 shown]
	v_mul_f32_e32 v7, v2, v11
	v_fmac_f32_e32 v13, v2, v10
	v_fmac_f32_e32 v6, v6, v7
	;; [unrolled: 1-line block ×3, first 2 shown]
	v_and_b32_e32 v7, 1, v5
	s_brev_b32 s6, 1
	v_fma_f32 v2, v2, v14, 1.0
	v_cmp_eq_u32_e64 s[4:5], 0, v7
	v_lshlrev_b32_e32 v5, 30, v5
	v_cndmask_b32_e64 v2, v2, v6, s[4:5]
	v_and_or_b32 v4, v5, s6, v4
	v_xor_b32_e32 v2, v4, v2
	v_xor_b32_e32 v1, v2, v1
	v_cndmask_b32_e32 v1, v8, v1, vcc
	v_mul_f32_e32 v2, v0, v1
                                        ; implicit-def: $vgpr1
                                        ; implicit-def: $vgpr0
                                        ; implicit-def: $vgpr4
.LBB82_24:
	s_andn2_saveexec_b64 s[18:19], s[18:19]
	s_cbranch_execz .LBB82_34
; %bb.25:
	s_brev_b32 s4, 18
	v_cmp_nlt_f32_e64 s[20:21], |v1|, s4
                                        ; implicit-def: $vgpr3
                                        ; implicit-def: $vgpr2
	s_and_saveexec_b64 s[4:5], s[20:21]
	s_xor_b64 s[22:23], exec, s[4:5]
	s_cbranch_execz .LBB82_27
; %bb.26:
	v_lshrrev_b32_e32 v2, 23, v4
	v_add_u32_e32 v2, 0xffffff88, v2
	v_not_b32_e32 v5, 63
	v_cmp_lt_u32_e32 vcc, 63, v2
	v_cndmask_b32_e32 v5, 0, v5, vcc
	v_add_u32_e32 v2, v5, v2
	v_not_b32_e32 v5, 31
	v_cmp_lt_u32_e64 s[4:5], 31, v2
	v_cndmask_b32_e64 v6, 0, v5, s[4:5]
	v_add_u32_e32 v2, v6, v2
	v_cmp_lt_u32_e64 s[6:7], 31, v2
	v_cndmask_b32_e64 v5, 0, v5, s[6:7]
	v_add_u32_e32 v5, v5, v2
	v_and_b32_e32 v2, 0x7fffff, v4
	v_or_b32_e32 v18, 0x800000, v2
	s_mov_b32 s8, 0xfe5163ab
	v_mad_u64_u32 v[6:7], s[8:9], v18, s8, 0
	v_mov_b32_e32 v3, 0
	v_mov_b32_e32 v2, v7
	s_mov_b32 s8, 0x3c439041
	v_mad_u64_u32 v[8:9], s[8:9], v18, s8, v[2:3]
	v_mov_b32_e32 v2, v9
	s_mov_b32 s8, 0xdb629599
	v_mad_u64_u32 v[10:11], s[8:9], v18, s8, v[2:3]
	;; [unrolled: 3-line block ×6, first 2 shown]
	v_cndmask_b32_e32 v7, v16, v12, vcc
	v_cndmask_b32_e32 v2, v2, v14, vcc
	;; [unrolled: 1-line block ×3, first 2 shown]
	v_cndmask_b32_e64 v9, v2, v7, s[4:5]
	v_cndmask_b32_e64 v2, v3, v2, s[4:5]
	v_cndmask_b32_e32 v3, v14, v10, vcc
	v_cndmask_b32_e64 v7, v7, v3, s[4:5]
	v_cndmask_b32_e64 v2, v2, v9, s[6:7]
	;; [unrolled: 1-line block ×3, first 2 shown]
	v_sub_u32_e32 v11, 32, v5
	v_alignbit_b32 v13, v2, v9, v11
	v_cmp_eq_u32_e64 s[8:9], 0, v5
	v_cndmask_b32_e64 v5, v13, v2, s[8:9]
	v_cndmask_b32_e32 v2, v12, v8, vcc
	v_cndmask_b32_e64 v3, v3, v2, s[4:5]
	v_cndmask_b32_e64 v7, v7, v3, s[6:7]
	v_alignbit_b32 v8, v9, v7, v11
	v_cndmask_b32_e32 v6, v10, v6, vcc
	v_cndmask_b32_e64 v8, v8, v9, s[8:9]
	v_bfe_u32 v13, v5, 29, 1
	v_cndmask_b32_e64 v2, v2, v6, s[4:5]
	v_alignbit_b32 v9, v5, v8, 30
	v_sub_u32_e32 v14, 0, v13
	v_cndmask_b32_e64 v2, v3, v2, s[6:7]
	v_xor_b32_e32 v15, v9, v14
	v_alignbit_b32 v3, v7, v2, v11
	v_cndmask_b32_e64 v3, v3, v7, s[8:9]
	v_ffbh_u32_e32 v7, v15
	v_add_u32_e32 v7, 1, v7
	v_cmp_ne_u32_e32 vcc, v9, v14
	v_alignbit_b32 v6, v8, v3, 30
	v_cndmask_b32_e32 v7, 33, v7, vcc
	v_alignbit_b32 v2, v3, v2, 30
	v_xor_b32_e32 v6, v6, v14
	v_sub_u32_e32 v8, 32, v7
	v_xor_b32_e32 v2, v2, v14
	v_alignbit_b32 v9, v15, v6, v8
	v_alignbit_b32 v2, v6, v2, v8
	v_alignbit_b32 v3, v9, v2, 9
	v_ffbh_u32_e32 v6, v3
	v_min_u32_e32 v6, 32, v6
	v_lshrrev_b32_e32 v12, 29, v5
	v_sub_u32_e32 v8, 31, v6
	v_alignbit_b32 v2, v3, v2, v8
	v_lshlrev_b32_e32 v3, 31, v12
	v_or_b32_e32 v8, 0x33800000, v3
	v_add_lshl_u32 v6, v6, v7, 23
	v_lshrrev_b32_e32 v2, 9, v2
	v_sub_u32_e32 v6, v8, v6
	v_or_b32_e32 v2, v6, v2
	v_alignbit_b32 v6, v7, v9, 9
	v_or_b32_e32 v3, v6, v3
	v_xor_b32_e32 v3, 1.0, v3
	s_mov_b32 s4, 0x3fc90fda
	v_mul_f32_e32 v6, 0x3fc90fda, v3
	v_fma_f32 v7, v3, s4, -v6
	v_fmac_f32_e32 v7, 0x33a22168, v3
	v_fmac_f32_e32 v7, 0x3fc90fda, v2
	v_lshrrev_b32_e32 v3, 30, v5
	v_add_f32_e32 v2, v6, v7
	v_add_u32_e32 v3, v13, v3
	s_andn2_saveexec_b64 s[4:5], s[22:23]
	s_branch .LBB82_28
.LBB82_27:
	s_andn2_saveexec_b64 s[4:5], s[22:23]
.LBB82_28:
	s_mov_b32 s6, 0x3f22f983
	v_mul_f32_e64 v2, |v1|, s6
	v_rndne_f32_e32 v5, v2
	s_mov_b32 s6, 0xbfc90fda
	v_cvt_i32_f32_e32 v3, v5
	v_fma_f32 v2, v5, s6, |v1|
	v_fmac_f32_e32 v2, 0xb3a22168, v5
	v_fmac_f32_e32 v2, 0xa7c234c4, v5
; %bb.29:
	s_or_b64 exec, exec, s[4:5]
                                        ; implicit-def: $vgpr5
                                        ; implicit-def: $vgpr6
	s_and_saveexec_b64 s[4:5], s[20:21]
	s_xor_b64 s[20:21], exec, s[4:5]
	s_cbranch_execz .LBB82_31
; %bb.30:
	v_lshrrev_b32_e32 v5, 23, v4
	v_add_u32_e32 v5, 0xffffff88, v5
	v_not_b32_e32 v6, 63
	v_cmp_lt_u32_e32 vcc, 63, v5
	v_cndmask_b32_e32 v6, 0, v6, vcc
	v_add_u32_e32 v5, v6, v5
	v_not_b32_e32 v6, 31
	v_cmp_lt_u32_e64 s[4:5], 31, v5
	v_cndmask_b32_e64 v8, 0, v6, s[4:5]
	v_add_u32_e32 v5, v8, v5
	v_cmp_lt_u32_e64 s[6:7], 31, v5
	v_cndmask_b32_e64 v6, 0, v6, s[6:7]
	v_add_u32_e32 v5, v6, v5
	v_and_b32_e32 v6, 0x7fffff, v4
	v_or_b32_e32 v20, 0x800000, v6
	s_mov_b32 s8, 0xfe5163ab
	v_mad_u64_u32 v[8:9], s[8:9], v20, s8, 0
	v_mov_b32_e32 v7, 0
	v_mov_b32_e32 v6, v9
	s_mov_b32 s8, 0x3c439041
	v_mad_u64_u32 v[10:11], s[8:9], v20, s8, v[6:7]
	v_mov_b32_e32 v6, v11
	s_mov_b32 s8, 0xdb629599
	v_mad_u64_u32 v[12:13], s[8:9], v20, s8, v[6:7]
	;; [unrolled: 3-line block ×6, first 2 shown]
	v_cndmask_b32_e32 v9, v18, v14, vcc
	v_cndmask_b32_e32 v6, v6, v16, vcc
	;; [unrolled: 1-line block ×3, first 2 shown]
	v_cndmask_b32_e64 v11, v6, v9, s[4:5]
	v_cndmask_b32_e64 v6, v7, v6, s[4:5]
	v_cndmask_b32_e32 v7, v16, v12, vcc
	v_cndmask_b32_e64 v9, v9, v7, s[4:5]
	v_cndmask_b32_e64 v6, v6, v11, s[6:7]
	;; [unrolled: 1-line block ×3, first 2 shown]
	v_sub_u32_e32 v13, 32, v5
	v_alignbit_b32 v15, v6, v11, v13
	v_cmp_eq_u32_e64 s[8:9], 0, v5
	v_cndmask_b32_e64 v5, v15, v6, s[8:9]
	v_cndmask_b32_e32 v6, v14, v10, vcc
	v_cndmask_b32_e64 v7, v7, v6, s[4:5]
	v_cndmask_b32_e64 v9, v9, v7, s[6:7]
	v_alignbit_b32 v10, v11, v9, v13
	v_cndmask_b32_e32 v8, v12, v8, vcc
	v_cndmask_b32_e64 v10, v10, v11, s[8:9]
	v_bfe_u32 v15, v5, 29, 1
	v_cndmask_b32_e64 v6, v6, v8, s[4:5]
	v_alignbit_b32 v11, v5, v10, 30
	v_sub_u32_e32 v16, 0, v15
	v_cndmask_b32_e64 v6, v7, v6, s[6:7]
	v_xor_b32_e32 v17, v11, v16
	v_alignbit_b32 v7, v9, v6, v13
	v_cndmask_b32_e64 v7, v7, v9, s[8:9]
	v_ffbh_u32_e32 v9, v17
	v_add_u32_e32 v9, 1, v9
	v_cmp_ne_u32_e32 vcc, v11, v16
	v_alignbit_b32 v8, v10, v7, 30
	v_cndmask_b32_e32 v9, 33, v9, vcc
	v_alignbit_b32 v6, v7, v6, 30
	v_xor_b32_e32 v8, v8, v16
	v_sub_u32_e32 v10, 32, v9
	v_xor_b32_e32 v6, v6, v16
	v_alignbit_b32 v11, v17, v8, v10
	v_alignbit_b32 v6, v8, v6, v10
	;; [unrolled: 1-line block ×3, first 2 shown]
	v_ffbh_u32_e32 v8, v7
	v_min_u32_e32 v8, 32, v8
	v_lshrrev_b32_e32 v14, 29, v5
	v_sub_u32_e32 v10, 31, v8
	v_alignbit_b32 v6, v7, v6, v10
	v_lshlrev_b32_e32 v7, 31, v14
	v_or_b32_e32 v10, 0x33800000, v7
	v_add_lshl_u32 v8, v8, v9, 23
	v_lshrrev_b32_e32 v6, 9, v6
	v_sub_u32_e32 v8, v10, v8
	v_or_b32_e32 v6, v8, v6
	v_alignbit_b32 v8, v9, v11, 9
	v_or_b32_e32 v7, v8, v7
	v_xor_b32_e32 v7, 1.0, v7
	s_mov_b32 s4, 0x3fc90fda
	v_mul_f32_e32 v8, 0x3fc90fda, v7
	v_fma_f32 v9, v7, s4, -v8
	v_fmac_f32_e32 v9, 0x33a22168, v7
	v_fmac_f32_e32 v9, 0x3fc90fda, v6
	v_lshrrev_b32_e32 v5, 30, v5
	v_add_f32_e32 v6, v8, v9
	v_add_u32_e32 v5, v15, v5
	s_andn2_saveexec_b64 s[4:5], s[20:21]
	s_cbranch_execnz .LBB82_32
	s_branch .LBB82_33
.LBB82_31:
	s_andn2_saveexec_b64 s[4:5], s[20:21]
.LBB82_32:
	s_mov_b32 s6, 0x3f22f983
	v_mul_f32_e64 v5, |v1|, s6
	v_rndne_f32_e32 v7, v5
	s_mov_b32 s6, 0xbfc90fda
	v_cvt_i32_f32_e32 v5, v7
	v_fma_f32 v6, v7, s6, |v1|
	v_fmac_f32_e32 v6, 0xb3a22168, v7
	v_fmac_f32_e32 v6, 0xa7c234c4, v7
.LBB82_33:
	s_or_b64 exec, exec, s[4:5]
	v_mul_f32_e32 v8, v2, v2
	v_mov_b32_e32 v10, 0xbab64f3b
	v_fmac_f32_e32 v10, 0x37d75334, v8
	v_mov_b32_e32 v11, 0x3d2aabf7
	v_mov_b32_e32 v14, 0x3c0881c4
	v_fma_f32 v10, v8, v10, v11
	v_mov_b32_e32 v12, 0xbf000004
	v_fmac_f32_e32 v14, 0xb94c1982, v8
	v_mov_b32_e32 v15, 0xbe2aaa9d
	v_fma_f32 v10, v8, v10, v12
	v_fma_f32 v14, v8, v14, v15
	v_lshlrev_b32_e32 v7, 30, v3
	v_and_b32_e32 v3, 1, v3
	v_fma_f32 v10, v8, v10, 1.0
	v_mul_f32_e32 v8, v8, v14
	v_fmac_f32_e32 v2, v2, v8
	v_cmp_eq_u32_e32 vcc, 0, v3
	v_and_b32_e32 v7, 0x80000000, v7
	v_cndmask_b32_e64 v2, -v2, v10, vcc
	s_mov_b32 s5, 0xc322e3bc
	v_xor_b32_e32 v2, v7, v2
	v_add_f32_e64 v7, |v0|, s5
	s_mov_b32 s5, 0x3fb8aa3b
	v_mul_f32_e32 v3, 0x3fb8aa3b, v7
	v_fma_f32 v8, v7, s5, -v3
	v_rndne_f32_e32 v10, v3
	v_fmac_f32_e32 v8, 0x32a5705f, v7
	v_sub_f32_e32 v3, v3, v10
	v_add_f32_e32 v3, v3, v8
	v_exp_f32_e32 v8, v3
	v_cvt_i32_f32_e32 v10, v10
	s_movk_i32 s4, 0x1f8
	v_mov_b32_e32 v14, 0x7fc00000
	v_cmp_class_f32_e64 vcc, v1, s4
	s_mov_b32 s4, 0xc2ce8ed0
	v_cndmask_b32_e32 v3, v14, v2, vcc
	v_ldexp_f32 v2, v8, v10
	v_cmp_ngt_f32_e64 s[4:5], s4, v7
	v_cndmask_b32_e64 v2, 0, v2, s[4:5]
	s_mov_b32 s4, 0x42b17218
	v_mov_b32_e32 v8, 0x7f800000
	v_cmp_nlt_f32_e64 s[4:5], s4, v7
	v_cndmask_b32_e64 v2, v8, v2, s[4:5]
	v_lshrrev_b32_e32 v7, 23, v2
	v_subrev_u32_e32 v7, 20, v7
	v_lshrrev_b16_e32 v8, 15, v7
	v_add_u16_e32 v8, v7, v8
	v_ashrrev_i16_e32 v8, 1, v8
	v_bfe_i32 v10, v8, 0, 16
	v_sub_u32_e32 v7, v7, v10
	v_mov_b32_e32 v9, 0xbab64f3b
	v_mov_b32_e32 v13, 0x3c0881c4
	v_lshl_add_u32 v8, v7, 23, 1.0
	v_mul_f32_e32 v7, v6, v6
	v_fmac_f32_e32 v13, 0xb94c1982, v7
	v_fmac_f32_e32 v9, 0x37d75334, v7
	;; [unrolled: 1-line block ×4, first 2 shown]
	v_mul_f32_e32 v13, v7, v15
	v_fmac_f32_e32 v12, v7, v11
	v_and_b32_e32 v9, 1, v5
	s_brev_b32 s6, 1
	v_fmac_f32_e32 v6, v6, v13
	v_fma_f32 v7, v7, v12, 1.0
	v_cmp_eq_u32_e64 s[4:5], 0, v9
	v_lshlrev_b32_e32 v5, 30, v5
	v_cndmask_b32_e64 v6, v7, v6, s[4:5]
	v_and_or_b32 v4, v5, s6, v4
	v_xor_b32_e32 v4, v4, v6
	v_xor_b32_e32 v1, v4, v1
	v_and_b32_e32 v2, 0x7fffff, v2
	v_cndmask_b32_e32 v1, v14, v1, vcc
	v_or_b32_e32 v5, 0x7f000000, v2
	v_lshl_add_u32 v4, v10, 23, 1.0
	v_mul_f32_e32 v2, v1, v5
	v_pk_mul_f32 v[2:3], v[2:3], v[4:5]
	v_mov_b32_e32 v9, v4
	s_brev_b32 s4, -2
	v_pk_mul_f32 v[2:3], v[2:3], v[8:9]
	v_bfi_b32 v0, s4, 1.0, v0
	v_mov_b32_e32 v1, v8
	v_pk_mul_f32 v[2:3], v[0:1], v[2:3]
.LBB82_34:
	s_or_b64 exec, exec, s[18:19]
                                        ; implicit-def: $vgpr0
                                        ; implicit-def: $vgpr1
                                        ; implicit-def: $vgpr4
.LBB82_35:
	s_andn2_saveexec_b64 s[16:17], s[16:17]
	s_cbranch_execz .LBB82_45
; %bb.36:
	s_brev_b32 s4, 18
	v_cmp_nlt_f32_e64 s[18:19], |v1|, s4
                                        ; implicit-def: $vgpr2
                                        ; implicit-def: $vgpr3
	s_and_saveexec_b64 s[4:5], s[18:19]
	s_xor_b64 s[20:21], exec, s[4:5]
	s_cbranch_execz .LBB82_38
; %bb.37:
	v_lshrrev_b32_e32 v2, 23, v4
	v_add_u32_e32 v2, 0xffffff88, v2
	v_not_b32_e32 v5, 63
	v_cmp_lt_u32_e32 vcc, 63, v2
	v_cndmask_b32_e32 v5, 0, v5, vcc
	v_add_u32_e32 v2, v5, v2
	v_not_b32_e32 v5, 31
	v_cmp_lt_u32_e64 s[4:5], 31, v2
	v_cndmask_b32_e64 v6, 0, v5, s[4:5]
	v_add_u32_e32 v2, v6, v2
	v_cmp_lt_u32_e64 s[6:7], 31, v2
	v_cndmask_b32_e64 v5, 0, v5, s[6:7]
	v_add_u32_e32 v5, v5, v2
	v_and_b32_e32 v2, 0x7fffff, v4
	v_or_b32_e32 v18, 0x800000, v2
	s_mov_b32 s8, 0xfe5163ab
	v_mad_u64_u32 v[6:7], s[8:9], v18, s8, 0
	v_mov_b32_e32 v3, 0
	v_mov_b32_e32 v2, v7
	s_mov_b32 s8, 0x3c439041
	v_mad_u64_u32 v[8:9], s[8:9], v18, s8, v[2:3]
	v_mov_b32_e32 v2, v9
	s_mov_b32 s8, 0xdb629599
	v_mad_u64_u32 v[10:11], s[8:9], v18, s8, v[2:3]
	v_mov_b32_e32 v2, v11
	s_mov_b32 s8, 0xf534ddc0
	v_mad_u64_u32 v[12:13], s[8:9], v18, s8, v[2:3]
	v_mov_b32_e32 v2, v13
	s_mov_b32 s8, 0xfc2757d1
	v_mad_u64_u32 v[14:15], s[8:9], v18, s8, v[2:3]
	v_mov_b32_e32 v2, v15
	s_mov_b32 s8, 0x4e441529
	v_mad_u64_u32 v[16:17], s[8:9], v18, s8, v[2:3]
	v_mov_b32_e32 v2, v17
	s_mov_b32 s8, 0xa2f9836e
	v_mad_u64_u32 v[2:3], s[8:9], v18, s8, v[2:3]
	v_cndmask_b32_e32 v7, v16, v12, vcc
	v_cndmask_b32_e32 v2, v2, v14, vcc
	;; [unrolled: 1-line block ×3, first 2 shown]
	v_cndmask_b32_e64 v9, v2, v7, s[4:5]
	v_cndmask_b32_e64 v2, v3, v2, s[4:5]
	v_cndmask_b32_e32 v3, v14, v10, vcc
	v_cndmask_b32_e64 v7, v7, v3, s[4:5]
	v_sub_u32_e32 v11, 32, v5
	v_cmp_eq_u32_e64 s[8:9], 0, v5
	v_cndmask_b32_e32 v5, v12, v8, vcc
	v_cndmask_b32_e64 v2, v2, v9, s[6:7]
	v_cndmask_b32_e64 v9, v9, v7, s[6:7]
	;; [unrolled: 1-line block ×3, first 2 shown]
	v_alignbit_b32 v13, v2, v9, v11
	v_cndmask_b32_e64 v7, v7, v3, s[6:7]
	v_cndmask_b32_e64 v2, v13, v2, s[8:9]
	v_alignbit_b32 v8, v9, v7, v11
	v_cndmask_b32_e32 v6, v10, v6, vcc
	v_cndmask_b32_e64 v8, v8, v9, s[8:9]
	v_bfe_u32 v13, v2, 29, 1
	v_cndmask_b32_e64 v5, v5, v6, s[4:5]
	v_alignbit_b32 v9, v2, v8, 30
	v_sub_u32_e32 v14, 0, v13
	v_cndmask_b32_e64 v3, v3, v5, s[6:7]
	v_xor_b32_e32 v15, v9, v14
	v_alignbit_b32 v5, v7, v3, v11
	v_cndmask_b32_e64 v5, v5, v7, s[8:9]
	v_ffbh_u32_e32 v7, v15
	v_add_u32_e32 v7, 1, v7
	v_cmp_ne_u32_e32 vcc, v9, v14
	v_alignbit_b32 v6, v8, v5, 30
	v_cndmask_b32_e32 v7, 33, v7, vcc
	v_alignbit_b32 v3, v5, v3, 30
	v_xor_b32_e32 v6, v6, v14
	v_sub_u32_e32 v8, 32, v7
	v_xor_b32_e32 v3, v3, v14
	v_alignbit_b32 v9, v15, v6, v8
	v_alignbit_b32 v3, v6, v3, v8
	;; [unrolled: 1-line block ×3, first 2 shown]
	v_ffbh_u32_e32 v6, v5
	v_min_u32_e32 v6, 32, v6
	v_lshrrev_b32_e32 v12, 29, v2
	v_sub_u32_e32 v8, 31, v6
	v_alignbit_b32 v3, v5, v3, v8
	v_lshlrev_b32_e32 v5, 31, v12
	v_or_b32_e32 v8, 0x33800000, v5
	v_add_lshl_u32 v6, v6, v7, 23
	v_lshrrev_b32_e32 v3, 9, v3
	v_sub_u32_e32 v6, v8, v6
	v_or_b32_e32 v3, v6, v3
	v_alignbit_b32 v6, v7, v9, 9
	v_or_b32_e32 v5, v6, v5
	v_xor_b32_e32 v5, 1.0, v5
	s_mov_b32 s4, 0x3fc90fda
	v_mul_f32_e32 v6, 0x3fc90fda, v5
	v_fma_f32 v7, v5, s4, -v6
	v_fmac_f32_e32 v7, 0x33a22168, v5
	v_fmac_f32_e32 v7, 0x3fc90fda, v3
	v_lshrrev_b32_e32 v2, 30, v2
	v_add_f32_e32 v3, v6, v7
	v_add_u32_e32 v2, v13, v2
	s_andn2_saveexec_b64 s[4:5], s[20:21]
	s_branch .LBB82_39
.LBB82_38:
	s_andn2_saveexec_b64 s[4:5], s[20:21]
.LBB82_39:
	s_mov_b32 s6, 0x3f22f983
	v_mul_f32_e64 v2, |v1|, s6
	v_rndne_f32_e32 v5, v2
	s_mov_b32 s6, 0xbfc90fda
	v_cvt_i32_f32_e32 v2, v5
	v_fma_f32 v3, v5, s6, |v1|
	v_fmac_f32_e32 v3, 0xb3a22168, v5
	v_fmac_f32_e32 v3, 0xa7c234c4, v5
; %bb.40:
	s_or_b64 exec, exec, s[4:5]
                                        ; implicit-def: $vgpr5
                                        ; implicit-def: $vgpr6
	s_and_saveexec_b64 s[4:5], s[18:19]
	s_xor_b64 s[18:19], exec, s[4:5]
	s_cbranch_execz .LBB82_42
; %bb.41:
	v_lshrrev_b32_e32 v5, 23, v4
	v_add_u32_e32 v5, 0xffffff88, v5
	v_not_b32_e32 v6, 63
	v_cmp_lt_u32_e32 vcc, 63, v5
	v_cndmask_b32_e32 v6, 0, v6, vcc
	v_add_u32_e32 v5, v6, v5
	v_not_b32_e32 v6, 31
	v_cmp_lt_u32_e64 s[4:5], 31, v5
	v_cndmask_b32_e64 v8, 0, v6, s[4:5]
	v_add_u32_e32 v5, v8, v5
	v_cmp_lt_u32_e64 s[6:7], 31, v5
	v_cndmask_b32_e64 v6, 0, v6, s[6:7]
	v_add_u32_e32 v5, v6, v5
	v_and_b32_e32 v6, 0x7fffff, v4
	v_or_b32_e32 v20, 0x800000, v6
	s_mov_b32 s8, 0xfe5163ab
	v_mad_u64_u32 v[8:9], s[8:9], v20, s8, 0
	v_mov_b32_e32 v7, 0
	v_mov_b32_e32 v6, v9
	s_mov_b32 s8, 0x3c439041
	v_mad_u64_u32 v[10:11], s[8:9], v20, s8, v[6:7]
	v_mov_b32_e32 v6, v11
	s_mov_b32 s8, 0xdb629599
	v_mad_u64_u32 v[12:13], s[8:9], v20, s8, v[6:7]
	;; [unrolled: 3-line block ×6, first 2 shown]
	v_cndmask_b32_e32 v9, v18, v14, vcc
	v_cndmask_b32_e32 v6, v6, v16, vcc
	;; [unrolled: 1-line block ×3, first 2 shown]
	v_cndmask_b32_e64 v11, v6, v9, s[4:5]
	v_cndmask_b32_e64 v6, v7, v6, s[4:5]
	v_cndmask_b32_e32 v7, v16, v12, vcc
	v_cndmask_b32_e64 v9, v9, v7, s[4:5]
	v_cndmask_b32_e64 v6, v6, v11, s[6:7]
	;; [unrolled: 1-line block ×3, first 2 shown]
	v_sub_u32_e32 v13, 32, v5
	v_alignbit_b32 v15, v6, v11, v13
	v_cmp_eq_u32_e64 s[8:9], 0, v5
	v_cndmask_b32_e64 v5, v15, v6, s[8:9]
	v_cndmask_b32_e32 v6, v14, v10, vcc
	v_cndmask_b32_e64 v7, v7, v6, s[4:5]
	v_cndmask_b32_e64 v9, v9, v7, s[6:7]
	v_alignbit_b32 v10, v11, v9, v13
	v_cndmask_b32_e32 v8, v12, v8, vcc
	v_cndmask_b32_e64 v10, v10, v11, s[8:9]
	v_bfe_u32 v15, v5, 29, 1
	v_cndmask_b32_e64 v6, v6, v8, s[4:5]
	v_alignbit_b32 v11, v5, v10, 30
	v_sub_u32_e32 v16, 0, v15
	v_cndmask_b32_e64 v6, v7, v6, s[6:7]
	v_xor_b32_e32 v17, v11, v16
	v_alignbit_b32 v7, v9, v6, v13
	v_cndmask_b32_e64 v7, v7, v9, s[8:9]
	v_ffbh_u32_e32 v9, v17
	v_add_u32_e32 v9, 1, v9
	v_cmp_ne_u32_e32 vcc, v11, v16
	v_alignbit_b32 v8, v10, v7, 30
	v_cndmask_b32_e32 v9, 33, v9, vcc
	v_alignbit_b32 v6, v7, v6, 30
	v_xor_b32_e32 v8, v8, v16
	v_sub_u32_e32 v10, 32, v9
	v_xor_b32_e32 v6, v6, v16
	v_alignbit_b32 v11, v17, v8, v10
	v_alignbit_b32 v6, v8, v6, v10
	;; [unrolled: 1-line block ×3, first 2 shown]
	v_ffbh_u32_e32 v8, v7
	v_min_u32_e32 v8, 32, v8
	v_lshrrev_b32_e32 v14, 29, v5
	v_sub_u32_e32 v10, 31, v8
	v_alignbit_b32 v6, v7, v6, v10
	v_lshlrev_b32_e32 v7, 31, v14
	v_or_b32_e32 v10, 0x33800000, v7
	v_add_lshl_u32 v8, v8, v9, 23
	v_lshrrev_b32_e32 v6, 9, v6
	v_sub_u32_e32 v8, v10, v8
	v_or_b32_e32 v6, v8, v6
	v_alignbit_b32 v8, v9, v11, 9
	v_or_b32_e32 v7, v8, v7
	v_xor_b32_e32 v7, 1.0, v7
	s_mov_b32 s4, 0x3fc90fda
	v_mul_f32_e32 v8, 0x3fc90fda, v7
	v_fma_f32 v9, v7, s4, -v8
	v_fmac_f32_e32 v9, 0x33a22168, v7
	v_fmac_f32_e32 v9, 0x3fc90fda, v6
	v_lshrrev_b32_e32 v5, 30, v5
	v_add_f32_e32 v6, v8, v9
	v_add_u32_e32 v5, v15, v5
	s_andn2_saveexec_b64 s[4:5], s[18:19]
	s_cbranch_execnz .LBB82_43
	s_branch .LBB82_44
.LBB82_42:
	s_andn2_saveexec_b64 s[4:5], s[18:19]
.LBB82_43:
	s_mov_b32 s6, 0x3f22f983
	v_mul_f32_e64 v5, |v1|, s6
	v_rndne_f32_e32 v7, v5
	s_mov_b32 s6, 0xbfc90fda
	v_cvt_i32_f32_e32 v5, v7
	v_fma_f32 v6, v7, s6, |v1|
	v_fmac_f32_e32 v6, 0xb3a22168, v7
	v_fmac_f32_e32 v6, 0xa7c234c4, v7
.LBB82_44:
	s_or_b64 exec, exec, s[4:5]
	s_mov_b32 s4, 0x3fb8aa3b
	v_mul_f32_e64 v7, |v0|, s4
	v_rndne_f32_e32 v8, v7
	v_sub_f32_e32 v9, v7, v8
	v_fma_f32 v7, |v0|, s4, -v7
	s_mov_b32 s4, 0x32a5705f
	v_fma_f32 v7, |v0|, s4, v7
	v_add_f32_e32 v7, v9, v7
	v_exp_f32_e32 v7, v7
	v_cvt_i32_f32_e32 v8, v8
	s_mov_b32 s4, 0xc2ce8ed0
	v_cmp_nlt_f32_e64 vcc, |v0|, s4
	s_mov_b32 s4, 0x42b17218
	v_ldexp_f32 v7, v7, v8
	v_cndmask_b32_e32 v7, 0, v7, vcc
	v_mov_b32_e32 v8, 0x7f800000
	v_cmp_ngt_f32_e64 vcc, |v0|, s4
	v_cndmask_b32_e32 v7, v8, v7, vcc
	v_mul_f32_e32 v8, v3, v3
	v_mov_b32_e32 v12, 0xbab64f3b
	v_mov_b32_e32 v10, 0x3c0881c4
	v_fmac_f32_e32 v12, 0x37d75334, v8
	v_mov_b32_e32 v13, 0x3d2aabf7
	v_fmac_f32_e32 v10, 0xb94c1982, v8
	v_mov_b32_e32 v11, 0xbe2aaa9d
	v_fma_f32 v12, v8, v12, v13
	v_mov_b32_e32 v14, 0xbf000004
	v_fma_f32 v10, v8, v10, v11
	v_fma_f32 v12, v8, v12, v14
	v_mul_f32_e32 v10, v8, v10
	v_fma_f32 v8, v8, v12, 1.0
	v_and_b32_e32 v12, 1, v2
	v_fmac_f32_e32 v3, v3, v10
	v_cmp_eq_u32_e32 vcc, 0, v12
	v_lshlrev_b32_e32 v2, 30, v2
	v_cndmask_b32_e64 v3, -v3, v8, vcc
	v_and_b32_e32 v2, 0x80000000, v2
	s_movk_i32 s4, 0x1f8
	v_xor_b32_e32 v2, v2, v3
	v_mov_b32_e32 v8, 0x7fc00000
	v_cmp_class_f32_e64 vcc, v1, s4
	v_mul_f32_e32 v7, 0.5, v7
	v_cndmask_b32_e32 v2, v8, v2, vcc
	v_mov_b32_e32 v9, 0x3c0881c4
	v_mul_f32_e32 v3, v7, v2
	v_mul_f32_e32 v2, v6, v6
	v_mov_b32_e32 v10, 0xbab64f3b
	v_fmac_f32_e32 v9, 0xb94c1982, v2
	s_brev_b32 s4, -2
	v_fmac_f32_e32 v11, v2, v9
	v_fmac_f32_e32 v10, 0x37d75334, v2
	v_bfi_b32 v0, s4, v7, v0
	v_mul_f32_e32 v7, v2, v11
	v_fmac_f32_e32 v13, v2, v10
	v_fmac_f32_e32 v6, v6, v7
	;; [unrolled: 1-line block ×3, first 2 shown]
	v_and_b32_e32 v7, 1, v5
	s_brev_b32 s6, 1
	v_fma_f32 v2, v2, v14, 1.0
	v_cmp_eq_u32_e64 s[4:5], 0, v7
	v_lshlrev_b32_e32 v5, 30, v5
	v_cndmask_b32_e64 v2, v2, v6, s[4:5]
	v_and_or_b32 v4, v5, s6, v4
	v_xor_b32_e32 v2, v4, v2
	v_xor_b32_e32 v1, v2, v1
	v_cndmask_b32_e32 v1, v8, v1, vcc
	v_mul_f32_e32 v2, v0, v1
.LBB82_45:
	s_or_b64 exec, exec, s[16:17]
                                        ; implicit-def: $vgpr0
                                        ; implicit-def: $vgpr1
                                        ; implicit-def: $vgpr4
.LBB82_46:
	s_andn2_saveexec_b64 s[14:15], s[14:15]
	s_cbranch_execz .LBB82_56
; %bb.47:
	s_brev_b32 s4, 18
	v_cmp_nlt_f32_e64 s[16:17], |v1|, s4
	v_lshrrev_b32_e32 v7, 23, v4
                                        ; implicit-def: $vgpr2
                                        ; implicit-def: $vgpr3
	s_and_saveexec_b64 s[4:5], s[16:17]
	s_xor_b64 s[18:19], exec, s[4:5]
	s_cbranch_execz .LBB82_49
; %bb.48:
	v_add_u32_e32 v2, 0xffffff88, v7
	v_not_b32_e32 v5, 63
	v_cmp_lt_u32_e32 vcc, 63, v2
	v_cndmask_b32_e32 v5, 0, v5, vcc
	v_add_u32_e32 v2, v5, v2
	v_not_b32_e32 v5, 31
	v_cmp_lt_u32_e64 s[4:5], 31, v2
	v_cndmask_b32_e64 v6, 0, v5, s[4:5]
	v_add_u32_e32 v2, v6, v2
	v_cmp_lt_u32_e64 s[6:7], 31, v2
	v_cndmask_b32_e64 v5, 0, v5, s[6:7]
	v_add_u32_e32 v5, v5, v2
	v_and_b32_e32 v2, 0x7fffff, v4
	v_or_b32_e32 v6, 0x800000, v2
	s_mov_b32 s8, 0xfe5163ab
	v_mad_u64_u32 v[8:9], s[8:9], v6, s8, 0
	v_mov_b32_e32 v3, 0
	v_mov_b32_e32 v2, v9
	s_mov_b32 s8, 0x3c439041
	v_mad_u64_u32 v[10:11], s[8:9], v6, s8, v[2:3]
	v_mov_b32_e32 v2, v11
	s_mov_b32 s8, 0xdb629599
	v_mad_u64_u32 v[12:13], s[8:9], v6, s8, v[2:3]
	;; [unrolled: 3-line block ×6, first 2 shown]
	v_cndmask_b32_e32 v9, v18, v14, vcc
	v_cndmask_b32_e32 v2, v2, v16, vcc
	;; [unrolled: 1-line block ×3, first 2 shown]
	v_cndmask_b32_e64 v6, v2, v9, s[4:5]
	v_cndmask_b32_e64 v2, v3, v2, s[4:5]
	v_cndmask_b32_e32 v3, v16, v12, vcc
	v_cndmask_b32_e64 v9, v9, v3, s[4:5]
	v_sub_u32_e32 v11, 32, v5
	v_cmp_eq_u32_e64 s[8:9], 0, v5
	v_cndmask_b32_e32 v5, v14, v10, vcc
	v_cndmask_b32_e64 v2, v2, v6, s[6:7]
	v_cndmask_b32_e64 v6, v6, v9, s[6:7]
	;; [unrolled: 1-line block ×3, first 2 shown]
	v_alignbit_b32 v13, v2, v6, v11
	v_cndmask_b32_e64 v9, v9, v3, s[6:7]
	v_cndmask_b32_e64 v2, v13, v2, s[8:9]
	v_alignbit_b32 v10, v6, v9, v11
	v_cndmask_b32_e64 v6, v10, v6, s[8:9]
	v_bfe_u32 v14, v2, 29, 1
	v_cndmask_b32_e32 v8, v12, v8, vcc
	v_alignbit_b32 v10, v2, v6, 30
	v_sub_u32_e32 v15, 0, v14
	v_cndmask_b32_e64 v5, v5, v8, s[4:5]
	v_xor_b32_e32 v16, v10, v15
	v_cndmask_b32_e64 v3, v3, v5, s[6:7]
	v_alignbit_b32 v5, v9, v3, v11
	v_ffbh_u32_e32 v8, v16
	v_cndmask_b32_e64 v5, v5, v9, s[8:9]
	v_add_u32_e32 v8, 1, v8
	v_cmp_ne_u32_e32 vcc, v10, v15
	v_alignbit_b32 v6, v6, v5, 30
	v_cndmask_b32_e32 v8, 33, v8, vcc
	v_alignbit_b32 v3, v5, v3, 30
	v_xor_b32_e32 v6, v6, v15
	v_sub_u32_e32 v9, 32, v8
	v_xor_b32_e32 v3, v3, v15
	v_alignbit_b32 v10, v16, v6, v9
	v_alignbit_b32 v3, v6, v3, v9
	;; [unrolled: 1-line block ×3, first 2 shown]
	v_ffbh_u32_e32 v6, v5
	v_min_u32_e32 v6, 32, v6
	v_lshrrev_b32_e32 v13, 29, v2
	v_sub_u32_e32 v9, 31, v6
	v_alignbit_b32 v3, v5, v3, v9
	v_lshlrev_b32_e32 v5, 31, v13
	v_or_b32_e32 v9, 0x33800000, v5
	v_add_lshl_u32 v6, v6, v8, 23
	v_lshrrev_b32_e32 v3, 9, v3
	v_sub_u32_e32 v6, v9, v6
	v_or_b32_e32 v3, v6, v3
	v_alignbit_b32 v6, v8, v10, 9
	v_or_b32_e32 v5, v6, v5
	v_xor_b32_e32 v5, 1.0, v5
	s_mov_b32 s4, 0x3fc90fda
	v_mul_f32_e32 v6, 0x3fc90fda, v5
	v_fma_f32 v8, v5, s4, -v6
	v_fmac_f32_e32 v8, 0x33a22168, v5
	v_fmac_f32_e32 v8, 0x3fc90fda, v3
	v_lshrrev_b32_e32 v2, 30, v2
	v_add_f32_e32 v3, v6, v8
	v_add_u32_e32 v2, v14, v2
	s_andn2_saveexec_b64 s[4:5], s[18:19]
	s_branch .LBB82_50
.LBB82_49:
	s_andn2_saveexec_b64 s[4:5], s[18:19]
.LBB82_50:
	s_mov_b32 s6, 0x3f22f983
	v_mul_f32_e64 v2, |v1|, s6
	v_rndne_f32_e32 v5, v2
	s_mov_b32 s6, 0xbfc90fda
	v_cvt_i32_f32_e32 v2, v5
	v_fma_f32 v3, v5, s6, |v1|
	v_fmac_f32_e32 v3, 0xb3a22168, v5
	v_fmac_f32_e32 v3, 0xa7c234c4, v5
; %bb.51:
	s_or_b64 exec, exec, s[4:5]
                                        ; implicit-def: $vgpr5
                                        ; implicit-def: $vgpr6
	s_and_saveexec_b64 s[4:5], s[16:17]
	s_xor_b64 s[16:17], exec, s[4:5]
	s_cbranch_execz .LBB82_53
; %bb.52:
	v_add_u32_e32 v5, 0xffffff88, v7
	v_not_b32_e32 v6, 63
	v_cmp_lt_u32_e32 vcc, 63, v5
	v_cndmask_b32_e32 v6, 0, v6, vcc
	v_add_u32_e32 v5, v6, v5
	v_not_b32_e32 v6, 31
	v_cmp_lt_u32_e64 s[4:5], 31, v5
	v_cndmask_b32_e64 v8, 0, v6, s[4:5]
	v_add_u32_e32 v5, v8, v5
	v_cmp_lt_u32_e64 s[6:7], 31, v5
	v_cndmask_b32_e64 v6, 0, v6, s[6:7]
	v_add_u32_e32 v5, v6, v5
	v_and_b32_e32 v6, 0x7fffff, v4
	v_or_b32_e32 v20, 0x800000, v6
	s_mov_b32 s8, 0xfe5163ab
	v_mad_u64_u32 v[8:9], s[8:9], v20, s8, 0
	v_mov_b32_e32 v7, 0
	v_mov_b32_e32 v6, v9
	s_mov_b32 s8, 0x3c439041
	v_mad_u64_u32 v[10:11], s[8:9], v20, s8, v[6:7]
	v_mov_b32_e32 v6, v11
	s_mov_b32 s8, 0xdb629599
	v_mad_u64_u32 v[12:13], s[8:9], v20, s8, v[6:7]
	v_mov_b32_e32 v6, v13
	s_mov_b32 s8, 0xf534ddc0
	v_mad_u64_u32 v[14:15], s[8:9], v20, s8, v[6:7]
	v_mov_b32_e32 v6, v15
	s_mov_b32 s8, 0xfc2757d1
	v_mad_u64_u32 v[16:17], s[8:9], v20, s8, v[6:7]
	v_mov_b32_e32 v6, v17
	s_mov_b32 s8, 0x4e441529
	v_mad_u64_u32 v[18:19], s[8:9], v20, s8, v[6:7]
	v_mov_b32_e32 v6, v19
	s_mov_b32 s8, 0xa2f9836e
	v_mad_u64_u32 v[6:7], s[8:9], v20, s8, v[6:7]
	v_cndmask_b32_e32 v9, v18, v14, vcc
	v_cndmask_b32_e32 v6, v6, v16, vcc
	;; [unrolled: 1-line block ×3, first 2 shown]
	v_cndmask_b32_e64 v11, v6, v9, s[4:5]
	v_cndmask_b32_e64 v6, v7, v6, s[4:5]
	v_cndmask_b32_e32 v7, v16, v12, vcc
	v_cndmask_b32_e64 v9, v9, v7, s[4:5]
	v_cndmask_b32_e64 v6, v6, v11, s[6:7]
	;; [unrolled: 1-line block ×3, first 2 shown]
	v_sub_u32_e32 v13, 32, v5
	v_alignbit_b32 v15, v6, v11, v13
	v_cmp_eq_u32_e64 s[8:9], 0, v5
	v_cndmask_b32_e64 v5, v15, v6, s[8:9]
	v_cndmask_b32_e32 v6, v14, v10, vcc
	v_cndmask_b32_e64 v7, v7, v6, s[4:5]
	v_cndmask_b32_e64 v9, v9, v7, s[6:7]
	v_alignbit_b32 v10, v11, v9, v13
	v_cndmask_b32_e32 v8, v12, v8, vcc
	v_cndmask_b32_e64 v10, v10, v11, s[8:9]
	v_bfe_u32 v15, v5, 29, 1
	v_cndmask_b32_e64 v6, v6, v8, s[4:5]
	v_alignbit_b32 v11, v5, v10, 30
	v_sub_u32_e32 v16, 0, v15
	v_cndmask_b32_e64 v6, v7, v6, s[6:7]
	v_xor_b32_e32 v17, v11, v16
	v_alignbit_b32 v7, v9, v6, v13
	v_cndmask_b32_e64 v7, v7, v9, s[8:9]
	v_ffbh_u32_e32 v9, v17
	v_add_u32_e32 v9, 1, v9
	v_cmp_ne_u32_e32 vcc, v11, v16
	v_alignbit_b32 v8, v10, v7, 30
	v_cndmask_b32_e32 v9, 33, v9, vcc
	v_alignbit_b32 v6, v7, v6, 30
	v_xor_b32_e32 v8, v8, v16
	v_sub_u32_e32 v10, 32, v9
	v_xor_b32_e32 v6, v6, v16
	v_alignbit_b32 v11, v17, v8, v10
	v_alignbit_b32 v6, v8, v6, v10
	;; [unrolled: 1-line block ×3, first 2 shown]
	v_ffbh_u32_e32 v8, v7
	v_min_u32_e32 v8, 32, v8
	v_lshrrev_b32_e32 v14, 29, v5
	v_sub_u32_e32 v10, 31, v8
	v_alignbit_b32 v6, v7, v6, v10
	v_lshlrev_b32_e32 v7, 31, v14
	v_or_b32_e32 v10, 0x33800000, v7
	v_add_lshl_u32 v8, v8, v9, 23
	v_lshrrev_b32_e32 v6, 9, v6
	v_sub_u32_e32 v8, v10, v8
	v_or_b32_e32 v6, v8, v6
	v_alignbit_b32 v8, v9, v11, 9
	v_or_b32_e32 v7, v8, v7
	v_xor_b32_e32 v7, 1.0, v7
	s_mov_b32 s4, 0x3fc90fda
	v_mul_f32_e32 v8, 0x3fc90fda, v7
	v_fma_f32 v9, v7, s4, -v8
	v_fmac_f32_e32 v9, 0x33a22168, v7
	v_fmac_f32_e32 v9, 0x3fc90fda, v6
	v_lshrrev_b32_e32 v5, 30, v5
	v_add_f32_e32 v6, v8, v9
	v_add_u32_e32 v5, v15, v5
	s_andn2_saveexec_b64 s[4:5], s[16:17]
	s_cbranch_execnz .LBB82_54
	s_branch .LBB82_55
.LBB82_53:
	s_andn2_saveexec_b64 s[4:5], s[16:17]
.LBB82_54:
	s_mov_b32 s6, 0x3f22f983
	v_mul_f32_e64 v5, |v1|, s6
	v_rndne_f32_e32 v7, v5
	s_mov_b32 s6, 0xbfc90fda
	v_cvt_i32_f32_e32 v5, v7
	v_fma_f32 v6, v7, s6, |v1|
	v_fmac_f32_e32 v6, 0xb3a22168, v7
	v_fmac_f32_e32 v6, 0xa7c234c4, v7
.LBB82_55:
	s_or_b64 exec, exec, s[4:5]
	s_mov_b32 s4, 0xbf317218
	v_add_f32_e64 v7, |v0|, s4
	v_sub_f32_e64 v8, v7, |v0|
	v_sub_f32_e32 v9, v8, v7
	v_add_f32_e64 v9, |v0|, v9
	v_add_f32_e32 v8, 0x3f317218, v8
	v_sub_f32_e32 v8, v9, v8
	v_add_f32_e32 v8, 0x3102e308, v8
	v_add_f32_e32 v9, v7, v8
	v_sub_f32_e32 v7, v7, v9
	v_add_f32_e32 v7, v8, v7
	v_mul_f32_e32 v8, 0x3fb8aa3b, v9
	v_rndne_f32_e32 v8, v8
	v_fmac_f32_e32 v9, 0xbf317200, v8
	v_add_f32_e32 v10, v7, v9
	v_sub_f32_e32 v9, v9, v10
	v_add_f32_e32 v7, v7, v9
	v_mul_f32_e32 v9, 0x35bfbc00, v8
	v_sub_f32_e32 v11, v10, v9
	v_sub_f32_e32 v10, v10, v11
	;; [unrolled: 1-line block ×3, first 2 shown]
	v_add_f32_e32 v7, v7, v9
	v_add_f32_e32 v9, v11, v7
	v_sub_f32_e32 v10, v11, v9
	v_add_f32_e32 v7, v7, v10
	v_mul_f32_e32 v10, 0x2ea39ef3, v8
	v_sub_f32_e32 v11, v9, v10
	v_sub_f32_e32 v9, v9, v11
	;; [unrolled: 1-line block ×3, first 2 shown]
	v_add_f32_e32 v7, v7, v9
	v_add_f32_e32 v9, v11, v7
	v_mov_b32_e32 v10, 0x3c091de6
	v_fmac_f32_e32 v10, 0x3ab42872, v9
	v_mov_b32_e32 v12, 0x3d2aadcc
	v_fmac_f32_e32 v12, v9, v10
	;; [unrolled: 2-line block ×4, first 2 shown]
	v_sub_f32_e32 v10, v11, v9
	v_add_f32_e32 v7, v7, v10
	v_mul_f32_e32 v11, v9, v9
	v_add_f32_e32 v10, v7, v7
	v_fma_f32 v13, v9, v9, -v11
	v_fmac_f32_e32 v13, v9, v10
	v_add_f32_e32 v10, v11, v13
	v_sub_f32_e32 v11, v10, v11
	v_sub_f32_e32 v11, v13, v11
	v_mul_f32_e32 v13, v12, v10
	v_fma_f32 v10, v10, v12, -v13
	v_fmac_f32_e32 v10, v11, v12
	v_add_f32_e32 v11, v13, v10
	v_sub_f32_e32 v12, v11, v13
	v_sub_f32_e32 v10, v10, v12
	v_add_f32_e32 v12, v9, v11
	v_sub_f32_e32 v9, v12, v9
	v_sub_f32_e32 v9, v11, v9
	v_add_f32_e32 v7, v7, v10
	v_add_f32_e32 v7, v7, v9
	;; [unrolled: 1-line block ×3, first 2 shown]
	v_sub_f32_e32 v10, v9, v12
	v_sub_f32_e32 v7, v7, v10
	v_add_f32_e32 v10, 1.0, v9
	v_add_f32_e32 v11, -1.0, v10
	v_cvt_i32_f32_e32 v8, v8
	v_sub_f32_e32 v9, v9, v11
	v_add_f32_e32 v7, v7, v9
	v_add_f32_e32 v9, v10, v7
	v_ldexp_f32 v11, v9, v8
	v_rcp_f32_e32 v12, v11
	v_sub_f32_e32 v9, v9, v10
	v_sub_f32_e32 v7, v7, v9
	v_ldexp_f32 v7, v7, v8
	v_mul_f32_e32 v8, v11, v12
	v_fma_f32 v9, v12, v11, -v8
	v_fmac_f32_e32 v9, v12, v7
	v_add_f32_e32 v10, v8, v9
	v_sub_f32_e32 v13, 1.0, v10
	v_sub_f32_e32 v14, 1.0, v13
	v_sub_f32_e32 v8, v10, v8
	v_sub_f32_e32 v14, v14, v10
	;; [unrolled: 1-line block ×3, first 2 shown]
	v_add_f32_e32 v8, v8, v14
	v_add_f32_e32 v9, v13, v8
	v_mul_f32_e32 v10, v12, v9
	v_mul_f32_e32 v14, v11, v10
	v_fma_f32 v15, v10, v11, -v14
	v_fmac_f32_e32 v15, v10, v7
	v_sub_f32_e32 v13, v13, v9
	v_add_f32_e32 v8, v8, v13
	v_add_f32_e32 v13, v14, v15
	v_sub_f32_e32 v16, v9, v13
	v_sub_f32_e32 v9, v9, v16
	;; [unrolled: 1-line block ×4, first 2 shown]
	v_add_f32_e32 v8, v8, v9
	v_sub_f32_e32 v9, v14, v15
	v_add_f32_e32 v8, v9, v8
	v_add_f32_e32 v8, v16, v8
	;; [unrolled: 1-line block ×3, first 2 shown]
	v_mul_f32_e32 v8, v12, v8
	v_sub_f32_e32 v12, v9, v12
	v_sub_f32_e32 v10, v10, v12
	v_add_f32_e32 v8, v10, v8
	v_add_f32_e32 v10, v9, v8
	v_sub_f32_e32 v9, v10, v9
	v_sub_f32_e32 v8, v8, v9
	v_ldexp_f32 v9, v10, -2
	v_add_f32_e32 v10, v11, v9
	v_ldexp_f32 v8, v8, -2
	v_sub_f32_e32 v12, v10, v11
	v_sub_f32_e32 v12, v9, v12
	v_add_f32_e32 v13, v7, v8
	v_add_f32_e32 v12, v13, v12
	v_mul_f32_e32 v13, v3, v3
	v_mov_b32_e32 v17, 0xbab64f3b
	v_mov_b32_e32 v15, 0x3c0881c4
	v_fmac_f32_e32 v17, 0x37d75334, v13
	v_mov_b32_e32 v18, 0x3d2aabf7
	v_fmac_f32_e32 v15, 0xb94c1982, v13
	v_mov_b32_e32 v16, 0xbe2aaa9d
	v_fma_f32 v17, v13, v17, v18
	v_mov_b32_e32 v19, 0xbf000004
	v_fma_f32 v15, v13, v15, v16
	v_fma_f32 v17, v13, v17, v19
	s_mov_b32 s4, 0x42b2d4fc
	v_mul_f32_e32 v15, v13, v15
	v_fma_f32 v13, v13, v17, 1.0
	v_and_b32_e32 v17, 1, v2
	v_cmp_gt_f32_e64 vcc, |v0|, s4
	v_fmac_f32_e32 v3, v3, v15
	v_cmp_eq_u32_e64 s[4:5], 0, v17
	v_lshlrev_b32_e32 v2, 30, v2
	v_cndmask_b32_e64 v3, -v3, v13, s[4:5]
	v_and_b32_e32 v2, 0x80000000, v2
	s_movk_i32 s4, 0x1f8
	v_add_f32_e32 v10, v10, v12
	v_mov_b32_e32 v12, 0x7f800000
	v_xor_b32_e32 v2, v2, v3
	v_mov_b32_e32 v13, 0x7fc00000
	v_cmp_class_f32_e64 s[4:5], v1, s4
	v_cndmask_b32_e32 v10, v10, v12, vcc
	v_cndmask_b32_e64 v2, v13, v2, s[4:5]
	v_mul_f32_e32 v3, v10, v2
	v_sub_f32_e32 v2, v11, v9
	v_sub_f32_e32 v10, v11, v2
	v_sub_f32_e32 v9, v10, v9
	v_add_f32_e32 v7, v7, v9
	v_sub_f32_e32 v7, v7, v8
	v_add_f32_e32 v2, v2, v7
	s_mov_b32 s6, 0x39800000
	v_cndmask_b32_e32 v2, v2, v12, vcc
	v_cmp_lt_f32_e64 s[6:7], |v0|, s6
	v_cndmask_b32_e64 v2, v2, |v0|, s[6:7]
	s_brev_b32 s6, -2
	v_mov_b32_e32 v14, 0x3c0881c4
	v_bfi_b32 v0, s6, v2, v0
	v_mul_f32_e32 v2, v6, v6
	v_mov_b32_e32 v15, 0xbab64f3b
	v_fmac_f32_e32 v14, 0xb94c1982, v2
	v_fmac_f32_e32 v16, v2, v14
	;; [unrolled: 1-line block ×3, first 2 shown]
	v_mul_f32_e32 v7, v2, v16
	v_fmac_f32_e32 v18, v2, v15
	v_fmac_f32_e32 v6, v6, v7
	;; [unrolled: 1-line block ×3, first 2 shown]
	v_and_b32_e32 v7, 1, v5
	s_brev_b32 s8, 1
	v_fma_f32 v2, v2, v19, 1.0
	v_cmp_eq_u32_e32 vcc, 0, v7
	v_lshlrev_b32_e32 v5, 30, v5
	v_cndmask_b32_e32 v2, v2, v6, vcc
	v_and_or_b32 v4, v5, s8, v4
	v_xor_b32_e32 v2, v4, v2
	v_xor_b32_e32 v1, v2, v1
	v_cndmask_b32_e64 v1, v13, v1, s[4:5]
	v_mul_f32_e32 v2, v0, v1
.LBB82_56:
	s_or_b64 exec, exec, s[14:15]
                                        ; implicit-def: $vgpr0
                                        ; implicit-def: $vgpr1
.LBB82_57:
	s_andn2_saveexec_b64 s[4:5], s[12:13]
	s_cbranch_execz .LBB82_59
; %bb.58:
	s_mov_b32 s6, 0xbf317218
	v_add_f32_e64 v6, |v0|, s6
	v_sub_f32_e64 v5, v6, |v0|
	v_and_b32_e32 v2, 0x7fffffff, v0
	v_sub_f32_e32 v4, v5, v6
	v_mov_b32_e32 v3, 0x3f317218
	v_pk_add_f32 v[2:3], v[2:3], v[4:5]
	v_sub_f32_e32 v2, v2, v3
	v_add_f32_e32 v2, 0x3102e308, v2
	v_add_f32_e32 v3, v6, v2
	v_sub_f32_e32 v4, v6, v3
	v_add_f32_e32 v2, v2, v4
	v_mul_f32_e32 v4, 0x3fb8aa3b, v3
	v_rndne_f32_e32 v10, v4
	v_fmac_f32_e32 v3, 0xbf317200, v10
	v_add_f32_e32 v5, v2, v3
	v_mul_f32_e32 v6, 0x35bfbc00, v10
	v_sub_f32_e32 v4, v5, v6
	v_sub_f32_e32 v3, v3, v5
	v_sub_f32_e32 v5, v5, v4
	v_add_f32_e32 v2, v2, v3
	v_sub_f32_e32 v5, v5, v6
	v_add_f32_e32 v8, v2, v5
	v_add_f32_e32 v5, v4, v8
	v_mul_f32_e32 v3, 0x2ea39ef3, v10
	v_mov_b32_e32 v2, v5
	v_pk_add_f32 v[6:7], v[4:5], v[2:3] neg_lo:[0,1] neg_hi:[0,1]
	v_sub_f32_e32 v2, v5, v7
	v_sub_f32_e32 v2, v2, v3
	v_add_f32_e32 v3, v8, v6
	v_add_f32_e32 v2, v3, v2
	;; [unrolled: 1-line block ×3, first 2 shown]
	v_mov_b32_e32 v4, 0x3c091de6
	v_fmac_f32_e32 v4, 0x3ab42872, v3
	v_mov_b32_e32 v5, 0x3d2aadcc
	v_fmac_f32_e32 v5, v3, v4
	;; [unrolled: 2-line block ×4, first 2 shown]
	v_sub_f32_e32 v4, v7, v3
	v_add_f32_e32 v4, v2, v4
	v_mul_f32_e32 v6, v3, v3
	v_add_f32_e32 v2, v4, v4
	v_fma_f32 v7, v3, v3, -v6
	v_fmac_f32_e32 v7, v3, v2
	v_add_f32_e32 v2, v6, v7
	v_sub_f32_e32 v6, v2, v6
	v_sub_f32_e32 v6, v7, v6
	v_mul_f32_e32 v7, v5, v2
	v_fma_f32 v2, v2, v5, -v7
	v_fmac_f32_e32 v2, v6, v5
	v_add_f32_e32 v5, v7, v2
	v_sub_f32_e32 v6, v5, v7
	v_sub_f32_e32 v6, v2, v6
	v_add_f32_e32 v2, v3, v5
	v_sub_f32_e32 v3, v2, v3
	v_sub_f32_e32 v3, v5, v3
	v_add_f32_e32 v4, v4, v6
	v_add_f32_e32 v4, v4, v3
	;; [unrolled: 1-line block ×3, first 2 shown]
	v_add_f32_e32 v7, 1.0, v6
	s_mov_b32 s7, -1.0
	v_mov_b32_e32 v3, -1.0
	v_pk_add_f32 v[2:3], v[6:7], v[2:3] neg_lo:[0,1] neg_hi:[0,1]
	v_pk_add_f32 v[8:9], v[6:7], s[6:7]
	v_mov_b32_e32 v3, v9
	v_mov_b32_e32 v5, v6
	v_cvt_i32_f32_e32 v6, v10
	v_pk_add_f32 v[2:3], v[4:5], v[2:3] neg_lo:[0,1] neg_hi:[0,1]
	v_add_f32_e32 v2, v2, v3
	v_add_f32_e32 v3, v7, v2
	v_ldexp_f32 v10, v3, v6
	v_rcp_f32_e32 v11, v10
	v_sub_f32_e32 v3, v3, v7
	v_sub_f32_e32 v2, v2, v3
	v_ldexp_f32 v12, v2, v6
	v_mul_f32_e32 v2, v10, v11
	v_fma_f32 v4, v11, v10, -v2
	v_fmac_f32_e32 v4, v11, v12
	v_add_f32_e32 v6, v2, v4
	v_sub_f32_e32 v3, 1.0, v6
	v_mov_b32_e32 v7, 1.0
	v_pk_add_f32 v[8:9], v[6:7], v[2:3] neg_lo:[0,1] neg_hi:[0,1]
	v_mov_b32_e32 v5, v6
	v_pk_add_f32 v[4:5], v[8:9], v[4:5] neg_lo:[0,1] neg_hi:[0,1]
	v_add_f32_e32 v4, v4, v5
	v_add_f32_e32 v5, v3, v4
	v_mul_f32_e32 v13, v11, v5
	v_mul_f32_e32 v2, v10, v13
	v_fma_f32 v6, v13, v10, -v2
	v_fmac_f32_e32 v6, v13, v12
	v_sub_f32_e32 v3, v3, v5
	v_add_f32_e32 v14, v4, v3
	v_add_f32_e32 v4, v2, v6
	v_sub_f32_e32 v3, v5, v4
	v_pk_add_f32 v[8:9], v[4:5], v[2:3] neg_lo:[0,1] neg_hi:[0,1]
	v_mov_b32_e32 v7, v4
	v_pk_add_f32 v[4:5], v[8:9], v[6:7] neg_lo:[0,1] neg_hi:[0,1]
	v_add_f32_e32 v2, v14, v5
	v_add_f32_e32 v2, v4, v2
	v_add_f32_e32 v2, v3, v2
	v_add_f32_e32 v3, v11, v13
	v_sub_f32_e32 v4, v3, v11
	v_mul_f32_e32 v2, v11, v2
	v_sub_f32_e32 v4, v13, v4
	v_add_f32_e32 v2, v4, v2
	v_add_f32_e32 v4, v3, v2
	v_sub_f32_e32 v3, v4, v3
	v_sub_f32_e32 v2, v2, v3
	v_ldexp_f32 v3, v4, -2
	v_add_f32_e32 v4, v10, v3
	v_ldexp_f32 v2, v2, -2
	v_sub_f32_e32 v5, v4, v10
	v_sub_f32_e32 v3, v3, v5
	v_add_f32_e32 v2, v12, v2
	v_add_f32_e32 v2, v2, v3
	s_mov_b32 s6, 0x42b2d4fc
	v_add_f32_e32 v2, v4, v2
	v_mov_b32_e32 v3, 0x7f800000
	v_cmp_ngt_f32_e64 vcc, |v0|, s6
	v_cndmask_b32_e32 v3, v3, v2, vcc
	v_mul_f32_e32 v2, v0, v1
.LBB82_59:
	s_or_b64 exec, exec, s[4:5]
	s_or_b64 exec, exec, s[10:11]
	v_mov_b32_e32 v0, v3
	v_mov_b32_e32 v1, v2
	s_setpc_b64 s[30:31]
.LBB82_60:
	s_andn2_saveexec_b64 s[4:5], s[24:25]
.LBB82_61:
	s_mov_b32 s6, 0x3f22f983
	v_mul_f32_e64 v2, |v1|, s6
	v_rndne_f32_e32 v6, v2
	s_mov_b32 s6, 0xbfc90fda
	v_cvt_i32_f32_e32 v2, v6
	v_fma_f32 v5, v6, s6, |v1|
	v_fmac_f32_e32 v5, 0xb3a22168, v6
	v_fmac_f32_e32 v5, 0xa7c234c4, v6
; %bb.62:
	s_or_b64 exec, exec, s[4:5]
                                        ; implicit-def: $vgpr6
                                        ; implicit-def: $vgpr7
	s_and_saveexec_b64 s[4:5], s[22:23]
	s_xor_b64 s[22:23], exec, s[4:5]
	s_cbranch_execz .LBB82_64
; %bb.63:
	v_lshrrev_b32_e32 v6, 23, v4
	v_add_u32_e32 v6, 0xffffff88, v6
	v_not_b32_e32 v8, 63
	v_cmp_lt_u32_e32 vcc, 63, v6
	v_cndmask_b32_e32 v8, 0, v8, vcc
	v_add_u32_e32 v6, v8, v6
	v_not_b32_e32 v8, 31
	v_cmp_lt_u32_e64 s[4:5], 31, v6
	v_cndmask_b32_e64 v9, 0, v8, s[4:5]
	v_add_u32_e32 v6, v9, v6
	v_cmp_lt_u32_e64 s[6:7], 31, v6
	v_cndmask_b32_e64 v8, 0, v8, s[6:7]
	v_add_u32_e32 v20, v8, v6
	v_and_b32_e32 v6, 0x7fffff, v4
	v_or_b32_e32 v21, 0x800000, v6
	s_mov_b32 s8, 0xfe5163ab
	v_mad_u64_u32 v[8:9], s[8:9], v21, s8, 0
	v_mov_b32_e32 v7, 0
	v_mov_b32_e32 v6, v9
	s_mov_b32 s8, 0x3c439041
	v_mad_u64_u32 v[10:11], s[8:9], v21, s8, v[6:7]
	v_mov_b32_e32 v6, v11
	s_mov_b32 s8, 0xdb629599
	v_mad_u64_u32 v[12:13], s[8:9], v21, s8, v[6:7]
	v_mov_b32_e32 v6, v13
	s_mov_b32 s8, 0xf534ddc0
	v_mad_u64_u32 v[14:15], s[8:9], v21, s8, v[6:7]
	v_mov_b32_e32 v6, v15
	s_mov_b32 s8, 0xfc2757d1
	v_mad_u64_u32 v[16:17], s[8:9], v21, s8, v[6:7]
	v_mov_b32_e32 v6, v17
	s_mov_b32 s8, 0x4e441529
	v_mad_u64_u32 v[18:19], s[8:9], v21, s8, v[6:7]
	v_mov_b32_e32 v6, v19
	s_mov_b32 s8, 0xa2f9836e
	v_mad_u64_u32 v[6:7], s[8:9], v21, s8, v[6:7]
	v_cndmask_b32_e32 v9, v18, v14, vcc
	v_cndmask_b32_e32 v6, v6, v16, vcc
	;; [unrolled: 1-line block ×3, first 2 shown]
	v_cndmask_b32_e64 v11, v6, v9, s[4:5]
	v_cndmask_b32_e64 v6, v7, v6, s[4:5]
	v_cndmask_b32_e32 v7, v16, v12, vcc
	v_cndmask_b32_e64 v9, v9, v7, s[4:5]
	v_cndmask_b32_e32 v10, v14, v10, vcc
	v_cndmask_b32_e64 v6, v6, v11, s[6:7]
	v_cndmask_b32_e64 v11, v11, v9, s[6:7]
	v_sub_u32_e32 v13, 32, v20
	v_cndmask_b32_e64 v7, v7, v10, s[4:5]
	v_alignbit_b32 v15, v6, v11, v13
	v_cmp_eq_u32_e64 s[8:9], 0, v20
	v_cndmask_b32_e64 v9, v9, v7, s[6:7]
	v_cndmask_b32_e64 v6, v15, v6, s[8:9]
	v_alignbit_b32 v14, v11, v9, v13
	v_cndmask_b32_e64 v11, v14, v11, s[8:9]
	v_bfe_u32 v16, v6, 29, 1
	v_cndmask_b32_e32 v8, v12, v8, vcc
	v_alignbit_b32 v14, v6, v11, 30
	v_sub_u32_e32 v17, 0, v16
	v_cndmask_b32_e64 v8, v10, v8, s[4:5]
	v_xor_b32_e32 v18, v14, v17
	v_cndmask_b32_e64 v7, v7, v8, s[6:7]
	v_alignbit_b32 v8, v9, v7, v13
	v_ffbh_u32_e32 v10, v18
	v_cndmask_b32_e64 v8, v8, v9, s[8:9]
	v_add_u32_e32 v10, 1, v10
	v_cmp_ne_u32_e32 vcc, v14, v17
	v_alignbit_b32 v9, v11, v8, 30
	v_cndmask_b32_e32 v10, 33, v10, vcc
	v_alignbit_b32 v7, v8, v7, 30
	v_xor_b32_e32 v9, v9, v17
	v_sub_u32_e32 v11, 32, v10
	v_xor_b32_e32 v7, v7, v17
	v_alignbit_b32 v12, v18, v9, v11
	v_alignbit_b32 v7, v9, v7, v11
	;; [unrolled: 1-line block ×3, first 2 shown]
	v_ffbh_u32_e32 v9, v8
	v_min_u32_e32 v9, 32, v9
	v_lshrrev_b32_e32 v15, 29, v6
	v_sub_u32_e32 v11, 31, v9
	v_alignbit_b32 v7, v8, v7, v11
	v_lshlrev_b32_e32 v8, 31, v15
	v_or_b32_e32 v11, 0x33800000, v8
	v_add_lshl_u32 v9, v9, v10, 23
	v_lshrrev_b32_e32 v7, 9, v7
	v_sub_u32_e32 v9, v11, v9
	v_or_b32_e32 v7, v9, v7
	v_alignbit_b32 v9, v10, v12, 9
	v_or_b32_e32 v8, v9, v8
	v_xor_b32_e32 v8, 1.0, v8
	s_mov_b32 s4, 0x3fc90fda
	v_mul_f32_e32 v9, 0x3fc90fda, v8
	v_fma_f32 v10, v8, s4, -v9
	v_fmac_f32_e32 v10, 0x33a22168, v8
	v_fmac_f32_e32 v10, 0x3fc90fda, v7
	v_lshrrev_b32_e32 v6, 30, v6
	v_add_f32_e32 v7, v9, v10
	v_add_u32_e32 v6, v16, v6
	s_andn2_saveexec_b64 s[4:5], s[22:23]
	s_cbranch_execnz .LBB82_65
	s_branch .LBB82_66
.LBB82_64:
	s_andn2_saveexec_b64 s[4:5], s[22:23]
.LBB82_65:
	s_mov_b32 s6, 0x3f22f983
	v_mul_f32_e64 v6, |v1|, s6
	v_rndne_f32_e32 v8, v6
	s_mov_b32 s6, 0xbfc90fda
	v_cvt_i32_f32_e32 v6, v8
	v_fma_f32 v7, v8, s6, |v1|
	v_fmac_f32_e32 v7, 0xb3a22168, v8
	v_fmac_f32_e32 v7, 0xa7c234c4, v8
.LBB82_66:
	s_or_b64 exec, exec, s[4:5]
	v_mul_f32_e32 v8, v5, v5
	v_mov_b32_e32 v12, 0xbab64f3b
	v_mov_b32_e32 v10, 0x3c0881c4
	v_fmac_f32_e32 v12, 0x37d75334, v8
	v_mov_b32_e32 v13, 0x3d2aabf7
	v_fmac_f32_e32 v10, 0xb94c1982, v8
	v_mov_b32_e32 v11, 0xbe2aaa9d
	v_fma_f32 v12, v8, v12, v13
	v_mov_b32_e32 v14, 0xbf000004
	v_fma_f32 v10, v8, v10, v11
	v_fma_f32 v12, v8, v12, v14
	v_mul_f32_e32 v10, v8, v10
	v_fma_f32 v8, v8, v12, 1.0
	v_and_b32_e32 v12, 1, v2
	v_fmac_f32_e32 v5, v5, v10
	v_cmp_eq_u32_e32 vcc, 0, v12
	v_lshlrev_b32_e32 v2, 30, v2
	v_cndmask_b32_e64 v5, -v5, v8, vcc
	v_and_b32_e32 v2, 0x80000000, v2
	s_movk_i32 s4, 0x1f8
	v_xor_b32_e32 v2, v2, v5
	v_mov_b32_e32 v5, 0x7fc00000
	v_cmp_class_f32_e64 vcc, v1, s4
	v_cndmask_b32_e32 v2, v5, v2, vcc
	v_mov_b32_e32 v9, 0x3c0881c4
	v_mul_f32_e32 v3, v3, v2
	v_mul_f32_e32 v2, v7, v7
	v_mov_b32_e32 v10, 0xbab64f3b
	v_fmac_f32_e32 v9, 0xb94c1982, v2
	v_fmac_f32_e32 v11, v2, v9
	;; [unrolled: 1-line block ×3, first 2 shown]
	v_mul_f32_e32 v8, v2, v11
	v_fmac_f32_e32 v13, v2, v10
	v_fmac_f32_e32 v7, v7, v8
	v_fmac_f32_e32 v14, v2, v13
	v_and_b32_e32 v8, 1, v6
	s_brev_b32 s6, 1
	v_fma_f32 v2, v2, v14, 1.0
	v_cmp_eq_u32_e64 s[4:5], 0, v8
	v_lshlrev_b32_e32 v6, 30, v6
	v_cndmask_b32_e64 v2, v2, v7, s[4:5]
	v_and_or_b32 v4, v6, s6, v4
	v_xor_b32_e32 v2, v4, v2
	v_xor_b32_e32 v1, v2, v1
	v_cndmask_b32_e32 v1, v5, v1, vcc
	v_mul_f32_e32 v2, v1, v0
                                        ; implicit-def: $vgpr1
                                        ; implicit-def: $vgpr0
.LBB82_67:
	s_andn2_saveexec_b64 s[4:5], s[20:21]
; %bb.68:
	v_sub_f32_e32 v1, v1, v1
	v_mul_f32_e32 v2, v1, v0
; %bb.69:
	s_or_b64 exec, exec, s[4:5]
.LBB82_70:
	s_or_b64 exec, exec, s[18:19]
                                        ; implicit-def: $vgpr1
                                        ; implicit-def: $vgpr0
.LBB82_71:
	s_andn2_saveexec_b64 s[4:5], s[12:13]
; %bb.72:
	v_sub_f32_e32 v3, v1, v1
	v_mul_f32_e32 v2, v3, v0
; %bb.73:
	s_or_b64 exec, exec, s[4:5]
                                        ; implicit-def: $vgpr0
                                        ; implicit-def: $vgpr1
.LBB82_74:
	s_andn2_saveexec_b64 s[4:5], s[10:11]
	s_cbranch_execz .LBB82_80
; %bb.75:
	v_and_b32_e32 v2, 0x7fffff, v0
	v_cmp_ne_u32_e32 vcc, 0, v2
	v_mul_f32_e32 v3, v0, v0
	s_and_saveexec_b64 s[6:7], vcc
	s_xor_b64 s[6:7], exec, s[6:7]
; %bb.76:
	v_add_f32_e32 v0, v0, v0
	v_mul_f32_e32 v0, v0, v1
	s_brev_b32 s8, -2
	v_bfi_b32 v2, s8, 0, v0
                                        ; implicit-def: $vgpr0
                                        ; implicit-def: $vgpr1
; %bb.77:
	s_andn2_saveexec_b64 s[6:7], s[6:7]
; %bb.78:
	s_brev_b32 s8, -2
	v_bfi_b32 v0, s8, 0, v0
	v_mul_f32_e32 v2, v0, v1
; %bb.79:
	s_or_b64 exec, exec, s[6:7]
.LBB82_80:
	s_or_b64 exec, exec, s[4:5]
                                        ; implicit-def: $vgpr1
                                        ; implicit-def: $vgpr0
.LBB82_81:
	s_andn2_saveexec_b64 s[4:5], s[16:17]
; %bb.82:
	v_sub_f32_e32 v3, v1, v1
	v_mul_f32_e32 v0, v3, v0
	s_brev_b32 s6, -2
	v_bfi_b32 v2, s6, 0, v0
; %bb.83:
	s_or_b64 exec, exec, s[4:5]
                                        ; implicit-def: $vgpr0
                                        ; implicit-def: $vgpr1
                                        ; implicit-def: $vgpr4
                                        ; implicit-def: $vgpr5
	s_andn2_saveexec_b64 s[10:11], s[14:15]
	s_cbranch_execnz .LBB82_11
.LBB82_84:
	s_or_b64 exec, exec, s[10:11]
	v_mov_b32_e32 v0, v3
	v_mov_b32_e32 v1, v2
	s_setpc_b64 s[30:31]
.Lfunc_end82:
	.size	_ZN6thrust23THRUST_200600_302600_NS6detail7complex6ccoshfERKNS0_7complexIfEE, .Lfunc_end82-_ZN6thrust23THRUST_200600_302600_NS6detail7complex6ccoshfERKNS0_7complexIfEE
                                        ; -- End function
	.section	.AMDGPU.csdata,"",@progbits
; Function info:
; codeLenInByte = 10532
; NumSgprs: 36
; NumVgprs: 22
; NumAgprs: 0
; TotalNumVgprs: 22
; ScratchSize: 0
; MemoryBound: 0
	.section	.text._ZN2at6native12_GLOBAL__N_125multi_tensor_apply_kernelINS1_18TensorListMetadataILi2EEENS1_14UnaryOpFunctorIN3c107complexIfEELi2ELi1ELi1EEEJNS0_4CoshIS8_EEEEEvT_T0_DpT1_,"axG",@progbits,_ZN2at6native12_GLOBAL__N_125multi_tensor_apply_kernelINS1_18TensorListMetadataILi2EEENS1_14UnaryOpFunctorIN3c107complexIfEELi2ELi1ELi1EEEJNS0_4CoshIS8_EEEEEvT_T0_DpT1_,comdat
	.globl	_ZN2at6native12_GLOBAL__N_125multi_tensor_apply_kernelINS1_18TensorListMetadataILi2EEENS1_14UnaryOpFunctorIN3c107complexIfEELi2ELi1ELi1EEEJNS0_4CoshIS8_EEEEEvT_T0_DpT1_ ; -- Begin function _ZN2at6native12_GLOBAL__N_125multi_tensor_apply_kernelINS1_18TensorListMetadataILi2EEENS1_14UnaryOpFunctorIN3c107complexIfEELi2ELi1ELi1EEEJNS0_4CoshIS8_EEEEEvT_T0_DpT1_
	.p2align	8
	.type	_ZN2at6native12_GLOBAL__N_125multi_tensor_apply_kernelINS1_18TensorListMetadataILi2EEENS1_14UnaryOpFunctorIN3c107complexIfEELi2ELi1ELi1EEEJNS0_4CoshIS8_EEEEEvT_T0_DpT1_,@function
_ZN2at6native12_GLOBAL__N_125multi_tensor_apply_kernelINS1_18TensorListMetadataILi2EEENS1_14UnaryOpFunctorIN3c107complexIfEELi2ELi1ELi1EEEJNS0_4CoshIS8_EEEEEvT_T0_DpT1_: ; @_ZN2at6native12_GLOBAL__N_125multi_tensor_apply_kernelINS1_18TensorListMetadataILi2EEENS1_14UnaryOpFunctorIN3c107complexIfEELi2ELi1ELi1EEEJNS0_4CoshIS8_EEEEEvT_T0_DpT1_
; %bb.0:
	v_mov_b32_e32 v22, v0
	v_mov_b32_e32 v0, s8
	global_load_ubyte v0, v0, s[4:5] offset:1536
	s_add_u32 flat_scratch_lo, s6, s9
	s_addc_u32 flat_scratch_hi, s7, 0
	s_add_u32 s0, s0, s9
	s_addc_u32 s1, s1, 0
	s_mov_b64 s[26:27], s[4:5]
	s_add_u32 s4, s26, s8
	s_mul_hi_u32 s6, s8, 3
	s_mul_i32 s8, s8, 3
	s_addc_u32 s9, s27, 0
	s_add_u32 s8, s4, s8
	s_addc_u32 s9, s9, s6
	s_load_dword s8, s[8:9], 0x740
	s_mov_b32 s5, 0
	s_mov_b32 s7, s5
	;; [unrolled: 1-line block ×4, first 2 shown]
	s_waitcnt lgkmcnt(0)
	s_ashr_i32 s9, s8, 31
	s_lshl_b64 s[36:37], s[8:9], 19
	s_waitcnt vmcnt(0)
	v_readfirstlane_b32 s4, v0
	s_lshl_b32 s4, s4, 3
	s_load_dwordx2 s[28:29], s[26:27], s4 offset:0x0
	s_load_dwordx2 s[10:11], s[26:27], s4 offset:0x400
	;; [unrolled: 1-line block ×3, first 2 shown]
	s_waitcnt lgkmcnt(0)
	s_add_u32 s33, s28, s36
	s_addc_u32 s46, s29, s37
	s_add_u32 s47, s34, s36
	s_addc_u32 s48, s35, s37
	s_and_b32 s6, s33, 31
	s_and_b32 s12, s10, 3
	;; [unrolled: 1-line block ×3, first 2 shown]
	s_or_b64 s[6:7], s[6:7], s[12:13]
	s_lshl_b64 s[8:9], s[8:9], 16
	s_or_b64 s[6:7], s[4:5], s[6:7]
	s_sub_u32 s38, s10, s8
	s_subb_u32 s39, s11, s9
	s_cmp_eq_u64 s[6:7], 0
	s_mov_b64 s[6:7], -1
	s_cbranch_scc0 .LBB83_5
; %bb.1:
	v_mov_b32_e32 v33, 0
	v_lshlrev_b32_e32 v32, 2, v22
	v_cmp_gt_i64_e32 vcc, s[38:39], v[32:33]
	s_and_saveexec_b64 s[40:41], vcc
	s_cbranch_execz .LBB83_4
; %bb.2:
	s_load_dword s4, s[26:27], 0xc5c
	v_lshlrev_b32_e32 v34, 5, v22
	s_mov_b64 s[42:43], 0
	s_mov_b64 s[44:45], 0xffff
	v_mov_b32_e32 v23, s5
	s_waitcnt lgkmcnt(0)
	s_and_b32 s4, s4, 0xffff
	v_add_lshl_u32 v32, v22, s4, 2
	s_lshl_b32 s49, s4, 2
	s_lshl_b32 s50, s4, 5
.LBB83_3:                               ; =>This Inner Loop Header: Depth=1
	v_mov_b32_e32 v1, s46
	v_add_co_u32_e32 v0, vcc, s33, v34
	v_addc_co_u32_e32 v1, vcc, 0, v1, vcc
	global_load_dwordx4 v[24:27], v[0:1], off
	global_load_dwordx4 v[28:31], v[0:1], off offset:16
	s_getpc_b64 s[52:53]
	s_add_u32 s52, s52, _ZN6thrust23THRUST_200600_302600_NS6detail7complex6ccoshfERKNS0_7complexIfEE@rel32@lo+4
	s_addc_u32 s53, s53, _ZN6thrust23THRUST_200600_302600_NS6detail7complex6ccoshfERKNS0_7complexIfEE@rel32@hi+12
	s_waitcnt vmcnt(1)
	v_mov_b32_e32 v0, v24
	v_mov_b32_e32 v1, v25
	s_swappc_b64 s[30:31], s[52:53]
	v_mov_b32_e32 v24, v0
	v_mov_b32_e32 v25, v1
	v_mov_b32_e32 v0, v26
	v_mov_b32_e32 v1, v27
	s_swappc_b64 s[30:31], s[52:53]
	v_mov_b32_e32 v26, v0
	v_mov_b32_e32 v27, v1
	;; [unrolled: 5-line block ×3, first 2 shown]
	v_mov_b32_e32 v0, v30
	v_mov_b32_e32 v1, v31
	s_swappc_b64 s[30:31], s[52:53]
	v_cmp_le_i64_e32 vcc, s[38:39], v[32:33]
	v_cmp_lt_u64_e64 s[4:5], s[44:45], v[32:33]
	s_or_b64 s[4:5], vcc, s[4:5]
	v_add_co_u32_e64 v32, s[6:7], s49, v32
	s_add_u32 s33, s33, s50
	v_addc_co_u32_e64 v33, s[6:7], v33, v23, s[6:7]
	s_addc_u32 s46, s46, 0
	v_mov_b32_e32 v30, v0
	v_add_co_u32_e64 v0, s[6:7], s47, v34
	s_add_u32 s47, s47, s50
	v_mov_b32_e32 v31, v1
	v_mov_b32_e32 v1, s48
	s_addc_u32 s48, s48, 0
	s_and_b64 s[4:5], exec, s[4:5]
	v_addc_co_u32_e64 v1, s[6:7], 0, v1, s[6:7]
	s_or_b64 s[42:43], s[4:5], s[42:43]
	global_store_dwordx4 v[0:1], v[24:27], off
	global_store_dwordx4 v[0:1], v[28:31], off offset:16
	s_andn2_b64 exec, exec, s[42:43]
	s_cbranch_execnz .LBB83_3
.LBB83_4:
	s_or_b64 exec, exec, s[40:41]
	s_mov_b64 s[6:7], 0
.LBB83_5:
	s_andn2_b64 vcc, exec, s[6:7]
	s_cbranch_vccnz .LBB83_25
; %bb.6:
	v_cmp_lt_i64_e64 s[4:5], s[38:39], 1
	s_and_b64 vcc, exec, s[4:5]
	s_cbranch_vccnz .LBB83_25
; %bb.7:
	s_load_dword s4, s[26:27], 0xc5c
	v_mov_b32_e32 v0, 0x10000
	v_mov_b32_e32 v1, 0
	v_cmp_lt_u64_e32 vcc, s[38:39], v[0:1]
	v_lshlrev_b32_e32 v0, 3, v22
	s_waitcnt lgkmcnt(0)
	s_and_b32 s33, s4, 0xffff
	s_and_b64 s[4:5], vcc, exec
	v_mov_b32_e32 v4, s29
	v_add_co_u32_e32 v30, vcc, s28, v0
	v_addc_co_u32_e32 v31, vcc, 0, v4, vcc
	v_mov_b32_e32 v5, s35
	v_add_co_u32_e32 v2, vcc, s34, v0
	v_mov_b32_e32 v23, 0
	v_addc_co_u32_e32 v3, vcc, 0, v5, vcc
	v_mov_b32_e32 v1, v23
	v_add_co_u32_e32 v32, vcc, 4, v2
	v_addc_co_u32_e32 v33, vcc, 0, v3, vcc
	v_mad_u64_u32 v[2:3], s[4:5], s33, 24, v[0:1]
	v_add_co_u32_e32 v34, vcc, s28, v2
	v_addc_co_u32_e32 v35, vcc, v4, v3, vcc
	v_add_co_u32_e32 v1, vcc, s34, v2
	v_addc_co_u32_e32 v2, vcc, v3, v5, vcc
	v_add_co_u32_e32 v36, vcc, 4, v1
	s_cselect_b32 s41, s39, 0
	s_cselect_b32 s40, s38, 0x10000
	v_addc_co_u32_e32 v37, vcc, 0, v2, vcc
	s_lshl_b32 s4, s33, 4
	v_add_co_u32_e32 v0, vcc, s4, v0
	v_addc_co_u32_e64 v1, s[4:5], 0, 0, vcc
	v_add_co_u32_e32 v38, vcc, s28, v0
	v_addc_co_u32_e32 v39, vcc, v4, v1, vcc
	v_add_lshl_u32 v2, v22, s33, 3
	v_mov_b32_e32 v3, s35
	v_add_co_u32_e32 v40, vcc, s34, v2
	v_addc_co_u32_e32 v41, vcc, 0, v3, vcc
	v_add_co_u32_e32 v0, vcc, s34, v0
	v_addc_co_u32_e32 v1, vcc, v1, v5, vcc
	v_add_co_u32_e32 v42, vcc, 4, v0
	s_mov_b32 s6, 0
	v_addc_co_u32_e32 v43, vcc, 0, v1, vcc
	s_lshl_b32 s42, s33, 2
	s_mov_b32 s43, s6
	v_add_co_u32_e32 v44, vcc, s28, v2
	s_lshl_b32 s48, s33, 1
	s_mov_b32 s49, s6
	s_mul_i32 s50, s33, 3
	s_mov_b32 s51, s6
	s_lshl_b32 s52, s33, 5
	s_mov_b32 s53, s6
	v_addc_co_u32_e32 v45, vcc, 0, v4, vcc
	v_mov_b32_e32 v46, s6
	s_mov_b64 s[44:45], s[42:43]
	s_branch .LBB83_9
.LBB83_8:                               ;   in Loop: Header=BB83_9 Depth=1
	s_or_b64 exec, exec, s[26:27]
	s_waitcnt vmcnt(0)
	v_pk_mov_b32 v[0:1], s[38:39], s[38:39] op_sel:[0,1]
	v_cmp_ge_i64_e32 vcc, s[44:45], v[0:1]
	v_mov_b32_e32 v0, 0xffff
	v_mov_b32_e32 v1, 0
	v_cmp_gt_u64_e64 s[4:5], s[44:45], v[0:1]
	s_or_b64 s[4:5], vcc, s[4:5]
	v_mov_b32_e32 v0, s53
	v_add_co_u32_e32 v30, vcc, s52, v30
	v_addc_co_u32_e32 v31, vcc, v31, v0, vcc
	v_mov_b32_e32 v1, s43
	v_add_co_u32_e32 v22, vcc, s42, v22
	v_addc_co_u32_e32 v23, vcc, v23, v1, vcc
	v_add_co_u32_e32 v32, vcc, s52, v32
	v_addc_co_u32_e32 v33, vcc, v33, v0, vcc
	;; [unrolled: 2-line block ×7, first 2 shown]
	v_add_co_u32_e32 v44, vcc, s52, v44
	s_add_u32 s44, s44, s42
	v_addc_co_u32_e32 v45, vcc, v45, v0, vcc
	s_addc_u32 s45, s45, 0
	s_and_b64 vcc, exec, s[4:5]
	s_cbranch_vccnz .LBB83_25
.LBB83_9:                               ; =>This Inner Loop Header: Depth=1
	v_cmp_gt_u64_e32 vcc, s[40:41], v[22:23]
	v_mov_b32_e32 v0, 0
	v_mov_b32_e32 v1, 0
	s_and_saveexec_b64 s[6:7], vcc
	s_cbranch_execz .LBB83_11
; %bb.10:                               ;   in Loop: Header=BB83_9 Depth=1
	v_mov_b32_e32 v1, s37
	v_add_co_u32_e64 v0, s[4:5], s36, v30
	v_addc_co_u32_e64 v1, s[4:5], v31, v1, s[4:5]
	global_load_dwordx2 v[0:1], v[0:1], off
.LBB83_11:                              ;   in Loop: Header=BB83_9 Depth=1
	s_or_b64 exec, exec, s[6:7]
	v_add_co_u32_e64 v2, s[4:5], s33, v22
	v_addc_co_u32_e64 v3, s[4:5], v46, v23, s[4:5]
	v_cmp_gt_u64_e64 s[26:27], s[40:41], v[2:3]
	v_mov_b32_e32 v24, 0
	v_mov_b32_e32 v26, 0
	v_mov_b32_e32 v27, 0
	s_and_saveexec_b64 s[6:7], s[26:27]
	s_cbranch_execz .LBB83_13
; %bb.12:                               ;   in Loop: Header=BB83_9 Depth=1
	v_mov_b32_e32 v3, s37
	v_add_co_u32_e64 v2, s[4:5], s36, v44
	v_addc_co_u32_e64 v3, s[4:5], v45, v3, s[4:5]
	global_load_dwordx2 v[26:27], v[2:3], off
.LBB83_13:                              ;   in Loop: Header=BB83_9 Depth=1
	s_or_b64 exec, exec, s[6:7]
	v_mov_b32_e32 v3, s49
	v_add_co_u32_e64 v2, s[4:5], s48, v22
	v_addc_co_u32_e64 v3, s[4:5], v3, v23, s[4:5]
	v_cmp_gt_u64_e64 s[28:29], s[40:41], v[2:3]
	v_mov_b32_e32 v25, 0
	s_and_saveexec_b64 s[6:7], s[28:29]
	s_cbranch_execz .LBB83_15
; %bb.14:                               ;   in Loop: Header=BB83_9 Depth=1
	v_mov_b32_e32 v3, s37
	v_add_co_u32_e64 v2, s[4:5], s36, v38
	v_addc_co_u32_e64 v3, s[4:5], v39, v3, s[4:5]
	global_load_dwordx2 v[24:25], v[2:3], off
.LBB83_15:                              ;   in Loop: Header=BB83_9 Depth=1
	s_or_b64 exec, exec, s[6:7]
	v_mov_b32_e32 v3, s51
	v_add_co_u32_e64 v2, s[4:5], s50, v22
	v_addc_co_u32_e64 v3, s[4:5], v3, v23, s[4:5]
	v_cmp_gt_u64_e64 s[34:35], s[40:41], v[2:3]
	v_mov_b32_e32 v28, 0
	v_mov_b32_e32 v29, 0
	s_and_saveexec_b64 s[6:7], s[34:35]
	s_cbranch_execnz .LBB83_20
; %bb.16:                               ;   in Loop: Header=BB83_9 Depth=1
	s_or_b64 exec, exec, s[6:7]
	s_and_saveexec_b64 s[46:47], vcc
	s_cbranch_execnz .LBB83_21
.LBB83_17:                              ;   in Loop: Header=BB83_9 Depth=1
	s_or_b64 exec, exec, s[46:47]
	s_and_saveexec_b64 s[46:47], s[26:27]
	s_cbranch_execnz .LBB83_22
.LBB83_18:                              ;   in Loop: Header=BB83_9 Depth=1
	s_or_b64 exec, exec, s[46:47]
	s_and_saveexec_b64 s[26:27], s[28:29]
	s_cbranch_execnz .LBB83_23
.LBB83_19:                              ;   in Loop: Header=BB83_9 Depth=1
	s_or_b64 exec, exec, s[26:27]
	s_and_saveexec_b64 s[26:27], s[34:35]
	s_cbranch_execz .LBB83_8
	s_branch .LBB83_24
.LBB83_20:                              ;   in Loop: Header=BB83_9 Depth=1
	v_mov_b32_e32 v3, s37
	v_add_co_u32_e64 v2, s[4:5], s36, v34
	v_addc_co_u32_e64 v3, s[4:5], v35, v3, s[4:5]
	global_load_dwordx2 v[28:29], v[2:3], off
	s_or_b64 exec, exec, s[6:7]
	s_and_saveexec_b64 s[46:47], vcc
	s_cbranch_execz .LBB83_17
.LBB83_21:                              ;   in Loop: Header=BB83_9 Depth=1
	s_getpc_b64 s[4:5]
	s_add_u32 s4, s4, _ZN6thrust23THRUST_200600_302600_NS6detail7complex6ccoshfERKNS0_7complexIfEE@rel32@lo+4
	s_addc_u32 s5, s5, _ZN6thrust23THRUST_200600_302600_NS6detail7complex6ccoshfERKNS0_7complexIfEE@rel32@hi+12
	s_swappc_b64 s[30:31], s[4:5]
	v_mov_b32_e32 v3, s37
	v_add_co_u32_e32 v2, vcc, s36, v32
	v_addc_co_u32_e32 v3, vcc, v33, v3, vcc
	global_store_dwordx2 v[2:3], v[0:1], off offset:-4
	s_or_b64 exec, exec, s[46:47]
	s_and_saveexec_b64 s[46:47], s[26:27]
	s_cbranch_execz .LBB83_18
.LBB83_22:                              ;   in Loop: Header=BB83_9 Depth=1
	s_waitcnt vmcnt(0)
	v_mov_b32_e32 v0, v26
	v_mov_b32_e32 v1, v27
	s_getpc_b64 s[4:5]
	s_add_u32 s4, s4, _ZN6thrust23THRUST_200600_302600_NS6detail7complex6ccoshfERKNS0_7complexIfEE@rel32@lo+4
	s_addc_u32 s5, s5, _ZN6thrust23THRUST_200600_302600_NS6detail7complex6ccoshfERKNS0_7complexIfEE@rel32@hi+12
	s_swappc_b64 s[30:31], s[4:5]
	v_mov_b32_e32 v3, s37
	v_add_co_u32_e32 v2, vcc, s36, v40
	v_addc_co_u32_e32 v3, vcc, v41, v3, vcc
	global_store_dwordx2 v[2:3], v[0:1], off
	s_or_b64 exec, exec, s[46:47]
	s_and_saveexec_b64 s[26:27], s[28:29]
	s_cbranch_execz .LBB83_19
.LBB83_23:                              ;   in Loop: Header=BB83_9 Depth=1
	s_waitcnt vmcnt(0)
	v_mov_b32_e32 v0, v24
	v_mov_b32_e32 v1, v25
	s_getpc_b64 s[4:5]
	s_add_u32 s4, s4, _ZN6thrust23THRUST_200600_302600_NS6detail7complex6ccoshfERKNS0_7complexIfEE@rel32@lo+4
	s_addc_u32 s5, s5, _ZN6thrust23THRUST_200600_302600_NS6detail7complex6ccoshfERKNS0_7complexIfEE@rel32@hi+12
	s_swappc_b64 s[30:31], s[4:5]
	v_mov_b32_e32 v3, s37
	v_add_co_u32_e32 v2, vcc, s36, v42
	v_addc_co_u32_e32 v3, vcc, v43, v3, vcc
	global_store_dwordx2 v[2:3], v[0:1], off offset:-4
	s_or_b64 exec, exec, s[26:27]
	s_and_saveexec_b64 s[26:27], s[34:35]
	s_cbranch_execz .LBB83_8
.LBB83_24:                              ;   in Loop: Header=BB83_9 Depth=1
	s_waitcnt vmcnt(0)
	v_mov_b32_e32 v0, v28
	v_mov_b32_e32 v1, v29
	s_getpc_b64 s[4:5]
	s_add_u32 s4, s4, _ZN6thrust23THRUST_200600_302600_NS6detail7complex6ccoshfERKNS0_7complexIfEE@rel32@lo+4
	s_addc_u32 s5, s5, _ZN6thrust23THRUST_200600_302600_NS6detail7complex6ccoshfERKNS0_7complexIfEE@rel32@hi+12
	s_swappc_b64 s[30:31], s[4:5]
	v_mov_b32_e32 v3, s37
	v_add_co_u32_e32 v2, vcc, s36, v36
	v_addc_co_u32_e32 v3, vcc, v37, v3, vcc
	global_store_dwordx2 v[2:3], v[0:1], off offset:-4
	s_branch .LBB83_8
.LBB83_25:
	s_endpgm
	.section	.rodata,"a",@progbits
	.p2align	6, 0x0
	.amdhsa_kernel _ZN2at6native12_GLOBAL__N_125multi_tensor_apply_kernelINS1_18TensorListMetadataILi2EEENS1_14UnaryOpFunctorIN3c107complexIfEELi2ELi1ELi1EEEJNS0_4CoshIS8_EEEEEvT_T0_DpT1_
		.amdhsa_group_segment_fixed_size 0
		.amdhsa_private_segment_fixed_size 0
		.amdhsa_kernarg_size 3408
		.amdhsa_user_sgpr_count 8
		.amdhsa_user_sgpr_private_segment_buffer 1
		.amdhsa_user_sgpr_dispatch_ptr 0
		.amdhsa_user_sgpr_queue_ptr 0
		.amdhsa_user_sgpr_kernarg_segment_ptr 1
		.amdhsa_user_sgpr_dispatch_id 0
		.amdhsa_user_sgpr_flat_scratch_init 1
		.amdhsa_user_sgpr_kernarg_preload_length 0
		.amdhsa_user_sgpr_kernarg_preload_offset 0
		.amdhsa_user_sgpr_private_segment_size 0
		.amdhsa_uses_dynamic_stack 0
		.amdhsa_system_sgpr_private_segment_wavefront_offset 0
		.amdhsa_system_sgpr_workgroup_id_x 1
		.amdhsa_system_sgpr_workgroup_id_y 0
		.amdhsa_system_sgpr_workgroup_id_z 0
		.amdhsa_system_sgpr_workgroup_info 0
		.amdhsa_system_vgpr_workitem_id 0
		.amdhsa_next_free_vgpr 47
		.amdhsa_next_free_sgpr 54
		.amdhsa_accum_offset 48
		.amdhsa_reserve_vcc 1
		.amdhsa_reserve_flat_scratch 1
		.amdhsa_float_round_mode_32 0
		.amdhsa_float_round_mode_16_64 0
		.amdhsa_float_denorm_mode_32 3
		.amdhsa_float_denorm_mode_16_64 3
		.amdhsa_dx10_clamp 1
		.amdhsa_ieee_mode 1
		.amdhsa_fp16_overflow 0
		.amdhsa_tg_split 0
		.amdhsa_exception_fp_ieee_invalid_op 0
		.amdhsa_exception_fp_denorm_src 0
		.amdhsa_exception_fp_ieee_div_zero 0
		.amdhsa_exception_fp_ieee_overflow 0
		.amdhsa_exception_fp_ieee_underflow 0
		.amdhsa_exception_fp_ieee_inexact 0
		.amdhsa_exception_int_div_zero 0
	.end_amdhsa_kernel
	.section	.text._ZN2at6native12_GLOBAL__N_125multi_tensor_apply_kernelINS1_18TensorListMetadataILi2EEENS1_14UnaryOpFunctorIN3c107complexIfEELi2ELi1ELi1EEEJNS0_4CoshIS8_EEEEEvT_T0_DpT1_,"axG",@progbits,_ZN2at6native12_GLOBAL__N_125multi_tensor_apply_kernelINS1_18TensorListMetadataILi2EEENS1_14UnaryOpFunctorIN3c107complexIfEELi2ELi1ELi1EEEJNS0_4CoshIS8_EEEEEvT_T0_DpT1_,comdat
.Lfunc_end83:
	.size	_ZN2at6native12_GLOBAL__N_125multi_tensor_apply_kernelINS1_18TensorListMetadataILi2EEENS1_14UnaryOpFunctorIN3c107complexIfEELi2ELi1ELi1EEEJNS0_4CoshIS8_EEEEEvT_T0_DpT1_, .Lfunc_end83-_ZN2at6native12_GLOBAL__N_125multi_tensor_apply_kernelINS1_18TensorListMetadataILi2EEENS1_14UnaryOpFunctorIN3c107complexIfEELi2ELi1ELi1EEEJNS0_4CoshIS8_EEEEEvT_T0_DpT1_
                                        ; -- End function
	.section	.AMDGPU.csdata,"",@progbits
; Kernel info:
; codeLenInByte = 1512
; NumSgprs: 60
; NumVgprs: 47
; NumAgprs: 0
; TotalNumVgprs: 47
; ScratchSize: 0
; MemoryBound: 0
; FloatMode: 240
; IeeeMode: 1
; LDSByteSize: 0 bytes/workgroup (compile time only)
; SGPRBlocks: 7
; VGPRBlocks: 5
; NumSGPRsForWavesPerEU: 60
; NumVGPRsForWavesPerEU: 47
; AccumOffset: 48
; Occupancy: 8
; WaveLimiterHint : 0
; COMPUTE_PGM_RSRC2:SCRATCH_EN: 0
; COMPUTE_PGM_RSRC2:USER_SGPR: 8
; COMPUTE_PGM_RSRC2:TRAP_HANDLER: 0
; COMPUTE_PGM_RSRC2:TGID_X_EN: 1
; COMPUTE_PGM_RSRC2:TGID_Y_EN: 0
; COMPUTE_PGM_RSRC2:TGID_Z_EN: 0
; COMPUTE_PGM_RSRC2:TIDIG_COMP_CNT: 0
; COMPUTE_PGM_RSRC3_GFX90A:ACCUM_OFFSET: 11
; COMPUTE_PGM_RSRC3_GFX90A:TG_SPLIT: 0
	.section	.text._ZN2at6native12_GLOBAL__N_125multi_tensor_apply_kernelINS1_18TensorListMetadataILi2EEENS1_14UnaryOpFunctorIN3c104HalfELi2ELi1ELi1EEEJNS0_4CoshIfEEEEEvT_T0_DpT1_,"axG",@progbits,_ZN2at6native12_GLOBAL__N_125multi_tensor_apply_kernelINS1_18TensorListMetadataILi2EEENS1_14UnaryOpFunctorIN3c104HalfELi2ELi1ELi1EEEJNS0_4CoshIfEEEEEvT_T0_DpT1_,comdat
	.globl	_ZN2at6native12_GLOBAL__N_125multi_tensor_apply_kernelINS1_18TensorListMetadataILi2EEENS1_14UnaryOpFunctorIN3c104HalfELi2ELi1ELi1EEEJNS0_4CoshIfEEEEEvT_T0_DpT1_ ; -- Begin function _ZN2at6native12_GLOBAL__N_125multi_tensor_apply_kernelINS1_18TensorListMetadataILi2EEENS1_14UnaryOpFunctorIN3c104HalfELi2ELi1ELi1EEEJNS0_4CoshIfEEEEEvT_T0_DpT1_
	.p2align	8
	.type	_ZN2at6native12_GLOBAL__N_125multi_tensor_apply_kernelINS1_18TensorListMetadataILi2EEENS1_14UnaryOpFunctorIN3c104HalfELi2ELi1ELi1EEEJNS0_4CoshIfEEEEEvT_T0_DpT1_,@function
_ZN2at6native12_GLOBAL__N_125multi_tensor_apply_kernelINS1_18TensorListMetadataILi2EEENS1_14UnaryOpFunctorIN3c104HalfELi2ELi1ELi1EEEJNS0_4CoshIfEEEEEvT_T0_DpT1_: ; @_ZN2at6native12_GLOBAL__N_125multi_tensor_apply_kernelINS1_18TensorListMetadataILi2EEENS1_14UnaryOpFunctorIN3c104HalfELi2ELi1ELi1EEEJNS0_4CoshIfEEEEEvT_T0_DpT1_
; %bb.0:
	v_mov_b32_e32 v1, s6
	global_load_ubyte v1, v1, s[4:5] offset:1536
	s_add_u32 s0, s4, s6
	s_mul_hi_u32 s2, s6, 3
	s_mul_i32 s6, s6, 3
	s_addc_u32 s7, s5, 0
	s_add_u32 s8, s0, s6
	s_addc_u32 s9, s7, s2
	s_mov_b32 s1, 0
	s_mov_b32 s17, s1
	;; [unrolled: 1-line block ×3, first 2 shown]
	s_waitcnt vmcnt(0)
	v_readfirstlane_b32 s0, v1
	s_lshl_b32 s0, s0, 3
	s_load_dword s10, s[8:9], 0x740
	s_load_dwordx2 s[12:13], s[4:5], s0 offset:0x0
	s_load_dwordx2 s[14:15], s[4:5], s0 offset:0x400
	;; [unrolled: 1-line block ×3, first 2 shown]
	s_waitcnt lgkmcnt(0)
	s_ashr_i32 s11, s10, 31
	s_and_b32 s0, s12, 7
	s_and_b32 s16, s14, 3
	;; [unrolled: 1-line block ×3, first 2 shown]
	s_or_b64 s[16:17], s[0:1], s[16:17]
	s_lshl_b64 s[8:9], s[10:11], 17
	s_or_b64 s[2:3], s[2:3], s[16:17]
	s_lshl_b64 s[10:11], s[10:11], 16
	s_sub_u32 s10, s14, s10
	s_subb_u32 s11, s15, s11
	s_cmp_eq_u64 s[2:3], 0
	s_mov_b64 s[2:3], -1
	s_cbranch_scc0 .LBB84_5
; %bb.1:
	v_mov_b32_e32 v3, 0
	v_lshlrev_b32_e32 v2, 2, v0
	v_cmp_gt_i64_e32 vcc, s[10:11], v[2:3]
	s_and_saveexec_b64 s[14:15], vcc
	s_cbranch_execz .LBB84_4
; %bb.2:
	s_load_dword s0, s[4:5], 0xc5c
	v_lshlrev_b32_e32 v1, 3, v0
	v_mov_b32_e32 v2, s9
	v_add_co_u32_e32 v4, vcc, s8, v1
	s_waitcnt lgkmcnt(0)
	s_and_b32 s0, s0, 0xffff
	v_addc_co_u32_e32 v1, vcc, 0, v2, vcc
	s_lshl_b32 s18, s0, 3
	v_add_lshl_u32 v2, v0, s0, 2
	s_lshl_b32 s22, s0, 2
	s_mov_b64 s[16:17], 0
	v_mov_b32_e32 v5, s13
	v_mov_b32_e32 v22, s7
	;; [unrolled: 1-line block ×5, first 2 shown]
	s_mov_b32 s19, -1.0
	s_mov_b32 s23, 0x42b2d4fc
	v_mov_b32_e32 v26, 0x7f800000
	s_mov_b64 s[20:21], 0xffff
	v_mov_b32_e32 v27, s1
	v_mov_b32_e32 v28, s1
	;; [unrolled: 1-line block ×3, first 2 shown]
	v_mov_b32_e32 v9, -1.0
	v_mov_b32_e32 v11, 1.0
.LBB84_3:                               ; =>This Inner Loop Header: Depth=1
	v_add_co_u32_e32 v20, vcc, s12, v4
	v_addc_co_u32_e32 v21, vcc, v5, v1, vcc
	global_load_dwordx2 v[20:21], v[20:21], off
	v_mov_b32_e32 v15, v7
	v_mov_b32_e32 v17, v7
	;; [unrolled: 1-line block ×6, first 2 shown]
	v_add_co_u32_e32 v12, vcc, s6, v4
	v_add_co_u32_e64 v4, s[2:3], s18, v4
	v_addc_co_u32_e32 v13, vcc, v22, v1, vcc
	v_addc_co_u32_e64 v1, s[2:3], v1, v27, s[2:3]
	v_cmp_le_i64_e32 vcc, s[10:11], v[2:3]
	v_cmp_lt_u64_e64 s[0:1], s[20:21], v[2:3]
	v_add_co_u32_e64 v2, s[2:3], s22, v2
	v_addc_co_u32_e64 v3, s[2:3], v3, v28, s[2:3]
	s_or_b64 s[2:3], vcc, s[0:1]
	s_waitcnt vmcnt(0)
	v_cvt_f32_f16_e64 v6, |v20|
	v_cvt_f32_f16_sdwa v14, |v20| dst_sel:DWORD dst_unused:UNUSED_PAD src0_sel:WORD_1
	v_cvt_f32_f16_e64 v16, |v21|
	v_cvt_f32_f16_sdwa v18, |v21| dst_sel:DWORD dst_unused:UNUSED_PAD src0_sel:WORD_1
	v_add_f32_e32 v36, 0xbf317218, v6
	v_add_f32_e32 v37, 0xbf317218, v14
	;; [unrolled: 1-line block ×3, first 2 shown]
	v_sub_f32_e32 v21, v36, v6
	v_add_f32_e32 v39, 0xbf317218, v18
	v_sub_f32_e32 v31, v37, v14
	v_sub_f32_e32 v33, v38, v16
	v_sub_f32_e32 v20, v21, v36
	v_sub_f32_e32 v35, v39, v18
	v_sub_f32_e32 v30, v31, v37
	v_sub_f32_e32 v32, v33, v38
	v_pk_add_f32 v[20:21], v[20:21], v[6:7]
	v_sub_f32_e32 v34, v35, v39
	v_pk_add_f32 v[30:31], v[30:31], v[14:15]
	v_pk_add_f32 v[32:33], v[32:33], v[16:17]
	v_sub_f32_e32 v15, v20, v21
	v_pk_add_f32 v[34:35], v[34:35], v[18:19]
	v_sub_f32_e32 v17, v30, v31
	v_sub_f32_e32 v19, v32, v33
	v_add_f32_e32 v15, 0x3102e308, v15
	v_sub_f32_e32 v20, v34, v35
	v_add_f32_e32 v17, 0x3102e308, v17
	v_add_f32_e32 v19, 0x3102e308, v19
	;; [unrolled: 1-line block ×6, first 2 shown]
	v_mul_f32_e32 v31, 0x3fb8aa3b, v30
	v_add_f32_e32 v40, v39, v20
	v_sub_f32_e32 v21, v36, v30
	v_sub_f32_e32 v33, v37, v32
	v_mul_f32_e32 v35, 0x3fb8aa3b, v32
	v_mul_f32_e32 v37, 0x3fb8aa3b, v34
	v_rndne_f32_e32 v48, v31
	v_sub_f32_e32 v36, v38, v34
	v_sub_f32_e32 v38, v39, v40
	v_mul_f32_e32 v39, 0x3fb8aa3b, v40
	v_add_f32_e32 v15, v15, v21
	v_rndne_f32_e32 v49, v35
	v_rndne_f32_e32 v50, v37
	v_fmac_f32_e32 v30, 0xbf317200, v48
	v_add_f32_e32 v17, v17, v33
	v_add_f32_e32 v19, v19, v36
	v_rndne_f32_e32 v51, v39
	v_fmac_f32_e32 v32, 0xbf317200, v49
	v_fmac_f32_e32 v34, 0xbf317200, v50
	v_add_f32_e32 v42, v15, v30
	v_add_f32_e32 v20, v20, v38
	v_mul_f32_e32 v37, 0x35bfbc00, v48
	v_fmac_f32_e32 v40, 0xbf317200, v51
	v_add_f32_e32 v44, v17, v32
	v_add_f32_e32 v45, v19, v34
	v_sub_f32_e32 v30, v30, v42
	v_mul_f32_e32 v39, 0x35bfbc00, v49
	v_add_f32_e32 v46, v20, v40
	v_add_f32_e32 v15, v15, v30
	v_sub_f32_e32 v36, v42, v37
	v_sub_f32_e32 v30, v32, v44
	;; [unrolled: 1-line block ×3, first 2 shown]
	v_mul_f32_e32 v41, 0x35bfbc00, v50
	v_mul_f32_e32 v43, 0x35bfbc00, v51
	v_add_f32_e32 v17, v17, v30
	v_add_f32_e32 v19, v19, v32
	v_sub_f32_e32 v38, v44, v39
	v_sub_f32_e32 v30, v40, v46
	;; [unrolled: 1-line block ×3, first 2 shown]
	v_add_f32_e32 v20, v20, v30
	v_sub_f32_e32 v30, v32, v37
	v_sub_f32_e32 v40, v45, v41
	;; [unrolled: 1-line block ×9, first 2 shown]
	v_add_f32_e32 v15, v15, v30
	v_add_f32_e32 v17, v17, v32
	v_add_f32_e32 v19, v19, v34
	v_add_f32_e32 v52, v20, v37
	v_add_f32_e32 v37, v36, v15
	v_add_f32_e32 v39, v38, v17
	v_mul_f32_e32 v21, 0x2ea39ef3, v48
	v_mul_f32_e32 v31, 0x2ea39ef3, v49
	v_add_f32_e32 v41, v40, v19
	v_add_f32_e32 v43, v42, v52
	v_mov_b32_e32 v20, v37
	v_mov_b32_e32 v30, v39
	v_mul_f32_e32 v33, 0x2ea39ef3, v50
	v_mul_f32_e32 v35, 0x2ea39ef3, v51
	v_mov_b32_e32 v32, v41
	v_mov_b32_e32 v34, v43
	v_pk_add_f32 v[44:45], v[36:37], v[20:21] neg_lo:[0,1] neg_hi:[0,1]
	v_pk_add_f32 v[46:47], v[38:39], v[30:31] neg_lo:[0,1] neg_hi:[0,1]
	v_sub_f32_e32 v20, v37, v45
	v_pk_add_f32 v[36:37], v[40:41], v[32:33] neg_lo:[0,1] neg_hi:[0,1]
	v_sub_f32_e32 v30, v39, v47
	;; [unrolled: 2-line block ×3, first 2 shown]
	v_sub_f32_e32 v34, v43, v39
	v_add_f32_e32 v15, v15, v44
	v_sub_f32_e32 v20, v20, v21
	v_add_f32_e32 v17, v17, v46
	v_add_f32_e32 v19, v19, v36
	;; [unrolled: 1-line block ×3, first 2 shown]
	v_sub_f32_e32 v21, v30, v31
	v_sub_f32_e32 v30, v32, v33
	;; [unrolled: 1-line block ×3, first 2 shown]
	v_add_f32_e32 v15, v15, v20
	v_add_f32_e32 v17, v17, v21
	;; [unrolled: 1-line block ×8, first 2 shown]
	v_sub_f32_e32 v30, v45, v21
	v_mov_b32_e32 v40, 0x3c091de6
	v_fmac_f32_e32 v8, 0x3ab42872, v21
	v_mul_f32_e32 v31, v21, v21
	v_sub_f32_e32 v32, v47, v36
	v_sub_f32_e32 v34, v37, v38
	;; [unrolled: 1-line block ×3, first 2 shown]
	v_add_f32_e32 v15, v15, v30
	v_fmac_f32_e32 v10, 0x3ab42872, v36
	v_mul_f32_e32 v33, v36, v36
	v_fmac_f32_e32 v40, 0x3ab42872, v44
	v_mul_f32_e32 v39, v44, v44
	v_fma_f32 v8, v21, v8, v23
	v_fma_f32 v30, v21, v21, -v31
	v_add_f32_e32 v17, v17, v32
	v_add_f32_e32 v20, v20, v37
	;; [unrolled: 1-line block ×3, first 2 shown]
	v_fmac_f32_e32 v29, 0x3ab42872, v38
	v_mul_f32_e32 v35, v38, v38
	v_fma_f32 v10, v36, v10, v23
	v_fma_f32 v32, v36, v36, -v33
	v_add_f32_e32 v19, v19, v34
	v_fma_f32 v40, v44, v40, v23
	v_fma_f32 v37, v44, v44, -v39
	v_fma_f32 v8, v21, v8, v24
	v_add_f32_e32 v43, v17, v17
	v_add_f32_e32 v46, v20, v20
	v_fmac_f32_e32 v30, v21, v42
	v_fma_f32 v29, v38, v29, v23
	v_fma_f32 v34, v38, v38, -v35
	v_fma_f32 v10, v36, v10, v24
	v_add_f32_e32 v45, v19, v19
	v_fma_f32 v40, v44, v40, v24
	v_fma_f32 v8, v21, v8, v25
	v_fmac_f32_e32 v32, v36, v43
	v_fmac_f32_e32 v37, v44, v46
	v_add_f32_e32 v42, v31, v30
	v_fma_f32 v29, v38, v29, v24
	v_fma_f32 v10, v36, v10, v25
	v_fmac_f32_e32 v34, v38, v45
	v_fma_f32 v40, v44, v40, v25
	v_add_f32_e32 v43, v33, v32
	v_add_f32_e32 v46, v39, v37
	v_sub_f32_e32 v31, v42, v31
	v_mul_f32_e32 v47, v8, v42
	v_cvt_i32_f32_e32 v41, v48
	v_cvt_i32_f32_e32 v48, v49
	;; [unrolled: 1-line block ×4, first 2 shown]
	v_fma_f32 v29, v38, v29, v25
	v_add_f32_e32 v45, v35, v34
	v_sub_f32_e32 v33, v43, v33
	v_mul_f32_e32 v51, v10, v43
	v_sub_f32_e32 v39, v46, v39
	v_mul_f32_e32 v53, v40, v46
	v_sub_f32_e32 v30, v30, v31
	v_fma_f32 v31, v42, v8, -v47
	v_sub_f32_e32 v35, v45, v35
	v_mul_f32_e32 v52, v29, v45
	v_sub_f32_e32 v32, v32, v33
	v_fma_f32 v33, v43, v10, -v51
	v_sub_f32_e32 v37, v37, v39
	v_fma_f32 v39, v46, v40, -v53
	v_fmac_f32_e32 v31, v30, v8
	v_sub_f32_e32 v34, v34, v35
	v_fma_f32 v35, v45, v29, -v52
	v_fmac_f32_e32 v33, v32, v10
	v_fmac_f32_e32 v39, v37, v40
	v_add_f32_e32 v10, v47, v31
	v_fmac_f32_e32 v35, v34, v29
	v_add_f32_e32 v29, v51, v33
	v_add_f32_e32 v45, v53, v39
	v_sub_f32_e32 v30, v10, v47
	v_add_f32_e32 v8, v21, v10
	v_sub_f32_e32 v32, v29, v51
	v_sub_f32_e32 v37, v45, v53
	;; [unrolled: 1-line block ×7, first 2 shown]
	v_add_f32_e32 v15, v15, v30
	v_add_f32_e32 v40, v52, v35
	;; [unrolled: 1-line block ×4, first 2 shown]
	v_sub_f32_e32 v34, v40, v52
	v_add_f32_e32 v30, v8, v20
	v_sub_f32_e32 v32, v35, v34
	v_add_f32_e32 v17, v17, v31
	v_add_f32_e32 v31, 1.0, v30
	v_add_f32_e32 v19, v19, v32
	v_pk_add_f32 v[32:33], v[30:31], v[8:9] neg_lo:[0,1] neg_hi:[0,1]
	v_pk_add_f32 v[34:35], v[30:31], s[18:19]
	v_mov_b32_e32 v21, v30
	v_add_f32_e32 v8, v36, v29
	v_mov_b32_e32 v33, v35
	v_sub_f32_e32 v10, v8, v36
	v_pk_add_f32 v[20:21], v[20:21], v[32:33] neg_lo:[0,1] neg_hi:[0,1]
	v_sub_f32_e32 v10, v29, v10
	v_add_f32_e32 v15, v20, v21
	v_add_f32_e32 v20, v17, v10
	;; [unrolled: 1-line block ×4, first 2 shown]
	v_sub_f32_e32 v17, v10, v31
	v_ldexp_f32 v32, v10, v41
	v_add_f32_e32 v31, 1.0, v30
	v_sub_f32_e32 v10, v15, v17
	v_rcp_f32_e32 v17, v32
	v_pk_add_f32 v[34:35], v[30:31], v[8:9] neg_lo:[0,1] neg_hi:[0,1]
	v_pk_add_f32 v[36:37], v[30:31], s[18:19]
	v_add_f32_e32 v8, v38, v40
	v_mov_b32_e32 v21, v30
	v_ldexp_f32 v30, v10, v41
	v_mov_b32_e32 v35, v37
	v_sub_f32_e32 v10, v8, v38
	v_pk_add_f32 v[20:21], v[20:21], v[34:35] neg_lo:[0,1] neg_hi:[0,1]
	v_sub_f32_e32 v10, v40, v10
	v_add_f32_e32 v15, v20, v21
	v_add_f32_e32 v20, v19, v10
	v_mul_f32_e32 v34, v32, v17
	v_add_f32_e32 v10, v31, v15
	v_add_f32_e32 v36, v8, v20
	v_fma_f32 v38, v17, v32, -v34
	v_sub_f32_e32 v19, v10, v31
	v_ldexp_f32 v33, v10, v48
	v_add_f32_e32 v37, 1.0, v36
	v_fmac_f32_e32 v38, v17, v30
	v_sub_f32_e32 v15, v15, v19
	v_rcp_f32_e32 v19, v33
	v_pk_add_f32 v[40:41], v[36:37], v[8:9] neg_lo:[0,1] neg_hi:[0,1]
	v_pk_add_f32 v[42:43], v[36:37], s[18:19]
	v_add_f32_e32 v8, v44, v45
	v_add_f32_e32 v10, v34, v38
	v_mov_b32_e32 v21, v36
	v_ldexp_f32 v31, v15, v48
	v_mov_b32_e32 v41, v43
	v_sub_f32_e32 v15, v8, v44
	v_sub_f32_e32 v35, 1.0, v10
	v_mov_b32_e32 v39, v10
	v_pk_add_f32 v[20:21], v[20:21], v[40:41] neg_lo:[0,1] neg_hi:[0,1]
	v_sub_f32_e32 v15, v45, v15
	v_pk_add_f32 v[40:41], v[10:11], v[34:35] neg_lo:[0,1] neg_hi:[0,1]
	v_add_f32_e32 v10, v20, v21
	v_add_f32_e32 v20, v46, v15
	v_pk_add_f32 v[38:39], v[40:41], v[38:39] neg_lo:[0,1] neg_hi:[0,1]
	v_mul_f32_e32 v34, v33, v19
	v_add_f32_e32 v15, v37, v10
	v_add_f32_e32 v36, v8, v20
	;; [unrolled: 1-line block ×3, first 2 shown]
	v_fma_f32 v38, v19, v33, -v34
	v_sub_f32_e32 v39, v15, v37
	v_ldexp_f32 v46, v15, v49
	v_add_f32_e32 v37, 1.0, v36
	v_add_f32_e32 v41, v35, v29
	v_fmac_f32_e32 v38, v19, v31
	v_rcp_f32_e32 v47, v46
	v_pk_add_f32 v[42:43], v[36:37], v[8:9] neg_lo:[0,1] neg_hi:[0,1]
	v_pk_add_f32 v[44:45], v[36:37], s[18:19]
	v_mul_f32_e32 v8, v17, v41
	v_mov_b32_e32 v21, v36
	v_sub_f32_e32 v15, v10, v39
	v_sub_f32_e32 v35, v35, v41
	v_add_f32_e32 v10, v34, v38
	v_mov_b32_e32 v43, v45
	v_mul_f32_e32 v36, v32, v8
	v_ldexp_f32 v48, v15, v49
	v_add_f32_e32 v29, v29, v35
	v_add_f32_e32 v49, v17, v8
	v_sub_f32_e32 v35, 1.0, v10
	v_pk_add_f32 v[20:21], v[20:21], v[42:43] neg_lo:[0,1] neg_hi:[0,1]
	v_fma_f32 v42, v8, v32, -v36
	v_mov_b32_e32 v39, v10
	v_sub_f32_e32 v15, v49, v17
	v_pk_add_f32 v[44:45], v[10:11], v[34:35] neg_lo:[0,1] neg_hi:[0,1]
	v_add_f32_e32 v10, v20, v21
	v_fmac_f32_e32 v42, v8, v30
	v_sub_f32_e32 v8, v8, v15
	v_pk_add_f32 v[20:21], v[44:45], v[38:39] neg_lo:[0,1] neg_hi:[0,1]
	v_mul_f32_e32 v34, v46, v47
	v_add_f32_e32 v15, v37, v10
	v_add_f32_e32 v40, v36, v42
	;; [unrolled: 1-line block ×3, first 2 shown]
	v_fma_f32 v20, v47, v46, -v34
	v_sub_f32_e32 v38, v15, v37
	v_sub_f32_e32 v37, v41, v40
	v_mov_b32_e32 v43, v40
	v_add_f32_e32 v39, v35, v21
	v_fmac_f32_e32 v20, v47, v48
	v_pk_add_f32 v[40:41], v[40:41], v[36:37] neg_lo:[0,1] neg_hi:[0,1]
	v_ldexp_f32 v15, v15, v50
	v_sub_f32_e32 v38, v10, v38
	v_sub_f32_e32 v35, v35, v39
	v_add_f32_e32 v10, v34, v20
	v_pk_add_f32 v[40:41], v[40:41], v[42:43] neg_lo:[0,1] neg_hi:[0,1]
	v_rcp_f32_e32 v44, v15
	v_mul_f32_e32 v45, v19, v39
	v_add_f32_e32 v42, v21, v35
	v_sub_f32_e32 v35, 1.0, v10
	v_add_f32_e32 v29, v29, v41
	v_mul_f32_e32 v36, v33, v45
	v_mov_b32_e32 v21, v10
	v_add_f32_e32 v29, v40, v29
	v_pk_add_f32 v[40:41], v[10:11], v[34:35] neg_lo:[0,1] neg_hi:[0,1]
	v_pk_add_f32 v[20:21], v[40:41], v[20:21] neg_lo:[0,1] neg_hi:[0,1]
	v_fma_f32 v40, v45, v33, -v36
	v_add_f32_e32 v51, v19, v45
	v_fmac_f32_e32 v40, v45, v31
	v_ldexp_f32 v50, v38, v50
	v_sub_f32_e32 v10, v51, v19
	v_mul_f32_e32 v34, v15, v44
	v_add_f32_e32 v38, v36, v40
	v_sub_f32_e32 v45, v45, v10
	v_add_f32_e32 v10, v37, v29
	v_add_f32_e32 v21, v20, v21
	v_fma_f32 v20, v44, v15, -v34
	v_sub_f32_e32 v37, v39, v38
	v_mul_f32_e32 v10, v17, v10
	v_mov_b32_e32 v41, v38
	v_fmac_f32_e32 v20, v44, v50
	v_pk_add_f32 v[38:39], v[38:39], v[36:37] neg_lo:[0,1] neg_hi:[0,1]
	v_add_f32_e32 v8, v8, v10
	v_add_f32_e32 v43, v35, v21
	;; [unrolled: 1-line block ×3, first 2 shown]
	v_pk_add_f32 v[38:39], v[38:39], v[40:41] neg_lo:[0,1] neg_hi:[0,1]
	v_sub_f32_e32 v17, v35, v43
	v_mul_f32_e32 v29, v47, v43
	v_sub_f32_e32 v35, 1.0, v10
	v_add_f32_e32 v39, v42, v39
	v_add_f32_e32 v17, v21, v17
	v_mul_f32_e32 v36, v46, v29
	v_mov_b32_e32 v21, v10
	v_add_f32_e32 v41, v38, v39
	v_pk_add_f32 v[38:39], v[10:11], v[34:35] neg_lo:[0,1] neg_hi:[0,1]
	v_add_f32_e32 v40, v49, v8
	v_pk_add_f32 v[20:21], v[38:39], v[20:21] neg_lo:[0,1] neg_hi:[0,1]
	v_fma_f32 v38, v29, v46, -v36
	v_sub_f32_e32 v39, v40, v49
	v_fmac_f32_e32 v38, v29, v48
	v_add_f32_e32 v10, v47, v29
	v_add_f32_e32 v37, v37, v41
	v_sub_f32_e32 v8, v8, v39
	v_add_f32_e32 v42, v36, v38
	v_ldexp_f32 v34, v40, -2
	v_sub_f32_e32 v39, v10, v47
	v_ldexp_f32 v40, v8, -2
	v_add_f32_e32 v8, v20, v21
	v_mul_f32_e32 v19, v19, v37
	v_sub_f32_e32 v37, v43, v42
	v_sub_f32_e32 v29, v29, v39
	v_mov_b32_e32 v39, v42
	v_add_f32_e32 v21, v35, v8
	v_pk_add_f32 v[42:43], v[42:43], v[36:37] neg_lo:[0,1] neg_hi:[0,1]
	v_mul_f32_e32 v20, v44, v21
	v_pk_add_f32 v[38:39], v[42:43], v[38:39] neg_lo:[0,1] neg_hi:[0,1]
	v_add_f32_e32 v19, v45, v19
	v_mul_f32_e32 v36, v15, v20
	v_add_f32_e32 v17, v17, v39
	v_sub_f32_e32 v35, v35, v21
	v_add_f32_e32 v41, v51, v19
	v_add_f32_e32 v45, v44, v20
	;; [unrolled: 1-line block ×3, first 2 shown]
	v_fma_f32 v38, v20, v15, -v36
	v_add_f32_e32 v8, v8, v35
	v_sub_f32_e32 v42, v41, v51
	v_ldexp_f32 v35, v41, -2
	v_sub_f32_e32 v39, v45, v44
	v_fmac_f32_e32 v38, v20, v50
	v_sub_f32_e32 v19, v19, v42
	v_sub_f32_e32 v49, v20, v39
	v_pk_add_f32 v[42:43], v[32:33], v[34:35]
	v_add_f32_e32 v17, v37, v17
	v_add_f32_e32 v20, v36, v38
	v_ldexp_f32 v41, v19, -2
	v_pk_add_f32 v[32:33], v[42:43], v[32:33] neg_lo:[0,1] neg_hi:[0,1]
	v_mul_f32_e32 v17, v47, v17
	v_sub_f32_e32 v37, v21, v20
	v_pk_add_f32 v[32:33], v[34:35], v[32:33] neg_lo:[0,1] neg_hi:[0,1]
	v_pk_add_f32 v[30:31], v[30:31], v[40:41]
	v_mov_b32_e32 v39, v20
	v_add_f32_e32 v17, v29, v17
	v_pk_add_f32 v[20:21], v[20:21], v[36:37] neg_lo:[0,1] neg_hi:[0,1]
	v_pk_add_f32 v[30:31], v[30:31], v[32:33]
	v_add_f32_e32 v19, v10, v17
	v_pk_add_f32 v[20:21], v[20:21], v[38:39] neg_lo:[0,1] neg_hi:[0,1]
	v_pk_add_f32 v[30:31], v[30:31], v[42:43]
	v_cmp_nlt_f32_e32 vcc, s23, v14
	v_cmp_nlt_f32_e64 s[0:1], s23, v6
	v_sub_f32_e32 v6, v19, v10
	v_ldexp_f32 v10, v19, -2
	v_add_f32_e32 v8, v8, v21
	v_cndmask_b32_e64 v14, v26, v30, s[0:1]
	v_cndmask_b32_e32 v19, v26, v31, vcc
	v_sub_f32_e32 v6, v17, v6
	v_add_f32_e32 v30, v46, v10
	v_add_f32_e32 v8, v20, v8
	v_cvt_f16_f32_e32 v17, v19
	v_cvt_f16_f32_e32 v19, v14
	v_ldexp_f32 v6, v6, -2
	v_sub_f32_e32 v14, v30, v46
	v_add_f32_e32 v8, v37, v8
	v_sub_f32_e32 v20, v10, v14
	v_add_f32_e32 v14, v48, v6
	v_mul_f32_e32 v6, v44, v8
	v_add_f32_e32 v6, v49, v6
	v_add_f32_e32 v8, v45, v6
	v_sub_f32_e32 v10, v8, v45
	v_ldexp_f32 v21, v8, -2
	v_sub_f32_e32 v6, v6, v10
	v_pk_add_f32 v[32:33], v[14:15], v[20:21]
	v_ldexp_f32 v6, v6, -2
	v_sub_f32_e32 v8, v33, v15
	v_sub_f32_e32 v8, v21, v8
	v_add_f32_e32 v6, v50, v6
	v_add_f32_e32 v31, v6, v8
	v_pk_add_f32 v[14:15], v[32:33], v[30:31]
	v_cmp_nlt_f32_e32 vcc, s23, v18
	v_cmp_nlt_f32_e64 s[0:1], s23, v16
	v_cndmask_b32_e64 v6, v26, v14, s[0:1]
	v_cndmask_b32_e32 v8, v26, v15, vcc
	v_cvt_f16_f32_e32 v8, v8
	v_cvt_f16_f32_e32 v6, v6
	s_and_b64 s[0:1], exec, s[2:3]
	s_or_b64 s[16:17], s[0:1], s[16:17]
	v_pack_b32_f16 v14, v19, v17
	v_pack_b32_f16 v15, v6, v8
	global_store_dwordx2 v[12:13], v[14:15], off
	s_andn2_b64 exec, exec, s[16:17]
	s_cbranch_execnz .LBB84_3
.LBB84_4:
	s_or_b64 exec, exec, s[14:15]
	s_mov_b64 s[2:3], 0
.LBB84_5:
	s_andn2_b64 vcc, exec, s[2:3]
	s_cbranch_vccnz .LBB84_25
; %bb.6:
	v_cmp_lt_i64_e64 s[0:1], s[10:11], 1
	s_and_b64 vcc, exec, s[0:1]
	s_cbranch_vccnz .LBB84_25
; %bb.7:
	s_load_dword s0, s[4:5], 0xc5c
	v_mov_b32_e32 v2, 0x10000
	v_mov_b32_e32 v3, 0
	v_cmp_lt_u64_e32 vcc, s[10:11], v[2:3]
	v_lshlrev_b32_e32 v10, 1, v0
	s_waitcnt lgkmcnt(0)
	s_and_b32 s2, s0, 0xffff
	s_and_b64 s[0:1], vcc, exec
	v_mov_b32_e32 v13, s13
	v_add_co_u32_e32 v2, vcc, s12, v10
	v_addc_co_u32_e32 v1, vcc, 0, v13, vcc
	v_mov_b32_e32 v11, 0
	v_mov_b32_e32 v15, s7
	v_add_co_u32_e32 v4, vcc, s6, v10
	v_addc_co_u32_e32 v3, vcc, 0, v15, vcc
	v_mad_u64_u32 v[8:9], s[0:1], s2, 6, v[10:11]
	v_add_co_u32_e32 v6, vcc, s12, v8
	v_addc_co_u32_e32 v5, vcc, v13, v9, vcc
	v_add_co_u32_e32 v8, vcc, s6, v8
	s_mul_i32 s4, s2, 3
	v_addc_co_u32_e32 v7, vcc, v15, v9, vcc
	s_cselect_b32 s15, s11, 0
	s_cselect_b32 s14, s10, 0x10000
	s_lshl_b32 s20, s2, 2
	v_add_co_u32_e32 v17, vcc, s4, v0
	v_addc_co_u32_e64 v24, s[0:1], 0, 0, vcc
	v_add_co_u32_e32 v11, vcc, s20, v10
	v_addc_co_u32_e64 v14, s[0:1], 0, 0, vcc
	v_add_co_u32_e32 v10, vcc, s12, v11
	v_addc_co_u32_e32 v9, vcc, v13, v14, vcc
	v_add_co_u32_e32 v12, vcc, s6, v11
	s_lshl_b32 s3, s2, 1
	v_addc_co_u32_e32 v11, vcc, v15, v14, vcc
	v_add_co_u32_e32 v25, vcc, s3, v0
	v_addc_co_u32_e64 v26, s[0:1], 0, 0, vcc
	v_add_co_u32_e32 v27, vcc, s2, v0
	v_lshlrev_b32_e32 v16, 1, v27
	v_addc_co_u32_e64 v28, s[0:1], 0, 0, vcc
	v_add_co_u32_e32 v14, vcc, s12, v16
	v_addc_co_u32_e32 v13, vcc, 0, v13, vcc
	v_add_co_u32_e32 v16, vcc, s6, v16
	s_mov_b32 s16, 0
	s_lshl_b32 s21, s2, 3
	v_addc_co_u32_e32 v15, vcc, 0, v15, vcc
	s_mov_b64 s[12:13], 0
	v_mov_b32_e32 v19, 0x3f317218
	v_mov_b32_e32 v29, 0x3d2aadcc
	;; [unrolled: 1-line block ×4, first 2 shown]
	s_mov_b32 s17, -1.0
	s_mov_b32 s22, 0x42b2d4fc
	v_mov_b32_e32 v21, -1.0
	v_mov_b32_e32 v23, 1.0
	v_mov_b32_e32 v32, 0x7f800000
	s_branch .LBB84_9
.LBB84_8:                               ;   in Loop: Header=BB84_9 Depth=1
	s_or_b64 exec, exec, s[0:1]
	s_add_u32 s12, s12, s20
	s_addc_u32 s13, s13, 0
	s_waitcnt vmcnt(0)
	v_pk_mov_b32 v[34:35], s[10:11], s[10:11] op_sel:[0,1]
	v_cmp_ge_i64_e32 vcc, s[12:13], v[34:35]
	v_mov_b32_e32 v34, 0xffff
	v_mov_b32_e32 v35, 0
	v_cmp_gt_u64_e64 s[0:1], s[12:13], v[34:35]
	s_or_b64 s[0:1], vcc, s[0:1]
	v_mov_b32_e32 v18, s16
	v_add_co_u32_e32 v2, vcc, s21, v2
	v_addc_co_u32_e32 v1, vcc, v1, v18, vcc
	v_add_co_u32_e32 v4, vcc, s21, v4
	v_addc_co_u32_e32 v3, vcc, v3, v18, vcc
	;; [unrolled: 2-line block ×8, first 2 shown]
	s_and_b64 vcc, exec, s[0:1]
	s_cbranch_vccnz .LBB84_25
.LBB84_9:                               ; =>This Inner Loop Header: Depth=1
	v_mov_b32_e32 v18, s13
	v_add_co_u32_e32 v34, vcc, s12, v0
	v_addc_co_u32_e32 v35, vcc, 0, v18, vcc
	v_cmp_gt_u64_e64 s[4:5], s[14:15], v[34:35]
	v_mov_b32_e32 v18, 0
	s_and_saveexec_b64 s[0:1], s[4:5]
	s_cbranch_execz .LBB84_11
; %bb.10:                               ;   in Loop: Header=BB84_9 Depth=1
	v_mov_b32_e32 v18, s9
	v_add_co_u32_e32 v34, vcc, s8, v2
	v_addc_co_u32_e32 v35, vcc, v1, v18, vcc
	global_load_ushort v18, v[34:35], off
.LBB84_11:                              ;   in Loop: Header=BB84_9 Depth=1
	s_or_b64 exec, exec, s[0:1]
	v_mov_b32_e32 v20, s13
	v_add_co_u32_e32 v34, vcc, s12, v27
	v_addc_co_u32_e32 v35, vcc, v28, v20, vcc
	v_cmp_gt_u64_e64 s[2:3], s[14:15], v[34:35]
	v_mov_b32_e32 v35, 0
	s_and_saveexec_b64 s[0:1], s[2:3]
	s_cbranch_execz .LBB84_13
; %bb.12:                               ;   in Loop: Header=BB84_9 Depth=1
	v_mov_b32_e32 v20, s9
	v_add_co_u32_e32 v34, vcc, s8, v14
	v_addc_co_u32_e32 v35, vcc, v13, v20, vcc
	global_load_ushort v35, v[34:35], off
.LBB84_13:                              ;   in Loop: Header=BB84_9 Depth=1
	s_or_b64 exec, exec, s[0:1]
	v_mov_b32_e32 v20, s13
	v_add_co_u32_e32 v36, vcc, s12, v25
	v_addc_co_u32_e32 v37, vcc, v26, v20, vcc
	v_cmp_gt_u64_e64 s[0:1], s[14:15], v[36:37]
	v_mov_b32_e32 v33, 0
	v_mov_b32_e32 v34, 0
	s_and_saveexec_b64 s[6:7], s[0:1]
	s_cbranch_execz .LBB84_15
; %bb.14:                               ;   in Loop: Header=BB84_9 Depth=1
	v_mov_b32_e32 v20, s9
	v_add_co_u32_e32 v36, vcc, s8, v10
	v_addc_co_u32_e32 v37, vcc, v9, v20, vcc
	global_load_ushort v34, v[36:37], off
.LBB84_15:                              ;   in Loop: Header=BB84_9 Depth=1
	s_or_b64 exec, exec, s[6:7]
	v_mov_b32_e32 v20, s13
	v_add_co_u32_e32 v36, vcc, s12, v17
	v_addc_co_u32_e32 v37, vcc, v24, v20, vcc
	v_cmp_gt_u64_e32 vcc, s[14:15], v[36:37]
	s_and_saveexec_b64 s[18:19], vcc
	s_cbranch_execnz .LBB84_20
; %bb.16:                               ;   in Loop: Header=BB84_9 Depth=1
	s_or_b64 exec, exec, s[18:19]
	s_and_saveexec_b64 s[6:7], s[4:5]
	s_cbranch_execnz .LBB84_21
.LBB84_17:                              ;   in Loop: Header=BB84_9 Depth=1
	s_or_b64 exec, exec, s[6:7]
	s_and_saveexec_b64 s[4:5], s[2:3]
	s_cbranch_execnz .LBB84_22
.LBB84_18:                              ;   in Loop: Header=BB84_9 Depth=1
	s_or_b64 exec, exec, s[4:5]
	s_and_saveexec_b64 s[2:3], s[0:1]
	s_cbranch_execnz .LBB84_23
.LBB84_19:                              ;   in Loop: Header=BB84_9 Depth=1
	s_or_b64 exec, exec, s[2:3]
	s_and_saveexec_b64 s[0:1], vcc
	s_cbranch_execz .LBB84_8
	s_branch .LBB84_24
.LBB84_20:                              ;   in Loop: Header=BB84_9 Depth=1
	v_mov_b32_e32 v20, s9
	v_add_co_u32_e64 v36, s[6:7], s8, v6
	v_addc_co_u32_e64 v37, s[6:7], v5, v20, s[6:7]
	global_load_ushort v33, v[36:37], off
	s_or_b64 exec, exec, s[18:19]
	s_and_saveexec_b64 s[6:7], s[4:5]
	s_cbranch_execz .LBB84_17
.LBB84_21:                              ;   in Loop: Header=BB84_9 Depth=1
	s_waitcnt vmcnt(0)
	v_cvt_f32_f16_e64 v18, |v18|
	v_add_f32_e32 v20, 0xbf317218, v18
	v_sub_f32_e32 v37, v20, v18
	v_sub_f32_e32 v36, v37, v20
	v_pk_add_f32 v[36:37], v[36:37], v[18:19]
	v_sub_f32_e32 v22, v36, v37
	v_add_f32_e32 v22, 0x3102e308, v22
	v_add_f32_e32 v36, v20, v22
	v_sub_f32_e32 v20, v20, v36
	v_mul_f32_e32 v37, 0x3fb8aa3b, v36
	v_add_f32_e32 v20, v22, v20
	v_rndne_f32_e32 v22, v37
	v_fmac_f32_e32 v36, 0xbf317200, v22
	v_mul_f32_e32 v39, 0x35bfbc00, v22
	v_add_f32_e32 v40, v20, v36
	v_sub_f32_e32 v36, v36, v40
	v_sub_f32_e32 v38, v40, v39
	v_add_f32_e32 v20, v20, v36
	v_sub_f32_e32 v36, v40, v38
	v_sub_f32_e32 v36, v36, v39
	v_add_f32_e32 v20, v20, v36
	v_add_f32_e32 v39, v38, v20
	v_mul_f32_e32 v37, 0x2ea39ef3, v22
	v_mov_b32_e32 v36, v39
	v_pk_add_f32 v[40:41], v[38:39], v[36:37] neg_lo:[0,1] neg_hi:[0,1]
	v_sub_f32_e32 v36, v39, v41
	v_sub_f32_e32 v36, v36, v37
	v_add_f32_e32 v20, v20, v40
	v_add_f32_e32 v20, v20, v36
	;; [unrolled: 1-line block ×3, first 2 shown]
	v_mov_b32_e32 v37, 0x3c091de6
	v_sub_f32_e32 v39, v41, v36
	v_fmac_f32_e32 v37, 0x3ab42872, v36
	v_mul_f32_e32 v38, v36, v36
	v_add_f32_e32 v39, v20, v39
	v_fma_f32 v37, v36, v37, v29
	v_add_f32_e32 v20, v39, v39
	v_fma_f32 v40, v36, v36, -v38
	v_fma_f32 v37, v36, v37, v30
	v_fmac_f32_e32 v40, v36, v20
	v_fma_f32 v37, v36, v37, v31
	v_add_f32_e32 v20, v38, v40
	v_mul_f32_e32 v41, v37, v20
	v_sub_f32_e32 v38, v20, v38
	v_sub_f32_e32 v38, v40, v38
	v_fma_f32 v40, v20, v37, -v41
	v_fmac_f32_e32 v40, v38, v37
	v_add_f32_e32 v37, v41, v40
	v_add_f32_e32 v20, v36, v37
	v_sub_f32_e32 v38, v37, v41
	v_sub_f32_e32 v38, v40, v38
	v_sub_f32_e32 v36, v20, v36
	v_add_f32_e32 v38, v39, v38
	v_sub_f32_e32 v36, v37, v36
	v_add_f32_e32 v36, v38, v36
	v_add_f32_e32 v38, v20, v36
	v_add_f32_e32 v39, 1.0, v38
	v_pk_add_f32 v[40:41], v[38:39], v[20:21] neg_lo:[0,1] neg_hi:[0,1]
	v_pk_add_f32 v[42:43], v[38:39], s[16:17]
	v_mov_b32_e32 v41, v43
	v_mov_b32_e32 v37, v38
	v_cvt_i32_f32_e32 v20, v22
	v_pk_add_f32 v[36:37], v[36:37], v[40:41] neg_lo:[0,1] neg_hi:[0,1]
	v_add_f32_e32 v22, v36, v37
	v_add_f32_e32 v37, v39, v22
	v_ldexp_f32 v44, v37, v20
	v_rcp_f32_e32 v45, v44
	v_sub_f32_e32 v37, v37, v39
	v_sub_f32_e32 v22, v22, v37
	v_ldexp_f32 v20, v22, v20
	v_mul_f32_e32 v36, v44, v45
	v_fma_f32 v38, v45, v44, -v36
	v_fmac_f32_e32 v38, v45, v20
	v_add_f32_e32 v22, v36, v38
	v_sub_f32_e32 v37, 1.0, v22
	v_pk_add_f32 v[40:41], v[22:23], v[36:37] neg_lo:[0,1] neg_hi:[0,1]
	v_mov_b32_e32 v39, v22
	v_pk_add_f32 v[38:39], v[40:41], v[38:39] neg_lo:[0,1] neg_hi:[0,1]
	v_add_f32_e32 v22, v38, v39
	v_add_f32_e32 v39, v37, v22
	v_mul_f32_e32 v38, v45, v39
	v_add_f32_e32 v46, v45, v38
	v_sub_f32_e32 v36, v46, v45
	v_mul_f32_e32 v40, v44, v38
	v_sub_f32_e32 v47, v38, v36
	v_fma_f32 v36, v38, v44, -v40
	v_fmac_f32_e32 v36, v38, v20
	v_add_f32_e32 v38, v40, v36
	v_sub_f32_e32 v41, v39, v38
	v_sub_f32_e32 v37, v37, v39
	v_add_f32_e32 v22, v22, v37
	v_pk_add_f32 v[42:43], v[38:39], v[40:41] neg_lo:[0,1] neg_hi:[0,1]
	v_mov_b32_e32 v37, v38
	v_pk_add_f32 v[36:37], v[42:43], v[36:37] neg_lo:[0,1] neg_hi:[0,1]
	v_add_f32_e32 v22, v22, v37
	v_add_f32_e32 v22, v36, v22
	;; [unrolled: 1-line block ×3, first 2 shown]
	v_mul_f32_e32 v22, v45, v22
	v_add_f32_e32 v22, v47, v22
	v_add_f32_e32 v36, v46, v22
	v_ldexp_f32 v37, v36, -2
	v_sub_f32_e32 v36, v36, v46
	v_sub_f32_e32 v22, v22, v36
	v_add_f32_e32 v38, v44, v37
	v_ldexp_f32 v22, v22, -2
	v_add_f32_e32 v20, v20, v22
	v_sub_f32_e32 v22, v38, v44
	v_sub_f32_e32 v22, v37, v22
	v_add_f32_e32 v20, v20, v22
	v_add_f32_e32 v20, v38, v20
	v_cmp_nlt_f32_e64 s[4:5], s22, v18
	v_cndmask_b32_e64 v18, v32, v20, s[4:5]
	v_cvt_f16_f32_e32 v18, v18
	v_mov_b32_e32 v20, s9
	v_add_co_u32_e64 v36, s[4:5], s8, v4
	v_addc_co_u32_e64 v37, s[4:5], v3, v20, s[4:5]
	global_store_short v[36:37], v18, off
	s_or_b64 exec, exec, s[6:7]
	s_and_saveexec_b64 s[4:5], s[2:3]
	s_cbranch_execz .LBB84_18
.LBB84_22:                              ;   in Loop: Header=BB84_9 Depth=1
	s_waitcnt vmcnt(0)
	v_cvt_f32_f16_e64 v18, |v35|
	v_add_f32_e32 v20, 0xbf317218, v18
	v_sub_f32_e32 v22, v20, v18
	v_sub_f32_e32 v35, v22, v20
	v_add_f32_e32 v22, 0x3f317218, v22
	v_add_f32_e32 v35, v35, v18
	v_sub_f32_e32 v22, v35, v22
	v_add_f32_e32 v22, 0x3102e308, v22
	v_add_f32_e32 v35, v20, v22
	v_sub_f32_e32 v20, v20, v35
	v_mul_f32_e32 v36, 0x3fb8aa3b, v35
	v_add_f32_e32 v20, v22, v20
	v_rndne_f32_e32 v22, v36
	v_fmac_f32_e32 v35, 0xbf317200, v22
	v_add_f32_e32 v36, v20, v35
	v_sub_f32_e32 v35, v35, v36
	v_add_f32_e32 v20, v20, v35
	v_mul_f32_e32 v35, 0x35bfbc00, v22
	v_sub_f32_e32 v37, v36, v35
	v_sub_f32_e32 v36, v36, v37
	v_sub_f32_e32 v35, v36, v35
	v_add_f32_e32 v20, v20, v35
	v_add_f32_e32 v35, v37, v20
	v_sub_f32_e32 v36, v37, v35
	v_add_f32_e32 v20, v20, v36
	v_mul_f32_e32 v36, 0x2ea39ef3, v22
	v_sub_f32_e32 v37, v35, v36
	v_sub_f32_e32 v35, v35, v37
	;; [unrolled: 1-line block ×3, first 2 shown]
	v_add_f32_e32 v20, v20, v35
	v_add_f32_e32 v35, v37, v20
	v_sub_f32_e32 v37, v37, v35
	v_mov_b32_e32 v36, 0x3c091de6
	v_add_f32_e32 v20, v20, v37
	v_mul_f32_e32 v38, v35, v35
	v_fmac_f32_e32 v36, 0x3ab42872, v35
	v_add_f32_e32 v37, v20, v20
	v_fma_f32 v39, v35, v35, -v38
	v_fma_f32 v36, v35, v36, v29
	v_fmac_f32_e32 v39, v35, v37
	v_fma_f32 v36, v35, v36, v30
	v_add_f32_e32 v37, v38, v39
	v_fma_f32 v36, v35, v36, v31
	v_sub_f32_e32 v38, v37, v38
	v_sub_f32_e32 v38, v39, v38
	v_mul_f32_e32 v39, v36, v37
	v_fma_f32 v37, v37, v36, -v39
	v_fmac_f32_e32 v37, v38, v36
	v_add_f32_e32 v36, v39, v37
	v_sub_f32_e32 v38, v36, v39
	v_sub_f32_e32 v37, v37, v38
	v_add_f32_e32 v38, v35, v36
	v_sub_f32_e32 v35, v38, v35
	v_sub_f32_e32 v35, v36, v35
	v_add_f32_e32 v20, v20, v37
	v_add_f32_e32 v20, v20, v35
	;; [unrolled: 1-line block ×3, first 2 shown]
	v_sub_f32_e32 v36, v35, v38
	v_sub_f32_e32 v20, v20, v36
	v_add_f32_e32 v36, 1.0, v35
	v_add_f32_e32 v37, -1.0, v36
	v_cvt_i32_f32_e32 v22, v22
	v_sub_f32_e32 v35, v35, v37
	v_add_f32_e32 v20, v20, v35
	v_add_f32_e32 v35, v36, v20
	v_ldexp_f32 v37, v35, v22
	v_rcp_f32_e32 v38, v37
	v_sub_f32_e32 v35, v35, v36
	v_sub_f32_e32 v20, v20, v35
	v_ldexp_f32 v20, v20, v22
	v_mul_f32_e32 v22, v37, v38
	v_fma_f32 v35, v38, v37, -v22
	v_fmac_f32_e32 v35, v38, v20
	v_add_f32_e32 v36, v22, v35
	v_sub_f32_e32 v39, 1.0, v36
	v_sub_f32_e32 v40, 1.0, v39
	v_sub_f32_e32 v22, v36, v22
	v_sub_f32_e32 v40, v40, v36
	;; [unrolled: 1-line block ×3, first 2 shown]
	v_add_f32_e32 v22, v22, v40
	v_add_f32_e32 v35, v39, v22
	v_mul_f32_e32 v36, v38, v35
	v_mul_f32_e32 v40, v37, v36
	v_fma_f32 v41, v36, v37, -v40
	v_fmac_f32_e32 v41, v36, v20
	v_sub_f32_e32 v39, v39, v35
	v_add_f32_e32 v22, v22, v39
	v_add_f32_e32 v39, v40, v41
	v_sub_f32_e32 v42, v35, v39
	v_sub_f32_e32 v35, v35, v42
	;; [unrolled: 1-line block ×4, first 2 shown]
	v_add_f32_e32 v22, v22, v35
	v_sub_f32_e32 v35, v40, v41
	v_add_f32_e32 v22, v35, v22
	v_add_f32_e32 v22, v42, v22
	;; [unrolled: 1-line block ×3, first 2 shown]
	v_mul_f32_e32 v22, v38, v22
	v_sub_f32_e32 v38, v35, v38
	v_sub_f32_e32 v36, v36, v38
	v_add_f32_e32 v22, v36, v22
	v_add_f32_e32 v36, v35, v22
	v_sub_f32_e32 v35, v36, v35
	v_sub_f32_e32 v22, v22, v35
	v_ldexp_f32 v35, v36, -2
	v_add_f32_e32 v36, v37, v35
	v_ldexp_f32 v22, v22, -2
	v_sub_f32_e32 v37, v36, v37
	v_sub_f32_e32 v35, v35, v37
	v_add_f32_e32 v20, v20, v22
	v_add_f32_e32 v20, v20, v35
	;; [unrolled: 1-line block ×3, first 2 shown]
	v_cmp_nlt_f32_e64 s[2:3], s22, v18
	v_cndmask_b32_e64 v18, v32, v20, s[2:3]
	v_cvt_f16_f32_e32 v18, v18
	v_mov_b32_e32 v20, s9
	v_add_co_u32_e64 v36, s[2:3], s8, v16
	v_addc_co_u32_e64 v37, s[2:3], v15, v20, s[2:3]
	global_store_short v[36:37], v18, off
	s_or_b64 exec, exec, s[4:5]
	s_and_saveexec_b64 s[2:3], s[0:1]
	s_cbranch_execz .LBB84_19
.LBB84_23:                              ;   in Loop: Header=BB84_9 Depth=1
	s_waitcnt vmcnt(0)
	v_cvt_f32_f16_e64 v18, |v34|
	v_add_f32_e32 v20, 0xbf317218, v18
	v_sub_f32_e32 v22, v20, v18
	v_sub_f32_e32 v34, v22, v20
	v_add_f32_e32 v22, 0x3f317218, v22
	v_add_f32_e32 v34, v34, v18
	v_sub_f32_e32 v22, v34, v22
	v_add_f32_e32 v22, 0x3102e308, v22
	v_add_f32_e32 v34, v20, v22
	v_sub_f32_e32 v20, v20, v34
	v_mul_f32_e32 v35, 0x3fb8aa3b, v34
	v_add_f32_e32 v20, v22, v20
	v_rndne_f32_e32 v22, v35
	v_fmac_f32_e32 v34, 0xbf317200, v22
	v_add_f32_e32 v35, v20, v34
	v_sub_f32_e32 v34, v34, v35
	v_add_f32_e32 v20, v20, v34
	v_mul_f32_e32 v34, 0x35bfbc00, v22
	v_sub_f32_e32 v36, v35, v34
	v_sub_f32_e32 v35, v35, v36
	v_sub_f32_e32 v34, v35, v34
	v_add_f32_e32 v20, v20, v34
	v_add_f32_e32 v34, v36, v20
	v_sub_f32_e32 v35, v36, v34
	v_add_f32_e32 v20, v20, v35
	v_mul_f32_e32 v35, 0x2ea39ef3, v22
	v_sub_f32_e32 v36, v34, v35
	v_sub_f32_e32 v34, v34, v36
	;; [unrolled: 1-line block ×3, first 2 shown]
	v_add_f32_e32 v20, v20, v34
	v_add_f32_e32 v34, v36, v20
	v_sub_f32_e32 v36, v36, v34
	v_mov_b32_e32 v35, 0x3c091de6
	v_add_f32_e32 v20, v20, v36
	v_mul_f32_e32 v37, v34, v34
	v_fmac_f32_e32 v35, 0x3ab42872, v34
	v_add_f32_e32 v36, v20, v20
	v_fma_f32 v38, v34, v34, -v37
	v_fma_f32 v35, v34, v35, v29
	v_fmac_f32_e32 v38, v34, v36
	v_fma_f32 v35, v34, v35, v30
	v_add_f32_e32 v36, v37, v38
	v_fma_f32 v35, v34, v35, v31
	v_sub_f32_e32 v37, v36, v37
	v_sub_f32_e32 v37, v38, v37
	v_mul_f32_e32 v38, v35, v36
	v_fma_f32 v36, v36, v35, -v38
	v_fmac_f32_e32 v36, v37, v35
	v_add_f32_e32 v35, v38, v36
	v_sub_f32_e32 v37, v35, v38
	v_sub_f32_e32 v36, v36, v37
	v_add_f32_e32 v37, v34, v35
	v_sub_f32_e32 v34, v37, v34
	v_sub_f32_e32 v34, v35, v34
	v_add_f32_e32 v20, v20, v36
	v_add_f32_e32 v20, v20, v34
	;; [unrolled: 1-line block ×3, first 2 shown]
	v_sub_f32_e32 v35, v34, v37
	v_sub_f32_e32 v20, v20, v35
	v_add_f32_e32 v35, 1.0, v34
	v_add_f32_e32 v36, -1.0, v35
	v_cvt_i32_f32_e32 v22, v22
	v_sub_f32_e32 v34, v34, v36
	v_add_f32_e32 v20, v20, v34
	v_add_f32_e32 v34, v35, v20
	v_ldexp_f32 v36, v34, v22
	v_rcp_f32_e32 v37, v36
	v_sub_f32_e32 v34, v34, v35
	v_sub_f32_e32 v20, v20, v34
	v_ldexp_f32 v20, v20, v22
	v_mul_f32_e32 v22, v36, v37
	v_fma_f32 v34, v37, v36, -v22
	v_fmac_f32_e32 v34, v37, v20
	v_add_f32_e32 v35, v22, v34
	v_sub_f32_e32 v38, 1.0, v35
	v_sub_f32_e32 v39, 1.0, v38
	v_sub_f32_e32 v22, v35, v22
	v_sub_f32_e32 v39, v39, v35
	;; [unrolled: 1-line block ×3, first 2 shown]
	v_add_f32_e32 v22, v22, v39
	v_add_f32_e32 v34, v38, v22
	v_mul_f32_e32 v35, v37, v34
	v_mul_f32_e32 v39, v36, v35
	v_fma_f32 v40, v35, v36, -v39
	v_fmac_f32_e32 v40, v35, v20
	v_sub_f32_e32 v38, v38, v34
	v_add_f32_e32 v22, v22, v38
	v_add_f32_e32 v38, v39, v40
	v_sub_f32_e32 v41, v34, v38
	v_sub_f32_e32 v34, v34, v41
	;; [unrolled: 1-line block ×4, first 2 shown]
	v_add_f32_e32 v22, v22, v34
	v_sub_f32_e32 v34, v39, v40
	v_add_f32_e32 v22, v34, v22
	v_add_f32_e32 v22, v41, v22
	;; [unrolled: 1-line block ×3, first 2 shown]
	v_mul_f32_e32 v22, v37, v22
	v_sub_f32_e32 v37, v34, v37
	v_sub_f32_e32 v35, v35, v37
	v_add_f32_e32 v22, v35, v22
	v_add_f32_e32 v35, v34, v22
	v_sub_f32_e32 v34, v35, v34
	v_sub_f32_e32 v22, v22, v34
	v_ldexp_f32 v34, v35, -2
	v_add_f32_e32 v35, v36, v34
	v_ldexp_f32 v22, v22, -2
	v_sub_f32_e32 v36, v35, v36
	v_sub_f32_e32 v34, v34, v36
	v_add_f32_e32 v20, v20, v22
	v_add_f32_e32 v20, v20, v34
	;; [unrolled: 1-line block ×3, first 2 shown]
	v_cmp_nlt_f32_e64 s[0:1], s22, v18
	v_cndmask_b32_e64 v18, v32, v20, s[0:1]
	v_cvt_f16_f32_e32 v18, v18
	v_mov_b32_e32 v20, s9
	v_add_co_u32_e64 v34, s[0:1], s8, v12
	v_addc_co_u32_e64 v35, s[0:1], v11, v20, s[0:1]
	global_store_short v[34:35], v18, off
	s_or_b64 exec, exec, s[2:3]
	s_and_saveexec_b64 s[0:1], vcc
	s_cbranch_execz .LBB84_8
.LBB84_24:                              ;   in Loop: Header=BB84_9 Depth=1
	s_waitcnt vmcnt(0)
	v_cvt_f32_f16_e64 v18, |v33|
	v_add_f32_e32 v20, 0xbf317218, v18
	v_sub_f32_e32 v22, v20, v18
	v_sub_f32_e32 v33, v22, v20
	v_add_f32_e32 v22, 0x3f317218, v22
	v_add_f32_e32 v33, v33, v18
	v_sub_f32_e32 v22, v33, v22
	v_add_f32_e32 v22, 0x3102e308, v22
	v_add_f32_e32 v33, v20, v22
	v_sub_f32_e32 v20, v20, v33
	v_mul_f32_e32 v34, 0x3fb8aa3b, v33
	v_add_f32_e32 v20, v22, v20
	v_rndne_f32_e32 v22, v34
	v_fmac_f32_e32 v33, 0xbf317200, v22
	v_add_f32_e32 v34, v20, v33
	v_sub_f32_e32 v33, v33, v34
	v_add_f32_e32 v20, v20, v33
	v_mul_f32_e32 v33, 0x35bfbc00, v22
	v_sub_f32_e32 v35, v34, v33
	v_sub_f32_e32 v34, v34, v35
	v_sub_f32_e32 v33, v34, v33
	v_add_f32_e32 v20, v20, v33
	v_add_f32_e32 v33, v35, v20
	v_sub_f32_e32 v34, v35, v33
	v_add_f32_e32 v20, v20, v34
	v_mul_f32_e32 v34, 0x2ea39ef3, v22
	v_sub_f32_e32 v35, v33, v34
	v_sub_f32_e32 v33, v33, v35
	;; [unrolled: 1-line block ×3, first 2 shown]
	v_add_f32_e32 v20, v20, v33
	v_add_f32_e32 v33, v35, v20
	v_sub_f32_e32 v35, v35, v33
	v_mov_b32_e32 v34, 0x3c091de6
	v_add_f32_e32 v20, v20, v35
	v_mul_f32_e32 v36, v33, v33
	v_fmac_f32_e32 v34, 0x3ab42872, v33
	v_add_f32_e32 v35, v20, v20
	v_fma_f32 v37, v33, v33, -v36
	v_fma_f32 v34, v33, v34, v29
	v_fmac_f32_e32 v37, v33, v35
	v_fma_f32 v34, v33, v34, v30
	v_add_f32_e32 v35, v36, v37
	v_fma_f32 v34, v33, v34, v31
	v_sub_f32_e32 v36, v35, v36
	v_sub_f32_e32 v36, v37, v36
	v_mul_f32_e32 v37, v34, v35
	v_fma_f32 v35, v35, v34, -v37
	v_fmac_f32_e32 v35, v36, v34
	v_add_f32_e32 v34, v37, v35
	v_sub_f32_e32 v36, v34, v37
	v_sub_f32_e32 v35, v35, v36
	v_add_f32_e32 v36, v33, v34
	v_sub_f32_e32 v33, v36, v33
	v_sub_f32_e32 v33, v34, v33
	v_add_f32_e32 v20, v20, v35
	v_add_f32_e32 v20, v20, v33
	;; [unrolled: 1-line block ×3, first 2 shown]
	v_sub_f32_e32 v34, v33, v36
	v_sub_f32_e32 v20, v20, v34
	v_add_f32_e32 v34, 1.0, v33
	v_add_f32_e32 v35, -1.0, v34
	v_cvt_i32_f32_e32 v22, v22
	v_sub_f32_e32 v33, v33, v35
	v_add_f32_e32 v20, v20, v33
	v_add_f32_e32 v33, v34, v20
	v_ldexp_f32 v35, v33, v22
	v_rcp_f32_e32 v36, v35
	v_sub_f32_e32 v33, v33, v34
	v_sub_f32_e32 v20, v20, v33
	v_ldexp_f32 v20, v20, v22
	v_mul_f32_e32 v22, v35, v36
	v_fma_f32 v33, v36, v35, -v22
	v_fmac_f32_e32 v33, v36, v20
	v_add_f32_e32 v34, v22, v33
	v_sub_f32_e32 v37, 1.0, v34
	v_sub_f32_e32 v38, 1.0, v37
	v_sub_f32_e32 v22, v34, v22
	v_sub_f32_e32 v38, v38, v34
	;; [unrolled: 1-line block ×3, first 2 shown]
	v_add_f32_e32 v22, v22, v38
	v_add_f32_e32 v33, v37, v22
	v_mul_f32_e32 v34, v36, v33
	v_mul_f32_e32 v38, v35, v34
	v_fma_f32 v39, v34, v35, -v38
	v_fmac_f32_e32 v39, v34, v20
	v_sub_f32_e32 v37, v37, v33
	v_add_f32_e32 v22, v22, v37
	v_add_f32_e32 v37, v38, v39
	v_sub_f32_e32 v40, v33, v37
	v_sub_f32_e32 v33, v33, v40
	;; [unrolled: 1-line block ×4, first 2 shown]
	v_add_f32_e32 v22, v22, v33
	v_sub_f32_e32 v33, v38, v39
	v_add_f32_e32 v22, v33, v22
	v_add_f32_e32 v22, v40, v22
	;; [unrolled: 1-line block ×3, first 2 shown]
	v_mul_f32_e32 v22, v36, v22
	v_sub_f32_e32 v36, v33, v36
	v_sub_f32_e32 v34, v34, v36
	v_add_f32_e32 v22, v34, v22
	v_add_f32_e32 v34, v33, v22
	v_sub_f32_e32 v33, v34, v33
	v_sub_f32_e32 v22, v22, v33
	v_ldexp_f32 v33, v34, -2
	v_add_f32_e32 v34, v35, v33
	v_ldexp_f32 v22, v22, -2
	v_sub_f32_e32 v35, v34, v35
	v_sub_f32_e32 v33, v33, v35
	v_add_f32_e32 v20, v20, v22
	v_add_f32_e32 v20, v20, v33
	;; [unrolled: 1-line block ×3, first 2 shown]
	v_cmp_nlt_f32_e32 vcc, s22, v18
	v_cndmask_b32_e32 v18, v32, v20, vcc
	v_cvt_f16_f32_e32 v18, v18
	v_mov_b32_e32 v20, s9
	v_add_co_u32_e32 v34, vcc, s8, v8
	v_addc_co_u32_e32 v35, vcc, v7, v20, vcc
	global_store_short v[34:35], v18, off
	s_branch .LBB84_8
.LBB84_25:
	s_endpgm
	.section	.rodata,"a",@progbits
	.p2align	6, 0x0
	.amdhsa_kernel _ZN2at6native12_GLOBAL__N_125multi_tensor_apply_kernelINS1_18TensorListMetadataILi2EEENS1_14UnaryOpFunctorIN3c104HalfELi2ELi1ELi1EEEJNS0_4CoshIfEEEEEvT_T0_DpT1_
		.amdhsa_group_segment_fixed_size 0
		.amdhsa_private_segment_fixed_size 0
		.amdhsa_kernarg_size 3408
		.amdhsa_user_sgpr_count 6
		.amdhsa_user_sgpr_private_segment_buffer 1
		.amdhsa_user_sgpr_dispatch_ptr 0
		.amdhsa_user_sgpr_queue_ptr 0
		.amdhsa_user_sgpr_kernarg_segment_ptr 1
		.amdhsa_user_sgpr_dispatch_id 0
		.amdhsa_user_sgpr_flat_scratch_init 0
		.amdhsa_user_sgpr_kernarg_preload_length 0
		.amdhsa_user_sgpr_kernarg_preload_offset 0
		.amdhsa_user_sgpr_private_segment_size 0
		.amdhsa_uses_dynamic_stack 0
		.amdhsa_system_sgpr_private_segment_wavefront_offset 0
		.amdhsa_system_sgpr_workgroup_id_x 1
		.amdhsa_system_sgpr_workgroup_id_y 0
		.amdhsa_system_sgpr_workgroup_id_z 0
		.amdhsa_system_sgpr_workgroup_info 0
		.amdhsa_system_vgpr_workitem_id 0
		.amdhsa_next_free_vgpr 54
		.amdhsa_next_free_sgpr 24
		.amdhsa_accum_offset 56
		.amdhsa_reserve_vcc 1
		.amdhsa_reserve_flat_scratch 0
		.amdhsa_float_round_mode_32 0
		.amdhsa_float_round_mode_16_64 0
		.amdhsa_float_denorm_mode_32 3
		.amdhsa_float_denorm_mode_16_64 3
		.amdhsa_dx10_clamp 1
		.amdhsa_ieee_mode 1
		.amdhsa_fp16_overflow 0
		.amdhsa_tg_split 0
		.amdhsa_exception_fp_ieee_invalid_op 0
		.amdhsa_exception_fp_denorm_src 0
		.amdhsa_exception_fp_ieee_div_zero 0
		.amdhsa_exception_fp_ieee_overflow 0
		.amdhsa_exception_fp_ieee_underflow 0
		.amdhsa_exception_fp_ieee_inexact 0
		.amdhsa_exception_int_div_zero 0
	.end_amdhsa_kernel
	.section	.text._ZN2at6native12_GLOBAL__N_125multi_tensor_apply_kernelINS1_18TensorListMetadataILi2EEENS1_14UnaryOpFunctorIN3c104HalfELi2ELi1ELi1EEEJNS0_4CoshIfEEEEEvT_T0_DpT1_,"axG",@progbits,_ZN2at6native12_GLOBAL__N_125multi_tensor_apply_kernelINS1_18TensorListMetadataILi2EEENS1_14UnaryOpFunctorIN3c104HalfELi2ELi1ELi1EEEJNS0_4CoshIfEEEEEvT_T0_DpT1_,comdat
.Lfunc_end84:
	.size	_ZN2at6native12_GLOBAL__N_125multi_tensor_apply_kernelINS1_18TensorListMetadataILi2EEENS1_14UnaryOpFunctorIN3c104HalfELi2ELi1ELi1EEEJNS0_4CoshIfEEEEEvT_T0_DpT1_, .Lfunc_end84-_ZN2at6native12_GLOBAL__N_125multi_tensor_apply_kernelINS1_18TensorListMetadataILi2EEENS1_14UnaryOpFunctorIN3c104HalfELi2ELi1ELi1EEEJNS0_4CoshIfEEEEEvT_T0_DpT1_
                                        ; -- End function
	.section	.AMDGPU.csdata,"",@progbits
; Kernel info:
; codeLenInByte = 5840
; NumSgprs: 28
; NumVgprs: 54
; NumAgprs: 0
; TotalNumVgprs: 54
; ScratchSize: 0
; MemoryBound: 0
; FloatMode: 240
; IeeeMode: 1
; LDSByteSize: 0 bytes/workgroup (compile time only)
; SGPRBlocks: 3
; VGPRBlocks: 6
; NumSGPRsForWavesPerEU: 28
; NumVGPRsForWavesPerEU: 54
; AccumOffset: 56
; Occupancy: 8
; WaveLimiterHint : 0
; COMPUTE_PGM_RSRC2:SCRATCH_EN: 0
; COMPUTE_PGM_RSRC2:USER_SGPR: 6
; COMPUTE_PGM_RSRC2:TRAP_HANDLER: 0
; COMPUTE_PGM_RSRC2:TGID_X_EN: 1
; COMPUTE_PGM_RSRC2:TGID_Y_EN: 0
; COMPUTE_PGM_RSRC2:TGID_Z_EN: 0
; COMPUTE_PGM_RSRC2:TIDIG_COMP_CNT: 0
; COMPUTE_PGM_RSRC3_GFX90A:ACCUM_OFFSET: 13
; COMPUTE_PGM_RSRC3_GFX90A:TG_SPLIT: 0
	.section	.text._ZN2at6native12_GLOBAL__N_125multi_tensor_apply_kernelINS1_18TensorListMetadataILi2EEENS1_14UnaryOpFunctorIN3c108BFloat16ELi2ELi1ELi1EEEJNS0_4CoshIfEEEEEvT_T0_DpT1_,"axG",@progbits,_ZN2at6native12_GLOBAL__N_125multi_tensor_apply_kernelINS1_18TensorListMetadataILi2EEENS1_14UnaryOpFunctorIN3c108BFloat16ELi2ELi1ELi1EEEJNS0_4CoshIfEEEEEvT_T0_DpT1_,comdat
	.globl	_ZN2at6native12_GLOBAL__N_125multi_tensor_apply_kernelINS1_18TensorListMetadataILi2EEENS1_14UnaryOpFunctorIN3c108BFloat16ELi2ELi1ELi1EEEJNS0_4CoshIfEEEEEvT_T0_DpT1_ ; -- Begin function _ZN2at6native12_GLOBAL__N_125multi_tensor_apply_kernelINS1_18TensorListMetadataILi2EEENS1_14UnaryOpFunctorIN3c108BFloat16ELi2ELi1ELi1EEEJNS0_4CoshIfEEEEEvT_T0_DpT1_
	.p2align	8
	.type	_ZN2at6native12_GLOBAL__N_125multi_tensor_apply_kernelINS1_18TensorListMetadataILi2EEENS1_14UnaryOpFunctorIN3c108BFloat16ELi2ELi1ELi1EEEJNS0_4CoshIfEEEEEvT_T0_DpT1_,@function
_ZN2at6native12_GLOBAL__N_125multi_tensor_apply_kernelINS1_18TensorListMetadataILi2EEENS1_14UnaryOpFunctorIN3c108BFloat16ELi2ELi1ELi1EEEJNS0_4CoshIfEEEEEvT_T0_DpT1_: ; @_ZN2at6native12_GLOBAL__N_125multi_tensor_apply_kernelINS1_18TensorListMetadataILi2EEENS1_14UnaryOpFunctorIN3c108BFloat16ELi2ELi1ELi1EEEJNS0_4CoshIfEEEEEvT_T0_DpT1_
; %bb.0:
	v_mov_b32_e32 v1, s6
	global_load_ubyte v1, v1, s[4:5] offset:1536
	s_add_u32 s0, s4, s6
	s_mul_hi_u32 s2, s6, 3
	s_mul_i32 s6, s6, 3
	s_addc_u32 s7, s5, 0
	s_add_u32 s8, s0, s6
	s_addc_u32 s9, s7, s2
	s_mov_b32 s1, 0
	s_mov_b32 s17, s1
	;; [unrolled: 1-line block ×3, first 2 shown]
	s_waitcnt vmcnt(0)
	v_readfirstlane_b32 s0, v1
	s_lshl_b32 s0, s0, 3
	s_load_dword s10, s[8:9], 0x740
	s_load_dwordx2 s[12:13], s[4:5], s0 offset:0x0
	s_load_dwordx2 s[14:15], s[4:5], s0 offset:0x400
	;; [unrolled: 1-line block ×3, first 2 shown]
	s_waitcnt lgkmcnt(0)
	s_ashr_i32 s11, s10, 31
	s_and_b32 s0, s12, 7
	s_and_b32 s16, s14, 3
	;; [unrolled: 1-line block ×3, first 2 shown]
	s_or_b64 s[16:17], s[0:1], s[16:17]
	s_lshl_b64 s[8:9], s[10:11], 17
	s_or_b64 s[2:3], s[2:3], s[16:17]
	s_lshl_b64 s[10:11], s[10:11], 16
	s_sub_u32 s10, s14, s10
	s_subb_u32 s11, s15, s11
	s_cmp_eq_u64 s[2:3], 0
	s_mov_b64 s[2:3], -1
	s_cbranch_scc0 .LBB85_5
; %bb.1:
	v_mov_b32_e32 v3, 0
	v_lshlrev_b32_e32 v2, 2, v0
	v_cmp_gt_i64_e32 vcc, s[10:11], v[2:3]
	s_and_saveexec_b64 s[14:15], vcc
	s_cbranch_execz .LBB85_4
; %bb.2:
	s_load_dword s0, s[4:5], 0xc5c
	v_lshlrev_b32_e32 v1, 3, v0
	v_mov_b32_e32 v2, s9
	v_add_co_u32_e32 v4, vcc, s8, v1
	s_waitcnt lgkmcnt(0)
	s_and_b32 s0, s0, 0xffff
	v_addc_co_u32_e32 v1, vcc, 0, v2, vcc
	s_lshl_b32 s18, s0, 3
	v_add_lshl_u32 v2, v0, s0, 2
	s_lshl_b32 s22, s0, 2
	s_mov_b64 s[16:17], 0
	v_mov_b32_e32 v5, s13
	s_mov_b32 s23, 0xbf317218
	v_mov_b32_e32 v16, 0x3d2aadcc
	v_mov_b32_e32 v17, 0x3e2aaa47
	;; [unrolled: 1-line block ×3, first 2 shown]
	s_mov_b32 s19, -1.0
	s_mov_b32 s24, 0x42b2d4fc
	v_mov_b32_e32 v19, 0x7f800000
	s_movk_i32 s25, 0x7fff
	v_mov_b32_e32 v20, s7
	v_mov_b32_e32 v21, 0x7fc00000
	;; [unrolled: 1-line block ×3, first 2 shown]
	s_mov_b64 s[20:21], 0xffff
	v_mov_b32_e32 v23, s1
	v_mov_b32_e32 v24, s1
	;; [unrolled: 1-line block ×3, first 2 shown]
	v_mov_b32_e32 v9, -1.0
	v_mov_b32_e32 v11, 1.0
.LBB85_3:                               ; =>This Inner Loop Header: Depth=1
	v_add_co_u32_e32 v12, vcc, s12, v4
	v_addc_co_u32_e32 v13, vcc, v5, v1, vcc
	global_load_dwordx2 v[12:13], v[12:13], off
	v_mov_b32_e32 v8, 0x3c091de6
	v_mov_b32_e32 v10, 0x3c091de6
	;; [unrolled: 1-line block ×4, first 2 shown]
	v_add_co_u32_e32 v14, vcc, s6, v4
	v_addc_co_u32_e32 v15, vcc, v20, v1, vcc
	v_cmp_le_i64_e32 vcc, s[10:11], v[2:3]
	v_cmp_lt_u64_e64 s[0:1], s[20:21], v[2:3]
	s_or_b64 s[0:1], vcc, s[0:1]
	v_add_co_u32_e64 v4, s[2:3], s18, v4
	v_addc_co_u32_e64 v1, s[2:3], v1, v23, s[2:3]
	v_add_co_u32_e64 v2, s[2:3], s22, v2
	s_and_b64 s[0:1], exec, s[0:1]
	v_addc_co_u32_e64 v3, s[2:3], v3, v24, s[2:3]
	s_or_b64 s[16:17], s[0:1], s[16:17]
	s_waitcnt vmcnt(0)
	v_lshlrev_b32_e32 v44, 16, v12
	v_and_b32_e32 v43, 0xffff0000, v12
	v_alignbit_b32 v12, v13, v12, 16
	v_add_f32_e64 v32, |v44|, s23
	v_and_b32_e32 v45, 0xffff0000, v13
	v_add_f32_e64 v33, |v43|, s23
	v_and_b32_e32 v46, 0xffff0000, v12
	v_sub_f32_e64 v13, v32, |v44|
	v_and_b32_e32 v6, 0x7fffffff, v44
	v_sub_f32_e64 v27, v33, |v43|
	v_add_f32_e64 v35, |v46|, s23
	v_sub_f32_e32 v12, v13, v32
	v_sub_f32_e32 v26, v27, v33
	v_sub_f32_e64 v31, v35, |v46|
	v_pk_add_f32 v[12:13], v[6:7], v[12:13]
	v_and_b32_e32 v6, 0x7fffffff, v43
	v_add_f32_e64 v34, |v45|, s23
	v_sub_f32_e32 v30, v31, v35
	v_sub_f32_e32 v36, v12, v13
	v_pk_add_f32 v[12:13], v[6:7], v[26:27]
	v_and_b32_e32 v6, 0x7fffffff, v46
	v_sub_f32_e64 v29, v34, |v45|
	v_add_f32_e32 v26, 0x3102e308, v36
	v_sub_f32_e32 v27, v12, v13
	v_pk_add_f32 v[12:13], v[6:7], v[30:31]
	v_sub_f32_e32 v28, v29, v34
	v_and_b32_e32 v6, 0x7fffffff, v45
	v_add_f32_e32 v30, v32, v26
	v_add_f32_e32 v27, 0x3102e308, v27
	v_sub_f32_e32 v31, v12, v13
	v_pk_add_f32 v[12:13], v[6:7], v[28:29]
	v_sub_f32_e32 v6, v32, v30
	v_mul_f32_e32 v28, 0x3fb8aa3b, v30
	v_add_f32_e32 v29, v33, v27
	v_add_f32_e32 v31, 0x3102e308, v31
	v_sub_f32_e32 v12, v12, v13
	v_add_f32_e32 v6, v26, v6
	v_rndne_f32_e32 v26, v28
	v_sub_f32_e32 v28, v33, v29
	v_mul_f32_e32 v32, 0x3fb8aa3b, v29
	v_add_f32_e32 v33, v35, v31
	v_add_f32_e32 v12, 0x3102e308, v12
	v_fmac_f32_e32 v30, 0xbf317200, v26
	v_mul_f32_e32 v36, 0x35bfbc00, v26
	v_mul_f32_e32 v13, 0x2ea39ef3, v26
	v_cvt_i32_f32_e32 v47, v26
	v_add_f32_e32 v26, v27, v28
	v_rndne_f32_e32 v28, v32
	v_sub_f32_e32 v32, v35, v33
	v_mul_f32_e32 v35, 0x3fb8aa3b, v33
	v_add_f32_e32 v37, v34, v12
	v_add_f32_e32 v38, v6, v30
	v_fmac_f32_e32 v29, 0xbf317200, v28
	v_add_f32_e32 v40, v31, v32
	v_rndne_f32_e32 v32, v35
	v_mul_f32_e32 v39, 0x35bfbc00, v28
	v_mul_f32_e32 v27, 0x2ea39ef3, v28
	v_cvt_i32_f32_e32 v48, v28
	v_sub_f32_e32 v34, v34, v37
	v_mul_f32_e32 v35, 0x3fb8aa3b, v37
	v_sub_f32_e32 v30, v30, v38
	v_sub_f32_e32 v28, v38, v36
	v_add_f32_e32 v41, v26, v29
	v_fmac_f32_e32 v33, 0xbf317200, v32
	v_mul_f32_e32 v49, 0x35bfbc00, v32
	v_mul_f32_e32 v31, 0x2ea39ef3, v32
	v_cvt_i32_f32_e32 v50, v32
	v_add_f32_e32 v12, v12, v34
	v_rndne_f32_e32 v34, v35
	v_add_f32_e32 v6, v6, v30
	v_sub_f32_e32 v30, v38, v28
	v_sub_f32_e32 v29, v29, v41
	v_sub_f32_e32 v32, v41, v39
	v_add_f32_e32 v38, v40, v33
	v_fmac_f32_e32 v37, 0xbf317200, v34
	v_sub_f32_e32 v30, v30, v36
	v_add_f32_e32 v26, v26, v29
	v_sub_f32_e32 v29, v41, v32
	v_sub_f32_e32 v33, v33, v38
	v_mul_f32_e32 v51, 0x35bfbc00, v34
	v_add_f32_e32 v6, v6, v30
	v_sub_f32_e32 v29, v29, v39
	v_sub_f32_e32 v36, v38, v49
	v_add_f32_e32 v30, v40, v33
	v_add_f32_e32 v33, v12, v37
	v_mul_f32_e32 v35, 0x2ea39ef3, v34
	v_cvt_i32_f32_e32 v52, v34
	v_sub_f32_e32 v34, v38, v36
	v_sub_f32_e32 v37, v37, v33
	v_add_f32_e32 v53, v26, v29
	v_sub_f32_e32 v38, v33, v51
	v_add_f32_e32 v29, v28, v6
	v_sub_f32_e32 v26, v34, v49
	v_add_f32_e32 v34, v12, v37
	v_sub_f32_e32 v37, v33, v38
	v_mov_b32_e32 v12, v29
	v_add_f32_e32 v33, v32, v53
	v_add_f32_e32 v49, v30, v26
	v_sub_f32_e32 v30, v37, v51
	v_pk_add_f32 v[40:41], v[28:29], v[12:13] neg_lo:[0,1] neg_hi:[0,1]
	v_mov_b32_e32 v26, v33
	v_add_f32_e32 v37, v36, v49
	v_add_f32_e32 v51, v34, v30
	v_sub_f32_e32 v12, v29, v41
	v_add_f32_e32 v6, v6, v40
	v_pk_add_f32 v[28:29], v[32:33], v[26:27] neg_lo:[0,1] neg_hi:[0,1]
	v_mov_b32_e32 v30, v37
	v_add_f32_e32 v39, v38, v51
	v_sub_f32_e32 v26, v12, v13
	v_sub_f32_e32 v32, v33, v29
	v_pk_add_f32 v[12:13], v[36:37], v[30:31] neg_lo:[0,1] neg_hi:[0,1]
	v_mov_b32_e32 v34, v39
	v_add_f32_e32 v6, v6, v26
	v_add_f32_e32 v28, v53, v28
	v_sub_f32_e32 v30, v32, v27
	v_sub_f32_e32 v32, v37, v13
	v_pk_add_f32 v[26:27], v[38:39], v[34:35] neg_lo:[0,1] neg_hi:[0,1]
	v_add_f32_e32 v33, v41, v6
	v_add_f32_e32 v12, v49, v12
	;; [unrolled: 1-line block ×3, first 2 shown]
	v_sub_f32_e32 v30, v32, v31
	v_sub_f32_e32 v31, v39, v27
	v_sub_f32_e32 v32, v41, v33
	v_add_f32_e32 v26, v51, v26
	v_fmac_f32_e32 v8, 0x3ab42872, v33
	v_mul_f32_e32 v34, v33, v33
	v_add_f32_e32 v36, v29, v28
	v_add_f32_e32 v12, v12, v30
	v_sub_f32_e32 v30, v31, v35
	v_add_f32_e32 v6, v6, v32
	v_fma_f32 v8, v33, v8, v16
	v_fma_f32 v31, v33, v33, -v34
	v_sub_f32_e32 v29, v29, v36
	v_add_f32_e32 v35, v13, v12
	v_add_f32_e32 v26, v26, v30
	;; [unrolled: 1-line block ×3, first 2 shown]
	v_fmac_f32_e32 v10, 0x3ab42872, v36
	v_mul_f32_e32 v32, v36, v36
	v_fma_f32 v8, v33, v8, v17
	v_add_f32_e32 v28, v28, v29
	v_sub_f32_e32 v13, v13, v35
	v_add_f32_e32 v38, v27, v26
	v_fmac_f32_e32 v31, v33, v30
	v_fma_f32 v10, v36, v10, v16
	v_fma_f32 v29, v36, v36, -v32
	v_fmac_f32_e32 v25, 0x3ab42872, v35
	v_mul_f32_e32 v37, v35, v35
	v_fma_f32 v8, v33, v8, v18
	v_add_f32_e32 v30, v28, v28
	v_add_f32_e32 v13, v12, v13
	v_fmac_f32_e32 v42, 0x3ab42872, v38
	v_sub_f32_e32 v27, v27, v38
	v_add_f32_e32 v40, v34, v31
	v_fma_f32 v10, v36, v10, v17
	v_fma_f32 v25, v35, v25, v16
	v_fma_f32 v12, v35, v35, -v37
	v_mul_f32_e32 v39, v38, v38
	v_fmac_f32_e32 v29, v36, v30
	v_add_f32_e32 v30, v13, v13
	v_fma_f32 v41, v38, v42, v16
	v_add_f32_e32 v42, v26, v27
	v_sub_f32_e32 v27, v40, v34
	v_mul_f32_e32 v34, v8, v40
	v_fma_f32 v10, v36, v10, v18
	v_fma_f32 v25, v35, v25, v17
	v_fma_f32 v26, v38, v38, -v39
	v_add_f32_e32 v49, v32, v29
	v_fmac_f32_e32 v12, v35, v30
	v_fma_f32 v30, v38, v41, v17
	v_add_f32_e32 v41, v42, v42
	v_sub_f32_e32 v27, v31, v27
	v_fma_f32 v31, v40, v8, -v34
	v_fma_f32 v25, v35, v25, v18
	v_sub_f32_e32 v32, v49, v32
	v_mul_f32_e32 v40, v10, v49
	v_add_f32_e32 v51, v37, v12
	v_fmac_f32_e32 v26, v38, v41
	v_fmac_f32_e32 v31, v27, v8
	v_fma_f32 v30, v38, v30, v18
	v_sub_f32_e32 v8, v29, v32
	v_fma_f32 v27, v49, v10, -v40
	v_sub_f32_e32 v29, v51, v37
	v_mul_f32_e32 v32, v25, v51
	v_add_f32_e32 v37, v39, v26
	v_add_f32_e32 v41, v34, v31
	v_fmac_f32_e32 v27, v8, v10
	v_sub_f32_e32 v10, v12, v29
	v_fma_f32 v29, v51, v25, -v32
	v_sub_f32_e32 v12, v37, v39
	v_mul_f32_e32 v39, v30, v37
	v_sub_f32_e32 v34, v41, v34
	v_add_f32_e32 v8, v33, v41
	v_add_f32_e32 v49, v40, v27
	v_fmac_f32_e32 v29, v10, v25
	v_sub_f32_e32 v10, v26, v12
	v_fma_f32 v25, v37, v30, -v39
	v_sub_f32_e32 v12, v31, v34
	v_sub_f32_e32 v26, v8, v33
	;; [unrolled: 1-line block ×3, first 2 shown]
	v_add_f32_e32 v33, v32, v29
	v_fmac_f32_e32 v25, v10, v30
	v_sub_f32_e32 v10, v41, v26
	v_add_f32_e32 v6, v6, v12
	v_sub_f32_e32 v26, v27, v31
	v_sub_f32_e32 v27, v33, v32
	v_add_f32_e32 v37, v39, v25
	v_add_f32_e32 v12, v6, v10
	;; [unrolled: 1-line block ×3, first 2 shown]
	v_sub_f32_e32 v10, v29, v27
	v_sub_f32_e32 v27, v37, v39
	v_add_f32_e32 v26, v8, v12
	v_sub_f32_e32 v25, v25, v27
	v_add_f32_e32 v27, 1.0, v26
	v_pk_add_f32 v[28:29], v[26:27], v[8:9] neg_lo:[0,1] neg_hi:[0,1]
	v_pk_add_f32 v[30:31], v[26:27], s[18:19]
	v_add_f32_e32 v8, v36, v49
	v_add_f32_e32 v10, v13, v10
	v_mov_b32_e32 v13, v26
	v_mov_b32_e32 v29, v31
	v_sub_f32_e32 v26, v8, v36
	v_pk_add_f32 v[12:13], v[12:13], v[28:29] neg_lo:[0,1] neg_hi:[0,1]
	v_sub_f32_e32 v26, v49, v26
	v_add_f32_e32 v28, v12, v13
	v_add_f32_e32 v12, v6, v26
	;; [unrolled: 1-line block ×4, first 2 shown]
	v_sub_f32_e32 v29, v6, v27
	v_ldexp_f32 v6, v6, v47
	v_add_f32_e32 v27, 1.0, v26
	v_sub_f32_e32 v32, v28, v29
	v_rcp_f32_e32 v39, v6
	v_pk_add_f32 v[28:29], v[26:27], v[8:9] neg_lo:[0,1] neg_hi:[0,1]
	v_pk_add_f32 v[30:31], v[26:27], s[18:19]
	v_mov_b32_e32 v13, v26
	v_add_f32_e32 v8, v35, v33
	v_mov_b32_e32 v29, v31
	v_sub_f32_e32 v26, v8, v35
	v_pk_add_f32 v[12:13], v[12:13], v[28:29] neg_lo:[0,1] neg_hi:[0,1]
	v_sub_f32_e32 v26, v33, v26
	v_add_f32_e32 v31, v12, v13
	v_add_f32_e32 v12, v10, v26
	v_mul_f32_e32 v26, v6, v39
	v_add_f32_e32 v10, v27, v31
	v_ldexp_f32 v40, v32, v47
	v_add_f32_e32 v28, v8, v12
	v_fma_f32 v30, v39, v6, -v26
	v_ldexp_f32 v41, v10, v48
	v_add_f32_e32 v25, v42, v25
	v_sub_f32_e32 v27, v10, v27
	v_add_f32_e32 v29, 1.0, v28
	v_fmac_f32_e32 v30, v39, v40
	v_rcp_f32_e32 v42, v41
	v_sub_f32_e32 v27, v31, v27
	v_pk_add_f32 v[32:33], v[28:29], v[8:9] neg_lo:[0,1] neg_hi:[0,1]
	v_pk_add_f32 v[34:35], v[28:29], s[18:19]
	v_add_f32_e32 v8, v38, v37
	v_add_f32_e32 v10, v26, v30
	v_mov_b32_e32 v13, v28
	v_ldexp_f32 v47, v27, v48
	v_mov_b32_e32 v33, v35
	v_sub_f32_e32 v28, v8, v38
	v_sub_f32_e32 v27, 1.0, v10
	v_mov_b32_e32 v31, v10
	v_pk_add_f32 v[12:13], v[12:13], v[32:33] neg_lo:[0,1] neg_hi:[0,1]
	v_sub_f32_e32 v28, v37, v28
	v_pk_add_f32 v[32:33], v[10:11], v[26:27] neg_lo:[0,1] neg_hi:[0,1]
	v_add_f32_e32 v10, v12, v13
	v_add_f32_e32 v12, v25, v28
	v_pk_add_f32 v[30:31], v[32:33], v[30:31] neg_lo:[0,1] neg_hi:[0,1]
	v_mul_f32_e32 v26, v41, v42
	v_add_f32_e32 v13, v29, v10
	v_add_f32_e32 v28, v8, v12
	;; [unrolled: 1-line block ×3, first 2 shown]
	v_fma_f32 v30, v42, v41, -v26
	v_sub_f32_e32 v31, v13, v29
	v_ldexp_f32 v38, v13, v50
	v_add_f32_e32 v29, 1.0, v28
	v_add_f32_e32 v33, v27, v25
	v_fmac_f32_e32 v30, v42, v47
	v_sub_f32_e32 v31, v10, v31
	v_rcp_f32_e32 v48, v38
	v_pk_add_f32 v[34:35], v[28:29], v[8:9] neg_lo:[0,1] neg_hi:[0,1]
	v_pk_add_f32 v[36:37], v[28:29], s[18:19]
	v_mul_f32_e32 v8, v39, v33
	v_sub_f32_e32 v27, v27, v33
	v_add_f32_e32 v10, v26, v30
	v_mov_b32_e32 v13, v28
	v_mov_b32_e32 v35, v37
	v_mul_f32_e32 v28, v6, v8
	v_add_f32_e32 v25, v25, v27
	v_sub_f32_e32 v27, 1.0, v10
	v_ldexp_f32 v49, v31, v50
	v_add_f32_e32 v50, v39, v8
	v_mov_b32_e32 v31, v10
	v_pk_add_f32 v[12:13], v[12:13], v[34:35] neg_lo:[0,1] neg_hi:[0,1]
	v_fma_f32 v34, v8, v6, -v28
	v_pk_add_f32 v[36:37], v[10:11], v[26:27] neg_lo:[0,1] neg_hi:[0,1]
	v_sub_f32_e32 v32, v50, v39
	v_add_f32_e32 v10, v12, v13
	v_fmac_f32_e32 v34, v8, v40
	v_pk_add_f32 v[12:13], v[36:37], v[30:31] neg_lo:[0,1] neg_hi:[0,1]
	v_sub_f32_e32 v8, v8, v32
	v_mul_f32_e32 v26, v38, v48
	v_add_f32_e32 v30, v29, v10
	v_add_f32_e32 v32, v28, v34
	;; [unrolled: 1-line block ×3, first 2 shown]
	v_fma_f32 v12, v48, v38, -v26
	v_sub_f32_e32 v36, v30, v29
	v_ldexp_f32 v37, v30, v52
	v_sub_f32_e32 v29, v33, v32
	v_add_f32_e32 v31, v27, v13
	v_mov_b32_e32 v35, v32
	v_fmac_f32_e32 v12, v48, v49
	v_sub_f32_e32 v30, v10, v36
	v_rcp_f32_e32 v36, v37
	v_pk_add_f32 v[32:33], v[32:33], v[28:29] neg_lo:[0,1] neg_hi:[0,1]
	v_mul_f32_e32 v51, v42, v31
	v_sub_f32_e32 v27, v27, v31
	v_add_f32_e32 v10, v26, v12
	v_pk_add_f32 v[32:33], v[32:33], v[34:35] neg_lo:[0,1] neg_hi:[0,1]
	v_mul_f32_e32 v28, v41, v51
	v_add_f32_e32 v53, v13, v27
	v_add_f32_e32 v54, v42, v51
	v_sub_f32_e32 v27, 1.0, v10
	v_add_f32_e32 v25, v25, v33
	v_fma_f32 v34, v51, v41, -v28
	v_ldexp_f32 v52, v30, v52
	v_mov_b32_e32 v13, v10
	v_add_f32_e32 v25, v32, v25
	v_sub_f32_e32 v30, v54, v42
	v_fmac_f32_e32 v34, v51, v47
	v_pk_add_f32 v[32:33], v[10:11], v[26:27] neg_lo:[0,1] neg_hi:[0,1]
	v_sub_f32_e32 v51, v51, v30
	v_pk_add_f32 v[12:13], v[32:33], v[12:13] neg_lo:[0,1] neg_hi:[0,1]
	v_mul_f32_e32 v26, v37, v36
	v_add_f32_e32 v30, v28, v34
	v_add_f32_e32 v10, v29, v25
	;; [unrolled: 1-line block ×3, first 2 shown]
	v_fma_f32 v12, v36, v37, -v26
	v_sub_f32_e32 v29, v31, v30
	v_mul_f32_e32 v10, v39, v10
	v_mov_b32_e32 v35, v30
	v_add_f32_e32 v33, v27, v13
	v_fmac_f32_e32 v12, v36, v52
	v_pk_add_f32 v[30:31], v[30:31], v[28:29] neg_lo:[0,1] neg_hi:[0,1]
	v_add_f32_e32 v8, v8, v10
	v_sub_f32_e32 v27, v27, v33
	v_add_f32_e32 v10, v26, v12
	v_pk_add_f32 v[30:31], v[30:31], v[34:35] neg_lo:[0,1] neg_hi:[0,1]
	v_mul_f32_e32 v25, v48, v33
	v_add_f32_e32 v32, v50, v8
	v_add_f32_e32 v34, v13, v27
	v_sub_f32_e32 v27, 1.0, v10
	v_add_f32_e32 v31, v53, v31
	v_mul_f32_e32 v28, v38, v25
	v_add_f32_e32 v35, v48, v25
	v_mov_b32_e32 v13, v10
	v_sub_f32_e32 v39, v32, v50
	v_ldexp_f32 v50, v32, -2
	v_add_f32_e32 v32, v30, v31
	v_pk_add_f32 v[30:31], v[10:11], v[26:27] neg_lo:[0,1] neg_hi:[0,1]
	v_pk_add_f32 v[12:13], v[30:31], v[12:13] neg_lo:[0,1] neg_hi:[0,1]
	v_fma_f32 v30, v25, v38, -v28
	v_sub_f32_e32 v10, v35, v48
	v_sub_f32_e32 v8, v8, v39
	v_fmac_f32_e32 v30, v25, v49
	v_sub_f32_e32 v10, v25, v10
	v_add_f32_e32 v25, v6, v50
	v_ldexp_f32 v8, v8, -2
	v_sub_f32_e32 v6, v25, v6
	v_add_f32_e32 v26, v29, v32
	v_add_f32_e32 v32, v28, v30
	;; [unrolled: 1-line block ×3, first 2 shown]
	v_sub_f32_e32 v6, v50, v6
	v_add_f32_e32 v8, v40, v8
	v_mul_f32_e32 v26, v42, v26
	v_sub_f32_e32 v29, v33, v32
	v_add_f32_e32 v13, v27, v12
	v_mov_b32_e32 v31, v32
	v_add_f32_e32 v6, v8, v6
	v_add_f32_e32 v8, v51, v26
	v_pk_add_f32 v[32:33], v[32:33], v[28:29] neg_lo:[0,1] neg_hi:[0,1]
	v_mul_f32_e32 v39, v36, v13
	v_sub_f32_e32 v40, v27, v13
	v_add_f32_e32 v6, v25, v6
	v_add_f32_e32 v25, v54, v8
	v_pk_add_f32 v[26:27], v[32:33], v[30:31] neg_lo:[0,1] neg_hi:[0,1]
	v_mul_f32_e32 v28, v37, v39
	v_add_f32_e32 v32, v12, v40
	v_add_f32_e32 v33, v36, v39
	v_cmp_ngt_f32_e64 vcc, |v44|, s24
	v_sub_f32_e32 v12, v25, v54
	v_ldexp_f32 v25, v25, -2
	v_add_f32_e32 v27, v34, v27
	v_fma_f32 v30, v39, v37, -v28
	v_cndmask_b32_e32 v6, v19, v6, vcc
	v_sub_f32_e32 v31, v33, v36
	v_sub_f32_e32 v8, v8, v12
	v_add_f32_e32 v40, v41, v25
	v_add_f32_e32 v12, v26, v27
	v_fmac_f32_e32 v30, v39, v52
	v_bfe_u32 v34, v6, 16, 1
	v_sub_f32_e32 v26, v39, v31
	v_ldexp_f32 v8, v8, -2
	v_sub_f32_e32 v31, v40, v41
	v_add_f32_e32 v29, v29, v12
	v_add_f32_e32 v12, v28, v30
	v_add3_u32 v27, v6, v34, s25
	v_sub_f32_e32 v25, v25, v31
	v_add_f32_e32 v8, v47, v8
	v_mul_f32_e32 v34, v48, v29
	v_sub_f32_e32 v29, v13, v12
	v_lshrrev_b32_e32 v27, 16, v27
	v_mov_b32_e32 v31, v12
	v_cmp_o_f32_e32 vcc, v6, v6
	v_add_f32_e32 v6, v8, v25
	v_add_f32_e32 v8, v10, v34
	v_pk_add_f32 v[12:13], v[12:13], v[28:29] neg_lo:[0,1] neg_hi:[0,1]
	v_cndmask_b32_e32 v10, v22, v27, vcc
	v_add_f32_e32 v6, v40, v6
	v_add_f32_e32 v25, v35, v8
	v_pk_add_f32 v[12:13], v[12:13], v[30:31] neg_lo:[0,1] neg_hi:[0,1]
	v_cmp_ngt_f32_e64 vcc, |v43|, s24
	v_cndmask_b32_e32 v6, v19, v6, vcc
	v_sub_f32_e32 v27, v25, v35
	v_ldexp_f32 v25, v25, -2
	v_add_f32_e32 v13, v32, v13
	v_bfe_u32 v28, v6, 16, 1
	v_sub_f32_e32 v8, v8, v27
	v_add_f32_e32 v27, v38, v25
	v_add_f32_e32 v12, v12, v13
	v_add3_u32 v13, v6, v28, s25
	v_ldexp_f32 v8, v8, -2
	v_sub_f32_e32 v28, v27, v38
	v_add_f32_e32 v12, v29, v12
	v_sub_f32_e32 v25, v25, v28
	v_add_f32_e32 v8, v49, v8
	v_mul_f32_e32 v12, v36, v12
	v_and_b32_e32 v13, 0xffff0000, v13
	v_cmp_o_f32_e32 vcc, v6, v6
	v_add_f32_e32 v6, v8, v25
	v_add_f32_e32 v8, v26, v12
	v_cndmask_b32_e32 v12, v21, v13, vcc
	v_add_f32_e32 v13, v33, v8
	v_add_f32_e32 v6, v27, v6
	v_cmp_ngt_f32_e64 vcc, |v46|, s24
	v_sub_f32_e32 v25, v13, v33
	v_ldexp_f32 v13, v13, -2
	v_or_b32_e32 v10, v10, v12
	v_cndmask_b32_e32 v6, v19, v6, vcc
	v_sub_f32_e32 v8, v8, v25
	v_add_f32_e32 v25, v37, v13
	v_or3_b32 v12, v10, 0, 0
	v_bfe_u32 v10, v6, 16, 1
	v_ldexp_f32 v8, v8, -2
	v_sub_f32_e32 v26, v25, v37
	v_add3_u32 v10, v6, v10, s25
	v_sub_f32_e32 v13, v13, v26
	v_add_f32_e32 v8, v52, v8
	v_lshrrev_b32_e32 v10, 16, v10
	v_cmp_o_f32_e32 vcc, v6, v6
	v_add_f32_e32 v6, v8, v13
	v_cndmask_b32_e32 v8, v22, v10, vcc
	v_add_f32_e32 v6, v25, v6
	v_cmp_ngt_f32_e64 vcc, |v45|, s24
	v_cndmask_b32_e32 v6, v19, v6, vcc
	v_bfe_u32 v10, v6, 16, 1
	v_add3_u32 v10, v6, v10, s25
	v_and_b32_e32 v10, 0xffff0000, v10
	v_cmp_o_f32_e32 vcc, v6, v6
	v_cndmask_b32_e32 v6, v21, v10, vcc
	v_or3_b32 v13, 0, v8, v6
	global_store_dwordx2 v[14:15], v[12:13], off
	s_andn2_b64 exec, exec, s[16:17]
	s_cbranch_execnz .LBB85_3
.LBB85_4:
	s_or_b64 exec, exec, s[14:15]
	s_mov_b64 s[2:3], 0
.LBB85_5:
	s_andn2_b64 vcc, exec, s[2:3]
	s_cbranch_vccnz .LBB85_25
; %bb.6:
	v_cmp_lt_i64_e64 s[0:1], s[10:11], 1
	s_and_b64 vcc, exec, s[0:1]
	s_cbranch_vccnz .LBB85_25
; %bb.7:
	s_load_dword s0, s[4:5], 0xc5c
	v_mov_b32_e32 v2, 0x10000
	v_mov_b32_e32 v3, 0
	v_cmp_lt_u64_e32 vcc, s[10:11], v[2:3]
	v_lshlrev_b32_e32 v10, 1, v0
	s_waitcnt lgkmcnt(0)
	s_and_b32 s2, s0, 0xffff
	s_and_b64 s[0:1], vcc, exec
	v_mov_b32_e32 v13, s13
	v_add_co_u32_e32 v2, vcc, s12, v10
	v_addc_co_u32_e32 v1, vcc, 0, v13, vcc
	v_mov_b32_e32 v11, 0
	v_mov_b32_e32 v15, s7
	v_add_co_u32_e32 v4, vcc, s6, v10
	v_addc_co_u32_e32 v3, vcc, 0, v15, vcc
	v_mad_u64_u32 v[8:9], s[0:1], s2, 6, v[10:11]
	v_add_co_u32_e32 v6, vcc, s12, v8
	v_addc_co_u32_e32 v5, vcc, v13, v9, vcc
	v_add_co_u32_e32 v8, vcc, s6, v8
	s_mul_i32 s4, s2, 3
	v_addc_co_u32_e32 v7, vcc, v15, v9, vcc
	s_cselect_b32 s15, s11, 0
	s_cselect_b32 s14, s10, 0x10000
	s_lshl_b32 s20, s2, 2
	v_add_co_u32_e32 v17, vcc, s4, v0
	v_addc_co_u32_e64 v24, s[0:1], 0, 0, vcc
	v_add_co_u32_e32 v11, vcc, s20, v10
	v_addc_co_u32_e64 v14, s[0:1], 0, 0, vcc
	v_add_co_u32_e32 v10, vcc, s12, v11
	v_addc_co_u32_e32 v9, vcc, v13, v14, vcc
	v_add_co_u32_e32 v12, vcc, s6, v11
	s_lshl_b32 s3, s2, 1
	v_addc_co_u32_e32 v11, vcc, v15, v14, vcc
	v_add_co_u32_e32 v25, vcc, s3, v0
	v_addc_co_u32_e64 v26, s[0:1], 0, 0, vcc
	v_add_co_u32_e32 v27, vcc, s2, v0
	v_lshlrev_b32_e32 v16, 1, v27
	v_addc_co_u32_e64 v28, s[0:1], 0, 0, vcc
	v_add_co_u32_e32 v14, vcc, s12, v16
	v_addc_co_u32_e32 v13, vcc, 0, v13, vcc
	v_add_co_u32_e32 v16, vcc, s6, v16
	s_mov_b32 s16, 0
	s_lshl_b32 s21, s2, 3
	v_addc_co_u32_e32 v15, vcc, 0, v15, vcc
	s_mov_b64 s[12:13], 0
	s_mov_b32 s22, 0xbf317218
	v_mov_b32_e32 v19, 0x3f317218
	v_mov_b32_e32 v29, 0x3d2aadcc
	;; [unrolled: 1-line block ×4, first 2 shown]
	s_mov_b32 s17, -1.0
	s_mov_b32 s23, 0x42b2d4fc
	s_movk_i32 s24, 0x7fff
	v_mov_b32_e32 v21, -1.0
	v_mov_b32_e32 v23, 1.0
	v_mov_b32_e32 v32, 0x7f800000
	v_mov_b32_e32 v33, 0x7fc0
	s_branch .LBB85_9
.LBB85_8:                               ;   in Loop: Header=BB85_9 Depth=1
	s_or_b64 exec, exec, s[0:1]
	s_add_u32 s12, s12, s20
	s_addc_u32 s13, s13, 0
	s_waitcnt vmcnt(0)
	v_pk_mov_b32 v[34:35], s[10:11], s[10:11] op_sel:[0,1]
	v_cmp_ge_i64_e32 vcc, s[12:13], v[34:35]
	v_mov_b32_e32 v34, 0xffff
	v_mov_b32_e32 v35, 0
	v_cmp_gt_u64_e64 s[0:1], s[12:13], v[34:35]
	s_or_b64 s[0:1], vcc, s[0:1]
	v_mov_b32_e32 v18, s16
	v_add_co_u32_e32 v2, vcc, s21, v2
	v_addc_co_u32_e32 v1, vcc, v1, v18, vcc
	v_add_co_u32_e32 v4, vcc, s21, v4
	v_addc_co_u32_e32 v3, vcc, v3, v18, vcc
	;; [unrolled: 2-line block ×8, first 2 shown]
	s_and_b64 vcc, exec, s[0:1]
	s_cbranch_vccnz .LBB85_25
.LBB85_9:                               ; =>This Inner Loop Header: Depth=1
	v_mov_b32_e32 v18, s13
	v_add_co_u32_e32 v34, vcc, s12, v0
	v_addc_co_u32_e32 v35, vcc, 0, v18, vcc
	v_cmp_gt_u64_e64 s[4:5], s[14:15], v[34:35]
	v_mov_b32_e32 v18, 0
	s_and_saveexec_b64 s[0:1], s[4:5]
	s_cbranch_execz .LBB85_11
; %bb.10:                               ;   in Loop: Header=BB85_9 Depth=1
	v_mov_b32_e32 v18, s9
	v_add_co_u32_e32 v34, vcc, s8, v2
	v_addc_co_u32_e32 v35, vcc, v1, v18, vcc
	global_load_ushort v18, v[34:35], off
.LBB85_11:                              ;   in Loop: Header=BB85_9 Depth=1
	s_or_b64 exec, exec, s[0:1]
	v_mov_b32_e32 v20, s13
	v_add_co_u32_e32 v34, vcc, s12, v27
	v_addc_co_u32_e32 v35, vcc, v28, v20, vcc
	v_cmp_gt_u64_e64 s[2:3], s[14:15], v[34:35]
	v_mov_b32_e32 v36, 0
	s_and_saveexec_b64 s[0:1], s[2:3]
	s_cbranch_execz .LBB85_13
; %bb.12:                               ;   in Loop: Header=BB85_9 Depth=1
	v_mov_b32_e32 v20, s9
	v_add_co_u32_e32 v34, vcc, s8, v14
	v_addc_co_u32_e32 v35, vcc, v13, v20, vcc
	global_load_ushort v36, v[34:35], off
.LBB85_13:                              ;   in Loop: Header=BB85_9 Depth=1
	s_or_b64 exec, exec, s[0:1]
	v_mov_b32_e32 v20, s13
	v_add_co_u32_e32 v34, vcc, s12, v25
	v_addc_co_u32_e32 v35, vcc, v26, v20, vcc
	v_cmp_gt_u64_e64 s[0:1], s[14:15], v[34:35]
	v_mov_b32_e32 v34, 0
	v_mov_b32_e32 v35, 0
	s_and_saveexec_b64 s[6:7], s[0:1]
	s_cbranch_execz .LBB85_15
; %bb.14:                               ;   in Loop: Header=BB85_9 Depth=1
	v_mov_b32_e32 v20, s9
	v_add_co_u32_e32 v38, vcc, s8, v10
	v_addc_co_u32_e32 v39, vcc, v9, v20, vcc
	global_load_ushort v35, v[38:39], off
.LBB85_15:                              ;   in Loop: Header=BB85_9 Depth=1
	s_or_b64 exec, exec, s[6:7]
	v_mov_b32_e32 v20, s13
	v_add_co_u32_e32 v38, vcc, s12, v17
	v_addc_co_u32_e32 v39, vcc, v24, v20, vcc
	v_cmp_gt_u64_e32 vcc, s[14:15], v[38:39]
	s_and_saveexec_b64 s[18:19], vcc
	s_cbranch_execnz .LBB85_20
; %bb.16:                               ;   in Loop: Header=BB85_9 Depth=1
	s_or_b64 exec, exec, s[18:19]
	s_and_saveexec_b64 s[6:7], s[4:5]
	s_cbranch_execnz .LBB85_21
.LBB85_17:                              ;   in Loop: Header=BB85_9 Depth=1
	s_or_b64 exec, exec, s[6:7]
	s_and_saveexec_b64 s[4:5], s[2:3]
	s_cbranch_execnz .LBB85_22
.LBB85_18:                              ;   in Loop: Header=BB85_9 Depth=1
	s_or_b64 exec, exec, s[4:5]
	s_and_saveexec_b64 s[2:3], s[0:1]
	s_cbranch_execnz .LBB85_23
.LBB85_19:                              ;   in Loop: Header=BB85_9 Depth=1
	s_or_b64 exec, exec, s[2:3]
	s_and_saveexec_b64 s[0:1], vcc
	s_cbranch_execz .LBB85_8
	s_branch .LBB85_24
.LBB85_20:                              ;   in Loop: Header=BB85_9 Depth=1
	v_mov_b32_e32 v20, s9
	v_add_co_u32_e64 v38, s[6:7], s8, v6
	v_addc_co_u32_e64 v39, s[6:7], v5, v20, s[6:7]
	global_load_ushort v34, v[38:39], off
	s_or_b64 exec, exec, s[18:19]
	s_and_saveexec_b64 s[6:7], s[4:5]
	s_cbranch_execz .LBB85_17
.LBB85_21:                              ;   in Loop: Header=BB85_9 Depth=1
	s_waitcnt vmcnt(0)
	v_lshlrev_b32_e32 v37, 16, v18
	v_add_f32_e64 v20, |v37|, s22
	v_sub_f32_e64 v39, v20, |v37|
	v_and_b32_e32 v18, 0x7fffffff, v37
	v_sub_f32_e32 v38, v39, v20
	v_pk_add_f32 v[38:39], v[18:19], v[38:39]
	v_sub_f32_e32 v18, v38, v39
	v_add_f32_e32 v18, 0x3102e308, v18
	v_add_f32_e32 v22, v20, v18
	v_sub_f32_e32 v20, v20, v22
	v_add_f32_e32 v18, v18, v20
	v_mul_f32_e32 v20, 0x3fb8aa3b, v22
	v_rndne_f32_e32 v46, v20
	v_fmac_f32_e32 v22, 0xbf317200, v46
	v_add_f32_e32 v20, v18, v22
	v_mul_f32_e32 v38, 0x35bfbc00, v46
	v_sub_f32_e32 v40, v20, v38
	v_sub_f32_e32 v22, v22, v20
	v_sub_f32_e32 v20, v20, v40
	v_add_f32_e32 v18, v18, v22
	v_sub_f32_e32 v20, v20, v38
	v_add_f32_e32 v18, v18, v20
	v_add_f32_e32 v41, v40, v18
	v_mul_f32_e32 v39, 0x2ea39ef3, v46
	v_mov_b32_e32 v38, v41
	v_pk_add_f32 v[42:43], v[40:41], v[38:39] neg_lo:[0,1] neg_hi:[0,1]
	v_sub_f32_e32 v20, v41, v43
	v_sub_f32_e32 v20, v20, v39
	v_add_f32_e32 v18, v18, v42
	v_add_f32_e32 v18, v18, v20
	;; [unrolled: 1-line block ×3, first 2 shown]
	v_mov_b32_e32 v20, 0x3c091de6
	v_sub_f32_e32 v39, v43, v22
	v_fmac_f32_e32 v20, 0x3ab42872, v22
	v_mul_f32_e32 v38, v22, v22
	v_add_f32_e32 v18, v18, v39
	v_fma_f32 v20, v22, v20, v29
	v_add_f32_e32 v39, v18, v18
	v_fma_f32 v40, v22, v22, -v38
	v_fma_f32 v20, v22, v20, v30
	v_fmac_f32_e32 v40, v22, v39
	v_fma_f32 v20, v22, v20, v31
	v_add_f32_e32 v39, v38, v40
	v_mul_f32_e32 v41, v20, v39
	v_sub_f32_e32 v38, v39, v38
	v_sub_f32_e32 v38, v40, v38
	v_fma_f32 v39, v39, v20, -v41
	v_fmac_f32_e32 v39, v38, v20
	v_add_f32_e32 v38, v41, v39
	v_add_f32_e32 v20, v22, v38
	v_sub_f32_e32 v40, v38, v41
	v_sub_f32_e32 v39, v39, v40
	;; [unrolled: 1-line block ×3, first 2 shown]
	v_add_f32_e32 v18, v18, v39
	v_sub_f32_e32 v22, v38, v22
	v_add_f32_e32 v38, v18, v22
	v_add_f32_e32 v40, v20, v38
	v_add_f32_e32 v41, 1.0, v40
	v_pk_add_f32 v[42:43], v[40:41], v[20:21] neg_lo:[0,1] neg_hi:[0,1]
	v_pk_add_f32 v[44:45], v[40:41], s[16:17]
	v_mov_b32_e32 v43, v45
	v_mov_b32_e32 v39, v40
	v_cvt_i32_f32_e32 v18, v46
	v_pk_add_f32 v[38:39], v[38:39], v[42:43] neg_lo:[0,1] neg_hi:[0,1]
	v_add_f32_e32 v20, v38, v39
	v_add_f32_e32 v22, v41, v20
	v_ldexp_f32 v46, v22, v18
	v_rcp_f32_e32 v47, v46
	v_sub_f32_e32 v22, v22, v41
	v_sub_f32_e32 v20, v20, v22
	v_ldexp_f32 v18, v20, v18
	v_mul_f32_e32 v38, v46, v47
	v_fma_f32 v40, v47, v46, -v38
	v_fmac_f32_e32 v40, v47, v18
	v_add_f32_e32 v22, v38, v40
	v_sub_f32_e32 v39, 1.0, v22
	v_pk_add_f32 v[42:43], v[22:23], v[38:39] neg_lo:[0,1] neg_hi:[0,1]
	v_mov_b32_e32 v41, v22
	v_pk_add_f32 v[40:41], v[42:43], v[40:41] neg_lo:[0,1] neg_hi:[0,1]
	v_add_f32_e32 v20, v40, v41
	v_add_f32_e32 v41, v39, v20
	v_mul_f32_e32 v22, v47, v41
	v_add_f32_e32 v48, v47, v22
	v_sub_f32_e32 v38, v48, v47
	v_mul_f32_e32 v42, v46, v22
	v_sub_f32_e32 v49, v22, v38
	v_fma_f32 v38, v22, v46, -v42
	v_fmac_f32_e32 v38, v22, v18
	v_add_f32_e32 v40, v42, v38
	v_sub_f32_e32 v43, v41, v40
	v_sub_f32_e32 v22, v39, v41
	v_pk_add_f32 v[44:45], v[40:41], v[42:43] neg_lo:[0,1] neg_hi:[0,1]
	v_mov_b32_e32 v39, v40
	v_add_f32_e32 v20, v20, v22
	v_pk_add_f32 v[38:39], v[44:45], v[38:39] neg_lo:[0,1] neg_hi:[0,1]
	v_add_f32_e32 v20, v20, v39
	v_add_f32_e32 v20, v38, v20
	v_add_f32_e32 v20, v43, v20
	v_mul_f32_e32 v20, v47, v20
	v_add_f32_e32 v20, v49, v20
	v_add_f32_e32 v22, v48, v20
	v_ldexp_f32 v38, v22, -2
	v_sub_f32_e32 v22, v22, v48
	v_sub_f32_e32 v20, v20, v22
	v_add_f32_e32 v39, v46, v38
	v_ldexp_f32 v20, v20, -2
	v_add_f32_e32 v18, v18, v20
	v_sub_f32_e32 v20, v39, v46
	v_sub_f32_e32 v20, v38, v20
	v_add_f32_e32 v18, v18, v20
	v_add_f32_e32 v18, v39, v18
	v_cmp_ngt_f32_e64 s[4:5], |v37|, s23
	v_cndmask_b32_e64 v18, v32, v18, s[4:5]
	v_bfe_u32 v20, v18, 16, 1
	v_add3_u32 v20, v18, v20, s24
	v_lshrrev_b32_e32 v20, 16, v20
	v_cmp_o_f32_e64 s[4:5], v18, v18
	v_cndmask_b32_e64 v18, v33, v20, s[4:5]
	v_mov_b32_e32 v20, s9
	v_add_co_u32_e64 v38, s[4:5], s8, v4
	v_addc_co_u32_e64 v39, s[4:5], v3, v20, s[4:5]
	global_store_short v[38:39], v18, off
	s_or_b64 exec, exec, s[6:7]
	s_and_saveexec_b64 s[4:5], s[2:3]
	s_cbranch_execz .LBB85_18
.LBB85_22:                              ;   in Loop: Header=BB85_9 Depth=1
	s_waitcnt vmcnt(0)
	v_lshlrev_b32_e32 v44, 16, v36
	v_add_f32_e64 v20, |v44|, s22
	v_sub_f32_e64 v37, v20, |v44|
	v_and_b32_e32 v18, 0x7fffffff, v44
	v_sub_f32_e32 v36, v37, v20
	v_pk_add_f32 v[36:37], v[18:19], v[36:37]
	v_sub_f32_e32 v18, v36, v37
	v_add_f32_e32 v18, 0x3102e308, v18
	v_add_f32_e32 v22, v20, v18
	v_sub_f32_e32 v20, v20, v22
	v_add_f32_e32 v18, v18, v20
	v_mul_f32_e32 v20, 0x3fb8aa3b, v22
	v_rndne_f32_e32 v45, v20
	v_fmac_f32_e32 v22, 0xbf317200, v45
	v_add_f32_e32 v20, v18, v22
	v_sub_f32_e32 v22, v22, v20
	v_add_f32_e32 v18, v18, v22
	v_mul_f32_e32 v22, 0x35bfbc00, v45
	v_sub_f32_e32 v38, v20, v22
	v_sub_f32_e32 v20, v20, v38
	;; [unrolled: 1-line block ×3, first 2 shown]
	v_add_f32_e32 v18, v18, v20
	v_add_f32_e32 v39, v38, v18
	v_mul_f32_e32 v37, 0x2ea39ef3, v45
	v_mov_b32_e32 v36, v39
	v_pk_add_f32 v[40:41], v[38:39], v[36:37] neg_lo:[0,1] neg_hi:[0,1]
	v_sub_f32_e32 v20, v39, v41
	v_sub_f32_e32 v20, v20, v37
	v_add_f32_e32 v18, v18, v40
	v_add_f32_e32 v18, v18, v20
	;; [unrolled: 1-line block ×3, first 2 shown]
	v_sub_f32_e32 v36, v41, v22
	v_mov_b32_e32 v20, 0x3c091de6
	v_add_f32_e32 v18, v18, v36
	v_mul_f32_e32 v37, v22, v22
	v_fmac_f32_e32 v20, 0x3ab42872, v22
	v_add_f32_e32 v36, v18, v18
	v_fma_f32 v38, v22, v22, -v37
	v_fma_f32 v20, v22, v20, v29
	v_fmac_f32_e32 v38, v22, v36
	v_fma_f32 v20, v22, v20, v30
	v_add_f32_e32 v36, v37, v38
	v_fma_f32 v20, v22, v20, v31
	v_sub_f32_e32 v37, v36, v37
	v_sub_f32_e32 v37, v38, v37
	v_mul_f32_e32 v38, v20, v36
	v_fma_f32 v36, v36, v20, -v38
	v_fmac_f32_e32 v36, v37, v20
	v_add_f32_e32 v37, v38, v36
	v_sub_f32_e32 v20, v37, v38
	v_sub_f32_e32 v36, v36, v20
	v_add_f32_e32 v20, v22, v37
	v_sub_f32_e32 v22, v20, v22
	v_sub_f32_e32 v22, v37, v22
	v_add_f32_e32 v18, v18, v36
	v_add_f32_e32 v36, v18, v22
	;; [unrolled: 1-line block ×3, first 2 shown]
	v_add_f32_e32 v39, 1.0, v38
	v_pk_add_f32 v[40:41], v[38:39], v[20:21] neg_lo:[0,1] neg_hi:[0,1]
	v_pk_add_f32 v[42:43], v[38:39], s[16:17]
	v_mov_b32_e32 v41, v43
	v_mov_b32_e32 v37, v38
	v_cvt_i32_f32_e32 v18, v45
	v_pk_add_f32 v[36:37], v[36:37], v[40:41] neg_lo:[0,1] neg_hi:[0,1]
	v_add_f32_e32 v20, v36, v37
	v_add_f32_e32 v22, v39, v20
	v_ldexp_f32 v45, v22, v18
	v_rcp_f32_e32 v46, v45
	v_sub_f32_e32 v22, v22, v39
	v_sub_f32_e32 v20, v20, v22
	v_ldexp_f32 v18, v20, v18
	v_mul_f32_e32 v36, v45, v46
	v_fma_f32 v38, v46, v45, -v36
	v_fmac_f32_e32 v38, v46, v18
	v_add_f32_e32 v22, v36, v38
	v_sub_f32_e32 v37, 1.0, v22
	v_pk_add_f32 v[40:41], v[22:23], v[36:37] neg_lo:[0,1] neg_hi:[0,1]
	v_mov_b32_e32 v39, v22
	v_pk_add_f32 v[38:39], v[40:41], v[38:39] neg_lo:[0,1] neg_hi:[0,1]
	v_add_f32_e32 v20, v38, v39
	v_add_f32_e32 v39, v37, v20
	v_mul_f32_e32 v22, v46, v39
	v_mul_f32_e32 v36, v45, v22
	v_fma_f32 v40, v22, v45, -v36
	v_fmac_f32_e32 v40, v22, v18
	v_sub_f32_e32 v37, v37, v39
	v_add_f32_e32 v38, v36, v40
	v_add_f32_e32 v20, v20, v37
	v_sub_f32_e32 v37, v39, v38
	v_pk_add_f32 v[42:43], v[38:39], v[36:37] neg_lo:[0,1] neg_hi:[0,1]
	v_mov_b32_e32 v41, v38
	v_pk_add_f32 v[38:39], v[42:43], v[40:41] neg_lo:[0,1] neg_hi:[0,1]
	v_add_f32_e32 v20, v20, v39
	v_add_f32_e32 v20, v38, v20
	;; [unrolled: 1-line block ×4, first 2 shown]
	v_sub_f32_e32 v37, v36, v46
	v_mul_f32_e32 v20, v46, v20
	v_sub_f32_e32 v22, v22, v37
	v_add_f32_e32 v20, v22, v20
	v_add_f32_e32 v22, v36, v20
	v_sub_f32_e32 v36, v22, v36
	v_ldexp_f32 v22, v22, -2
	v_sub_f32_e32 v20, v20, v36
	v_add_f32_e32 v36, v45, v22
	v_ldexp_f32 v20, v20, -2
	v_sub_f32_e32 v37, v36, v45
	v_sub_f32_e32 v22, v22, v37
	v_add_f32_e32 v18, v18, v20
	v_add_f32_e32 v18, v18, v22
	;; [unrolled: 1-line block ×3, first 2 shown]
	v_cmp_ngt_f32_e64 s[2:3], |v44|, s23
	v_cndmask_b32_e64 v18, v32, v18, s[2:3]
	v_bfe_u32 v20, v18, 16, 1
	v_add3_u32 v20, v18, v20, s24
	v_lshrrev_b32_e32 v20, 16, v20
	v_cmp_o_f32_e64 s[2:3], v18, v18
	v_cndmask_b32_e64 v18, v33, v20, s[2:3]
	v_mov_b32_e32 v20, s9
	v_add_co_u32_e64 v36, s[2:3], s8, v16
	v_addc_co_u32_e64 v37, s[2:3], v15, v20, s[2:3]
	global_store_short v[36:37], v18, off
	s_or_b64 exec, exec, s[4:5]
	s_and_saveexec_b64 s[2:3], s[0:1]
	s_cbranch_execz .LBB85_19
.LBB85_23:                              ;   in Loop: Header=BB85_9 Depth=1
	s_waitcnt vmcnt(0)
	v_lshlrev_b32_e32 v35, 16, v35
	v_add_f32_e64 v20, |v35|, s22
	v_sub_f32_e64 v37, v20, |v35|
	v_and_b32_e32 v18, 0x7fffffff, v35
	v_sub_f32_e32 v36, v37, v20
	v_pk_add_f32 v[36:37], v[18:19], v[36:37]
	v_sub_f32_e32 v18, v36, v37
	v_add_f32_e32 v18, 0x3102e308, v18
	v_add_f32_e32 v22, v20, v18
	v_sub_f32_e32 v20, v20, v22
	v_add_f32_e32 v18, v18, v20
	v_mul_f32_e32 v20, 0x3fb8aa3b, v22
	v_rndne_f32_e32 v44, v20
	v_fmac_f32_e32 v22, 0xbf317200, v44
	v_add_f32_e32 v20, v18, v22
	v_sub_f32_e32 v22, v22, v20
	v_add_f32_e32 v18, v18, v22
	v_mul_f32_e32 v22, 0x35bfbc00, v44
	v_sub_f32_e32 v38, v20, v22
	v_sub_f32_e32 v20, v20, v38
	;; [unrolled: 1-line block ×3, first 2 shown]
	v_add_f32_e32 v18, v18, v20
	v_add_f32_e32 v39, v38, v18
	v_mul_f32_e32 v37, 0x2ea39ef3, v44
	v_mov_b32_e32 v36, v39
	v_pk_add_f32 v[40:41], v[38:39], v[36:37] neg_lo:[0,1] neg_hi:[0,1]
	v_sub_f32_e32 v20, v39, v41
	v_sub_f32_e32 v20, v20, v37
	v_add_f32_e32 v18, v18, v40
	v_add_f32_e32 v18, v18, v20
	v_add_f32_e32 v22, v41, v18
	v_sub_f32_e32 v36, v41, v22
	v_mov_b32_e32 v20, 0x3c091de6
	v_add_f32_e32 v18, v18, v36
	v_mul_f32_e32 v37, v22, v22
	v_fmac_f32_e32 v20, 0x3ab42872, v22
	v_add_f32_e32 v36, v18, v18
	v_fma_f32 v38, v22, v22, -v37
	v_fma_f32 v20, v22, v20, v29
	v_fmac_f32_e32 v38, v22, v36
	v_fma_f32 v20, v22, v20, v30
	v_add_f32_e32 v36, v37, v38
	v_fma_f32 v20, v22, v20, v31
	v_sub_f32_e32 v37, v36, v37
	v_sub_f32_e32 v37, v38, v37
	v_mul_f32_e32 v38, v20, v36
	v_fma_f32 v36, v36, v20, -v38
	v_fmac_f32_e32 v36, v37, v20
	v_add_f32_e32 v37, v38, v36
	v_sub_f32_e32 v20, v37, v38
	v_sub_f32_e32 v36, v36, v20
	v_add_f32_e32 v20, v22, v37
	v_sub_f32_e32 v22, v20, v22
	v_sub_f32_e32 v22, v37, v22
	v_add_f32_e32 v18, v18, v36
	v_add_f32_e32 v36, v18, v22
	;; [unrolled: 1-line block ×3, first 2 shown]
	v_add_f32_e32 v39, 1.0, v38
	v_pk_add_f32 v[40:41], v[38:39], v[20:21] neg_lo:[0,1] neg_hi:[0,1]
	v_pk_add_f32 v[42:43], v[38:39], s[16:17]
	v_mov_b32_e32 v41, v43
	v_mov_b32_e32 v37, v38
	v_cvt_i32_f32_e32 v18, v44
	v_pk_add_f32 v[36:37], v[36:37], v[40:41] neg_lo:[0,1] neg_hi:[0,1]
	v_add_f32_e32 v20, v36, v37
	v_add_f32_e32 v22, v39, v20
	v_ldexp_f32 v44, v22, v18
	v_rcp_f32_e32 v45, v44
	v_sub_f32_e32 v22, v22, v39
	v_sub_f32_e32 v20, v20, v22
	v_ldexp_f32 v18, v20, v18
	v_mul_f32_e32 v36, v44, v45
	v_fma_f32 v38, v45, v44, -v36
	v_fmac_f32_e32 v38, v45, v18
	v_add_f32_e32 v22, v36, v38
	v_sub_f32_e32 v37, 1.0, v22
	v_pk_add_f32 v[40:41], v[22:23], v[36:37] neg_lo:[0,1] neg_hi:[0,1]
	v_mov_b32_e32 v39, v22
	v_pk_add_f32 v[38:39], v[40:41], v[38:39] neg_lo:[0,1] neg_hi:[0,1]
	v_add_f32_e32 v20, v38, v39
	v_add_f32_e32 v39, v37, v20
	v_mul_f32_e32 v22, v45, v39
	v_mul_f32_e32 v36, v44, v22
	v_fma_f32 v40, v22, v44, -v36
	v_fmac_f32_e32 v40, v22, v18
	v_sub_f32_e32 v37, v37, v39
	v_add_f32_e32 v38, v36, v40
	v_add_f32_e32 v20, v20, v37
	v_sub_f32_e32 v37, v39, v38
	v_pk_add_f32 v[42:43], v[38:39], v[36:37] neg_lo:[0,1] neg_hi:[0,1]
	v_mov_b32_e32 v41, v38
	v_pk_add_f32 v[38:39], v[42:43], v[40:41] neg_lo:[0,1] neg_hi:[0,1]
	v_add_f32_e32 v20, v20, v39
	v_add_f32_e32 v20, v38, v20
	;; [unrolled: 1-line block ×4, first 2 shown]
	v_sub_f32_e32 v37, v36, v45
	v_mul_f32_e32 v20, v45, v20
	v_sub_f32_e32 v22, v22, v37
	v_add_f32_e32 v20, v22, v20
	v_add_f32_e32 v22, v36, v20
	v_sub_f32_e32 v36, v22, v36
	v_ldexp_f32 v22, v22, -2
	v_sub_f32_e32 v20, v20, v36
	v_add_f32_e32 v36, v44, v22
	v_ldexp_f32 v20, v20, -2
	v_sub_f32_e32 v37, v36, v44
	v_sub_f32_e32 v22, v22, v37
	v_add_f32_e32 v18, v18, v20
	v_add_f32_e32 v18, v18, v22
	;; [unrolled: 1-line block ×3, first 2 shown]
	v_cmp_ngt_f32_e64 s[0:1], |v35|, s23
	v_cndmask_b32_e64 v18, v32, v18, s[0:1]
	v_bfe_u32 v20, v18, 16, 1
	v_add3_u32 v20, v18, v20, s24
	v_lshrrev_b32_e32 v20, 16, v20
	v_cmp_o_f32_e64 s[0:1], v18, v18
	v_cndmask_b32_e64 v18, v33, v20, s[0:1]
	v_mov_b32_e32 v20, s9
	v_add_co_u32_e64 v36, s[0:1], s8, v12
	v_addc_co_u32_e64 v37, s[0:1], v11, v20, s[0:1]
	global_store_short v[36:37], v18, off
	s_or_b64 exec, exec, s[2:3]
	s_and_saveexec_b64 s[0:1], vcc
	s_cbranch_execz .LBB85_8
.LBB85_24:                              ;   in Loop: Header=BB85_9 Depth=1
	s_waitcnt vmcnt(0)
	v_lshlrev_b32_e32 v42, 16, v34
	v_add_f32_e64 v20, |v42|, s22
	v_sub_f32_e64 v35, v20, |v42|
	v_and_b32_e32 v18, 0x7fffffff, v42
	v_sub_f32_e32 v34, v35, v20
	v_pk_add_f32 v[34:35], v[18:19], v[34:35]
	v_sub_f32_e32 v18, v34, v35
	v_add_f32_e32 v18, 0x3102e308, v18
	v_add_f32_e32 v22, v20, v18
	v_sub_f32_e32 v20, v20, v22
	v_add_f32_e32 v18, v18, v20
	v_mul_f32_e32 v20, 0x3fb8aa3b, v22
	v_rndne_f32_e32 v43, v20
	v_fmac_f32_e32 v22, 0xbf317200, v43
	v_add_f32_e32 v20, v18, v22
	v_sub_f32_e32 v22, v22, v20
	v_add_f32_e32 v18, v18, v22
	v_mul_f32_e32 v22, 0x35bfbc00, v43
	v_sub_f32_e32 v36, v20, v22
	v_sub_f32_e32 v20, v20, v36
	;; [unrolled: 1-line block ×3, first 2 shown]
	v_add_f32_e32 v18, v18, v20
	v_add_f32_e32 v37, v36, v18
	v_mul_f32_e32 v35, 0x2ea39ef3, v43
	v_mov_b32_e32 v34, v37
	v_pk_add_f32 v[38:39], v[36:37], v[34:35] neg_lo:[0,1] neg_hi:[0,1]
	v_sub_f32_e32 v20, v37, v39
	v_sub_f32_e32 v20, v20, v35
	v_add_f32_e32 v18, v18, v38
	v_add_f32_e32 v18, v18, v20
	;; [unrolled: 1-line block ×3, first 2 shown]
	v_sub_f32_e32 v34, v39, v22
	v_mov_b32_e32 v20, 0x3c091de6
	v_add_f32_e32 v18, v18, v34
	v_mul_f32_e32 v35, v22, v22
	v_fmac_f32_e32 v20, 0x3ab42872, v22
	v_add_f32_e32 v34, v18, v18
	v_fma_f32 v36, v22, v22, -v35
	v_fma_f32 v20, v22, v20, v29
	v_fmac_f32_e32 v36, v22, v34
	v_fma_f32 v20, v22, v20, v30
	v_add_f32_e32 v34, v35, v36
	v_fma_f32 v20, v22, v20, v31
	v_sub_f32_e32 v35, v34, v35
	v_sub_f32_e32 v35, v36, v35
	v_mul_f32_e32 v36, v20, v34
	v_fma_f32 v34, v34, v20, -v36
	v_fmac_f32_e32 v34, v35, v20
	v_add_f32_e32 v35, v36, v34
	v_sub_f32_e32 v20, v35, v36
	v_sub_f32_e32 v34, v34, v20
	v_add_f32_e32 v20, v22, v35
	v_sub_f32_e32 v22, v20, v22
	v_sub_f32_e32 v22, v35, v22
	v_add_f32_e32 v18, v18, v34
	v_add_f32_e32 v34, v18, v22
	;; [unrolled: 1-line block ×3, first 2 shown]
	v_add_f32_e32 v37, 1.0, v36
	v_pk_add_f32 v[38:39], v[36:37], v[20:21] neg_lo:[0,1] neg_hi:[0,1]
	v_pk_add_f32 v[40:41], v[36:37], s[16:17]
	v_mov_b32_e32 v39, v41
	v_mov_b32_e32 v35, v36
	v_cvt_i32_f32_e32 v18, v43
	v_pk_add_f32 v[34:35], v[34:35], v[38:39] neg_lo:[0,1] neg_hi:[0,1]
	v_add_f32_e32 v20, v34, v35
	v_add_f32_e32 v22, v37, v20
	v_ldexp_f32 v43, v22, v18
	v_rcp_f32_e32 v44, v43
	v_sub_f32_e32 v22, v22, v37
	v_sub_f32_e32 v20, v20, v22
	v_ldexp_f32 v18, v20, v18
	v_mul_f32_e32 v34, v43, v44
	v_fma_f32 v36, v44, v43, -v34
	v_fmac_f32_e32 v36, v44, v18
	v_add_f32_e32 v22, v34, v36
	v_sub_f32_e32 v35, 1.0, v22
	v_pk_add_f32 v[38:39], v[22:23], v[34:35] neg_lo:[0,1] neg_hi:[0,1]
	v_mov_b32_e32 v37, v22
	v_pk_add_f32 v[36:37], v[38:39], v[36:37] neg_lo:[0,1] neg_hi:[0,1]
	v_add_f32_e32 v20, v36, v37
	v_add_f32_e32 v37, v35, v20
	v_mul_f32_e32 v22, v44, v37
	v_mul_f32_e32 v34, v43, v22
	v_fma_f32 v38, v22, v43, -v34
	v_fmac_f32_e32 v38, v22, v18
	v_sub_f32_e32 v35, v35, v37
	v_add_f32_e32 v36, v34, v38
	v_add_f32_e32 v20, v20, v35
	v_sub_f32_e32 v35, v37, v36
	v_pk_add_f32 v[40:41], v[36:37], v[34:35] neg_lo:[0,1] neg_hi:[0,1]
	v_mov_b32_e32 v39, v36
	v_pk_add_f32 v[36:37], v[40:41], v[38:39] neg_lo:[0,1] neg_hi:[0,1]
	v_add_f32_e32 v20, v20, v37
	v_add_f32_e32 v20, v36, v20
	;; [unrolled: 1-line block ×4, first 2 shown]
	v_sub_f32_e32 v35, v34, v44
	v_mul_f32_e32 v20, v44, v20
	v_sub_f32_e32 v22, v22, v35
	v_add_f32_e32 v20, v22, v20
	v_add_f32_e32 v22, v34, v20
	v_sub_f32_e32 v34, v22, v34
	v_ldexp_f32 v22, v22, -2
	v_sub_f32_e32 v20, v20, v34
	v_add_f32_e32 v34, v43, v22
	v_ldexp_f32 v20, v20, -2
	v_sub_f32_e32 v35, v34, v43
	v_sub_f32_e32 v22, v22, v35
	v_add_f32_e32 v18, v18, v20
	v_add_f32_e32 v18, v18, v22
	;; [unrolled: 1-line block ×3, first 2 shown]
	v_cmp_ngt_f32_e64 vcc, |v42|, s23
	v_cndmask_b32_e32 v18, v32, v18, vcc
	v_bfe_u32 v20, v18, 16, 1
	v_add3_u32 v20, v18, v20, s24
	v_lshrrev_b32_e32 v20, 16, v20
	v_cmp_o_f32_e32 vcc, v18, v18
	v_cndmask_b32_e32 v18, v33, v20, vcc
	v_mov_b32_e32 v20, s9
	v_add_co_u32_e32 v34, vcc, s8, v8
	v_addc_co_u32_e32 v35, vcc, v7, v20, vcc
	global_store_short v[34:35], v18, off
	s_branch .LBB85_8
.LBB85_25:
	s_endpgm
	.section	.rodata,"a",@progbits
	.p2align	6, 0x0
	.amdhsa_kernel _ZN2at6native12_GLOBAL__N_125multi_tensor_apply_kernelINS1_18TensorListMetadataILi2EEENS1_14UnaryOpFunctorIN3c108BFloat16ELi2ELi1ELi1EEEJNS0_4CoshIfEEEEEvT_T0_DpT1_
		.amdhsa_group_segment_fixed_size 0
		.amdhsa_private_segment_fixed_size 0
		.amdhsa_kernarg_size 3408
		.amdhsa_user_sgpr_count 6
		.amdhsa_user_sgpr_private_segment_buffer 1
		.amdhsa_user_sgpr_dispatch_ptr 0
		.amdhsa_user_sgpr_queue_ptr 0
		.amdhsa_user_sgpr_kernarg_segment_ptr 1
		.amdhsa_user_sgpr_dispatch_id 0
		.amdhsa_user_sgpr_flat_scratch_init 0
		.amdhsa_user_sgpr_kernarg_preload_length 0
		.amdhsa_user_sgpr_kernarg_preload_offset 0
		.amdhsa_user_sgpr_private_segment_size 0
		.amdhsa_uses_dynamic_stack 0
		.amdhsa_system_sgpr_private_segment_wavefront_offset 0
		.amdhsa_system_sgpr_workgroup_id_x 1
		.amdhsa_system_sgpr_workgroup_id_y 0
		.amdhsa_system_sgpr_workgroup_id_z 0
		.amdhsa_system_sgpr_workgroup_info 0
		.amdhsa_system_vgpr_workitem_id 0
		.amdhsa_next_free_vgpr 55
		.amdhsa_next_free_sgpr 26
		.amdhsa_accum_offset 56
		.amdhsa_reserve_vcc 1
		.amdhsa_reserve_flat_scratch 0
		.amdhsa_float_round_mode_32 0
		.amdhsa_float_round_mode_16_64 0
		.amdhsa_float_denorm_mode_32 3
		.amdhsa_float_denorm_mode_16_64 3
		.amdhsa_dx10_clamp 1
		.amdhsa_ieee_mode 1
		.amdhsa_fp16_overflow 0
		.amdhsa_tg_split 0
		.amdhsa_exception_fp_ieee_invalid_op 0
		.amdhsa_exception_fp_denorm_src 0
		.amdhsa_exception_fp_ieee_div_zero 0
		.amdhsa_exception_fp_ieee_overflow 0
		.amdhsa_exception_fp_ieee_underflow 0
		.amdhsa_exception_fp_ieee_inexact 0
		.amdhsa_exception_int_div_zero 0
	.end_amdhsa_kernel
	.section	.text._ZN2at6native12_GLOBAL__N_125multi_tensor_apply_kernelINS1_18TensorListMetadataILi2EEENS1_14UnaryOpFunctorIN3c108BFloat16ELi2ELi1ELi1EEEJNS0_4CoshIfEEEEEvT_T0_DpT1_,"axG",@progbits,_ZN2at6native12_GLOBAL__N_125multi_tensor_apply_kernelINS1_18TensorListMetadataILi2EEENS1_14UnaryOpFunctorIN3c108BFloat16ELi2ELi1ELi1EEEJNS0_4CoshIfEEEEEvT_T0_DpT1_,comdat
.Lfunc_end85:
	.size	_ZN2at6native12_GLOBAL__N_125multi_tensor_apply_kernelINS1_18TensorListMetadataILi2EEENS1_14UnaryOpFunctorIN3c108BFloat16ELi2ELi1ELi1EEEJNS0_4CoshIfEEEEEvT_T0_DpT1_, .Lfunc_end85-_ZN2at6native12_GLOBAL__N_125multi_tensor_apply_kernelINS1_18TensorListMetadataILi2EEENS1_14UnaryOpFunctorIN3c108BFloat16ELi2ELi1ELi1EEEJNS0_4CoshIfEEEEEvT_T0_DpT1_
                                        ; -- End function
	.section	.AMDGPU.csdata,"",@progbits
; Kernel info:
; codeLenInByte = 6264
; NumSgprs: 30
; NumVgprs: 55
; NumAgprs: 0
; TotalNumVgprs: 55
; ScratchSize: 0
; MemoryBound: 0
; FloatMode: 240
; IeeeMode: 1
; LDSByteSize: 0 bytes/workgroup (compile time only)
; SGPRBlocks: 3
; VGPRBlocks: 6
; NumSGPRsForWavesPerEU: 30
; NumVGPRsForWavesPerEU: 55
; AccumOffset: 56
; Occupancy: 8
; WaveLimiterHint : 0
; COMPUTE_PGM_RSRC2:SCRATCH_EN: 0
; COMPUTE_PGM_RSRC2:USER_SGPR: 6
; COMPUTE_PGM_RSRC2:TRAP_HANDLER: 0
; COMPUTE_PGM_RSRC2:TGID_X_EN: 1
; COMPUTE_PGM_RSRC2:TGID_Y_EN: 0
; COMPUTE_PGM_RSRC2:TGID_Z_EN: 0
; COMPUTE_PGM_RSRC2:TIDIG_COMP_CNT: 0
; COMPUTE_PGM_RSRC3_GFX90A:ACCUM_OFFSET: 13
; COMPUTE_PGM_RSRC3_GFX90A:TG_SPLIT: 0
	.section	.text._ZN2at6native12_GLOBAL__N_125multi_tensor_apply_kernelINS1_18TensorListMetadataILi1EEENS1_14UnaryOpFunctorIdLi1ELi1ELi0EEEJNS0_4CoshIdEEEEEvT_T0_DpT1_,"axG",@progbits,_ZN2at6native12_GLOBAL__N_125multi_tensor_apply_kernelINS1_18TensorListMetadataILi1EEENS1_14UnaryOpFunctorIdLi1ELi1ELi0EEEJNS0_4CoshIdEEEEEvT_T0_DpT1_,comdat
	.globl	_ZN2at6native12_GLOBAL__N_125multi_tensor_apply_kernelINS1_18TensorListMetadataILi1EEENS1_14UnaryOpFunctorIdLi1ELi1ELi0EEEJNS0_4CoshIdEEEEEvT_T0_DpT1_ ; -- Begin function _ZN2at6native12_GLOBAL__N_125multi_tensor_apply_kernelINS1_18TensorListMetadataILi1EEENS1_14UnaryOpFunctorIdLi1ELi1ELi0EEEJNS0_4CoshIdEEEEEvT_T0_DpT1_
	.p2align	8
	.type	_ZN2at6native12_GLOBAL__N_125multi_tensor_apply_kernelINS1_18TensorListMetadataILi1EEENS1_14UnaryOpFunctorIdLi1ELi1ELi0EEEJNS0_4CoshIdEEEEEvT_T0_DpT1_,@function
_ZN2at6native12_GLOBAL__N_125multi_tensor_apply_kernelINS1_18TensorListMetadataILi1EEENS1_14UnaryOpFunctorIdLi1ELi1ELi0EEEJNS0_4CoshIdEEEEEvT_T0_DpT1_: ; @_ZN2at6native12_GLOBAL__N_125multi_tensor_apply_kernelINS1_18TensorListMetadataILi1EEENS1_14UnaryOpFunctorIdLi1ELi1ELi0EEEJNS0_4CoshIdEEEEEvT_T0_DpT1_
; %bb.0:
	v_mov_b32_e32 v1, s6
	global_load_ubyte v1, v1, s[4:5] offset:1760
	s_add_u32 s0, s4, s6
	s_mul_hi_u32 s1, s6, 3
	s_mul_i32 s6, s6, 3
	s_addc_u32 s2, s5, 0
	s_add_u32 s0, s0, s6
	s_addc_u32 s1, s2, s1
	s_load_dword s0, s[0:1], 0x820
	s_mov_b32 s7, 0
	s_waitcnt vmcnt(0)
	v_readfirstlane_b32 s2, v1
	s_lshl_b32 s1, s2, 3
	s_load_dwordx2 s[2:3], s[4:5], s1 offset:0x370
	s_load_dwordx2 s[12:13], s[4:5], s1 offset:0x0
	s_waitcnt lgkmcnt(0)
	s_ashr_i32 s1, s0, 31
	s_lshl_b64 s[14:15], s[0:1], 19
	s_lshl_b64 s[0:1], s[0:1], 16
	s_and_b32 s6, s12, 31
	s_sub_u32 s10, s2, s0
	s_subb_u32 s11, s3, s1
	s_and_b32 s0, s2, 3
	s_mov_b32 s1, s7
	s_or_b64 s[0:1], s[6:7], s[0:1]
	s_cmp_eq_u64 s[0:1], 0
	s_cbranch_scc1 .LBB86_21
; %bb.1:
	v_cmp_lt_i64_e64 s[0:1], s[10:11], 1
	s_and_b64 vcc, exec, s[0:1]
	s_cbranch_vccnz .LBB86_20
; %bb.2:
	s_load_dword s0, s[4:5], 0xd3c
	v_mov_b32_e32 v2, 0x10000
	v_mov_b32_e32 v3, 0
	v_cmp_lt_u64_e32 vcc, s[10:11], v[2:3]
	v_lshlrev_b32_e32 v1, 3, v0
	s_waitcnt lgkmcnt(0)
	s_and_b32 s2, s0, 0xffff
	s_and_b64 s[0:1], vcc, exec
	s_cselect_b32 s17, s11, 0
	s_cselect_b32 s16, s10, 0x10000
	s_lshl_b32 s3, s2, 1
	s_lshl_b32 s42, s2, 2
	s_add_u32 s6, s12, s14
	s_addc_u32 s7, s13, s15
	v_mov_b32_e32 v3, s7
	v_add_co_u32_e32 v2, vcc, s6, v1
	s_mul_i32 s0, s2, 3
	v_addc_co_u32_e32 v3, vcc, 0, v3, vcc
	v_add_co_u32_e32 v1, vcc, s0, v0
	v_addc_co_u32_e64 v32, s[0:1], 0, 0, vcc
	v_add_co_u32_e32 v33, vcc, s3, v0
	v_addc_co_u32_e64 v34, s[0:1], 0, 0, vcc
	v_add_co_u32_e32 v35, vcc, s2, v0
	v_lshlrev_b32_e32 v4, 3, v35
	s_mov_b32 s33, 0
	v_addc_co_u32_e64 v36, s[0:1], 0, 0, vcc
	v_mov_b32_e32 v5, s7
	v_add_co_u32_e32 v4, vcc, s6, v4
	s_mov_b32 s20, 0xfefa39ef
	s_mov_b32 s24, 0x3b39803f
	;; [unrolled: 1-line block ×7, first 2 shown]
	s_lshl_b32 s43, s2, 5
	s_mul_i32 s44, s2, 24
	s_mov_b32 s45, s33
	s_lshl_b32 s46, s2, 4
	s_mov_b32 s47, s33
	v_addc_co_u32_e32 v5, vcc, 0, v5, vcc
	s_mov_b64 s[18:19], 0
	s_mov_b32 s21, 0xbfe62e42
	s_mov_b32 s23, 0x3fe62e42
	;; [unrolled: 1-line block ×9, first 2 shown]
	v_mov_b32_e32 v6, 0xfca7ab0c
	v_mov_b32_e32 v7, 0x3e928af3
	;; [unrolled: 1-line block ×19, first 2 shown]
	s_branch .LBB86_4
.LBB86_3:                               ;   in Loop: Header=BB86_4 Depth=1
	s_or_b64 exec, exec, s[0:1]
	s_add_u32 s18, s18, s42
	s_addc_u32 s19, s19, 0
	s_waitcnt vmcnt(0)
	v_pk_mov_b32 v[24:25], s[10:11], s[10:11] op_sel:[0,1]
	v_cmp_lt_i64_e32 vcc, s[18:19], v[24:25]
	v_mov_b32_e32 v24, 0x10000
	v_mov_b32_e32 v25, 0
	v_cmp_lt_u64_e64 s[0:1], s[18:19], v[24:25]
	s_and_b64 s[0:1], vcc, s[0:1]
	v_mov_b32_e32 v24, s33
	v_add_co_u32_e32 v2, vcc, s43, v2
	v_addc_co_u32_e32 v3, vcc, v3, v24, vcc
	v_add_co_u32_e32 v4, vcc, s43, v4
	v_addc_co_u32_e32 v5, vcc, v5, v24, vcc
	s_and_b64 vcc, exec, s[0:1]
	s_cbranch_vccz .LBB86_20
.LBB86_4:                               ; =>This Inner Loop Header: Depth=1
	v_mov_b32_e32 v25, s19
	v_add_co_u32_e32 v24, vcc, s18, v0
	v_addc_co_u32_e32 v25, vcc, 0, v25, vcc
	v_pk_mov_b32 v[28:29], 0, 0
	v_cmp_gt_u64_e64 s[6:7], s[16:17], v[24:25]
	v_pk_mov_b32 v[30:31], v[28:29], v[28:29] op_sel:[0,1]
	s_and_saveexec_b64 s[0:1], s[6:7]
	s_cbranch_execz .LBB86_6
; %bb.5:                                ;   in Loop: Header=BB86_4 Depth=1
	global_load_dwordx2 v[30:31], v[2:3], off
.LBB86_6:                               ;   in Loop: Header=BB86_4 Depth=1
	s_or_b64 exec, exec, s[0:1]
	v_mov_b32_e32 v25, s19
	v_add_co_u32_e32 v24, vcc, s18, v35
	v_addc_co_u32_e32 v25, vcc, v36, v25, vcc
	v_cmp_gt_u64_e64 s[2:3], s[16:17], v[24:25]
	s_and_saveexec_b64 s[0:1], s[2:3]
	s_cbranch_execz .LBB86_8
; %bb.7:                                ;   in Loop: Header=BB86_4 Depth=1
	global_load_dwordx2 v[28:29], v[4:5], off
.LBB86_8:                               ;   in Loop: Header=BB86_4 Depth=1
	s_or_b64 exec, exec, s[0:1]
	v_mov_b32_e32 v25, s19
	v_add_co_u32_e32 v24, vcc, s18, v33
	v_addc_co_u32_e32 v25, vcc, v34, v25, vcc
	v_cmp_gt_u64_e64 s[0:1], s[16:17], v[24:25]
	v_pk_mov_b32 v[24:25], 0, 0
	v_pk_mov_b32 v[26:27], v[24:25], v[24:25] op_sel:[0,1]
	s_and_saveexec_b64 s[8:9], s[0:1]
	s_cbranch_execz .LBB86_10
; %bb.9:                                ;   in Loop: Header=BB86_4 Depth=1
	v_mov_b32_e32 v27, s47
	v_add_co_u32_e32 v26, vcc, s46, v2
	v_addc_co_u32_e32 v27, vcc, v3, v27, vcc
	global_load_dwordx2 v[26:27], v[26:27], off
.LBB86_10:                              ;   in Loop: Header=BB86_4 Depth=1
	s_or_b64 exec, exec, s[8:9]
	v_mov_b32_e32 v39, s19
	v_add_co_u32_e32 v38, vcc, s18, v1
	v_addc_co_u32_e32 v39, vcc, v32, v39, vcc
	v_cmp_gt_u64_e32 vcc, s[16:17], v[38:39]
	s_and_saveexec_b64 s[40:41], vcc
	s_cbranch_execnz .LBB86_15
; %bb.11:                               ;   in Loop: Header=BB86_4 Depth=1
	s_or_b64 exec, exec, s[40:41]
	s_and_saveexec_b64 s[8:9], s[6:7]
	s_cbranch_execnz .LBB86_16
.LBB86_12:                              ;   in Loop: Header=BB86_4 Depth=1
	s_or_b64 exec, exec, s[8:9]
	s_and_saveexec_b64 s[6:7], s[2:3]
	s_cbranch_execnz .LBB86_17
.LBB86_13:                              ;   in Loop: Header=BB86_4 Depth=1
	s_or_b64 exec, exec, s[6:7]
	s_and_saveexec_b64 s[2:3], s[0:1]
	s_cbranch_execnz .LBB86_18
.LBB86_14:                              ;   in Loop: Header=BB86_4 Depth=1
	s_or_b64 exec, exec, s[2:3]
	s_and_saveexec_b64 s[0:1], vcc
	s_cbranch_execz .LBB86_3
	s_branch .LBB86_19
.LBB86_15:                              ;   in Loop: Header=BB86_4 Depth=1
	v_mov_b32_e32 v25, s45
	v_add_co_u32_e64 v24, s[8:9], s44, v2
	v_addc_co_u32_e64 v25, s[8:9], v3, v25, s[8:9]
	global_load_dwordx2 v[24:25], v[24:25], off
	s_or_b64 exec, exec, s[40:41]
	s_and_saveexec_b64 s[8:9], s[6:7]
	s_cbranch_execz .LBB86_12
.LBB86_16:                              ;   in Loop: Header=BB86_4 Depth=1
	s_waitcnt vmcnt(0)
	v_add_f64 v[38:39], |v[30:31]|, s[20:21]
	v_add_f64 v[40:41], v[38:39], -|v[30:31]|
	v_add_f64 v[42:43], v[40:41], -v[38:39]
	s_mov_b32 s22, s20
	v_add_f64 v[42:43], |v[30:31]|, v[42:43]
	v_add_f64 v[40:41], v[40:41], s[22:23]
	v_add_f64 v[40:41], v[42:43], -v[40:41]
	v_add_f64 v[40:41], v[40:41], s[24:25]
	v_add_f64 v[42:43], v[38:39], v[40:41]
	v_add_f64 v[38:39], v[38:39], -v[42:43]
	v_add_f64 v[38:39], v[40:41], v[38:39]
	v_mul_f64 v[40:41], v[42:43], s[26:27]
	v_rndne_f64_e32 v[40:41], v[40:41]
	s_mov_b32 s29, s21
	v_fmac_f64_e32 v[42:43], s[28:29], v[40:41]
	v_add_f64 v[44:45], v[38:39], v[42:43]
	v_mul_f64 v[46:47], v[40:41], s[30:31]
	v_add_f64 v[48:49], v[44:45], v[46:47]
	v_add_f64 v[42:43], v[42:43], -v[44:45]
	v_add_f64 v[38:39], v[38:39], v[42:43]
	v_add_f64 v[42:43], v[44:45], -v[48:49]
	v_add_f64 v[42:43], v[42:43], v[46:47]
	v_add_f64 v[38:39], v[38:39], v[42:43]
	v_add_f64 v[42:43], v[48:49], v[38:39]
	v_mul_f64 v[44:45], v[40:41], s[34:35]
	v_add_f64 v[46:47], v[42:43], v[44:45]
	v_add_f64 v[48:49], v[48:49], -v[42:43]
	v_add_f64 v[42:43], v[42:43], -v[46:47]
	v_add_f64 v[38:39], v[38:39], v[48:49]
	v_add_f64 v[42:43], v[42:43], v[44:45]
	;; [unrolled: 1-line block ×4, first 2 shown]
	v_pk_mov_b32 v[50:51], v[6:7], v[6:7] op_sel:[0,1]
	v_fmac_f64_e32 v[50:51], s[36:37], v[42:43]
	v_pk_mov_b32 v[52:53], v[8:9], v[8:9] op_sel:[0,1]
	v_fmac_f64_e32 v[52:53], v[42:43], v[50:51]
	;; [unrolled: 2-line block ×4, first 2 shown]
	v_pk_mov_b32 v[50:51], v[14:15], v[14:15] op_sel:[0,1]
	v_add_f64 v[46:47], v[46:47], -v[42:43]
	v_fmac_f64_e32 v[50:51], v[42:43], v[52:53]
	v_pk_mov_b32 v[52:53], v[16:17], v[16:17] op_sel:[0,1]
	v_mul_f64 v[44:45], v[42:43], v[42:43]
	v_add_f64 v[38:39], v[38:39], v[46:47]
	v_fmac_f64_e32 v[52:53], v[42:43], v[50:51]
	v_pk_mov_b32 v[50:51], v[18:19], v[18:19] op_sel:[0,1]
	v_add_f64 v[46:47], v[38:39], v[38:39]
	v_fma_f64 v[48:49], v[42:43], v[42:43], -v[44:45]
	v_fmac_f64_e32 v[50:51], v[42:43], v[52:53]
	v_pk_mov_b32 v[52:53], v[20:21], v[20:21] op_sel:[0,1]
	v_fmac_f64_e32 v[48:49], v[42:43], v[46:47]
	v_fmac_f64_e32 v[52:53], v[42:43], v[50:51]
	v_pk_mov_b32 v[50:51], v[22:23], v[22:23] op_sel:[0,1]
	v_add_f64 v[46:47], v[44:45], v[48:49]
	v_fmac_f64_e32 v[50:51], v[42:43], v[52:53]
	v_mul_f64 v[52:53], v[46:47], v[50:51]
	v_add_f64 v[44:45], v[46:47], -v[44:45]
	v_add_f64 v[44:45], v[48:49], -v[44:45]
	v_fma_f64 v[46:47], v[46:47], v[50:51], -v[52:53]
	v_fmac_f64_e32 v[46:47], v[44:45], v[50:51]
	v_add_f64 v[44:45], v[52:53], v[46:47]
	v_add_f64 v[48:49], v[42:43], v[44:45]
	v_add_f64 v[50:51], v[44:45], -v[52:53]
	v_add_f64 v[46:47], v[46:47], -v[50:51]
	;; [unrolled: 1-line block ×3, first 2 shown]
	v_add_f64 v[38:39], v[38:39], v[46:47]
	v_add_f64 v[42:43], v[44:45], -v[42:43]
	v_add_f64 v[38:39], v[38:39], v[42:43]
	v_add_f64 v[42:43], v[48:49], v[38:39]
	v_add_f64 v[44:45], v[42:43], 1.0
	v_add_f64 v[46:47], v[42:43], -v[48:49]
	v_add_f64 v[38:39], v[38:39], -v[46:47]
	v_add_f64 v[46:47], v[44:45], -1.0
	v_add_f64 v[42:43], v[42:43], -v[46:47]
	v_add_f64 v[38:39], v[38:39], v[42:43]
	v_add_f64 v[42:43], v[44:45], v[38:39]
	v_cvt_i32_f64_e32 v50, v[40:41]
	v_ldexp_f64 v[40:41], v[42:43], v50
	v_rcp_f64_e32 v[46:47], v[40:41]
	v_add_f64 v[42:43], v[42:43], -v[44:45]
	v_add_f64 v[38:39], v[38:39], -v[42:43]
	v_ldexp_f64 v[38:39], v[38:39], v50
	v_fma_f64 v[48:49], -v[40:41], v[46:47], 1.0
	v_fmac_f64_e32 v[46:47], v[48:49], v[46:47]
	v_fma_f64 v[48:49], -v[40:41], v[46:47], 1.0
	v_fmac_f64_e32 v[46:47], v[48:49], v[46:47]
	v_mul_f64 v[48:49], v[40:41], v[46:47]
	v_fma_f64 v[42:43], v[46:47], v[40:41], -v[48:49]
	v_fmac_f64_e32 v[42:43], v[46:47], v[38:39]
	v_add_f64 v[44:45], v[48:49], v[42:43]
	v_add_f64 v[50:51], -v[44:45], 1.0
	v_add_f64 v[48:49], v[44:45], -v[48:49]
	v_add_f64 v[42:43], v[48:49], -v[42:43]
	v_add_f64 v[48:49], -v[50:51], 1.0
	v_add_f64 v[44:45], v[48:49], -v[44:45]
	v_add_f64 v[42:43], v[42:43], v[44:45]
	v_add_f64 v[44:45], v[50:51], v[42:43]
	v_mul_f64 v[48:49], v[46:47], v[44:45]
	v_mul_f64 v[56:57], v[40:41], v[48:49]
	v_add_f64 v[52:53], v[46:47], v[48:49]
	v_fma_f64 v[58:59], v[48:49], v[40:41], -v[56:57]
	v_add_f64 v[54:55], v[52:53], -v[46:47]
	v_fmac_f64_e32 v[58:59], v[48:49], v[38:39]
	v_add_f64 v[54:55], v[48:49], -v[54:55]
	v_add_f64 v[48:49], v[56:57], v[58:59]
	v_add_f64 v[60:61], v[44:45], -v[48:49]
	v_add_f64 v[50:51], v[50:51], -v[44:45]
	;; [unrolled: 1-line block ×4, first 2 shown]
	v_add_f64 v[42:43], v[42:43], v[50:51]
	v_add_f64 v[44:45], v[44:45], -v[48:49]
	v_add_f64 v[56:57], v[56:57], -v[58:59]
	v_add_f64 v[42:43], v[42:43], v[44:45]
	v_add_f64 v[42:43], v[56:57], v[42:43]
	;; [unrolled: 1-line block ×3, first 2 shown]
	v_mul_f64 v[42:43], v[46:47], v[42:43]
	v_add_f64 v[42:43], v[54:55], v[42:43]
	v_add_f64 v[44:45], v[52:53], v[42:43]
	v_ldexp_f64 v[46:47], v[44:45], -2
	v_add_f64 v[44:45], v[44:45], -v[52:53]
	v_add_f64 v[48:49], v[40:41], v[46:47]
	v_add_f64 v[42:43], v[42:43], -v[44:45]
	v_ldexp_f64 v[42:43], v[42:43], -2
	v_add_f64 v[40:41], v[48:49], -v[40:41]
	v_add_f64 v[38:39], v[38:39], v[42:43]
	v_add_f64 v[40:41], v[46:47], -v[40:41]
	v_add_f64 v[38:39], v[38:39], v[40:41]
	v_add_f64 v[38:39], v[48:49], v[38:39]
	v_cmp_nge_f64_e64 s[6:7], |v[30:31]|, s[38:39]
	v_cndmask_b32_e64 v31, v37, v39, s[6:7]
	v_cndmask_b32_e64 v30, 0, v38, s[6:7]
	global_store_dwordx2 v[2:3], v[30:31], off
	s_or_b64 exec, exec, s[8:9]
	s_and_saveexec_b64 s[6:7], s[2:3]
	s_cbranch_execz .LBB86_13
.LBB86_17:                              ;   in Loop: Header=BB86_4 Depth=1
	s_waitcnt vmcnt(0)
	v_add_f64 v[30:31], |v[28:29]|, s[20:21]
	v_add_f64 v[38:39], v[30:31], -|v[28:29]|
	v_add_f64 v[40:41], v[38:39], -v[30:31]
	s_mov_b32 s22, s20
	v_add_f64 v[40:41], |v[28:29]|, v[40:41]
	v_add_f64 v[38:39], v[38:39], s[22:23]
	v_add_f64 v[38:39], v[40:41], -v[38:39]
	v_add_f64 v[38:39], v[38:39], s[24:25]
	v_add_f64 v[40:41], v[30:31], v[38:39]
	v_add_f64 v[30:31], v[30:31], -v[40:41]
	v_add_f64 v[30:31], v[38:39], v[30:31]
	v_mul_f64 v[38:39], v[40:41], s[26:27]
	v_rndne_f64_e32 v[38:39], v[38:39]
	s_mov_b32 s29, s21
	v_fmac_f64_e32 v[40:41], s[28:29], v[38:39]
	v_add_f64 v[42:43], v[30:31], v[40:41]
	v_add_f64 v[40:41], v[40:41], -v[42:43]
	v_add_f64 v[30:31], v[30:31], v[40:41]
	v_mul_f64 v[40:41], v[38:39], s[30:31]
	v_add_f64 v[44:45], v[42:43], v[40:41]
	v_add_f64 v[42:43], v[42:43], -v[44:45]
	v_add_f64 v[40:41], v[42:43], v[40:41]
	v_add_f64 v[30:31], v[30:31], v[40:41]
	;; [unrolled: 1-line block ×3, first 2 shown]
	v_add_f64 v[42:43], v[44:45], -v[40:41]
	v_add_f64 v[30:31], v[30:31], v[42:43]
	v_mul_f64 v[42:43], v[38:39], s[34:35]
	v_add_f64 v[44:45], v[40:41], v[42:43]
	v_add_f64 v[40:41], v[40:41], -v[44:45]
	v_add_f64 v[40:41], v[40:41], v[42:43]
	v_add_f64 v[30:31], v[30:31], v[40:41]
	v_add_f64 v[40:41], v[44:45], v[30:31]
	v_add_f64 v[42:43], v[44:45], -v[40:41]
	v_add_f64 v[30:31], v[30:31], v[42:43]
	v_pk_mov_b32 v[42:43], v[6:7], v[6:7] op_sel:[0,1]
	v_fmac_f64_e32 v[42:43], s[36:37], v[40:41]
	v_pk_mov_b32 v[44:45], v[8:9], v[8:9] op_sel:[0,1]
	v_fmac_f64_e32 v[44:45], v[40:41], v[42:43]
	;; [unrolled: 2-line block ×9, first 2 shown]
	v_mul_f64 v[44:45], v[40:41], v[40:41]
	v_fma_f64 v[46:47], v[40:41], v[40:41], -v[44:45]
	v_add_f64 v[48:49], v[30:31], v[30:31]
	v_fmac_f64_e32 v[46:47], v[40:41], v[48:49]
	v_add_f64 v[48:49], v[44:45], v[46:47]
	v_add_f64 v[44:45], v[48:49], -v[44:45]
	v_add_f64 v[44:45], v[46:47], -v[44:45]
	v_mul_f64 v[46:47], v[48:49], v[42:43]
	v_fma_f64 v[48:49], v[48:49], v[42:43], -v[46:47]
	v_fmac_f64_e32 v[48:49], v[44:45], v[42:43]
	v_add_f64 v[42:43], v[46:47], v[48:49]
	v_add_f64 v[44:45], v[42:43], -v[46:47]
	v_add_f64 v[46:47], v[40:41], v[42:43]
	v_add_f64 v[44:45], v[48:49], -v[44:45]
	v_add_f64 v[40:41], v[46:47], -v[40:41]
	;; [unrolled: 1-line block ×3, first 2 shown]
	v_add_f64 v[30:31], v[30:31], v[44:45]
	v_add_f64 v[30:31], v[30:31], v[40:41]
	;; [unrolled: 1-line block ×3, first 2 shown]
	v_add_f64 v[42:43], v[40:41], -v[46:47]
	v_add_f64 v[30:31], v[30:31], -v[42:43]
	v_add_f64 v[42:43], v[40:41], 1.0
	v_add_f64 v[44:45], v[42:43], -1.0
	v_add_f64 v[40:41], v[40:41], -v[44:45]
	v_add_f64 v[30:31], v[30:31], v[40:41]
	v_add_f64 v[40:41], v[42:43], v[30:31]
	v_cvt_i32_f64_e32 v46, v[38:39]
	v_ldexp_f64 v[38:39], v[40:41], v46
	v_rcp_f64_e32 v[44:45], v[38:39]
	v_add_f64 v[40:41], v[40:41], -v[42:43]
	v_add_f64 v[30:31], v[30:31], -v[40:41]
	v_ldexp_f64 v[30:31], v[30:31], v46
	v_fma_f64 v[40:41], -v[38:39], v[44:45], 1.0
	v_fmac_f64_e32 v[44:45], v[40:41], v[44:45]
	v_fma_f64 v[40:41], -v[38:39], v[44:45], 1.0
	v_fmac_f64_e32 v[44:45], v[40:41], v[44:45]
	v_mul_f64 v[40:41], v[38:39], v[44:45]
	v_fma_f64 v[42:43], v[44:45], v[38:39], -v[40:41]
	v_fmac_f64_e32 v[42:43], v[44:45], v[30:31]
	v_add_f64 v[46:47], v[40:41], v[42:43]
	v_add_f64 v[48:49], -v[46:47], 1.0
	v_add_f64 v[40:41], v[46:47], -v[40:41]
	v_add_f64 v[50:51], -v[48:49], 1.0
	v_add_f64 v[46:47], v[50:51], -v[46:47]
	v_add_f64 v[40:41], v[40:41], -v[42:43]
	v_add_f64 v[40:41], v[40:41], v[46:47]
	v_add_f64 v[42:43], v[48:49], v[40:41]
	v_add_f64 v[46:47], v[48:49], -v[42:43]
	v_add_f64 v[40:41], v[40:41], v[46:47]
	v_mul_f64 v[46:47], v[44:45], v[42:43]
	v_mul_f64 v[48:49], v[38:39], v[46:47]
	v_fma_f64 v[50:51], v[46:47], v[38:39], -v[48:49]
	v_fmac_f64_e32 v[50:51], v[46:47], v[30:31]
	v_add_f64 v[52:53], v[48:49], v[50:51]
	v_add_f64 v[54:55], v[42:43], -v[52:53]
	v_add_f64 v[42:43], v[42:43], -v[54:55]
	;; [unrolled: 1-line block ×4, first 2 shown]
	v_add_f64 v[40:41], v[40:41], v[42:43]
	v_add_f64 v[42:43], v[48:49], -v[50:51]
	v_add_f64 v[40:41], v[42:43], v[40:41]
	v_add_f64 v[40:41], v[54:55], v[40:41]
	;; [unrolled: 1-line block ×3, first 2 shown]
	v_mul_f64 v[40:41], v[44:45], v[40:41]
	v_add_f64 v[44:45], v[42:43], -v[44:45]
	v_add_f64 v[44:45], v[46:47], -v[44:45]
	v_add_f64 v[40:41], v[44:45], v[40:41]
	v_add_f64 v[44:45], v[42:43], v[40:41]
	v_add_f64 v[42:43], v[44:45], -v[42:43]
	v_add_f64 v[40:41], v[40:41], -v[42:43]
	v_ldexp_f64 v[42:43], v[44:45], -2
	v_add_f64 v[44:45], v[38:39], v[42:43]
	v_ldexp_f64 v[40:41], v[40:41], -2
	v_add_f64 v[38:39], v[44:45], -v[38:39]
	v_add_f64 v[38:39], v[42:43], -v[38:39]
	v_add_f64 v[30:31], v[30:31], v[40:41]
	v_add_f64 v[30:31], v[30:31], v[38:39]
	;; [unrolled: 1-line block ×3, first 2 shown]
	v_cmp_nge_f64_e64 s[2:3], |v[28:29]|, s[38:39]
	v_cndmask_b32_e64 v29, v37, v31, s[2:3]
	v_cndmask_b32_e64 v28, 0, v30, s[2:3]
	global_store_dwordx2 v[4:5], v[28:29], off
	s_or_b64 exec, exec, s[6:7]
	s_and_saveexec_b64 s[2:3], s[0:1]
	s_cbranch_execz .LBB86_14
.LBB86_18:                              ;   in Loop: Header=BB86_4 Depth=1
	s_waitcnt vmcnt(0)
	v_add_f64 v[28:29], |v[26:27]|, s[20:21]
	v_add_f64 v[30:31], v[28:29], -|v[26:27]|
	v_add_f64 v[38:39], v[30:31], -v[28:29]
	s_mov_b32 s22, s20
	v_add_f64 v[38:39], |v[26:27]|, v[38:39]
	v_add_f64 v[30:31], v[30:31], s[22:23]
	v_add_f64 v[30:31], v[38:39], -v[30:31]
	v_add_f64 v[30:31], v[30:31], s[24:25]
	v_add_f64 v[38:39], v[28:29], v[30:31]
	v_add_f64 v[28:29], v[28:29], -v[38:39]
	v_add_f64 v[28:29], v[30:31], v[28:29]
	v_mul_f64 v[30:31], v[38:39], s[26:27]
	v_rndne_f64_e32 v[30:31], v[30:31]
	s_mov_b32 s29, s21
	v_fmac_f64_e32 v[38:39], s[28:29], v[30:31]
	v_add_f64 v[40:41], v[28:29], v[38:39]
	v_add_f64 v[38:39], v[38:39], -v[40:41]
	v_add_f64 v[28:29], v[28:29], v[38:39]
	v_mul_f64 v[38:39], v[30:31], s[30:31]
	v_add_f64 v[42:43], v[40:41], v[38:39]
	v_add_f64 v[40:41], v[40:41], -v[42:43]
	v_add_f64 v[38:39], v[40:41], v[38:39]
	v_add_f64 v[28:29], v[28:29], v[38:39]
	;; [unrolled: 1-line block ×3, first 2 shown]
	v_add_f64 v[40:41], v[42:43], -v[38:39]
	v_add_f64 v[28:29], v[28:29], v[40:41]
	v_mul_f64 v[40:41], v[30:31], s[34:35]
	v_add_f64 v[42:43], v[38:39], v[40:41]
	v_add_f64 v[38:39], v[38:39], -v[42:43]
	v_add_f64 v[38:39], v[38:39], v[40:41]
	v_add_f64 v[28:29], v[28:29], v[38:39]
	;; [unrolled: 1-line block ×3, first 2 shown]
	v_add_f64 v[40:41], v[42:43], -v[38:39]
	v_add_f64 v[28:29], v[28:29], v[40:41]
	v_pk_mov_b32 v[40:41], v[6:7], v[6:7] op_sel:[0,1]
	v_fmac_f64_e32 v[40:41], s[36:37], v[38:39]
	v_pk_mov_b32 v[42:43], v[8:9], v[8:9] op_sel:[0,1]
	v_fmac_f64_e32 v[42:43], v[38:39], v[40:41]
	;; [unrolled: 2-line block ×9, first 2 shown]
	v_mul_f64 v[42:43], v[38:39], v[38:39]
	v_fma_f64 v[44:45], v[38:39], v[38:39], -v[42:43]
	v_add_f64 v[46:47], v[28:29], v[28:29]
	v_fmac_f64_e32 v[44:45], v[38:39], v[46:47]
	v_add_f64 v[46:47], v[42:43], v[44:45]
	v_add_f64 v[42:43], v[46:47], -v[42:43]
	v_add_f64 v[42:43], v[44:45], -v[42:43]
	v_mul_f64 v[44:45], v[46:47], v[40:41]
	v_fma_f64 v[46:47], v[46:47], v[40:41], -v[44:45]
	v_fmac_f64_e32 v[46:47], v[42:43], v[40:41]
	v_add_f64 v[40:41], v[44:45], v[46:47]
	v_add_f64 v[42:43], v[40:41], -v[44:45]
	v_add_f64 v[44:45], v[38:39], v[40:41]
	v_add_f64 v[42:43], v[46:47], -v[42:43]
	v_add_f64 v[38:39], v[44:45], -v[38:39]
	;; [unrolled: 1-line block ×3, first 2 shown]
	v_add_f64 v[28:29], v[28:29], v[42:43]
	v_add_f64 v[28:29], v[28:29], v[38:39]
	;; [unrolled: 1-line block ×3, first 2 shown]
	v_add_f64 v[40:41], v[38:39], -v[44:45]
	v_add_f64 v[28:29], v[28:29], -v[40:41]
	v_add_f64 v[40:41], v[38:39], 1.0
	v_add_f64 v[42:43], v[40:41], -1.0
	v_add_f64 v[38:39], v[38:39], -v[42:43]
	v_add_f64 v[28:29], v[28:29], v[38:39]
	v_add_f64 v[38:39], v[40:41], v[28:29]
	v_cvt_i32_f64_e32 v44, v[30:31]
	v_ldexp_f64 v[30:31], v[38:39], v44
	v_rcp_f64_e32 v[42:43], v[30:31]
	v_add_f64 v[38:39], v[38:39], -v[40:41]
	v_add_f64 v[28:29], v[28:29], -v[38:39]
	v_ldexp_f64 v[28:29], v[28:29], v44
	v_fma_f64 v[38:39], -v[30:31], v[42:43], 1.0
	v_fmac_f64_e32 v[42:43], v[38:39], v[42:43]
	v_fma_f64 v[38:39], -v[30:31], v[42:43], 1.0
	v_fmac_f64_e32 v[42:43], v[38:39], v[42:43]
	v_mul_f64 v[38:39], v[30:31], v[42:43]
	v_fma_f64 v[40:41], v[42:43], v[30:31], -v[38:39]
	v_fmac_f64_e32 v[40:41], v[42:43], v[28:29]
	v_add_f64 v[44:45], v[38:39], v[40:41]
	v_add_f64 v[46:47], -v[44:45], 1.0
	v_add_f64 v[38:39], v[44:45], -v[38:39]
	v_add_f64 v[48:49], -v[46:47], 1.0
	v_add_f64 v[44:45], v[48:49], -v[44:45]
	v_add_f64 v[38:39], v[38:39], -v[40:41]
	v_add_f64 v[38:39], v[38:39], v[44:45]
	v_add_f64 v[40:41], v[46:47], v[38:39]
	v_add_f64 v[44:45], v[46:47], -v[40:41]
	v_add_f64 v[38:39], v[38:39], v[44:45]
	v_mul_f64 v[44:45], v[42:43], v[40:41]
	v_mul_f64 v[46:47], v[30:31], v[44:45]
	v_fma_f64 v[48:49], v[44:45], v[30:31], -v[46:47]
	v_fmac_f64_e32 v[48:49], v[44:45], v[28:29]
	v_add_f64 v[50:51], v[46:47], v[48:49]
	v_add_f64 v[52:53], v[40:41], -v[50:51]
	v_add_f64 v[40:41], v[40:41], -v[52:53]
	;; [unrolled: 1-line block ×4, first 2 shown]
	v_add_f64 v[38:39], v[38:39], v[40:41]
	v_add_f64 v[40:41], v[46:47], -v[48:49]
	v_add_f64 v[38:39], v[40:41], v[38:39]
	v_add_f64 v[38:39], v[52:53], v[38:39]
	;; [unrolled: 1-line block ×3, first 2 shown]
	v_mul_f64 v[38:39], v[42:43], v[38:39]
	v_add_f64 v[42:43], v[40:41], -v[42:43]
	v_add_f64 v[42:43], v[44:45], -v[42:43]
	v_add_f64 v[38:39], v[42:43], v[38:39]
	v_add_f64 v[42:43], v[40:41], v[38:39]
	v_add_f64 v[40:41], v[42:43], -v[40:41]
	v_add_f64 v[38:39], v[38:39], -v[40:41]
	v_ldexp_f64 v[40:41], v[42:43], -2
	v_add_f64 v[42:43], v[30:31], v[40:41]
	v_ldexp_f64 v[38:39], v[38:39], -2
	v_add_f64 v[30:31], v[42:43], -v[30:31]
	v_add_f64 v[30:31], v[40:41], -v[30:31]
	v_add_f64 v[28:29], v[28:29], v[38:39]
	v_add_f64 v[28:29], v[28:29], v[30:31]
	;; [unrolled: 1-line block ×3, first 2 shown]
	v_cmp_nge_f64_e64 s[0:1], |v[26:27]|, s[38:39]
	v_cndmask_b32_e64 v27, v37, v29, s[0:1]
	v_cndmask_b32_e64 v26, 0, v28, s[0:1]
	v_mov_b32_e32 v29, s47
	v_add_co_u32_e64 v28, s[0:1], s46, v2
	v_addc_co_u32_e64 v29, s[0:1], v3, v29, s[0:1]
	global_store_dwordx2 v[28:29], v[26:27], off
	s_or_b64 exec, exec, s[2:3]
	s_and_saveexec_b64 s[0:1], vcc
	s_cbranch_execz .LBB86_3
.LBB86_19:                              ;   in Loop: Header=BB86_4 Depth=1
	s_waitcnt vmcnt(0)
	v_add_f64 v[26:27], |v[24:25]|, s[20:21]
	v_add_f64 v[28:29], v[26:27], -|v[24:25]|
	v_add_f64 v[30:31], v[28:29], -v[26:27]
	s_mov_b32 s22, s20
	v_add_f64 v[30:31], |v[24:25]|, v[30:31]
	v_add_f64 v[28:29], v[28:29], s[22:23]
	v_add_f64 v[28:29], v[30:31], -v[28:29]
	v_add_f64 v[28:29], v[28:29], s[24:25]
	v_add_f64 v[30:31], v[26:27], v[28:29]
	v_add_f64 v[26:27], v[26:27], -v[30:31]
	v_add_f64 v[26:27], v[28:29], v[26:27]
	v_mul_f64 v[28:29], v[30:31], s[26:27]
	v_rndne_f64_e32 v[28:29], v[28:29]
	s_mov_b32 s29, s21
	v_fmac_f64_e32 v[30:31], s[28:29], v[28:29]
	v_add_f64 v[38:39], v[26:27], v[30:31]
	v_add_f64 v[30:31], v[30:31], -v[38:39]
	v_add_f64 v[26:27], v[26:27], v[30:31]
	v_mul_f64 v[30:31], v[28:29], s[30:31]
	v_add_f64 v[40:41], v[38:39], v[30:31]
	v_add_f64 v[38:39], v[38:39], -v[40:41]
	v_add_f64 v[30:31], v[38:39], v[30:31]
	v_add_f64 v[26:27], v[26:27], v[30:31]
	;; [unrolled: 1-line block ×3, first 2 shown]
	v_add_f64 v[38:39], v[40:41], -v[30:31]
	v_add_f64 v[26:27], v[26:27], v[38:39]
	v_mul_f64 v[38:39], v[28:29], s[34:35]
	v_add_f64 v[40:41], v[30:31], v[38:39]
	v_add_f64 v[30:31], v[30:31], -v[40:41]
	v_add_f64 v[30:31], v[30:31], v[38:39]
	v_add_f64 v[26:27], v[26:27], v[30:31]
	;; [unrolled: 1-line block ×3, first 2 shown]
	v_add_f64 v[38:39], v[40:41], -v[30:31]
	v_add_f64 v[26:27], v[26:27], v[38:39]
	v_pk_mov_b32 v[38:39], v[6:7], v[6:7] op_sel:[0,1]
	v_fmac_f64_e32 v[38:39], s[36:37], v[30:31]
	v_pk_mov_b32 v[40:41], v[8:9], v[8:9] op_sel:[0,1]
	v_fmac_f64_e32 v[40:41], v[30:31], v[38:39]
	;; [unrolled: 2-line block ×9, first 2 shown]
	v_mul_f64 v[40:41], v[30:31], v[30:31]
	v_fma_f64 v[42:43], v[30:31], v[30:31], -v[40:41]
	v_add_f64 v[44:45], v[26:27], v[26:27]
	v_fmac_f64_e32 v[42:43], v[30:31], v[44:45]
	v_add_f64 v[44:45], v[40:41], v[42:43]
	v_add_f64 v[40:41], v[44:45], -v[40:41]
	v_add_f64 v[40:41], v[42:43], -v[40:41]
	v_mul_f64 v[42:43], v[44:45], v[38:39]
	v_fma_f64 v[44:45], v[44:45], v[38:39], -v[42:43]
	v_fmac_f64_e32 v[44:45], v[40:41], v[38:39]
	v_add_f64 v[38:39], v[42:43], v[44:45]
	v_add_f64 v[40:41], v[38:39], -v[42:43]
	v_add_f64 v[42:43], v[30:31], v[38:39]
	v_add_f64 v[40:41], v[44:45], -v[40:41]
	v_add_f64 v[30:31], v[42:43], -v[30:31]
	;; [unrolled: 1-line block ×3, first 2 shown]
	v_add_f64 v[26:27], v[26:27], v[40:41]
	v_add_f64 v[26:27], v[26:27], v[30:31]
	;; [unrolled: 1-line block ×3, first 2 shown]
	v_add_f64 v[38:39], v[30:31], -v[42:43]
	v_add_f64 v[26:27], v[26:27], -v[38:39]
	v_add_f64 v[38:39], v[30:31], 1.0
	v_add_f64 v[40:41], v[38:39], -1.0
	v_add_f64 v[30:31], v[30:31], -v[40:41]
	v_add_f64 v[26:27], v[26:27], v[30:31]
	v_add_f64 v[30:31], v[38:39], v[26:27]
	v_cvt_i32_f64_e32 v42, v[28:29]
	v_ldexp_f64 v[28:29], v[30:31], v42
	v_rcp_f64_e32 v[40:41], v[28:29]
	v_add_f64 v[30:31], v[30:31], -v[38:39]
	v_add_f64 v[26:27], v[26:27], -v[30:31]
	v_ldexp_f64 v[26:27], v[26:27], v42
	v_fma_f64 v[30:31], -v[28:29], v[40:41], 1.0
	v_fmac_f64_e32 v[40:41], v[30:31], v[40:41]
	v_fma_f64 v[30:31], -v[28:29], v[40:41], 1.0
	v_fmac_f64_e32 v[40:41], v[30:31], v[40:41]
	v_mul_f64 v[30:31], v[28:29], v[40:41]
	v_fma_f64 v[38:39], v[40:41], v[28:29], -v[30:31]
	v_fmac_f64_e32 v[38:39], v[40:41], v[26:27]
	v_add_f64 v[42:43], v[30:31], v[38:39]
	v_add_f64 v[44:45], -v[42:43], 1.0
	v_add_f64 v[30:31], v[42:43], -v[30:31]
	v_add_f64 v[46:47], -v[44:45], 1.0
	v_add_f64 v[42:43], v[46:47], -v[42:43]
	v_add_f64 v[30:31], v[30:31], -v[38:39]
	v_add_f64 v[30:31], v[30:31], v[42:43]
	v_add_f64 v[38:39], v[44:45], v[30:31]
	v_add_f64 v[42:43], v[44:45], -v[38:39]
	v_add_f64 v[30:31], v[30:31], v[42:43]
	v_mul_f64 v[42:43], v[40:41], v[38:39]
	v_mul_f64 v[44:45], v[28:29], v[42:43]
	v_fma_f64 v[46:47], v[42:43], v[28:29], -v[44:45]
	v_fmac_f64_e32 v[46:47], v[42:43], v[26:27]
	v_add_f64 v[48:49], v[44:45], v[46:47]
	v_add_f64 v[50:51], v[38:39], -v[48:49]
	v_add_f64 v[38:39], v[38:39], -v[50:51]
	;; [unrolled: 1-line block ×4, first 2 shown]
	v_add_f64 v[30:31], v[30:31], v[38:39]
	v_add_f64 v[38:39], v[44:45], -v[46:47]
	v_add_f64 v[30:31], v[38:39], v[30:31]
	v_add_f64 v[30:31], v[50:51], v[30:31]
	;; [unrolled: 1-line block ×3, first 2 shown]
	v_mul_f64 v[30:31], v[40:41], v[30:31]
	v_add_f64 v[40:41], v[38:39], -v[40:41]
	v_add_f64 v[40:41], v[42:43], -v[40:41]
	v_add_f64 v[30:31], v[40:41], v[30:31]
	v_add_f64 v[40:41], v[38:39], v[30:31]
	v_add_f64 v[38:39], v[40:41], -v[38:39]
	v_add_f64 v[30:31], v[30:31], -v[38:39]
	v_ldexp_f64 v[38:39], v[40:41], -2
	v_add_f64 v[40:41], v[28:29], v[38:39]
	v_ldexp_f64 v[30:31], v[30:31], -2
	v_add_f64 v[28:29], v[40:41], -v[28:29]
	v_add_f64 v[28:29], v[38:39], -v[28:29]
	v_add_f64 v[26:27], v[26:27], v[30:31]
	v_add_f64 v[26:27], v[26:27], v[28:29]
	;; [unrolled: 1-line block ×3, first 2 shown]
	v_cmp_nge_f64_e64 vcc, |v[24:25]|, s[38:39]
	v_cndmask_b32_e32 v25, v37, v27, vcc
	v_cndmask_b32_e32 v24, 0, v26, vcc
	v_mov_b32_e32 v27, s45
	v_add_co_u32_e32 v26, vcc, s44, v2
	v_addc_co_u32_e32 v27, vcc, v3, v27, vcc
	global_store_dwordx2 v[26:27], v[24:25], off
	s_branch .LBB86_3
.LBB86_20:
	s_cbranch_execz .LBB86_22
	s_branch .LBB86_25
.LBB86_21:
.LBB86_22:
	v_mov_b32_e32 v9, 0
	v_lshlrev_b32_e32 v8, 2, v0
	s_mov_b32 s0, 0
	v_cmp_gt_i64_e32 vcc, s[10:11], v[8:9]
	s_and_saveexec_b64 s[2:3], vcc
	s_cbranch_execz .LBB86_25
; %bb.23:
	s_load_dword s1, s[4:5], 0xd3c
	v_lshlrev_b32_e32 v1, 5, v0
	s_mov_b32 s22, 0xfca7ab0c
	s_mov_b32 s4, 0xfefa39ef
	;; [unrolled: 1-line block ×3, first 2 shown]
	s_waitcnt lgkmcnt(0)
	s_and_b32 s1, s1, 0xffff
	s_lshl_b32 s33, s1, 2
	s_add_u32 s2, s12, s14
	s_addc_u32 s3, s13, s15
	v_add_lshl_u32 v8, v0, s1, 2
	v_mov_b32_e32 v0, s3
	v_add_co_u32_e32 v1, vcc, s2, v1
	v_addc_co_u32_e32 v0, vcc, 0, v0, vcc
	v_add_co_u32_e32 v10, vcc, 16, v1
	s_mov_b32 s5, 0xbfe62e42
	s_mov_b32 s8, 0x3b39803f
	;; [unrolled: 1-line block ×6, first 2 shown]
	v_pk_mov_b32 v[12:13], s[22:23], s[22:23] op_sel:[0,1]
	s_mov_b32 s22, 0x623fde64
	s_mov_b32 s24, 0x7c89e6b0
	s_mov_b32 s26, 0x14761f6e
	s_mov_b32 s28, 0x1852b7b0
	s_mov_b32 s30, 0x11122322
	s_mov_b32 s34, 0x555502a1
	s_mov_b32 s36, 0x55555511
	s_mov_b32 s38, 11
	s_mov_b32 s40, 0x8fb9f87e
	v_addc_co_u32_e32 v11, vcc, 0, v0, vcc
	s_lshl_b32 s44, s1, 5
	s_mov_b64 s[2:3], 0
	s_mov_b32 s7, 0x3fe62e42
	s_mov_b32 s6, s4
	;; [unrolled: 1-line block ×18, first 2 shown]
	v_mov_b32_e32 v14, 0x7ff00000
	s_mov_b64 s[42:43], 0xffff
	v_mov_b32_e32 v15, s0
	v_mov_b32_e32 v16, s0
.LBB86_24:                              ; =>This Inner Loop Header: Depth=1
	global_load_dwordx4 v[4:7], v[10:11], off offset:-16
	global_load_dwordx4 v[0:3], v[10:11], off
	v_cmp_lt_u64_e64 s[0:1], s[42:43], v[8:9]
	s_waitcnt vmcnt(1)
	v_add_f64 v[18:19], |v[4:5]|, s[4:5]
	v_add_f64 v[20:21], |v[6:7]|, s[4:5]
	v_add_f64 v[22:23], v[18:19], -|v[4:5]|
	v_add_f64 v[24:25], v[20:21], -|v[6:7]|
	v_add_f64 v[26:27], v[22:23], -v[18:19]
	v_add_f64 v[22:23], v[22:23], s[6:7]
	v_add_f64 v[28:29], v[24:25], -v[20:21]
	v_add_f64 v[26:27], |v[4:5]|, v[26:27]
	v_add_f64 v[24:25], v[24:25], s[6:7]
	v_add_f64 v[28:29], |v[6:7]|, v[28:29]
	v_add_f64 v[22:23], v[26:27], -v[22:23]
	v_add_f64 v[24:25], v[28:29], -v[24:25]
	v_add_f64 v[22:23], v[22:23], s[8:9]
	v_add_f64 v[24:25], v[24:25], s[8:9]
	;; [unrolled: 1-line block ×4, first 2 shown]
	v_add_f64 v[18:19], v[18:19], -v[26:27]
	v_mul_f64 v[30:31], v[26:27], s[12:13]
	v_add_f64 v[20:21], v[20:21], -v[28:29]
	v_mul_f64 v[32:33], v[28:29], s[12:13]
	v_add_f64 v[18:19], v[22:23], v[18:19]
	v_rndne_f64_e32 v[22:23], v[30:31]
	v_add_f64 v[20:21], v[24:25], v[20:21]
	v_rndne_f64_e32 v[24:25], v[32:33]
	v_fmac_f64_e32 v[26:27], s[14:15], v[22:23]
	v_mul_f64 v[30:31], v[22:23], s[16:17]
	v_fmac_f64_e32 v[28:29], s[14:15], v[24:25]
	v_add_f64 v[36:37], v[18:19], v[26:27]
	v_mul_f64 v[32:33], v[22:23], s[18:19]
	v_cvt_i32_f64_e32 v17, v[22:23]
	v_mul_f64 v[22:23], v[24:25], s[16:17]
	v_add_f64 v[38:39], v[20:21], v[28:29]
	v_add_f64 v[26:27], v[26:27], -v[36:37]
	v_add_f64 v[40:41], v[36:37], -v[30:31]
	;; [unrolled: 1-line block ×4, first 2 shown]
	v_add_f64 v[18:19], v[18:19], v[26:27]
	v_add_f64 v[26:27], v[36:37], -v[40:41]
	v_add_f64 v[20:21], v[20:21], v[28:29]
	v_add_f64 v[28:29], v[38:39], -v[42:43]
	v_add_f64 v[26:27], v[26:27], -v[30:31]
	;; [unrolled: 1-line block ×3, first 2 shown]
	v_add_f64 v[18:19], v[18:19], v[26:27]
	v_add_f64 v[20:21], v[20:21], v[22:23]
	;; [unrolled: 1-line block ×3, first 2 shown]
	v_add_f64 v[30:31], v[22:23], -v[32:33]
	v_add_f64 v[28:29], v[40:41], -v[22:23]
	;; [unrolled: 1-line block ×3, first 2 shown]
	v_mul_f64 v[34:35], v[24:25], s[18:19]
	v_add_f64 v[26:27], v[42:43], v[20:21]
	v_add_f64 v[18:19], v[18:19], v[28:29]
	v_add_f64 v[22:23], v[22:23], -v[32:33]
	v_add_f64 v[38:39], v[26:27], -v[34:35]
	v_add_f64 v[18:19], v[18:19], v[22:23]
	v_add_f64 v[36:37], v[42:43], -v[26:27]
	v_add_f64 v[26:27], v[26:27], -v[38:39]
	v_add_f64 v[22:23], v[30:31], v[18:19]
	v_add_f64 v[20:21], v[20:21], v[36:37]
	v_add_f64 v[26:27], v[26:27], -v[34:35]
	v_add_f64 v[28:29], v[30:31], -v[22:23]
	v_fma_f64 v[30:31], s[20:21], v[22:23], v[12:13]
	v_add_f64 v[20:21], v[20:21], v[26:27]
	v_add_f64 v[18:19], v[18:19], v[28:29]
	v_fma_f64 v[28:29], v[22:23], v[30:31], s[22:23]
	v_add_f64 v[26:27], v[38:39], v[20:21]
	v_fma_f64 v[28:29], v[22:23], v[28:29], s[24:25]
	v_add_f64 v[34:35], v[38:39], -v[26:27]
	v_fma_f64 v[36:37], s[20:21], v[26:27], v[12:13]
	v_fma_f64 v[28:29], v[22:23], v[28:29], s[26:27]
	v_mul_f64 v[32:33], v[22:23], v[22:23]
	v_add_f64 v[20:21], v[20:21], v[34:35]
	v_fma_f64 v[34:35], v[26:27], v[36:37], s[22:23]
	v_fma_f64 v[28:29], v[22:23], v[28:29], s[28:29]
	v_fma_f64 v[30:31], v[22:23], v[22:23], -v[32:33]
	v_add_f64 v[36:37], v[18:19], v[18:19]
	v_fma_f64 v[34:35], v[26:27], v[34:35], s[24:25]
	v_fma_f64 v[28:29], v[22:23], v[28:29], s[30:31]
	v_fmac_f64_e32 v[30:31], v[22:23], v[36:37]
	v_fma_f64 v[34:35], v[26:27], v[34:35], s[26:27]
	v_fma_f64 v[28:29], v[22:23], v[28:29], s[34:35]
	v_add_f64 v[36:37], v[32:33], v[30:31]
	v_fma_f64 v[34:35], v[26:27], v[34:35], s[28:29]
	v_fma_f64 v[28:29], v[22:23], v[28:29], s[36:37]
	v_add_f64 v[32:33], v[36:37], -v[32:33]
	v_fma_f64 v[34:35], v[26:27], v[34:35], s[30:31]
	v_fma_f64 v[28:29], v[22:23], v[28:29], s[38:39]
	v_add_f64 v[30:31], v[30:31], -v[32:33]
	v_fma_f64 v[32:33], v[26:27], v[34:35], s[34:35]
	v_mul_f64 v[34:35], v[36:37], v[28:29]
	v_fma_f64 v[36:37], v[36:37], v[28:29], -v[34:35]
	v_fmac_f64_e32 v[36:37], v[30:31], v[28:29]
	v_add_f64 v[28:29], v[34:35], v[36:37]
	v_add_f64 v[30:31], v[28:29], -v[34:35]
	v_add_f64 v[34:35], v[22:23], v[28:29]
	v_add_f64 v[30:31], v[36:37], -v[30:31]
	v_add_f64 v[22:23], v[34:35], -v[22:23]
	;; [unrolled: 1-line block ×3, first 2 shown]
	v_add_f64 v[18:19], v[18:19], v[30:31]
	v_add_f64 v[18:19], v[18:19], v[22:23]
	v_add_f64 v[22:23], v[34:35], v[18:19]
	v_add_f64 v[28:29], v[22:23], -v[34:35]
	v_add_f64 v[30:31], v[22:23], 1.0
	v_add_f64 v[18:19], v[18:19], -v[28:29]
	v_add_f64 v[28:29], v[30:31], -1.0
	v_add_f64 v[22:23], v[22:23], -v[28:29]
	v_add_f64 v[18:19], v[18:19], v[22:23]
	v_add_f64 v[22:23], v[30:31], v[18:19]
	v_ldexp_f64 v[28:29], v[22:23], v17
	v_rcp_f64_e32 v[34:35], v[28:29]
	v_add_f64 v[22:23], v[22:23], -v[30:31]
	v_add_f64 v[18:19], v[18:19], -v[22:23]
	v_ldexp_f64 v[18:19], v[18:19], v17
	v_fma_f64 v[22:23], -v[28:29], v[34:35], 1.0
	v_fmac_f64_e32 v[34:35], v[22:23], v[34:35]
	v_fma_f64 v[22:23], -v[28:29], v[34:35], 1.0
	v_fmac_f64_e32 v[34:35], v[22:23], v[34:35]
	v_mul_f64 v[22:23], v[28:29], v[34:35]
	v_fma_f64 v[30:31], v[34:35], v[28:29], -v[22:23]
	v_fmac_f64_e32 v[30:31], v[34:35], v[18:19]
	v_add_f64 v[36:37], v[22:23], v[30:31]
	v_add_f64 v[38:39], -v[36:37], 1.0
	v_add_f64 v[22:23], v[36:37], -v[22:23]
	v_add_f64 v[40:41], -v[38:39], 1.0
	v_add_f64 v[22:23], v[22:23], -v[30:31]
	v_add_f64 v[30:31], v[40:41], -v[36:37]
	v_add_f64 v[22:23], v[22:23], v[30:31]
	v_add_f64 v[30:31], v[38:39], v[22:23]
	v_add_f64 v[36:37], v[38:39], -v[30:31]
	v_mul_f64 v[38:39], v[34:35], v[30:31]
	v_add_f64 v[22:23], v[22:23], v[36:37]
	v_mul_f64 v[36:37], v[28:29], v[38:39]
	v_add_f64 v[40:41], v[34:35], v[38:39]
	v_fma_f64 v[42:43], v[38:39], v[28:29], -v[36:37]
	v_add_f64 v[44:45], v[40:41], -v[34:35]
	v_fmac_f64_e32 v[42:43], v[38:39], v[18:19]
	v_add_f64 v[38:39], v[38:39], -v[44:45]
	v_add_f64 v[44:45], v[36:37], v[42:43]
	v_add_f64 v[46:47], v[30:31], -v[44:45]
	v_add_f64 v[30:31], v[30:31], -v[46:47]
	;; [unrolled: 1-line block ×5, first 2 shown]
	v_add_f64 v[22:23], v[22:23], v[30:31]
	v_add_f64 v[22:23], v[36:37], v[22:23]
	;; [unrolled: 1-line block ×3, first 2 shown]
	v_mul_f64 v[22:23], v[34:35], v[22:23]
	v_add_f64 v[22:23], v[38:39], v[22:23]
	v_add_f64 v[30:31], v[40:41], v[22:23]
	v_add_f64 v[34:35], v[30:31], -v[40:41]
	v_ldexp_f64 v[30:31], v[30:31], -2
	v_add_f64 v[22:23], v[22:23], -v[34:35]
	v_add_f64 v[34:35], v[28:29], v[30:31]
	v_ldexp_f64 v[22:23], v[22:23], -2
	v_add_f64 v[28:29], v[34:35], -v[28:29]
	v_add_f64 v[28:29], v[30:31], -v[28:29]
	v_add_f64 v[18:19], v[18:19], v[22:23]
	v_mul_f64 v[22:23], v[26:27], v[26:27]
	v_add_f64 v[18:19], v[18:19], v[28:29]
	v_fma_f64 v[28:29], v[26:27], v[26:27], -v[22:23]
	v_add_f64 v[30:31], v[20:21], v[20:21]
	v_add_f64 v[18:19], v[34:35], v[18:19]
	v_cmp_nge_f64_e64 vcc, |v[4:5]|, s[40:41]
	v_fmac_f64_e32 v[28:29], v[26:27], v[30:31]
	v_cndmask_b32_e32 v5, v14, v19, vcc
	v_cndmask_b32_e32 v4, 0, v18, vcc
	v_fma_f64 v[18:19], v[26:27], v[32:33], s[36:37]
	v_add_f64 v[30:31], v[22:23], v[28:29]
	v_fma_f64 v[18:19], v[26:27], v[18:19], s[38:39]
	v_add_f64 v[22:23], v[30:31], -v[22:23]
	v_add_f64 v[22:23], v[28:29], -v[22:23]
	v_mul_f64 v[28:29], v[30:31], v[18:19]
	v_fma_f64 v[30:31], v[30:31], v[18:19], -v[28:29]
	v_fmac_f64_e32 v[30:31], v[22:23], v[18:19]
	v_add_f64 v[18:19], v[28:29], v[30:31]
	v_add_f64 v[22:23], v[18:19], -v[28:29]
	v_add_f64 v[28:29], v[26:27], v[18:19]
	v_add_f64 v[22:23], v[30:31], -v[22:23]
	v_add_f64 v[26:27], v[28:29], -v[26:27]
	;; [unrolled: 1-line block ×3, first 2 shown]
	v_add_f64 v[20:21], v[20:21], v[22:23]
	v_add_f64 v[18:19], v[20:21], v[18:19]
	;; [unrolled: 1-line block ×3, first 2 shown]
	v_add_f64 v[22:23], v[20:21], -v[28:29]
	v_add_f64 v[18:19], v[18:19], -v[22:23]
	v_add_f64 v[22:23], v[20:21], 1.0
	v_add_f64 v[26:27], v[22:23], -1.0
	v_add_f64 v[20:21], v[20:21], -v[26:27]
	v_add_f64 v[18:19], v[18:19], v[20:21]
	v_add_f64 v[20:21], v[22:23], v[18:19]
	v_cvt_i32_f64_e32 v17, v[24:25]
	v_ldexp_f64 v[24:25], v[20:21], v17
	v_rcp_f64_e32 v[26:27], v[24:25]
	v_add_f64 v[20:21], v[20:21], -v[22:23]
	v_add_f64 v[18:19], v[18:19], -v[20:21]
	v_ldexp_f64 v[18:19], v[18:19], v17
	v_fma_f64 v[20:21], -v[24:25], v[26:27], 1.0
	v_fmac_f64_e32 v[26:27], v[20:21], v[26:27]
	v_fma_f64 v[20:21], -v[24:25], v[26:27], 1.0
	v_fmac_f64_e32 v[26:27], v[20:21], v[26:27]
	v_mul_f64 v[20:21], v[24:25], v[26:27]
	v_fma_f64 v[22:23], v[26:27], v[24:25], -v[20:21]
	v_fmac_f64_e32 v[22:23], v[26:27], v[18:19]
	v_add_f64 v[28:29], v[20:21], v[22:23]
	v_add_f64 v[30:31], -v[28:29], 1.0
	v_add_f64 v[20:21], v[28:29], -v[20:21]
	v_add_f64 v[32:33], -v[30:31], 1.0
	v_add_f64 v[28:29], v[32:33], -v[28:29]
	v_add_f64 v[20:21], v[20:21], -v[22:23]
	v_add_f64 v[20:21], v[20:21], v[28:29]
	v_add_f64 v[22:23], v[30:31], v[20:21]
	v_add_f64 v[28:29], v[30:31], -v[22:23]
	v_add_f64 v[20:21], v[20:21], v[28:29]
	v_mul_f64 v[28:29], v[26:27], v[22:23]
	v_mul_f64 v[30:31], v[24:25], v[28:29]
	v_fma_f64 v[32:33], v[28:29], v[24:25], -v[30:31]
	v_fmac_f64_e32 v[32:33], v[28:29], v[18:19]
	v_add_f64 v[34:35], v[30:31], v[32:33]
	v_add_f64 v[36:37], v[22:23], -v[34:35]
	v_add_f64 v[22:23], v[22:23], -v[36:37]
	;; [unrolled: 1-line block ×4, first 2 shown]
	v_add_f64 v[20:21], v[20:21], v[22:23]
	v_add_f64 v[22:23], v[30:31], -v[32:33]
	v_add_f64 v[20:21], v[22:23], v[20:21]
	v_add_f64 v[20:21], v[36:37], v[20:21]
	;; [unrolled: 1-line block ×3, first 2 shown]
	v_mul_f64 v[20:21], v[26:27], v[20:21]
	v_add_f64 v[26:27], v[22:23], -v[26:27]
	v_add_f64 v[26:27], v[28:29], -v[26:27]
	v_add_f64 v[20:21], v[26:27], v[20:21]
	v_add_f64 v[26:27], v[22:23], v[20:21]
	v_add_f64 v[22:23], v[26:27], -v[22:23]
	v_add_f64 v[20:21], v[20:21], -v[22:23]
	v_ldexp_f64 v[22:23], v[26:27], -2
	v_add_f64 v[26:27], v[24:25], v[22:23]
	v_ldexp_f64 v[20:21], v[20:21], -2
	v_add_f64 v[24:25], v[26:27], -v[24:25]
	v_add_f64 v[22:23], v[22:23], -v[24:25]
	v_add_f64 v[18:19], v[18:19], v[20:21]
	v_add_f64 v[18:19], v[18:19], v[22:23]
	;; [unrolled: 1-line block ×3, first 2 shown]
	v_cmp_nge_f64_e64 vcc, |v[6:7]|, s[40:41]
	v_cndmask_b32_e32 v7, v14, v19, vcc
	v_cndmask_b32_e32 v6, 0, v18, vcc
	s_waitcnt vmcnt(0)
	v_add_f64 v[18:19], |v[0:1]|, s[4:5]
	v_add_f64 v[20:21], v[18:19], -|v[0:1]|
	v_add_f64 v[22:23], v[20:21], -v[18:19]
	v_add_f64 v[22:23], |v[0:1]|, v[22:23]
	v_add_f64 v[20:21], v[20:21], s[6:7]
	v_add_f64 v[20:21], v[22:23], -v[20:21]
	v_add_f64 v[20:21], v[20:21], s[8:9]
	v_add_f64 v[22:23], v[18:19], v[20:21]
	v_add_f64 v[18:19], v[18:19], -v[22:23]
	v_add_f64 v[18:19], v[20:21], v[18:19]
	v_mul_f64 v[20:21], v[22:23], s[12:13]
	v_rndne_f64_e32 v[20:21], v[20:21]
	v_fmac_f64_e32 v[22:23], s[14:15], v[20:21]
	v_add_f64 v[24:25], v[18:19], v[22:23]
	v_add_f64 v[22:23], v[22:23], -v[24:25]
	v_add_f64 v[18:19], v[18:19], v[22:23]
	v_mul_f64 v[22:23], v[20:21], s[16:17]
	v_add_f64 v[26:27], v[24:25], -v[22:23]
	v_add_f64 v[24:25], v[24:25], -v[26:27]
	;; [unrolled: 1-line block ×3, first 2 shown]
	v_add_f64 v[18:19], v[18:19], v[22:23]
	v_add_f64 v[22:23], v[26:27], v[18:19]
	v_add_f64 v[24:25], v[26:27], -v[22:23]
	v_add_f64 v[18:19], v[18:19], v[24:25]
	v_mul_f64 v[24:25], v[20:21], s[18:19]
	v_add_f64 v[26:27], v[22:23], -v[24:25]
	v_add_f64 v[22:23], v[22:23], -v[26:27]
	;; [unrolled: 1-line block ×3, first 2 shown]
	v_add_f64 v[18:19], v[18:19], v[22:23]
	v_add_f64 v[22:23], v[26:27], v[18:19]
	v_add_f64 v[24:25], v[26:27], -v[22:23]
	v_add_f64 v[18:19], v[18:19], v[24:25]
	v_fma_f64 v[24:25], s[20:21], v[22:23], v[12:13]
	v_fma_f64 v[24:25], v[22:23], v[24:25], s[22:23]
	;; [unrolled: 1-line block ×5, first 2 shown]
	v_mul_f64 v[26:27], v[22:23], v[22:23]
	v_fma_f64 v[24:25], v[22:23], v[24:25], s[30:31]
	v_fma_f64 v[28:29], v[22:23], v[22:23], -v[26:27]
	v_add_f64 v[30:31], v[18:19], v[18:19]
	v_fma_f64 v[24:25], v[22:23], v[24:25], s[34:35]
	v_fmac_f64_e32 v[28:29], v[22:23], v[30:31]
	v_fma_f64 v[24:25], v[22:23], v[24:25], s[36:37]
	v_add_f64 v[30:31], v[26:27], v[28:29]
	v_fma_f64 v[24:25], v[22:23], v[24:25], s[38:39]
	v_add_f64 v[26:27], v[30:31], -v[26:27]
	v_add_f64 v[26:27], v[28:29], -v[26:27]
	v_mul_f64 v[28:29], v[30:31], v[24:25]
	v_fma_f64 v[30:31], v[30:31], v[24:25], -v[28:29]
	v_fmac_f64_e32 v[30:31], v[26:27], v[24:25]
	v_add_f64 v[24:25], v[28:29], v[30:31]
	v_add_f64 v[26:27], v[24:25], -v[28:29]
	v_add_f64 v[28:29], v[22:23], v[24:25]
	v_add_f64 v[26:27], v[30:31], -v[26:27]
	v_add_f64 v[22:23], v[28:29], -v[22:23]
	;; [unrolled: 1-line block ×3, first 2 shown]
	v_add_f64 v[18:19], v[18:19], v[26:27]
	v_add_f64 v[18:19], v[18:19], v[22:23]
	;; [unrolled: 1-line block ×3, first 2 shown]
	v_add_f64 v[24:25], v[22:23], -v[28:29]
	v_add_f64 v[18:19], v[18:19], -v[24:25]
	v_add_f64 v[24:25], v[22:23], 1.0
	v_add_f64 v[26:27], v[24:25], -1.0
	v_add_f64 v[22:23], v[22:23], -v[26:27]
	v_add_f64 v[18:19], v[18:19], v[22:23]
	v_add_f64 v[22:23], v[24:25], v[18:19]
	v_cvt_i32_f64_e32 v17, v[20:21]
	v_ldexp_f64 v[20:21], v[22:23], v17
	v_rcp_f64_e32 v[26:27], v[20:21]
	v_add_f64 v[22:23], v[22:23], -v[24:25]
	v_add_f64 v[18:19], v[18:19], -v[22:23]
	v_ldexp_f64 v[18:19], v[18:19], v17
	v_fma_f64 v[22:23], -v[20:21], v[26:27], 1.0
	v_fmac_f64_e32 v[26:27], v[22:23], v[26:27]
	v_fma_f64 v[22:23], -v[20:21], v[26:27], 1.0
	v_fmac_f64_e32 v[26:27], v[22:23], v[26:27]
	v_mul_f64 v[22:23], v[20:21], v[26:27]
	v_fma_f64 v[24:25], v[26:27], v[20:21], -v[22:23]
	v_fmac_f64_e32 v[24:25], v[26:27], v[18:19]
	v_add_f64 v[28:29], v[22:23], v[24:25]
	v_add_f64 v[30:31], -v[28:29], 1.0
	v_add_f64 v[22:23], v[28:29], -v[22:23]
	v_add_f64 v[32:33], -v[30:31], 1.0
	v_add_f64 v[28:29], v[32:33], -v[28:29]
	v_add_f64 v[22:23], v[22:23], -v[24:25]
	v_add_f64 v[22:23], v[22:23], v[28:29]
	v_add_f64 v[24:25], v[30:31], v[22:23]
	v_add_f64 v[28:29], v[30:31], -v[24:25]
	v_add_f64 v[22:23], v[22:23], v[28:29]
	v_mul_f64 v[28:29], v[26:27], v[24:25]
	v_mul_f64 v[30:31], v[20:21], v[28:29]
	v_fma_f64 v[32:33], v[28:29], v[20:21], -v[30:31]
	v_fmac_f64_e32 v[32:33], v[28:29], v[18:19]
	v_add_f64 v[34:35], v[30:31], v[32:33]
	v_add_f64 v[36:37], v[24:25], -v[34:35]
	v_add_f64 v[24:25], v[24:25], -v[36:37]
	;; [unrolled: 1-line block ×4, first 2 shown]
	v_add_f64 v[22:23], v[22:23], v[24:25]
	v_add_f64 v[24:25], v[30:31], -v[32:33]
	v_add_f64 v[22:23], v[24:25], v[22:23]
	v_add_f64 v[22:23], v[36:37], v[22:23]
	;; [unrolled: 1-line block ×3, first 2 shown]
	v_mul_f64 v[22:23], v[26:27], v[22:23]
	v_add_f64 v[26:27], v[24:25], -v[26:27]
	v_add_f64 v[26:27], v[28:29], -v[26:27]
	v_add_f64 v[22:23], v[26:27], v[22:23]
	v_add_f64 v[26:27], v[24:25], v[22:23]
	v_add_f64 v[24:25], v[26:27], -v[24:25]
	v_add_f64 v[22:23], v[22:23], -v[24:25]
	v_ldexp_f64 v[24:25], v[26:27], -2
	v_add_f64 v[26:27], v[20:21], v[24:25]
	v_ldexp_f64 v[22:23], v[22:23], -2
	v_add_f64 v[20:21], v[26:27], -v[20:21]
	v_add_f64 v[20:21], v[24:25], -v[20:21]
	v_add_f64 v[18:19], v[18:19], v[22:23]
	v_add_f64 v[18:19], v[18:19], v[20:21]
	;; [unrolled: 1-line block ×3, first 2 shown]
	v_cmp_nge_f64_e64 vcc, |v[0:1]|, s[40:41]
	v_cndmask_b32_e32 v1, v14, v19, vcc
	v_cndmask_b32_e32 v0, 0, v18, vcc
	v_add_f64 v[18:19], |v[2:3]|, s[4:5]
	v_add_f64 v[20:21], v[18:19], -|v[2:3]|
	v_add_f64 v[22:23], v[20:21], -v[18:19]
	v_add_f64 v[22:23], |v[2:3]|, v[22:23]
	v_add_f64 v[20:21], v[20:21], s[6:7]
	v_add_f64 v[20:21], v[22:23], -v[20:21]
	v_add_f64 v[20:21], v[20:21], s[8:9]
	v_add_f64 v[22:23], v[18:19], v[20:21]
	v_add_f64 v[18:19], v[18:19], -v[22:23]
	v_add_f64 v[18:19], v[20:21], v[18:19]
	v_mul_f64 v[20:21], v[22:23], s[12:13]
	v_rndne_f64_e32 v[20:21], v[20:21]
	v_fmac_f64_e32 v[22:23], s[14:15], v[20:21]
	v_add_f64 v[24:25], v[18:19], v[22:23]
	v_add_f64 v[22:23], v[22:23], -v[24:25]
	v_add_f64 v[18:19], v[18:19], v[22:23]
	v_mul_f64 v[22:23], v[20:21], s[16:17]
	v_add_f64 v[26:27], v[24:25], -v[22:23]
	v_add_f64 v[24:25], v[24:25], -v[26:27]
	;; [unrolled: 1-line block ×3, first 2 shown]
	v_add_f64 v[18:19], v[18:19], v[22:23]
	v_add_f64 v[22:23], v[26:27], v[18:19]
	v_add_f64 v[24:25], v[26:27], -v[22:23]
	v_add_f64 v[18:19], v[18:19], v[24:25]
	v_mul_f64 v[24:25], v[20:21], s[18:19]
	v_add_f64 v[26:27], v[22:23], -v[24:25]
	v_add_f64 v[22:23], v[22:23], -v[26:27]
	;; [unrolled: 1-line block ×3, first 2 shown]
	v_add_f64 v[18:19], v[18:19], v[22:23]
	v_add_f64 v[22:23], v[26:27], v[18:19]
	v_add_f64 v[24:25], v[26:27], -v[22:23]
	v_add_f64 v[18:19], v[18:19], v[24:25]
	v_fma_f64 v[24:25], s[20:21], v[22:23], v[12:13]
	v_fma_f64 v[24:25], v[22:23], v[24:25], s[22:23]
	;; [unrolled: 1-line block ×5, first 2 shown]
	v_mul_f64 v[26:27], v[22:23], v[22:23]
	v_fma_f64 v[24:25], v[22:23], v[24:25], s[30:31]
	v_fma_f64 v[28:29], v[22:23], v[22:23], -v[26:27]
	v_add_f64 v[30:31], v[18:19], v[18:19]
	v_fma_f64 v[24:25], v[22:23], v[24:25], s[34:35]
	v_fmac_f64_e32 v[28:29], v[22:23], v[30:31]
	v_fma_f64 v[24:25], v[22:23], v[24:25], s[36:37]
	v_add_f64 v[30:31], v[26:27], v[28:29]
	v_fma_f64 v[24:25], v[22:23], v[24:25], s[38:39]
	v_add_f64 v[26:27], v[30:31], -v[26:27]
	v_add_f64 v[26:27], v[28:29], -v[26:27]
	v_mul_f64 v[28:29], v[30:31], v[24:25]
	v_fma_f64 v[30:31], v[30:31], v[24:25], -v[28:29]
	v_fmac_f64_e32 v[30:31], v[26:27], v[24:25]
	v_add_f64 v[24:25], v[28:29], v[30:31]
	v_add_f64 v[26:27], v[24:25], -v[28:29]
	v_add_f64 v[28:29], v[22:23], v[24:25]
	v_add_f64 v[26:27], v[30:31], -v[26:27]
	v_add_f64 v[22:23], v[28:29], -v[22:23]
	;; [unrolled: 1-line block ×3, first 2 shown]
	v_add_f64 v[18:19], v[18:19], v[26:27]
	v_add_f64 v[18:19], v[18:19], v[22:23]
	;; [unrolled: 1-line block ×3, first 2 shown]
	v_add_f64 v[24:25], v[22:23], -v[28:29]
	v_add_f64 v[18:19], v[18:19], -v[24:25]
	v_add_f64 v[24:25], v[22:23], 1.0
	v_add_f64 v[26:27], v[24:25], -1.0
	v_add_f64 v[22:23], v[22:23], -v[26:27]
	v_add_f64 v[18:19], v[18:19], v[22:23]
	v_add_f64 v[22:23], v[24:25], v[18:19]
	v_cvt_i32_f64_e32 v17, v[20:21]
	v_ldexp_f64 v[20:21], v[22:23], v17
	v_rcp_f64_e32 v[26:27], v[20:21]
	v_add_f64 v[22:23], v[22:23], -v[24:25]
	v_add_f64 v[18:19], v[18:19], -v[22:23]
	v_ldexp_f64 v[18:19], v[18:19], v17
	v_fma_f64 v[22:23], -v[20:21], v[26:27], 1.0
	v_fmac_f64_e32 v[26:27], v[22:23], v[26:27]
	v_fma_f64 v[22:23], -v[20:21], v[26:27], 1.0
	v_fmac_f64_e32 v[26:27], v[22:23], v[26:27]
	v_mul_f64 v[22:23], v[20:21], v[26:27]
	v_fma_f64 v[24:25], v[26:27], v[20:21], -v[22:23]
	v_fmac_f64_e32 v[24:25], v[26:27], v[18:19]
	v_add_f64 v[28:29], v[22:23], v[24:25]
	v_add_f64 v[30:31], -v[28:29], 1.0
	v_add_f64 v[22:23], v[28:29], -v[22:23]
	v_add_f64 v[32:33], -v[30:31], 1.0
	v_add_f64 v[28:29], v[32:33], -v[28:29]
	v_add_f64 v[22:23], v[22:23], -v[24:25]
	v_add_f64 v[22:23], v[22:23], v[28:29]
	v_add_f64 v[24:25], v[30:31], v[22:23]
	v_add_f64 v[28:29], v[30:31], -v[24:25]
	v_add_f64 v[22:23], v[22:23], v[28:29]
	v_mul_f64 v[28:29], v[26:27], v[24:25]
	v_mul_f64 v[30:31], v[20:21], v[28:29]
	v_fma_f64 v[32:33], v[28:29], v[20:21], -v[30:31]
	v_fmac_f64_e32 v[32:33], v[28:29], v[18:19]
	v_add_f64 v[34:35], v[30:31], v[32:33]
	v_add_f64 v[36:37], v[24:25], -v[34:35]
	v_add_f64 v[24:25], v[24:25], -v[36:37]
	;; [unrolled: 1-line block ×4, first 2 shown]
	v_add_f64 v[22:23], v[22:23], v[24:25]
	v_add_f64 v[24:25], v[30:31], -v[32:33]
	v_add_f64 v[22:23], v[24:25], v[22:23]
	v_add_f64 v[22:23], v[36:37], v[22:23]
	;; [unrolled: 1-line block ×3, first 2 shown]
	v_mul_f64 v[22:23], v[26:27], v[22:23]
	v_add_f64 v[26:27], v[24:25], -v[26:27]
	v_add_f64 v[26:27], v[28:29], -v[26:27]
	v_add_f64 v[22:23], v[26:27], v[22:23]
	v_add_f64 v[26:27], v[24:25], v[22:23]
	v_add_f64 v[24:25], v[26:27], -v[24:25]
	v_add_f64 v[22:23], v[22:23], -v[24:25]
	v_ldexp_f64 v[24:25], v[26:27], -2
	v_add_f64 v[26:27], v[20:21], v[24:25]
	v_ldexp_f64 v[22:23], v[22:23], -2
	v_add_f64 v[20:21], v[26:27], -v[20:21]
	v_add_f64 v[20:21], v[24:25], -v[20:21]
	v_add_f64 v[18:19], v[18:19], v[22:23]
	v_add_f64 v[18:19], v[18:19], v[20:21]
	;; [unrolled: 1-line block ×3, first 2 shown]
	v_cmp_nge_f64_e64 vcc, |v[2:3]|, s[40:41]
	v_cndmask_b32_e32 v3, v14, v19, vcc
	v_cndmask_b32_e32 v2, 0, v18, vcc
	v_cmp_le_i64_e32 vcc, s[10:11], v[8:9]
	s_or_b64 s[0:1], vcc, s[0:1]
	v_add_co_u32_e32 v8, vcc, s33, v8
	v_addc_co_u32_e32 v9, vcc, v9, v15, vcc
	global_store_dwordx4 v[10:11], v[4:7], off offset:-16
	global_store_dwordx4 v[10:11], v[0:3], off
	s_and_b64 s[0:1], exec, s[0:1]
	v_add_co_u32_e32 v10, vcc, s44, v10
	s_or_b64 s[2:3], s[0:1], s[2:3]
	v_addc_co_u32_e32 v11, vcc, v11, v16, vcc
	s_andn2_b64 exec, exec, s[2:3]
	s_cbranch_execnz .LBB86_24
.LBB86_25:
	s_endpgm
	.section	.rodata,"a",@progbits
	.p2align	6, 0x0
	.amdhsa_kernel _ZN2at6native12_GLOBAL__N_125multi_tensor_apply_kernelINS1_18TensorListMetadataILi1EEENS1_14UnaryOpFunctorIdLi1ELi1ELi0EEEJNS0_4CoshIdEEEEEvT_T0_DpT1_
		.amdhsa_group_segment_fixed_size 0
		.amdhsa_private_segment_fixed_size 0
		.amdhsa_kernarg_size 3632
		.amdhsa_user_sgpr_count 6
		.amdhsa_user_sgpr_private_segment_buffer 1
		.amdhsa_user_sgpr_dispatch_ptr 0
		.amdhsa_user_sgpr_queue_ptr 0
		.amdhsa_user_sgpr_kernarg_segment_ptr 1
		.amdhsa_user_sgpr_dispatch_id 0
		.amdhsa_user_sgpr_flat_scratch_init 0
		.amdhsa_user_sgpr_kernarg_preload_length 0
		.amdhsa_user_sgpr_kernarg_preload_offset 0
		.amdhsa_user_sgpr_private_segment_size 0
		.amdhsa_uses_dynamic_stack 0
		.amdhsa_system_sgpr_private_segment_wavefront_offset 0
		.amdhsa_system_sgpr_workgroup_id_x 1
		.amdhsa_system_sgpr_workgroup_id_y 0
		.amdhsa_system_sgpr_workgroup_id_z 0
		.amdhsa_system_sgpr_workgroup_info 0
		.amdhsa_system_vgpr_workitem_id 0
		.amdhsa_next_free_vgpr 62
		.amdhsa_next_free_sgpr 48
		.amdhsa_accum_offset 64
		.amdhsa_reserve_vcc 1
		.amdhsa_reserve_flat_scratch 0
		.amdhsa_float_round_mode_32 0
		.amdhsa_float_round_mode_16_64 0
		.amdhsa_float_denorm_mode_32 3
		.amdhsa_float_denorm_mode_16_64 3
		.amdhsa_dx10_clamp 1
		.amdhsa_ieee_mode 1
		.amdhsa_fp16_overflow 0
		.amdhsa_tg_split 0
		.amdhsa_exception_fp_ieee_invalid_op 0
		.amdhsa_exception_fp_denorm_src 0
		.amdhsa_exception_fp_ieee_div_zero 0
		.amdhsa_exception_fp_ieee_overflow 0
		.amdhsa_exception_fp_ieee_underflow 0
		.amdhsa_exception_fp_ieee_inexact 0
		.amdhsa_exception_int_div_zero 0
	.end_amdhsa_kernel
	.section	.text._ZN2at6native12_GLOBAL__N_125multi_tensor_apply_kernelINS1_18TensorListMetadataILi1EEENS1_14UnaryOpFunctorIdLi1ELi1ELi0EEEJNS0_4CoshIdEEEEEvT_T0_DpT1_,"axG",@progbits,_ZN2at6native12_GLOBAL__N_125multi_tensor_apply_kernelINS1_18TensorListMetadataILi1EEENS1_14UnaryOpFunctorIdLi1ELi1ELi0EEEJNS0_4CoshIdEEEEEvT_T0_DpT1_,comdat
.Lfunc_end86:
	.size	_ZN2at6native12_GLOBAL__N_125multi_tensor_apply_kernelINS1_18TensorListMetadataILi1EEENS1_14UnaryOpFunctorIdLi1ELi1ELi0EEEJNS0_4CoshIdEEEEEvT_T0_DpT1_, .Lfunc_end86-_ZN2at6native12_GLOBAL__N_125multi_tensor_apply_kernelINS1_18TensorListMetadataILi1EEENS1_14UnaryOpFunctorIdLi1ELi1ELi0EEEJNS0_4CoshIdEEEEEvT_T0_DpT1_
                                        ; -- End function
	.section	.AMDGPU.csdata,"",@progbits
; Kernel info:
; codeLenInByte = 9196
; NumSgprs: 52
; NumVgprs: 62
; NumAgprs: 0
; TotalNumVgprs: 62
; ScratchSize: 0
; MemoryBound: 0
; FloatMode: 240
; IeeeMode: 1
; LDSByteSize: 0 bytes/workgroup (compile time only)
; SGPRBlocks: 6
; VGPRBlocks: 7
; NumSGPRsForWavesPerEU: 52
; NumVGPRsForWavesPerEU: 62
; AccumOffset: 64
; Occupancy: 8
; WaveLimiterHint : 0
; COMPUTE_PGM_RSRC2:SCRATCH_EN: 0
; COMPUTE_PGM_RSRC2:USER_SGPR: 6
; COMPUTE_PGM_RSRC2:TRAP_HANDLER: 0
; COMPUTE_PGM_RSRC2:TGID_X_EN: 1
; COMPUTE_PGM_RSRC2:TGID_Y_EN: 0
; COMPUTE_PGM_RSRC2:TGID_Z_EN: 0
; COMPUTE_PGM_RSRC2:TIDIG_COMP_CNT: 0
; COMPUTE_PGM_RSRC3_GFX90A:ACCUM_OFFSET: 15
; COMPUTE_PGM_RSRC3_GFX90A:TG_SPLIT: 0
	.section	.text._ZN2at6native12_GLOBAL__N_125multi_tensor_apply_kernelINS1_18TensorListMetadataILi1EEENS1_14UnaryOpFunctorIfLi1ELi1ELi0EEEJNS0_4CoshIfEEEEEvT_T0_DpT1_,"axG",@progbits,_ZN2at6native12_GLOBAL__N_125multi_tensor_apply_kernelINS1_18TensorListMetadataILi1EEENS1_14UnaryOpFunctorIfLi1ELi1ELi0EEEJNS0_4CoshIfEEEEEvT_T0_DpT1_,comdat
	.globl	_ZN2at6native12_GLOBAL__N_125multi_tensor_apply_kernelINS1_18TensorListMetadataILi1EEENS1_14UnaryOpFunctorIfLi1ELi1ELi0EEEJNS0_4CoshIfEEEEEvT_T0_DpT1_ ; -- Begin function _ZN2at6native12_GLOBAL__N_125multi_tensor_apply_kernelINS1_18TensorListMetadataILi1EEENS1_14UnaryOpFunctorIfLi1ELi1ELi0EEEJNS0_4CoshIfEEEEEvT_T0_DpT1_
	.p2align	8
	.type	_ZN2at6native12_GLOBAL__N_125multi_tensor_apply_kernelINS1_18TensorListMetadataILi1EEENS1_14UnaryOpFunctorIfLi1ELi1ELi0EEEJNS0_4CoshIfEEEEEvT_T0_DpT1_,@function
_ZN2at6native12_GLOBAL__N_125multi_tensor_apply_kernelINS1_18TensorListMetadataILi1EEENS1_14UnaryOpFunctorIfLi1ELi1ELi0EEEJNS0_4CoshIfEEEEEvT_T0_DpT1_: ; @_ZN2at6native12_GLOBAL__N_125multi_tensor_apply_kernelINS1_18TensorListMetadataILi1EEENS1_14UnaryOpFunctorIfLi1ELi1ELi0EEEJNS0_4CoshIfEEEEEvT_T0_DpT1_
; %bb.0:
	v_mov_b32_e32 v1, s6
	global_load_ubyte v1, v1, s[4:5] offset:1760
	s_add_u32 s0, s4, s6
	s_mul_hi_u32 s1, s6, 3
	s_mul_i32 s6, s6, 3
	s_addc_u32 s2, s5, 0
	s_add_u32 s0, s0, s6
	s_addc_u32 s1, s2, s1
	s_load_dword s0, s[0:1], 0x820
	s_mov_b32 s7, 0
	s_waitcnt vmcnt(0)
	v_readfirstlane_b32 s2, v1
	s_lshl_b32 s1, s2, 3
	s_load_dwordx2 s[2:3], s[4:5], s1 offset:0x370
	s_load_dwordx2 s[12:13], s[4:5], s1 offset:0x0
	s_waitcnt lgkmcnt(0)
	s_ashr_i32 s1, s0, 31
	s_lshl_b64 s[14:15], s[0:1], 18
	s_lshl_b64 s[0:1], s[0:1], 16
	s_and_b32 s6, s12, 15
	s_sub_u32 s10, s2, s0
	s_subb_u32 s11, s3, s1
	s_and_b32 s0, s2, 3
	s_mov_b32 s1, s7
	s_or_b64 s[0:1], s[6:7], s[0:1]
	s_cmp_eq_u64 s[0:1], 0
	s_cbranch_scc1 .LBB87_21
; %bb.1:
	v_cmp_lt_i64_e64 s[0:1], s[10:11], 1
	s_and_b64 vcc, exec, s[0:1]
	s_cbranch_vccnz .LBB87_20
; %bb.2:
	s_load_dword s0, s[4:5], 0xd3c
	v_mov_b32_e32 v2, 0x10000
	v_mov_b32_e32 v3, 0
	v_cmp_lt_u64_e32 vcc, s[10:11], v[2:3]
	v_lshlrev_b32_e32 v1, 2, v0
	s_waitcnt lgkmcnt(0)
	s_and_b32 s2, s0, 0xffff
	s_and_b64 s[0:1], vcc, exec
	s_cselect_b32 s17, s11, 0
	s_cselect_b32 s16, s10, 0x10000
	s_lshl_b32 s3, s2, 1
	s_lshl_b32 s24, s2, 2
	s_add_u32 s6, s12, s14
	s_addc_u32 s7, s13, s15
	v_mov_b32_e32 v3, s7
	v_add_co_u32_e32 v2, vcc, s6, v1
	s_mul_i32 s0, s2, 3
	v_addc_co_u32_e32 v3, vcc, 0, v3, vcc
	v_add_co_u32_e32 v1, vcc, s0, v0
	v_addc_co_u32_e64 v12, s[0:1], 0, 0, vcc
	v_add_co_u32_e32 v13, vcc, s3, v0
	v_addc_co_u32_e64 v14, s[0:1], 0, 0, vcc
	v_add_co_u32_e32 v15, vcc, s2, v0
	v_lshlrev_b32_e32 v4, 2, v15
	s_mov_b32 s20, 0
	v_addc_co_u32_e64 v16, s[0:1], 0, 0, vcc
	v_mov_b32_e32 v5, s7
	v_add_co_u32_e32 v4, vcc, s6, v4
	s_lshl_b32 s25, s2, 4
	s_mul_i32 s26, s2, 12
	s_mov_b32 s27, s20
	s_lshl_b32 s28, s2, 3
	s_mov_b32 s29, s20
	v_addc_co_u32_e32 v5, vcc, 0, v5, vcc
	s_mov_b64 s[18:19], 0
	s_mov_b32 s30, 0xbf317218
	v_mov_b32_e32 v7, 0x3f317218
	v_mov_b32_e32 v17, 0x3d2aadcc
	;; [unrolled: 1-line block ×4, first 2 shown]
	s_mov_b32 s21, -1.0
	s_mov_b32 s31, 0x42b2d4fc
	v_mov_b32_e32 v9, -1.0
	v_mov_b32_e32 v11, 1.0
	v_mov_b32_e32 v20, 0x7f800000
	s_branch .LBB87_4
.LBB87_3:                               ;   in Loop: Header=BB87_4 Depth=1
	s_or_b64 exec, exec, s[0:1]
	s_add_u32 s18, s18, s24
	s_addc_u32 s19, s19, 0
	s_waitcnt vmcnt(0)
	v_pk_mov_b32 v[22:23], s[10:11], s[10:11] op_sel:[0,1]
	v_cmp_lt_i64_e32 vcc, s[18:19], v[22:23]
	v_mov_b32_e32 v22, 0x10000
	v_mov_b32_e32 v23, 0
	v_cmp_lt_u64_e64 s[0:1], s[18:19], v[22:23]
	s_and_b64 s[0:1], vcc, s[0:1]
	v_mov_b32_e32 v6, s20
	v_add_co_u32_e32 v2, vcc, s25, v2
	v_addc_co_u32_e32 v3, vcc, v3, v6, vcc
	v_add_co_u32_e32 v4, vcc, s25, v4
	v_addc_co_u32_e32 v5, vcc, v5, v6, vcc
	s_and_b64 vcc, exec, s[0:1]
	s_cbranch_vccz .LBB87_20
.LBB87_4:                               ; =>This Inner Loop Header: Depth=1
	v_mov_b32_e32 v6, s19
	v_add_co_u32_e32 v22, vcc, s18, v0
	v_addc_co_u32_e32 v23, vcc, 0, v6, vcc
	v_cmp_gt_u64_e64 s[6:7], s[16:17], v[22:23]
	v_mov_b32_e32 v24, 0
	s_and_saveexec_b64 s[0:1], s[6:7]
	s_cbranch_execz .LBB87_6
; %bb.5:                                ;   in Loop: Header=BB87_4 Depth=1
	global_load_dword v24, v[2:3], off
.LBB87_6:                               ;   in Loop: Header=BB87_4 Depth=1
	s_or_b64 exec, exec, s[0:1]
	v_mov_b32_e32 v6, s19
	v_add_co_u32_e32 v22, vcc, s18, v15
	v_addc_co_u32_e32 v23, vcc, v16, v6, vcc
	v_cmp_gt_u64_e64 s[2:3], s[16:17], v[22:23]
	v_mov_b32_e32 v23, 0
	s_and_saveexec_b64 s[0:1], s[2:3]
	s_cbranch_execz .LBB87_8
; %bb.7:                                ;   in Loop: Header=BB87_4 Depth=1
	global_load_dword v23, v[4:5], off
.LBB87_8:                               ;   in Loop: Header=BB87_4 Depth=1
	s_or_b64 exec, exec, s[0:1]
	v_mov_b32_e32 v6, s19
	v_add_co_u32_e32 v26, vcc, s18, v13
	v_addc_co_u32_e32 v27, vcc, v14, v6, vcc
	v_cmp_gt_u64_e64 s[0:1], s[16:17], v[26:27]
	v_mov_b32_e32 v21, 0
	v_mov_b32_e32 v22, 0
	s_and_saveexec_b64 s[8:9], s[0:1]
	s_cbranch_execz .LBB87_10
; %bb.9:                                ;   in Loop: Header=BB87_4 Depth=1
	v_mov_b32_e32 v6, s29
	v_add_co_u32_e32 v26, vcc, s28, v2
	v_addc_co_u32_e32 v27, vcc, v3, v6, vcc
	global_load_dword v22, v[26:27], off
.LBB87_10:                              ;   in Loop: Header=BB87_4 Depth=1
	s_or_b64 exec, exec, s[8:9]
	v_mov_b32_e32 v6, s19
	v_add_co_u32_e32 v26, vcc, s18, v1
	v_addc_co_u32_e32 v27, vcc, v12, v6, vcc
	v_cmp_gt_u64_e32 vcc, s[16:17], v[26:27]
	s_and_saveexec_b64 s[22:23], vcc
	s_cbranch_execnz .LBB87_15
; %bb.11:                               ;   in Loop: Header=BB87_4 Depth=1
	s_or_b64 exec, exec, s[22:23]
	s_and_saveexec_b64 s[8:9], s[6:7]
	s_cbranch_execnz .LBB87_16
.LBB87_12:                              ;   in Loop: Header=BB87_4 Depth=1
	s_or_b64 exec, exec, s[8:9]
	s_and_saveexec_b64 s[6:7], s[2:3]
	s_cbranch_execnz .LBB87_17
.LBB87_13:                              ;   in Loop: Header=BB87_4 Depth=1
	s_or_b64 exec, exec, s[6:7]
	s_and_saveexec_b64 s[2:3], s[0:1]
	s_cbranch_execnz .LBB87_18
.LBB87_14:                              ;   in Loop: Header=BB87_4 Depth=1
	s_or_b64 exec, exec, s[2:3]
	s_and_saveexec_b64 s[0:1], vcc
	s_cbranch_execz .LBB87_3
	s_branch .LBB87_19
.LBB87_15:                              ;   in Loop: Header=BB87_4 Depth=1
	v_mov_b32_e32 v6, s27
	v_add_co_u32_e64 v26, s[8:9], s26, v2
	v_addc_co_u32_e64 v27, s[8:9], v3, v6, s[8:9]
	global_load_dword v21, v[26:27], off
	s_or_b64 exec, exec, s[22:23]
	s_and_saveexec_b64 s[8:9], s[6:7]
	s_cbranch_execz .LBB87_12
.LBB87_16:                              ;   in Loop: Header=BB87_4 Depth=1
	s_waitcnt vmcnt(0)
	v_add_f32_e64 v8, |v24|, s30
	v_sub_f32_e64 v27, v8, |v24|
	v_and_b32_e32 v6, 0x7fffffff, v24
	v_sub_f32_e32 v26, v27, v8
	v_pk_add_f32 v[26:27], v[6:7], v[26:27]
	v_sub_f32_e32 v6, v26, v27
	v_add_f32_e32 v6, 0x3102e308, v6
	v_add_f32_e32 v10, v8, v6
	v_sub_f32_e32 v8, v8, v10
	v_add_f32_e32 v6, v6, v8
	v_mul_f32_e32 v8, 0x3fb8aa3b, v10
	v_rndne_f32_e32 v25, v8
	v_fmac_f32_e32 v10, 0xbf317200, v25
	v_add_f32_e32 v8, v6, v10
	v_mul_f32_e32 v26, 0x35bfbc00, v25
	v_sub_f32_e32 v28, v8, v26
	v_sub_f32_e32 v10, v10, v8
	;; [unrolled: 1-line block ×3, first 2 shown]
	v_add_f32_e32 v6, v6, v10
	v_sub_f32_e32 v8, v8, v26
	v_add_f32_e32 v6, v6, v8
	v_add_f32_e32 v29, v28, v6
	v_mul_f32_e32 v27, 0x2ea39ef3, v25
	v_mov_b32_e32 v26, v29
	v_pk_add_f32 v[30:31], v[28:29], v[26:27] neg_lo:[0,1] neg_hi:[0,1]
	v_sub_f32_e32 v8, v29, v31
	v_sub_f32_e32 v8, v8, v27
	v_add_f32_e32 v6, v6, v30
	v_add_f32_e32 v6, v6, v8
	;; [unrolled: 1-line block ×3, first 2 shown]
	v_mov_b32_e32 v8, 0x3c091de6
	v_sub_f32_e32 v27, v31, v10
	v_fmac_f32_e32 v8, 0x3ab42872, v10
	v_mul_f32_e32 v26, v10, v10
	v_add_f32_e32 v6, v6, v27
	v_fma_f32 v8, v10, v8, v17
	v_add_f32_e32 v27, v6, v6
	v_fma_f32 v28, v10, v10, -v26
	v_fma_f32 v8, v10, v8, v18
	v_fmac_f32_e32 v28, v10, v27
	v_fma_f32 v8, v10, v8, v19
	v_add_f32_e32 v27, v26, v28
	v_mul_f32_e32 v29, v8, v27
	v_sub_f32_e32 v26, v27, v26
	v_sub_f32_e32 v26, v28, v26
	v_fma_f32 v27, v27, v8, -v29
	v_fmac_f32_e32 v27, v26, v8
	v_add_f32_e32 v26, v29, v27
	v_add_f32_e32 v8, v10, v26
	v_sub_f32_e32 v28, v26, v29
	v_sub_f32_e32 v27, v27, v28
	;; [unrolled: 1-line block ×3, first 2 shown]
	v_add_f32_e32 v6, v6, v27
	v_sub_f32_e32 v10, v26, v10
	v_add_f32_e32 v26, v6, v10
	v_add_f32_e32 v28, v8, v26
	v_add_f32_e32 v29, 1.0, v28
	v_pk_add_f32 v[30:31], v[28:29], v[8:9] neg_lo:[0,1] neg_hi:[0,1]
	v_pk_add_f32 v[32:33], v[28:29], s[20:21]
	v_mov_b32_e32 v31, v33
	v_mov_b32_e32 v27, v28
	v_cvt_i32_f32_e32 v6, v25
	v_pk_add_f32 v[26:27], v[26:27], v[30:31] neg_lo:[0,1] neg_hi:[0,1]
	v_add_f32_e32 v8, v26, v27
	v_add_f32_e32 v10, v29, v8
	v_ldexp_f32 v25, v10, v6
	v_rcp_f32_e32 v34, v25
	v_sub_f32_e32 v10, v10, v29
	v_sub_f32_e32 v8, v8, v10
	v_ldexp_f32 v6, v8, v6
	v_mul_f32_e32 v26, v25, v34
	v_fma_f32 v28, v34, v25, -v26
	v_fmac_f32_e32 v28, v34, v6
	v_add_f32_e32 v10, v26, v28
	v_sub_f32_e32 v27, 1.0, v10
	v_pk_add_f32 v[30:31], v[10:11], v[26:27] neg_lo:[0,1] neg_hi:[0,1]
	v_mov_b32_e32 v29, v10
	v_pk_add_f32 v[28:29], v[30:31], v[28:29] neg_lo:[0,1] neg_hi:[0,1]
	v_add_f32_e32 v8, v28, v29
	v_add_f32_e32 v29, v27, v8
	v_mul_f32_e32 v10, v34, v29
	v_add_f32_e32 v35, v34, v10
	v_sub_f32_e32 v26, v35, v34
	v_mul_f32_e32 v30, v25, v10
	v_sub_f32_e32 v36, v10, v26
	v_fma_f32 v26, v10, v25, -v30
	v_fmac_f32_e32 v26, v10, v6
	v_add_f32_e32 v28, v30, v26
	v_sub_f32_e32 v31, v29, v28
	v_sub_f32_e32 v10, v27, v29
	v_pk_add_f32 v[32:33], v[28:29], v[30:31] neg_lo:[0,1] neg_hi:[0,1]
	v_mov_b32_e32 v27, v28
	v_add_f32_e32 v8, v8, v10
	v_pk_add_f32 v[26:27], v[32:33], v[26:27] neg_lo:[0,1] neg_hi:[0,1]
	v_add_f32_e32 v8, v8, v27
	v_add_f32_e32 v8, v26, v8
	;; [unrolled: 1-line block ×3, first 2 shown]
	v_mul_f32_e32 v8, v34, v8
	v_add_f32_e32 v8, v36, v8
	v_add_f32_e32 v10, v35, v8
	v_ldexp_f32 v26, v10, -2
	v_sub_f32_e32 v10, v10, v35
	v_sub_f32_e32 v8, v8, v10
	v_add_f32_e32 v27, v25, v26
	v_ldexp_f32 v8, v8, -2
	v_add_f32_e32 v6, v6, v8
	v_sub_f32_e32 v8, v27, v25
	v_sub_f32_e32 v8, v26, v8
	v_add_f32_e32 v6, v6, v8
	v_add_f32_e32 v6, v27, v6
	v_cmp_ngt_f32_e64 s[6:7], |v24|, s31
	v_cndmask_b32_e64 v6, v20, v6, s[6:7]
	global_store_dword v[2:3], v6, off
	s_or_b64 exec, exec, s[8:9]
	s_and_saveexec_b64 s[6:7], s[2:3]
	s_cbranch_execz .LBB87_13
.LBB87_17:                              ;   in Loop: Header=BB87_4 Depth=1
	s_waitcnt vmcnt(0)
	v_add_f32_e64 v6, |v23|, s30
	v_sub_f32_e64 v8, v6, |v23|
	v_sub_f32_e32 v10, v8, v6
	v_add_f32_e64 v10, |v23|, v10
	v_add_f32_e32 v8, 0x3f317218, v8
	v_sub_f32_e32 v8, v10, v8
	v_add_f32_e32 v8, 0x3102e308, v8
	v_add_f32_e32 v10, v6, v8
	v_sub_f32_e32 v6, v6, v10
	v_add_f32_e32 v6, v8, v6
	v_mul_f32_e32 v8, 0x3fb8aa3b, v10
	v_rndne_f32_e32 v8, v8
	v_fmac_f32_e32 v10, 0xbf317200, v8
	v_add_f32_e32 v24, v6, v10
	v_sub_f32_e32 v10, v10, v24
	v_add_f32_e32 v6, v6, v10
	v_mul_f32_e32 v10, 0x35bfbc00, v8
	v_sub_f32_e32 v25, v24, v10
	v_sub_f32_e32 v24, v24, v25
	;; [unrolled: 1-line block ×3, first 2 shown]
	v_add_f32_e32 v6, v6, v10
	v_add_f32_e32 v10, v25, v6
	v_sub_f32_e32 v24, v25, v10
	v_add_f32_e32 v6, v6, v24
	v_mul_f32_e32 v24, 0x2ea39ef3, v8
	v_sub_f32_e32 v25, v10, v24
	v_sub_f32_e32 v10, v10, v25
	;; [unrolled: 1-line block ×3, first 2 shown]
	v_add_f32_e32 v6, v6, v10
	v_add_f32_e32 v10, v25, v6
	v_sub_f32_e32 v25, v25, v10
	v_mov_b32_e32 v24, 0x3c091de6
	v_add_f32_e32 v6, v6, v25
	v_mul_f32_e32 v26, v10, v10
	v_fmac_f32_e32 v24, 0x3ab42872, v10
	v_add_f32_e32 v25, v6, v6
	v_fma_f32 v27, v10, v10, -v26
	v_fma_f32 v24, v10, v24, v17
	v_fmac_f32_e32 v27, v10, v25
	v_fma_f32 v24, v10, v24, v18
	v_add_f32_e32 v25, v26, v27
	v_fma_f32 v24, v10, v24, v19
	v_sub_f32_e32 v26, v25, v26
	v_sub_f32_e32 v26, v27, v26
	v_mul_f32_e32 v27, v24, v25
	v_fma_f32 v25, v25, v24, -v27
	v_fmac_f32_e32 v25, v26, v24
	v_add_f32_e32 v24, v27, v25
	v_sub_f32_e32 v26, v24, v27
	v_sub_f32_e32 v25, v25, v26
	v_add_f32_e32 v26, v10, v24
	v_sub_f32_e32 v10, v26, v10
	v_sub_f32_e32 v10, v24, v10
	v_add_f32_e32 v6, v6, v25
	v_add_f32_e32 v6, v6, v10
	;; [unrolled: 1-line block ×3, first 2 shown]
	v_sub_f32_e32 v24, v10, v26
	v_sub_f32_e32 v6, v6, v24
	v_add_f32_e32 v24, 1.0, v10
	v_add_f32_e32 v25, -1.0, v24
	v_cvt_i32_f32_e32 v8, v8
	v_sub_f32_e32 v10, v10, v25
	v_add_f32_e32 v6, v6, v10
	v_add_f32_e32 v10, v24, v6
	v_ldexp_f32 v25, v10, v8
	v_rcp_f32_e32 v26, v25
	v_sub_f32_e32 v10, v10, v24
	v_sub_f32_e32 v6, v6, v10
	v_ldexp_f32 v6, v6, v8
	v_mul_f32_e32 v8, v25, v26
	v_fma_f32 v10, v26, v25, -v8
	v_fmac_f32_e32 v10, v26, v6
	v_add_f32_e32 v24, v8, v10
	v_sub_f32_e32 v27, 1.0, v24
	v_sub_f32_e32 v28, 1.0, v27
	v_sub_f32_e32 v8, v24, v8
	v_sub_f32_e32 v28, v28, v24
	;; [unrolled: 1-line block ×3, first 2 shown]
	v_add_f32_e32 v8, v8, v28
	v_add_f32_e32 v10, v27, v8
	v_mul_f32_e32 v24, v26, v10
	v_mul_f32_e32 v28, v25, v24
	v_fma_f32 v29, v24, v25, -v28
	v_fmac_f32_e32 v29, v24, v6
	v_sub_f32_e32 v27, v27, v10
	v_add_f32_e32 v8, v8, v27
	v_add_f32_e32 v27, v28, v29
	v_sub_f32_e32 v30, v10, v27
	v_sub_f32_e32 v10, v10, v30
	;; [unrolled: 1-line block ×4, first 2 shown]
	v_add_f32_e32 v8, v8, v10
	v_sub_f32_e32 v10, v28, v29
	v_add_f32_e32 v8, v10, v8
	v_add_f32_e32 v8, v30, v8
	;; [unrolled: 1-line block ×3, first 2 shown]
	v_mul_f32_e32 v8, v26, v8
	v_sub_f32_e32 v26, v10, v26
	v_sub_f32_e32 v24, v24, v26
	v_add_f32_e32 v8, v24, v8
	v_add_f32_e32 v24, v10, v8
	v_sub_f32_e32 v10, v24, v10
	v_sub_f32_e32 v8, v8, v10
	v_ldexp_f32 v10, v24, -2
	v_add_f32_e32 v24, v25, v10
	v_ldexp_f32 v8, v8, -2
	v_sub_f32_e32 v25, v24, v25
	v_sub_f32_e32 v10, v10, v25
	v_add_f32_e32 v6, v6, v8
	v_add_f32_e32 v6, v6, v10
	;; [unrolled: 1-line block ×3, first 2 shown]
	v_cmp_ngt_f32_e64 s[2:3], |v23|, s31
	v_cndmask_b32_e64 v6, v20, v6, s[2:3]
	global_store_dword v[4:5], v6, off
	s_or_b64 exec, exec, s[6:7]
	s_and_saveexec_b64 s[2:3], s[0:1]
	s_cbranch_execz .LBB87_14
.LBB87_18:                              ;   in Loop: Header=BB87_4 Depth=1
	s_waitcnt vmcnt(0)
	v_add_f32_e64 v6, |v22|, s30
	v_sub_f32_e64 v8, v6, |v22|
	v_sub_f32_e32 v10, v8, v6
	v_add_f32_e64 v10, |v22|, v10
	v_add_f32_e32 v8, 0x3f317218, v8
	v_sub_f32_e32 v8, v10, v8
	v_add_f32_e32 v8, 0x3102e308, v8
	v_add_f32_e32 v10, v6, v8
	v_sub_f32_e32 v6, v6, v10
	v_add_f32_e32 v6, v8, v6
	v_mul_f32_e32 v8, 0x3fb8aa3b, v10
	v_rndne_f32_e32 v8, v8
	v_fmac_f32_e32 v10, 0xbf317200, v8
	v_add_f32_e32 v23, v6, v10
	v_sub_f32_e32 v10, v10, v23
	v_add_f32_e32 v6, v6, v10
	v_mul_f32_e32 v10, 0x35bfbc00, v8
	v_sub_f32_e32 v24, v23, v10
	v_sub_f32_e32 v23, v23, v24
	;; [unrolled: 1-line block ×3, first 2 shown]
	v_add_f32_e32 v6, v6, v10
	v_add_f32_e32 v10, v24, v6
	v_sub_f32_e32 v23, v24, v10
	v_add_f32_e32 v6, v6, v23
	v_mul_f32_e32 v23, 0x2ea39ef3, v8
	v_sub_f32_e32 v24, v10, v23
	v_sub_f32_e32 v10, v10, v24
	;; [unrolled: 1-line block ×3, first 2 shown]
	v_add_f32_e32 v6, v6, v10
	v_add_f32_e32 v10, v24, v6
	v_sub_f32_e32 v24, v24, v10
	v_mov_b32_e32 v23, 0x3c091de6
	v_add_f32_e32 v6, v6, v24
	v_mul_f32_e32 v25, v10, v10
	v_fmac_f32_e32 v23, 0x3ab42872, v10
	v_add_f32_e32 v24, v6, v6
	v_fma_f32 v26, v10, v10, -v25
	v_fma_f32 v23, v10, v23, v17
	v_fmac_f32_e32 v26, v10, v24
	v_fma_f32 v23, v10, v23, v18
	v_add_f32_e32 v24, v25, v26
	v_fma_f32 v23, v10, v23, v19
	v_sub_f32_e32 v25, v24, v25
	v_sub_f32_e32 v25, v26, v25
	v_mul_f32_e32 v26, v23, v24
	v_fma_f32 v24, v24, v23, -v26
	v_fmac_f32_e32 v24, v25, v23
	v_add_f32_e32 v23, v26, v24
	v_sub_f32_e32 v25, v23, v26
	v_sub_f32_e32 v24, v24, v25
	v_add_f32_e32 v25, v10, v23
	v_sub_f32_e32 v10, v25, v10
	v_sub_f32_e32 v10, v23, v10
	v_add_f32_e32 v6, v6, v24
	v_add_f32_e32 v6, v6, v10
	;; [unrolled: 1-line block ×3, first 2 shown]
	v_sub_f32_e32 v23, v10, v25
	v_sub_f32_e32 v6, v6, v23
	v_add_f32_e32 v23, 1.0, v10
	v_add_f32_e32 v24, -1.0, v23
	v_cvt_i32_f32_e32 v8, v8
	v_sub_f32_e32 v10, v10, v24
	v_add_f32_e32 v6, v6, v10
	v_add_f32_e32 v10, v23, v6
	v_ldexp_f32 v24, v10, v8
	v_rcp_f32_e32 v25, v24
	v_sub_f32_e32 v10, v10, v23
	v_sub_f32_e32 v6, v6, v10
	v_ldexp_f32 v6, v6, v8
	v_mul_f32_e32 v8, v24, v25
	v_fma_f32 v10, v25, v24, -v8
	v_fmac_f32_e32 v10, v25, v6
	v_add_f32_e32 v23, v8, v10
	v_sub_f32_e32 v26, 1.0, v23
	v_sub_f32_e32 v27, 1.0, v26
	v_sub_f32_e32 v8, v23, v8
	v_sub_f32_e32 v27, v27, v23
	;; [unrolled: 1-line block ×3, first 2 shown]
	v_add_f32_e32 v8, v8, v27
	v_add_f32_e32 v10, v26, v8
	v_mul_f32_e32 v23, v25, v10
	v_mul_f32_e32 v27, v24, v23
	v_fma_f32 v28, v23, v24, -v27
	v_fmac_f32_e32 v28, v23, v6
	v_sub_f32_e32 v26, v26, v10
	v_add_f32_e32 v8, v8, v26
	v_add_f32_e32 v26, v27, v28
	v_sub_f32_e32 v29, v10, v26
	v_sub_f32_e32 v10, v10, v29
	;; [unrolled: 1-line block ×4, first 2 shown]
	v_add_f32_e32 v8, v8, v10
	v_sub_f32_e32 v10, v27, v28
	v_add_f32_e32 v8, v10, v8
	v_add_f32_e32 v8, v29, v8
	;; [unrolled: 1-line block ×3, first 2 shown]
	v_mul_f32_e32 v8, v25, v8
	v_sub_f32_e32 v25, v10, v25
	v_sub_f32_e32 v23, v23, v25
	v_add_f32_e32 v8, v23, v8
	v_add_f32_e32 v23, v10, v8
	v_sub_f32_e32 v10, v23, v10
	v_sub_f32_e32 v8, v8, v10
	v_ldexp_f32 v10, v23, -2
	v_add_f32_e32 v23, v24, v10
	v_ldexp_f32 v8, v8, -2
	v_sub_f32_e32 v24, v23, v24
	v_sub_f32_e32 v10, v10, v24
	v_add_f32_e32 v6, v6, v8
	v_add_f32_e32 v6, v6, v10
	;; [unrolled: 1-line block ×3, first 2 shown]
	v_cmp_ngt_f32_e64 s[0:1], |v22|, s31
	v_cndmask_b32_e64 v6, v20, v6, s[0:1]
	v_mov_b32_e32 v8, s29
	v_add_co_u32_e64 v22, s[0:1], s28, v2
	v_addc_co_u32_e64 v23, s[0:1], v3, v8, s[0:1]
	global_store_dword v[22:23], v6, off
	s_or_b64 exec, exec, s[2:3]
	s_and_saveexec_b64 s[0:1], vcc
	s_cbranch_execz .LBB87_3
.LBB87_19:                              ;   in Loop: Header=BB87_4 Depth=1
	s_waitcnt vmcnt(0)
	v_add_f32_e64 v6, |v21|, s30
	v_sub_f32_e64 v8, v6, |v21|
	v_sub_f32_e32 v10, v8, v6
	v_add_f32_e64 v10, |v21|, v10
	v_add_f32_e32 v8, 0x3f317218, v8
	v_sub_f32_e32 v8, v10, v8
	v_add_f32_e32 v8, 0x3102e308, v8
	v_add_f32_e32 v10, v6, v8
	v_sub_f32_e32 v6, v6, v10
	v_add_f32_e32 v6, v8, v6
	v_mul_f32_e32 v8, 0x3fb8aa3b, v10
	v_rndne_f32_e32 v8, v8
	v_fmac_f32_e32 v10, 0xbf317200, v8
	v_add_f32_e32 v22, v6, v10
	v_sub_f32_e32 v10, v10, v22
	v_add_f32_e32 v6, v6, v10
	v_mul_f32_e32 v10, 0x35bfbc00, v8
	v_sub_f32_e32 v23, v22, v10
	v_sub_f32_e32 v22, v22, v23
	;; [unrolled: 1-line block ×3, first 2 shown]
	v_add_f32_e32 v6, v6, v10
	v_add_f32_e32 v10, v23, v6
	v_sub_f32_e32 v22, v23, v10
	v_add_f32_e32 v6, v6, v22
	v_mul_f32_e32 v22, 0x2ea39ef3, v8
	v_sub_f32_e32 v23, v10, v22
	v_sub_f32_e32 v10, v10, v23
	;; [unrolled: 1-line block ×3, first 2 shown]
	v_add_f32_e32 v6, v6, v10
	v_add_f32_e32 v10, v23, v6
	v_sub_f32_e32 v23, v23, v10
	v_mov_b32_e32 v22, 0x3c091de6
	v_add_f32_e32 v6, v6, v23
	v_mul_f32_e32 v24, v10, v10
	v_fmac_f32_e32 v22, 0x3ab42872, v10
	v_add_f32_e32 v23, v6, v6
	v_fma_f32 v25, v10, v10, -v24
	v_fma_f32 v22, v10, v22, v17
	v_fmac_f32_e32 v25, v10, v23
	v_fma_f32 v22, v10, v22, v18
	v_add_f32_e32 v23, v24, v25
	v_fma_f32 v22, v10, v22, v19
	v_sub_f32_e32 v24, v23, v24
	v_sub_f32_e32 v24, v25, v24
	v_mul_f32_e32 v25, v22, v23
	v_fma_f32 v23, v23, v22, -v25
	v_fmac_f32_e32 v23, v24, v22
	v_add_f32_e32 v22, v25, v23
	v_sub_f32_e32 v24, v22, v25
	v_sub_f32_e32 v23, v23, v24
	v_add_f32_e32 v24, v10, v22
	v_sub_f32_e32 v10, v24, v10
	v_sub_f32_e32 v10, v22, v10
	v_add_f32_e32 v6, v6, v23
	v_add_f32_e32 v6, v6, v10
	;; [unrolled: 1-line block ×3, first 2 shown]
	v_sub_f32_e32 v22, v10, v24
	v_sub_f32_e32 v6, v6, v22
	v_add_f32_e32 v22, 1.0, v10
	v_add_f32_e32 v23, -1.0, v22
	v_cvt_i32_f32_e32 v8, v8
	v_sub_f32_e32 v10, v10, v23
	v_add_f32_e32 v6, v6, v10
	v_add_f32_e32 v10, v22, v6
	v_ldexp_f32 v23, v10, v8
	v_rcp_f32_e32 v24, v23
	v_sub_f32_e32 v10, v10, v22
	v_sub_f32_e32 v6, v6, v10
	v_ldexp_f32 v6, v6, v8
	v_mul_f32_e32 v8, v23, v24
	v_fma_f32 v10, v24, v23, -v8
	v_fmac_f32_e32 v10, v24, v6
	v_add_f32_e32 v22, v8, v10
	v_sub_f32_e32 v25, 1.0, v22
	v_sub_f32_e32 v26, 1.0, v25
	v_sub_f32_e32 v8, v22, v8
	v_sub_f32_e32 v26, v26, v22
	;; [unrolled: 1-line block ×3, first 2 shown]
	v_add_f32_e32 v8, v8, v26
	v_add_f32_e32 v10, v25, v8
	v_mul_f32_e32 v22, v24, v10
	v_mul_f32_e32 v26, v23, v22
	v_fma_f32 v27, v22, v23, -v26
	v_fmac_f32_e32 v27, v22, v6
	v_sub_f32_e32 v25, v25, v10
	v_add_f32_e32 v8, v8, v25
	v_add_f32_e32 v25, v26, v27
	v_sub_f32_e32 v28, v10, v25
	v_sub_f32_e32 v10, v10, v28
	;; [unrolled: 1-line block ×4, first 2 shown]
	v_add_f32_e32 v8, v8, v10
	v_sub_f32_e32 v10, v26, v27
	v_add_f32_e32 v8, v10, v8
	v_add_f32_e32 v8, v28, v8
	;; [unrolled: 1-line block ×3, first 2 shown]
	v_mul_f32_e32 v8, v24, v8
	v_sub_f32_e32 v24, v10, v24
	v_sub_f32_e32 v22, v22, v24
	v_add_f32_e32 v8, v22, v8
	v_add_f32_e32 v22, v10, v8
	v_sub_f32_e32 v10, v22, v10
	v_sub_f32_e32 v8, v8, v10
	v_ldexp_f32 v10, v22, -2
	v_add_f32_e32 v22, v23, v10
	v_ldexp_f32 v8, v8, -2
	v_sub_f32_e32 v23, v22, v23
	v_sub_f32_e32 v10, v10, v23
	v_add_f32_e32 v6, v6, v8
	v_add_f32_e32 v6, v6, v10
	;; [unrolled: 1-line block ×3, first 2 shown]
	v_cmp_ngt_f32_e64 vcc, |v21|, s31
	v_cndmask_b32_e32 v6, v20, v6, vcc
	v_mov_b32_e32 v8, s27
	v_add_co_u32_e32 v22, vcc, s26, v2
	v_addc_co_u32_e32 v23, vcc, v3, v8, vcc
	global_store_dword v[22:23], v6, off
	s_branch .LBB87_3
.LBB87_20:
	s_cbranch_execz .LBB87_22
	s_branch .LBB87_25
.LBB87_21:
.LBB87_22:
	v_mov_b32_e32 v5, 0
	v_lshlrev_b32_e32 v4, 2, v0
	s_mov_b32 s0, 0
	v_cmp_gt_i64_e32 vcc, s[10:11], v[4:5]
	s_and_saveexec_b64 s[2:3], vcc
	s_cbranch_execz .LBB87_25
; %bb.23:
	s_load_dword s1, s[4:5], 0xd3c
	v_lshlrev_b32_e32 v1, 4, v0
	s_mov_b32 s9, 0xbf317218
	v_mov_b32_e32 v14, 0x3d2aadcc
	v_mov_b32_e32 v15, 0x3e2aaa47
	s_waitcnt lgkmcnt(0)
	s_and_b32 s1, s1, 0xffff
	s_add_u32 s2, s12, s14
	s_addc_u32 s3, s13, s15
	v_mov_b32_e32 v2, s3
	v_add_co_u32_e32 v1, vcc, s2, v1
	v_addc_co_u32_e32 v2, vcc, 0, v2, vcc
	v_add_co_u32_e32 v6, vcc, 8, v1
	v_addc_co_u32_e32 v7, vcc, 0, v2, vcc
	s_lshl_b32 s4, s1, 4
	v_add_lshl_u32 v4, v0, s1, 2
	s_lshl_b32 s8, s1, 2
	s_mov_b64 s[2:3], 0
	v_mov_b32_e32 v16, 0x3efffffc
	s_mov_b32 s5, -1.0
	s_mov_b32 s12, 0x42b2d4fc
	v_mov_b32_e32 v17, 0x7f800000
	s_mov_b64 s[6:7], 0xffff
	v_mov_b32_e32 v18, s0
	v_mov_b32_e32 v19, s0
	;; [unrolled: 1-line block ×3, first 2 shown]
	v_mov_b32_e32 v11, -1.0
	v_mov_b32_e32 v13, 1.0
.LBB87_24:                              ; =>This Inner Loop Header: Depth=1
	global_load_dwordx4 v[0:3], v[6:7], off offset:-8
	v_mov_b32_e32 v10, 0x3c091de6
	v_mov_b32_e32 v12, 0x3c091de6
	v_cmp_lt_u64_e64 s[0:1], s[6:7], v[4:5]
	s_waitcnt vmcnt(0)
	v_add_f32_e64 v24, |v0|, s9
	v_sub_f32_e64 v21, v24, |v0|
	v_and_b32_e32 v8, 0x7fffffff, v0
	v_add_f32_e64 v25, |v1|, s9
	v_sub_f32_e32 v20, v21, v24
	v_sub_f32_e64 v23, v25, |v1|
	v_pk_add_f32 v[20:21], v[8:9], v[20:21]
	v_sub_f32_e32 v22, v23, v25
	v_and_b32_e32 v8, 0x7fffffff, v1
	v_sub_f32_e32 v26, v20, v21
	v_pk_add_f32 v[20:21], v[8:9], v[22:23]
	v_add_f32_e32 v8, 0x3102e308, v26
	v_sub_f32_e32 v20, v20, v21
	v_add_f32_e32 v22, v24, v8
	v_add_f32_e32 v20, 0x3102e308, v20
	v_mul_f32_e32 v23, 0x3fb8aa3b, v22
	v_sub_f32_e32 v21, v24, v22
	v_add_f32_e32 v26, v25, v20
	v_rndne_f32_e32 v23, v23
	v_add_f32_e32 v8, v8, v21
	v_sub_f32_e32 v24, v25, v26
	v_mul_f32_e32 v25, 0x3fb8aa3b, v26
	v_fmac_f32_e32 v22, 0xbf317200, v23
	v_mul_f32_e32 v27, 0x35bfbc00, v23
	v_rndne_f32_e32 v34, v25
	v_add_f32_e32 v25, v8, v22
	v_add_f32_e32 v20, v20, v24
	v_fmac_f32_e32 v26, 0xbf317200, v34
	v_sub_f32_e32 v22, v22, v25
	v_sub_f32_e32 v24, v25, v27
	v_mul_f32_e32 v28, 0x35bfbc00, v34
	v_add_f32_e32 v29, v20, v26
	v_add_f32_e32 v8, v8, v22
	v_sub_f32_e32 v22, v25, v24
	v_sub_f32_e32 v25, v26, v29
	;; [unrolled: 1-line block ×4, first 2 shown]
	v_add_f32_e32 v20, v20, v25
	v_sub_f32_e32 v25, v29, v26
	v_add_f32_e32 v8, v8, v22
	v_sub_f32_e32 v22, v25, v28
	v_add_f32_e32 v25, v24, v8
	v_mul_f32_e32 v21, 0x2ea39ef3, v23
	v_add_f32_e32 v31, v20, v22
	v_mov_b32_e32 v20, v25
	v_add_f32_e32 v27, v26, v31
	v_pk_add_f32 v[28:29], v[24:25], v[20:21] neg_lo:[0,1] neg_hi:[0,1]
	v_cvt_i32_f32_e32 v30, v23
	v_mul_f32_e32 v23, 0x2ea39ef3, v34
	v_mov_b32_e32 v22, v27
	v_sub_f32_e32 v20, v25, v29
	v_add_f32_e32 v8, v8, v28
	v_pk_add_f32 v[24:25], v[26:27], v[22:23] neg_lo:[0,1] neg_hi:[0,1]
	v_sub_f32_e32 v20, v20, v21
	v_sub_f32_e32 v21, v27, v25
	v_add_f32_e32 v8, v8, v20
	v_add_f32_e32 v22, v31, v24
	v_sub_f32_e32 v20, v21, v23
	v_add_f32_e32 v21, v29, v8
	v_add_f32_e32 v20, v22, v20
	v_sub_f32_e32 v22, v29, v21
	v_fmac_f32_e32 v10, 0x3ab42872, v21
	v_mul_f32_e32 v23, v21, v21
	v_add_f32_e32 v28, v25, v20
	v_add_f32_e32 v8, v8, v22
	v_fma_f32 v10, v21, v10, v14
	v_fma_f32 v22, v21, v21, -v23
	v_fmac_f32_e32 v12, 0x3ab42872, v28
	v_add_f32_e32 v26, v8, v8
	v_sub_f32_e32 v24, v25, v28
	v_fma_f32 v10, v21, v10, v15
	v_fma_f32 v12, v28, v12, v14
	v_fmac_f32_e32 v22, v21, v26
	v_mul_f32_e32 v25, v28, v28
	v_add_f32_e32 v29, v20, v24
	v_fma_f32 v10, v21, v10, v16
	v_fma_f32 v12, v28, v12, v15
	v_add_f32_e32 v26, v23, v22
	v_fma_f32 v20, v28, v28, -v25
	v_add_f32_e32 v24, v29, v29
	v_fma_f32 v31, v28, v12, v16
	v_sub_f32_e32 v12, v26, v23
	v_mul_f32_e32 v23, v10, v26
	v_fmac_f32_e32 v20, v28, v24
	v_sub_f32_e32 v12, v22, v12
	v_fma_f32 v22, v26, v10, -v23
	v_add_f32_e32 v32, v25, v20
	v_fmac_f32_e32 v22, v12, v10
	v_sub_f32_e32 v24, v32, v25
	v_add_f32_e32 v12, v23, v22
	v_sub_f32_e32 v35, v20, v24
	v_sub_f32_e32 v20, v12, v23
	v_add_f32_e32 v10, v21, v12
	v_sub_f32_e32 v20, v22, v20
	v_sub_f32_e32 v21, v10, v21
	;; [unrolled: 1-line block ×3, first 2 shown]
	v_add_f32_e32 v8, v8, v20
	v_add_f32_e32 v20, v8, v12
	;; [unrolled: 1-line block ×3, first 2 shown]
	v_add_f32_e32 v23, 1.0, v22
	v_pk_add_f32 v[24:25], v[22:23], v[10:11] neg_lo:[0,1] neg_hi:[0,1]
	v_pk_add_f32 v[26:27], v[22:23], s[4:5]
	v_mov_b32_e32 v21, v22
	v_mov_b32_e32 v25, v27
	v_pk_add_f32 v[20:21], v[20:21], v[24:25] neg_lo:[0,1] neg_hi:[0,1]
	v_add_f32_e32 v8, v20, v21
	v_add_f32_e32 v10, v23, v8
	v_ldexp_f32 v26, v10, v30
	v_rcp_f32_e32 v27, v26
	v_sub_f32_e32 v10, v10, v23
	v_sub_f32_e32 v8, v8, v10
	v_ldexp_f32 v8, v8, v30
	v_mul_f32_e32 v20, v26, v27
	v_fma_f32 v22, v27, v26, -v20
	v_fmac_f32_e32 v22, v27, v8
	v_add_f32_e32 v12, v20, v22
	v_sub_f32_e32 v21, 1.0, v12
	v_mov_b32_e32 v23, v12
	v_pk_add_f32 v[24:25], v[12:13], v[20:21] neg_lo:[0,1] neg_hi:[0,1]
	v_pk_add_f32 v[22:23], v[24:25], v[22:23] neg_lo:[0,1] neg_hi:[0,1]
	v_add_f32_e32 v10, v22, v23
	v_add_f32_e32 v23, v21, v10
	v_mul_f32_e32 v12, v27, v23
	v_mul_f32_e32 v20, v26, v12
	v_fma_f32 v24, v12, v26, -v20
	v_sub_f32_e32 v21, v21, v23
	v_add_f32_e32 v30, v27, v12
	v_fmac_f32_e32 v24, v12, v8
	v_add_f32_e32 v10, v10, v21
	v_sub_f32_e32 v21, v30, v27
	v_add_f32_e32 v22, v20, v24
	v_sub_f32_e32 v12, v12, v21
	v_sub_f32_e32 v21, v23, v22
	v_mov_b32_e32 v25, v22
	v_pk_add_f32 v[22:23], v[22:23], v[20:21] neg_lo:[0,1] neg_hi:[0,1]
	v_pk_add_f32 v[22:23], v[22:23], v[24:25] neg_lo:[0,1] neg_hi:[0,1]
	v_add_f32_e32 v10, v10, v23
	v_add_f32_e32 v10, v22, v10
	;; [unrolled: 1-line block ×3, first 2 shown]
	v_mul_f32_e32 v10, v27, v10
	v_add_f32_e32 v10, v12, v10
	v_add_f32_e32 v12, v30, v10
	v_sub_f32_e32 v20, v12, v30
	v_sub_f32_e32 v10, v10, v20
	v_mul_f32_e32 v33, v31, v32
	v_ldexp_f32 v12, v12, -2
	v_ldexp_f32 v10, v10, -2
	v_add_f32_e32 v20, v26, v12
	v_add_f32_e32 v24, v8, v10
	v_fma_f32 v8, v32, v31, -v33
	v_sub_f32_e32 v21, v20, v26
	v_fmac_f32_e32 v8, v35, v31
	v_sub_f32_e32 v22, v12, v21
	v_add_f32_e32 v12, v33, v8
	v_sub_f32_e32 v10, v12, v33
	v_sub_f32_e32 v8, v8, v10
	v_add_f32_e32 v10, v28, v12
	v_sub_f32_e32 v21, v10, v28
	v_sub_f32_e32 v12, v12, v21
	v_add_f32_e32 v8, v29, v8
	v_add_f32_e32 v26, v8, v12
	;; [unrolled: 1-line block ×3, first 2 shown]
	v_add_f32_e32 v29, 1.0, v28
	v_pk_add_f32 v[30:31], v[28:29], v[10:11] neg_lo:[0,1] neg_hi:[0,1]
	v_pk_add_f32 v[32:33], v[28:29], s[4:5]
	v_mov_b32_e32 v31, v33
	v_mov_b32_e32 v27, v28
	v_cvt_i32_f32_e32 v8, v34
	v_pk_add_f32 v[26:27], v[26:27], v[30:31] neg_lo:[0,1] neg_hi:[0,1]
	v_add_f32_e32 v10, v26, v27
	v_add_f32_e32 v12, v29, v10
	v_ldexp_f32 v25, v12, v8
	v_rcp_f32_e32 v21, v25
	v_sub_f32_e32 v12, v12, v29
	v_sub_f32_e32 v10, v10, v12
	v_ldexp_f32 v8, v10, v8
	v_mul_f32_e32 v26, v25, v21
	v_fma_f32 v28, v21, v25, -v26
	v_fmac_f32_e32 v28, v21, v8
	v_add_f32_e32 v12, v26, v28
	v_sub_f32_e32 v27, 1.0, v12
	v_pk_add_f32 v[30:31], v[12:13], v[26:27] neg_lo:[0,1] neg_hi:[0,1]
	v_mov_b32_e32 v29, v12
	v_pk_add_f32 v[28:29], v[30:31], v[28:29] neg_lo:[0,1] neg_hi:[0,1]
	v_add_f32_e32 v10, v28, v29
	v_add_f32_e32 v29, v27, v10
	v_mul_f32_e32 v12, v21, v29
	v_mul_f32_e32 v26, v25, v12
	v_fma_f32 v30, v12, v25, -v26
	v_fmac_f32_e32 v30, v12, v8
	v_add_f32_e32 v28, v26, v30
	v_sub_f32_e32 v23, v27, v29
	v_sub_f32_e32 v27, v29, v28
	v_pk_add_f32 v[32:33], v[28:29], v[26:27] neg_lo:[0,1] neg_hi:[0,1]
	v_mov_b32_e32 v31, v28
	v_add_f32_e32 v10, v10, v23
	v_pk_add_f32 v[28:29], v[32:33], v[30:31] neg_lo:[0,1] neg_hi:[0,1]
	v_add_f32_e32 v10, v10, v29
	v_add_f32_e32 v10, v28, v10
	;; [unrolled: 1-line block ×4, first 2 shown]
	v_mul_f32_e32 v10, v21, v10
	v_sub_f32_e32 v21, v23, v21
	v_sub_f32_e32 v12, v12, v21
	v_add_f32_e32 v10, v12, v10
	v_add_f32_e32 v12, v23, v10
	v_sub_f32_e32 v21, v12, v23
	v_ldexp_f32 v23, v12, -2
	v_sub_f32_e32 v10, v10, v21
	v_pk_add_f32 v[26:27], v[24:25], v[22:23]
	v_ldexp_f32 v10, v10, -2
	v_sub_f32_e32 v12, v27, v25
	v_sub_f32_e32 v12, v23, v12
	v_add_f32_e32 v8, v8, v10
	v_add_f32_e32 v21, v8, v12
	v_pk_add_f32 v[20:21], v[26:27], v[20:21]
	v_cmp_ngt_f32_e64 vcc, |v1|, s12
	v_add_f32_e64 v10, |v2|, s9
	v_cndmask_b32_e32 v1, v17, v21, vcc
	v_cmp_ngt_f32_e64 vcc, |v0|, s12
	v_sub_f32_e64 v21, v10, |v2|
	v_cndmask_b32_e32 v0, v17, v20, vcc
	v_and_b32_e32 v8, 0x7fffffff, v2
	v_sub_f32_e32 v20, v21, v10
	v_pk_add_f32 v[20:21], v[8:9], v[20:21]
	v_sub_f32_e32 v8, v20, v21
	v_add_f32_e32 v8, 0x3102e308, v8
	v_add_f32_e32 v12, v10, v8
	v_sub_f32_e32 v10, v10, v12
	v_add_f32_e32 v8, v8, v10
	v_mul_f32_e32 v10, 0x3fb8aa3b, v12
	v_rndne_f32_e32 v28, v10
	v_fmac_f32_e32 v12, 0xbf317200, v28
	v_add_f32_e32 v10, v8, v12
	v_sub_f32_e32 v12, v12, v10
	v_add_f32_e32 v8, v8, v12
	v_mul_f32_e32 v12, 0x35bfbc00, v28
	v_sub_f32_e32 v22, v10, v12
	v_sub_f32_e32 v10, v10, v22
	;; [unrolled: 1-line block ×3, first 2 shown]
	v_add_f32_e32 v8, v8, v10
	v_add_f32_e32 v23, v22, v8
	v_mul_f32_e32 v21, 0x2ea39ef3, v28
	v_mov_b32_e32 v20, v23
	v_pk_add_f32 v[24:25], v[22:23], v[20:21] neg_lo:[0,1] neg_hi:[0,1]
	v_sub_f32_e32 v10, v23, v25
	v_sub_f32_e32 v10, v10, v21
	v_add_f32_e32 v8, v8, v24
	v_add_f32_e32 v8, v8, v10
	v_add_f32_e32 v12, v25, v8
	v_sub_f32_e32 v20, v25, v12
	v_mov_b32_e32 v10, 0x3c091de6
	v_add_f32_e32 v8, v8, v20
	v_mul_f32_e32 v21, v12, v12
	v_fmac_f32_e32 v10, 0x3ab42872, v12
	v_add_f32_e32 v20, v8, v8
	v_fma_f32 v22, v12, v12, -v21
	v_fma_f32 v10, v12, v10, v14
	v_fmac_f32_e32 v22, v12, v20
	v_fma_f32 v10, v12, v10, v15
	v_add_f32_e32 v20, v21, v22
	v_fma_f32 v10, v12, v10, v16
	v_sub_f32_e32 v21, v20, v21
	v_sub_f32_e32 v21, v22, v21
	v_mul_f32_e32 v22, v10, v20
	v_fma_f32 v20, v20, v10, -v22
	v_fmac_f32_e32 v20, v21, v10
	v_add_f32_e32 v21, v22, v20
	v_sub_f32_e32 v10, v21, v22
	v_sub_f32_e32 v20, v20, v10
	v_add_f32_e32 v10, v12, v21
	v_sub_f32_e32 v12, v10, v12
	v_sub_f32_e32 v12, v21, v12
	v_add_f32_e32 v8, v8, v20
	v_add_f32_e32 v20, v8, v12
	;; [unrolled: 1-line block ×3, first 2 shown]
	v_add_f32_e32 v23, 1.0, v22
	v_pk_add_f32 v[24:25], v[22:23], v[10:11] neg_lo:[0,1] neg_hi:[0,1]
	v_pk_add_f32 v[26:27], v[22:23], s[4:5]
	v_mov_b32_e32 v25, v27
	v_mov_b32_e32 v21, v22
	v_cvt_i32_f32_e32 v8, v28
	v_pk_add_f32 v[20:21], v[20:21], v[24:25] neg_lo:[0,1] neg_hi:[0,1]
	v_add_f32_e32 v10, v20, v21
	v_add_f32_e32 v12, v23, v10
	v_ldexp_f32 v28, v12, v8
	v_rcp_f32_e32 v29, v28
	v_sub_f32_e32 v12, v12, v23
	v_sub_f32_e32 v10, v10, v12
	v_ldexp_f32 v8, v10, v8
	v_mul_f32_e32 v20, v28, v29
	v_fma_f32 v22, v29, v28, -v20
	v_fmac_f32_e32 v22, v29, v8
	v_add_f32_e32 v12, v20, v22
	v_sub_f32_e32 v21, 1.0, v12
	v_pk_add_f32 v[24:25], v[12:13], v[20:21] neg_lo:[0,1] neg_hi:[0,1]
	v_mov_b32_e32 v23, v12
	v_pk_add_f32 v[22:23], v[24:25], v[22:23] neg_lo:[0,1] neg_hi:[0,1]
	v_add_f32_e32 v10, v22, v23
	v_add_f32_e32 v23, v21, v10
	v_mul_f32_e32 v12, v29, v23
	v_mul_f32_e32 v20, v28, v12
	v_fma_f32 v24, v12, v28, -v20
	v_fmac_f32_e32 v24, v12, v8
	v_sub_f32_e32 v21, v21, v23
	v_add_f32_e32 v22, v20, v24
	v_add_f32_e32 v10, v10, v21
	v_sub_f32_e32 v21, v23, v22
	v_pk_add_f32 v[26:27], v[22:23], v[20:21] neg_lo:[0,1] neg_hi:[0,1]
	v_mov_b32_e32 v25, v22
	v_pk_add_f32 v[22:23], v[26:27], v[24:25] neg_lo:[0,1] neg_hi:[0,1]
	v_add_f32_e32 v10, v10, v23
	v_add_f32_e32 v10, v22, v10
	;; [unrolled: 1-line block ×4, first 2 shown]
	v_sub_f32_e32 v21, v20, v29
	v_mul_f32_e32 v10, v29, v10
	v_sub_f32_e32 v12, v12, v21
	v_add_f32_e32 v10, v12, v10
	v_add_f32_e32 v12, v20, v10
	v_sub_f32_e32 v20, v12, v20
	v_sub_f32_e32 v10, v10, v20
	v_ldexp_f32 v10, v10, -2
	v_add_f32_e32 v24, v8, v10
	v_add_f32_e64 v10, |v3|, s9
	v_sub_f32_e64 v27, v10, |v3|
	v_and_b32_e32 v8, 0x7fffffff, v3
	v_sub_f32_e32 v26, v27, v10
	v_ldexp_f32 v12, v12, -2
	v_pk_add_f32 v[26:27], v[8:9], v[26:27]
	v_add_f32_e32 v20, v28, v12
	v_sub_f32_e32 v8, v26, v27
	v_sub_f32_e32 v21, v20, v28
	v_add_f32_e32 v8, 0x3102e308, v8
	v_sub_f32_e32 v22, v12, v21
	v_add_f32_e32 v12, v10, v8
	;; [unrolled: 2-line block ×3, first 2 shown]
	v_mul_f32_e32 v10, 0x3fb8aa3b, v12
	v_rndne_f32_e32 v21, v10
	v_fmac_f32_e32 v12, 0xbf317200, v21
	v_add_f32_e32 v10, v8, v12
	v_sub_f32_e32 v12, v12, v10
	v_add_f32_e32 v8, v8, v12
	v_mul_f32_e32 v12, 0x35bfbc00, v21
	v_sub_f32_e32 v28, v10, v12
	v_sub_f32_e32 v10, v10, v28
	;; [unrolled: 1-line block ×3, first 2 shown]
	v_add_f32_e32 v8, v8, v10
	v_add_f32_e32 v29, v28, v8
	v_mul_f32_e32 v27, 0x2ea39ef3, v21
	v_mov_b32_e32 v26, v29
	v_pk_add_f32 v[30:31], v[28:29], v[26:27] neg_lo:[0,1] neg_hi:[0,1]
	v_sub_f32_e32 v10, v29, v31
	v_sub_f32_e32 v10, v10, v27
	v_add_f32_e32 v8, v8, v30
	v_add_f32_e32 v8, v8, v10
	;; [unrolled: 1-line block ×3, first 2 shown]
	v_sub_f32_e32 v23, v31, v12
	v_mov_b32_e32 v10, 0x3c091de6
	v_add_f32_e32 v8, v8, v23
	v_mul_f32_e32 v25, v12, v12
	v_fmac_f32_e32 v10, 0x3ab42872, v12
	v_add_f32_e32 v23, v8, v8
	v_fma_f32 v26, v12, v12, -v25
	v_fma_f32 v10, v12, v10, v14
	v_fmac_f32_e32 v26, v12, v23
	v_fma_f32 v10, v12, v10, v15
	v_add_f32_e32 v23, v25, v26
	v_fma_f32 v10, v12, v10, v16
	v_sub_f32_e32 v25, v23, v25
	v_sub_f32_e32 v25, v26, v25
	v_mul_f32_e32 v26, v10, v23
	v_fma_f32 v23, v23, v10, -v26
	v_fmac_f32_e32 v23, v25, v10
	v_add_f32_e32 v25, v26, v23
	v_sub_f32_e32 v10, v25, v26
	v_sub_f32_e32 v23, v23, v10
	v_add_f32_e32 v10, v12, v25
	v_sub_f32_e32 v12, v10, v12
	v_sub_f32_e32 v12, v25, v12
	v_add_f32_e32 v8, v8, v23
	v_add_f32_e32 v26, v8, v12
	;; [unrolled: 1-line block ×3, first 2 shown]
	v_add_f32_e32 v29, 1.0, v28
	v_pk_add_f32 v[30:31], v[28:29], v[10:11] neg_lo:[0,1] neg_hi:[0,1]
	v_pk_add_f32 v[32:33], v[28:29], s[4:5]
	v_mov_b32_e32 v31, v33
	v_mov_b32_e32 v27, v28
	v_cvt_i32_f32_e32 v8, v21
	v_pk_add_f32 v[26:27], v[26:27], v[30:31] neg_lo:[0,1] neg_hi:[0,1]
	v_add_f32_e32 v10, v26, v27
	v_add_f32_e32 v12, v29, v10
	v_ldexp_f32 v25, v12, v8
	v_rcp_f32_e32 v21, v25
	v_sub_f32_e32 v12, v12, v29
	v_sub_f32_e32 v10, v10, v12
	v_ldexp_f32 v8, v10, v8
	v_mul_f32_e32 v26, v25, v21
	v_fma_f32 v28, v21, v25, -v26
	v_fmac_f32_e32 v28, v21, v8
	v_add_f32_e32 v12, v26, v28
	v_sub_f32_e32 v27, 1.0, v12
	v_pk_add_f32 v[30:31], v[12:13], v[26:27] neg_lo:[0,1] neg_hi:[0,1]
	v_mov_b32_e32 v29, v12
	v_pk_add_f32 v[28:29], v[30:31], v[28:29] neg_lo:[0,1] neg_hi:[0,1]
	v_add_f32_e32 v10, v28, v29
	v_add_f32_e32 v29, v27, v10
	v_mul_f32_e32 v12, v21, v29
	v_mul_f32_e32 v26, v25, v12
	v_fma_f32 v30, v12, v25, -v26
	v_fmac_f32_e32 v30, v12, v8
	v_add_f32_e32 v28, v26, v30
	v_sub_f32_e32 v23, v27, v29
	v_sub_f32_e32 v27, v29, v28
	v_pk_add_f32 v[32:33], v[28:29], v[26:27] neg_lo:[0,1] neg_hi:[0,1]
	v_mov_b32_e32 v31, v28
	v_add_f32_e32 v10, v10, v23
	v_pk_add_f32 v[28:29], v[32:33], v[30:31] neg_lo:[0,1] neg_hi:[0,1]
	v_add_f32_e32 v10, v10, v29
	v_add_f32_e32 v10, v28, v10
	;; [unrolled: 1-line block ×4, first 2 shown]
	v_mul_f32_e32 v10, v21, v10
	v_sub_f32_e32 v21, v23, v21
	v_sub_f32_e32 v12, v12, v21
	v_add_f32_e32 v10, v12, v10
	v_add_f32_e32 v12, v23, v10
	v_sub_f32_e32 v21, v12, v23
	v_ldexp_f32 v23, v12, -2
	v_sub_f32_e32 v10, v10, v21
	v_pk_add_f32 v[26:27], v[24:25], v[22:23]
	v_ldexp_f32 v10, v10, -2
	v_sub_f32_e32 v12, v27, v25
	v_sub_f32_e32 v12, v23, v12
	v_add_f32_e32 v8, v8, v10
	v_add_f32_e32 v21, v8, v12
	v_pk_add_f32 v[20:21], v[26:27], v[20:21]
	v_cmp_ngt_f32_e64 vcc, |v3|, s12
	v_cndmask_b32_e32 v3, v17, v21, vcc
	v_cmp_ngt_f32_e64 vcc, |v2|, s12
	v_cndmask_b32_e32 v2, v17, v20, vcc
	v_cmp_le_i64_e32 vcc, s[10:11], v[4:5]
	global_store_dwordx4 v[6:7], v[0:3], off offset:-8
	s_or_b64 s[0:1], vcc, s[0:1]
	v_add_co_u32_e32 v6, vcc, s4, v6
	v_addc_co_u32_e32 v7, vcc, v7, v18, vcc
	s_and_b64 s[0:1], exec, s[0:1]
	v_add_co_u32_e32 v4, vcc, s8, v4
	s_or_b64 s[2:3], s[0:1], s[2:3]
	v_addc_co_u32_e32 v5, vcc, v5, v19, vcc
	s_andn2_b64 exec, exec, s[2:3]
	s_cbranch_execnz .LBB87_24
.LBB87_25:
	s_endpgm
	.section	.rodata,"a",@progbits
	.p2align	6, 0x0
	.amdhsa_kernel _ZN2at6native12_GLOBAL__N_125multi_tensor_apply_kernelINS1_18TensorListMetadataILi1EEENS1_14UnaryOpFunctorIfLi1ELi1ELi0EEEJNS0_4CoshIfEEEEEvT_T0_DpT1_
		.amdhsa_group_segment_fixed_size 0
		.amdhsa_private_segment_fixed_size 0
		.amdhsa_kernarg_size 3632
		.amdhsa_user_sgpr_count 6
		.amdhsa_user_sgpr_private_segment_buffer 1
		.amdhsa_user_sgpr_dispatch_ptr 0
		.amdhsa_user_sgpr_queue_ptr 0
		.amdhsa_user_sgpr_kernarg_segment_ptr 1
		.amdhsa_user_sgpr_dispatch_id 0
		.amdhsa_user_sgpr_flat_scratch_init 0
		.amdhsa_user_sgpr_kernarg_preload_length 0
		.amdhsa_user_sgpr_kernarg_preload_offset 0
		.amdhsa_user_sgpr_private_segment_size 0
		.amdhsa_uses_dynamic_stack 0
		.amdhsa_system_sgpr_private_segment_wavefront_offset 0
		.amdhsa_system_sgpr_workgroup_id_x 1
		.amdhsa_system_sgpr_workgroup_id_y 0
		.amdhsa_system_sgpr_workgroup_id_z 0
		.amdhsa_system_sgpr_workgroup_info 0
		.amdhsa_system_vgpr_workitem_id 0
		.amdhsa_next_free_vgpr 37
		.amdhsa_next_free_sgpr 32
		.amdhsa_accum_offset 40
		.amdhsa_reserve_vcc 1
		.amdhsa_reserve_flat_scratch 0
		.amdhsa_float_round_mode_32 0
		.amdhsa_float_round_mode_16_64 0
		.amdhsa_float_denorm_mode_32 3
		.amdhsa_float_denorm_mode_16_64 3
		.amdhsa_dx10_clamp 1
		.amdhsa_ieee_mode 1
		.amdhsa_fp16_overflow 0
		.amdhsa_tg_split 0
		.amdhsa_exception_fp_ieee_invalid_op 0
		.amdhsa_exception_fp_denorm_src 0
		.amdhsa_exception_fp_ieee_div_zero 0
		.amdhsa_exception_fp_ieee_overflow 0
		.amdhsa_exception_fp_ieee_underflow 0
		.amdhsa_exception_fp_ieee_inexact 0
		.amdhsa_exception_int_div_zero 0
	.end_amdhsa_kernel
	.section	.text._ZN2at6native12_GLOBAL__N_125multi_tensor_apply_kernelINS1_18TensorListMetadataILi1EEENS1_14UnaryOpFunctorIfLi1ELi1ELi0EEEJNS0_4CoshIfEEEEEvT_T0_DpT1_,"axG",@progbits,_ZN2at6native12_GLOBAL__N_125multi_tensor_apply_kernelINS1_18TensorListMetadataILi1EEENS1_14UnaryOpFunctorIfLi1ELi1ELi0EEEJNS0_4CoshIfEEEEEvT_T0_DpT1_,comdat
.Lfunc_end87:
	.size	_ZN2at6native12_GLOBAL__N_125multi_tensor_apply_kernelINS1_18TensorListMetadataILi1EEENS1_14UnaryOpFunctorIfLi1ELi1ELi0EEEJNS0_4CoshIfEEEEEvT_T0_DpT1_, .Lfunc_end87-_ZN2at6native12_GLOBAL__N_125multi_tensor_apply_kernelINS1_18TensorListMetadataILi1EEENS1_14UnaryOpFunctorIfLi1ELi1ELi0EEEJNS0_4CoshIfEEEEEvT_T0_DpT1_
                                        ; -- End function
	.section	.AMDGPU.csdata,"",@progbits
; Kernel info:
; codeLenInByte = 5608
; NumSgprs: 36
; NumVgprs: 37
; NumAgprs: 0
; TotalNumVgprs: 37
; ScratchSize: 0
; MemoryBound: 0
; FloatMode: 240
; IeeeMode: 1
; LDSByteSize: 0 bytes/workgroup (compile time only)
; SGPRBlocks: 4
; VGPRBlocks: 4
; NumSGPRsForWavesPerEU: 36
; NumVGPRsForWavesPerEU: 37
; AccumOffset: 40
; Occupancy: 8
; WaveLimiterHint : 0
; COMPUTE_PGM_RSRC2:SCRATCH_EN: 0
; COMPUTE_PGM_RSRC2:USER_SGPR: 6
; COMPUTE_PGM_RSRC2:TRAP_HANDLER: 0
; COMPUTE_PGM_RSRC2:TGID_X_EN: 1
; COMPUTE_PGM_RSRC2:TGID_Y_EN: 0
; COMPUTE_PGM_RSRC2:TGID_Z_EN: 0
; COMPUTE_PGM_RSRC2:TIDIG_COMP_CNT: 0
; COMPUTE_PGM_RSRC3_GFX90A:ACCUM_OFFSET: 9
; COMPUTE_PGM_RSRC3_GFX90A:TG_SPLIT: 0
	.section	.text._ZN2at6native12_GLOBAL__N_125multi_tensor_apply_kernelINS1_18TensorListMetadataILi1EEENS1_14UnaryOpFunctorIN3c107complexIdEELi1ELi1ELi0EEEJNS0_4CoshIS8_EEEEEvT_T0_DpT1_,"axG",@progbits,_ZN2at6native12_GLOBAL__N_125multi_tensor_apply_kernelINS1_18TensorListMetadataILi1EEENS1_14UnaryOpFunctorIN3c107complexIdEELi1ELi1ELi0EEEJNS0_4CoshIS8_EEEEEvT_T0_DpT1_,comdat
	.globl	_ZN2at6native12_GLOBAL__N_125multi_tensor_apply_kernelINS1_18TensorListMetadataILi1EEENS1_14UnaryOpFunctorIN3c107complexIdEELi1ELi1ELi0EEEJNS0_4CoshIS8_EEEEEvT_T0_DpT1_ ; -- Begin function _ZN2at6native12_GLOBAL__N_125multi_tensor_apply_kernelINS1_18TensorListMetadataILi1EEENS1_14UnaryOpFunctorIN3c107complexIdEELi1ELi1ELi0EEEJNS0_4CoshIS8_EEEEEvT_T0_DpT1_
	.p2align	8
	.type	_ZN2at6native12_GLOBAL__N_125multi_tensor_apply_kernelINS1_18TensorListMetadataILi1EEENS1_14UnaryOpFunctorIN3c107complexIdEELi1ELi1ELi0EEEJNS0_4CoshIS8_EEEEEvT_T0_DpT1_,@function
_ZN2at6native12_GLOBAL__N_125multi_tensor_apply_kernelINS1_18TensorListMetadataILi1EEENS1_14UnaryOpFunctorIN3c107complexIdEELi1ELi1ELi0EEEJNS0_4CoshIS8_EEEEEvT_T0_DpT1_: ; @_ZN2at6native12_GLOBAL__N_125multi_tensor_apply_kernelINS1_18TensorListMetadataILi1EEENS1_14UnaryOpFunctorIN3c107complexIdEELi1ELi1ELi0EEEJNS0_4CoshIS8_EEEEEvT_T0_DpT1_
; %bb.0:
	v_mov_b32_e32 v54, v0
	v_mov_b32_e32 v0, s8
	global_load_ubyte v0, v0, s[4:5] offset:1760
	s_add_u32 flat_scratch_lo, s6, s9
	s_addc_u32 flat_scratch_hi, s7, 0
	s_add_u32 s0, s0, s9
	s_addc_u32 s1, s1, 0
	s_mov_b64 s[40:41], s[4:5]
	s_add_u32 s4, s40, s8
	s_mul_hi_u32 s5, s8, 3
	s_mul_i32 s8, s8, 3
	s_addc_u32 s6, s41, 0
	s_add_u32 s4, s4, s8
	s_addc_u32 s5, s6, s5
	s_load_dword s4, s[4:5], 0x820
	s_mov_b32 s9, 0
	s_mov_b32 s32, 0
	s_waitcnt vmcnt(0)
	v_readfirstlane_b32 s5, v0
	s_lshl_b32 s5, s5, 3
	s_load_dwordx2 s[50:51], s[40:41], s5 offset:0x0
	s_load_dwordx2 s[6:7], s[40:41], s5 offset:0x370
	s_waitcnt lgkmcnt(0)
	s_ashr_i32 s5, s4, 31
	s_lshl_b64 s[52:53], s[4:5], 20
	s_add_u32 s33, s50, s52
	s_addc_u32 s60, s51, s53
	s_lshl_b64 s[4:5], s[4:5], 16
	s_and_b32 s8, s33, 63
	s_sub_u32 s48, s6, s4
	s_subb_u32 s49, s7, s5
	s_and_b32 s4, s6, 3
	s_mov_b32 s5, s9
	s_or_b64 s[4:5], s[8:9], s[4:5]
	s_cmp_eq_u64 s[4:5], 0
	s_cbranch_scc1 .LBB88_21
; %bb.1:
	v_cmp_lt_i64_e64 s[4:5], s[48:49], 1
	s_and_b64 vcc, exec, s[4:5]
	s_cbranch_vccnz .LBB88_20
; %bb.2:
	s_load_dword s4, s[40:41], 0xd3c
	v_mov_b32_e32 v0, 0x10000
	v_mov_b32_e32 v1, 0
	v_cmp_lt_u64_e32 vcc, s[48:49], v[0:1]
	v_mov_b32_e32 v57, 0
	s_waitcnt lgkmcnt(0)
	s_and_b32 s6, s4, 0xffff
	s_and_b64 s[4:5], vcc, exec
	s_mul_i32 s8, s6, 3
	v_lshlrev_b32_e32 v56, 4, v54
	v_add_co_u32_e32 v41, vcc, s6, v54
	v_addc_co_u32_e64 v61, s[4:5], 0, 0, vcc
	v_mad_u64_u32 v[58:59], s[4:5], s6, 48, v[56:57]
	v_add_co_u32_e32 v57, vcc, s8, v54
	v_addc_co_u32_e64 v63, s[4:5], 0, 0, vcc
	s_cselect_b32 s55, s49, 0
	s_cselect_b32 s54, s48, 0x10000
	s_lshl_b32 s4, s6, 5
	s_lshl_b32 s7, s6, 1
	v_add_co_u32_e32 v0, vcc, s4, v56
	v_addc_co_u32_e64 v55, s[4:5], 0, 0, vcc
	v_add_co_u32_e32 v64, vcc, s7, v54
	s_lshl_b32 s61, s6, 2
	s_lshl_b32 s62, s6, 6
	v_or_b32_e32 v58, 8, v58
	v_lshlrev_b32_e32 v60, 4, v41
	v_or_b32_e32 v62, 8, v0
	v_addc_co_u32_e64 v65, s[4:5], 0, 0, vcc
	s_mov_b64 s[56:57], 0
	s_branch .LBB88_4
.LBB88_3:                               ;   in Loop: Header=BB88_4 Depth=1
	s_or_b64 exec, exec, s[42:43]
	s_add_u32 s56, s56, s61
	s_addc_u32 s57, s57, 0
	s_waitcnt vmcnt(0)
	v_pk_mov_b32 v[0:1], s[48:49], s[48:49] op_sel:[0,1]
	v_cmp_lt_i64_e32 vcc, s[56:57], v[0:1]
	v_mov_b32_e32 v0, 0x10000
	v_mov_b32_e32 v1, 0
	v_cmp_lt_u64_e64 s[4:5], s[56:57], v[0:1]
	s_and_b64 s[4:5], vcc, s[4:5]
	s_add_u32 s33, s33, s62
	s_addc_u32 s60, s60, 0
	s_and_b64 vcc, exec, s[4:5]
	s_cbranch_vccz .LBB88_20
.LBB88_4:                               ; =>This Inner Loop Header: Depth=1
	v_mov_b32_e32 v1, s57
	v_add_co_u32_e32 v0, vcc, s56, v54
	v_addc_co_u32_e32 v1, vcc, 0, v1, vcc
	v_pk_mov_b32 v[48:49], 0, 0
	v_cmp_gt_u64_e32 vcc, s[54:55], v[0:1]
	v_pk_mov_b32 v[2:3], v[48:49], v[48:49] op_sel:[0,1]
	v_pk_mov_b32 v[0:1], v[48:49], v[48:49] op_sel:[0,1]
	s_and_saveexec_b64 s[6:7], vcc
	s_cbranch_execz .LBB88_6
; %bb.5:                                ;   in Loop: Header=BB88_4 Depth=1
	v_mov_b32_e32 v1, s60
	v_add_co_u32_e64 v0, s[4:5], s33, v56
	v_addc_co_u32_e64 v1, s[4:5], 0, v1, s[4:5]
	global_load_dwordx4 v[0:3], v[0:1], off
.LBB88_6:                               ;   in Loop: Header=BB88_4 Depth=1
	s_or_b64 exec, exec, s[6:7]
	v_mov_b32_e32 v5, s57
	v_add_co_u32_e64 v4, s[4:5], s56, v41
	v_addc_co_u32_e64 v5, s[4:5], v61, v5, s[4:5]
	v_cmp_gt_u64_e64 s[46:47], s[54:55], v[4:5]
	v_pk_mov_b32 v[46:47], v[48:49], v[48:49] op_sel:[0,1]
	s_and_saveexec_b64 s[6:7], s[46:47]
	s_cbranch_execz .LBB88_8
; %bb.7:                                ;   in Loop: Header=BB88_4 Depth=1
	v_mov_b32_e32 v5, s60
	v_add_co_u32_e64 v4, s[4:5], s33, v60
	v_addc_co_u32_e64 v5, s[4:5], 0, v5, s[4:5]
	global_load_dwordx4 v[46:49], v[4:5], off
.LBB88_8:                               ;   in Loop: Header=BB88_4 Depth=1
	s_or_b64 exec, exec, s[6:7]
	v_mov_b32_e32 v5, s57
	v_add_co_u32_e64 v4, s[4:5], s56, v64
	v_addc_co_u32_e64 v5, s[4:5], v65, v5, s[4:5]
	v_pk_mov_b32 v[44:45], 0, 0
	v_cmp_gt_u64_e64 s[42:43], s[54:55], v[4:5]
	v_pk_mov_b32 v[52:53], v[44:45], v[44:45] op_sel:[0,1]
	v_pk_mov_b32 v[50:51], v[44:45], v[44:45] op_sel:[0,1]
	s_and_saveexec_b64 s[6:7], s[42:43]
	s_cbranch_execz .LBB88_10
; %bb.9:                                ;   in Loop: Header=BB88_4 Depth=1
	v_mov_b32_e32 v5, s60
	v_add_co_u32_e64 v4, s[4:5], s33, v62
	v_addc_co_u32_e64 v5, s[4:5], v5, v55, s[4:5]
	global_load_dwordx4 v[50:53], v[4:5], off offset:-8
.LBB88_10:                              ;   in Loop: Header=BB88_4 Depth=1
	s_or_b64 exec, exec, s[6:7]
	v_mov_b32_e32 v5, s57
	v_add_co_u32_e64 v4, s[4:5], s56, v57
	v_addc_co_u32_e64 v5, s[4:5], v63, v5, s[4:5]
	v_cmp_gt_u64_e64 s[44:45], s[54:55], v[4:5]
	v_pk_mov_b32 v[42:43], v[44:45], v[44:45] op_sel:[0,1]
	s_and_saveexec_b64 s[6:7], s[44:45]
	s_cbranch_execnz .LBB88_15
; %bb.11:                               ;   in Loop: Header=BB88_4 Depth=1
	s_or_b64 exec, exec, s[6:7]
	s_and_saveexec_b64 s[58:59], vcc
	s_cbranch_execnz .LBB88_16
.LBB88_12:                              ;   in Loop: Header=BB88_4 Depth=1
	s_or_b64 exec, exec, s[58:59]
	s_and_saveexec_b64 s[58:59], s[46:47]
	s_cbranch_execnz .LBB88_17
.LBB88_13:                              ;   in Loop: Header=BB88_4 Depth=1
	s_or_b64 exec, exec, s[58:59]
	s_and_saveexec_b64 s[46:47], s[42:43]
	s_cbranch_execnz .LBB88_18
.LBB88_14:                              ;   in Loop: Header=BB88_4 Depth=1
	s_or_b64 exec, exec, s[46:47]
	s_and_saveexec_b64 s[42:43], s[44:45]
	s_cbranch_execz .LBB88_3
	s_branch .LBB88_19
.LBB88_15:                              ;   in Loop: Header=BB88_4 Depth=1
	v_mov_b32_e32 v5, s60
	v_add_co_u32_e64 v4, s[4:5], s33, v58
	v_addc_co_u32_e64 v5, s[4:5], v5, v59, s[4:5]
	global_load_dwordx4 v[42:45], v[4:5], off offset:-8
	s_or_b64 exec, exec, s[6:7]
	s_and_saveexec_b64 s[58:59], vcc
	s_cbranch_execz .LBB88_12
.LBB88_16:                              ;   in Loop: Header=BB88_4 Depth=1
	s_getpc_b64 s[4:5]
	s_add_u32 s4, s4, _ZN6thrust23THRUST_200600_302600_NS6detail7complex5ccoshERKNS0_7complexIdEE@rel32@lo+4
	s_addc_u32 s5, s5, _ZN6thrust23THRUST_200600_302600_NS6detail7complex5ccoshERKNS0_7complexIdEE@rel32@hi+12
	s_swappc_b64 s[30:31], s[4:5]
	v_mov_b32_e32 v5, s60
	v_add_co_u32_e32 v4, vcc, s33, v56
	v_addc_co_u32_e32 v5, vcc, 0, v5, vcc
	global_store_dwordx4 v[4:5], v[0:3], off
	s_or_b64 exec, exec, s[58:59]
	s_and_saveexec_b64 s[58:59], s[46:47]
	s_cbranch_execz .LBB88_13
.LBB88_17:                              ;   in Loop: Header=BB88_4 Depth=1
	s_waitcnt vmcnt(0)
	v_mov_b32_e32 v0, v46
	v_mov_b32_e32 v1, v47
	;; [unrolled: 1-line block ×4, first 2 shown]
	s_getpc_b64 s[4:5]
	s_add_u32 s4, s4, _ZN6thrust23THRUST_200600_302600_NS6detail7complex5ccoshERKNS0_7complexIdEE@rel32@lo+4
	s_addc_u32 s5, s5, _ZN6thrust23THRUST_200600_302600_NS6detail7complex5ccoshERKNS0_7complexIdEE@rel32@hi+12
	s_swappc_b64 s[30:31], s[4:5]
	v_mov_b32_e32 v5, s60
	v_add_co_u32_e32 v4, vcc, s33, v60
	v_addc_co_u32_e32 v5, vcc, 0, v5, vcc
	global_store_dwordx4 v[4:5], v[0:3], off
	s_or_b64 exec, exec, s[58:59]
	s_and_saveexec_b64 s[46:47], s[42:43]
	s_cbranch_execz .LBB88_14
.LBB88_18:                              ;   in Loop: Header=BB88_4 Depth=1
	s_waitcnt vmcnt(0)
	v_mov_b32_e32 v0, v50
	v_mov_b32_e32 v1, v51
	;; [unrolled: 1-line block ×4, first 2 shown]
	s_getpc_b64 s[4:5]
	s_add_u32 s4, s4, _ZN6thrust23THRUST_200600_302600_NS6detail7complex5ccoshERKNS0_7complexIdEE@rel32@lo+4
	s_addc_u32 s5, s5, _ZN6thrust23THRUST_200600_302600_NS6detail7complex5ccoshERKNS0_7complexIdEE@rel32@hi+12
	s_swappc_b64 s[30:31], s[4:5]
	v_mov_b32_e32 v5, s60
	v_add_co_u32_e32 v4, vcc, s33, v62
	v_addc_co_u32_e32 v5, vcc, v5, v55, vcc
	global_store_dwordx4 v[4:5], v[0:3], off offset:-8
	s_or_b64 exec, exec, s[46:47]
	s_and_saveexec_b64 s[42:43], s[44:45]
	s_cbranch_execz .LBB88_3
.LBB88_19:                              ;   in Loop: Header=BB88_4 Depth=1
	s_waitcnt vmcnt(0)
	v_mov_b32_e32 v0, v42
	v_mov_b32_e32 v1, v43
	;; [unrolled: 1-line block ×4, first 2 shown]
	s_getpc_b64 s[4:5]
	s_add_u32 s4, s4, _ZN6thrust23THRUST_200600_302600_NS6detail7complex5ccoshERKNS0_7complexIdEE@rel32@lo+4
	s_addc_u32 s5, s5, _ZN6thrust23THRUST_200600_302600_NS6detail7complex5ccoshERKNS0_7complexIdEE@rel32@hi+12
	s_swappc_b64 s[30:31], s[4:5]
	v_mov_b32_e32 v5, s60
	v_add_co_u32_e32 v4, vcc, s33, v58
	v_addc_co_u32_e32 v5, vcc, v5, v59, vcc
	global_store_dwordx4 v[4:5], v[0:3], off offset:-8
	s_branch .LBB88_3
.LBB88_20:
	s_cbranch_execz .LBB88_22
	s_branch .LBB88_25
.LBB88_21:
.LBB88_22:
	v_mov_b32_e32 v59, 0
	v_lshlrev_b32_e32 v58, 2, v54
	s_mov_b32 s4, 0
	v_cmp_gt_i64_e32 vcc, s[48:49], v[58:59]
	s_and_saveexec_b64 s[6:7], vcc
	s_cbranch_execz .LBB88_25
; %bb.23:
	s_load_dword s5, s[40:41], 0xd3c
	v_lshlrev_b32_e32 v0, 6, v54
	s_mov_b64 s[40:41], 0
	s_mov_b64 s[42:43], 0xffff
	v_mov_b32_e32 v41, s4
	s_waitcnt lgkmcnt(0)
	s_and_b32 s5, s5, 0xffff
	s_lshl_b32 s33, s5, 2
	s_add_u32 s6, s50, s52
	s_addc_u32 s7, s51, s53
	v_mov_b32_e32 v1, s7
	v_add_co_u32_e32 v60, vcc, s6, v0
	v_add_lshl_u32 v58, v54, s5, 2
	v_addc_co_u32_e32 v61, vcc, 0, v1, vcc
	s_lshl_b32 s44, s5, 6
	v_mov_b32_e32 v62, s4
.LBB88_24:                              ; =>This Inner Loop Header: Depth=1
	global_load_dwordx4 v[0:3], v[60:61], off
	global_load_dwordx4 v[42:45], v[60:61], off offset:16
	global_load_dwordx4 v[46:49], v[60:61], off offset:48
	;; [unrolled: 1-line block ×3, first 2 shown]
	s_getpc_b64 s[46:47]
	s_add_u32 s46, s46, _ZN6thrust23THRUST_200600_302600_NS6detail7complex5ccoshERKNS0_7complexIdEE@rel32@lo+4
	s_addc_u32 s47, s47, _ZN6thrust23THRUST_200600_302600_NS6detail7complex5ccoshERKNS0_7complexIdEE@rel32@hi+12
	s_swappc_b64 s[30:31], s[46:47]
	v_mov_b32_e32 v54, v0
	v_mov_b32_e32 v55, v1
	v_mov_b32_e32 v56, v2
	v_mov_b32_e32 v57, v3
	v_mov_b32_e32 v0, v42
	v_mov_b32_e32 v1, v43
	v_mov_b32_e32 v2, v44
	v_mov_b32_e32 v3, v45
	s_swappc_b64 s[30:31], s[46:47]
	v_mov_b32_e32 v42, v0
	v_mov_b32_e32 v43, v1
	v_mov_b32_e32 v44, v2
	v_mov_b32_e32 v45, v3
	v_mov_b32_e32 v0, v50
	v_mov_b32_e32 v1, v51
	v_mov_b32_e32 v2, v52
	v_mov_b32_e32 v3, v53
	;; [unrolled: 9-line block ×3, first 2 shown]
	s_swappc_b64 s[30:31], s[46:47]
	v_cmp_le_i64_e32 vcc, s[48:49], v[58:59]
	v_cmp_lt_u64_e64 s[4:5], s[42:43], v[58:59]
	s_or_b64 s[4:5], vcc, s[4:5]
	global_store_dwordx4 v[60:61], v[54:57], off
	global_store_dwordx4 v[60:61], v[42:45], off offset:16
	global_store_dwordx4 v[60:61], v[50:53], off offset:32
	v_add_co_u32_e64 v58, s[6:7], s33, v58
	global_store_dwordx4 v[60:61], v[0:3], off offset:48
	v_add_co_u32_e32 v60, vcc, s44, v60
	s_and_b64 s[4:5], exec, s[4:5]
	v_addc_co_u32_e64 v59, s[6:7], v59, v41, s[6:7]
	s_or_b64 s[40:41], s[4:5], s[40:41]
	v_addc_co_u32_e32 v61, vcc, v61, v62, vcc
	s_andn2_b64 exec, exec, s[40:41]
	s_cbranch_execnz .LBB88_24
.LBB88_25:
	s_endpgm
	.section	.rodata,"a",@progbits
	.p2align	6, 0x0
	.amdhsa_kernel _ZN2at6native12_GLOBAL__N_125multi_tensor_apply_kernelINS1_18TensorListMetadataILi1EEENS1_14UnaryOpFunctorIN3c107complexIdEELi1ELi1ELi0EEEJNS0_4CoshIS8_EEEEEvT_T0_DpT1_
		.amdhsa_group_segment_fixed_size 0
		.amdhsa_private_segment_fixed_size 8
		.amdhsa_kernarg_size 3632
		.amdhsa_user_sgpr_count 8
		.amdhsa_user_sgpr_private_segment_buffer 1
		.amdhsa_user_sgpr_dispatch_ptr 0
		.amdhsa_user_sgpr_queue_ptr 0
		.amdhsa_user_sgpr_kernarg_segment_ptr 1
		.amdhsa_user_sgpr_dispatch_id 0
		.amdhsa_user_sgpr_flat_scratch_init 1
		.amdhsa_user_sgpr_kernarg_preload_length 0
		.amdhsa_user_sgpr_kernarg_preload_offset 0
		.amdhsa_user_sgpr_private_segment_size 0
		.amdhsa_uses_dynamic_stack 0
		.amdhsa_system_sgpr_private_segment_wavefront_offset 1
		.amdhsa_system_sgpr_workgroup_id_x 1
		.amdhsa_system_sgpr_workgroup_id_y 0
		.amdhsa_system_sgpr_workgroup_id_z 0
		.amdhsa_system_sgpr_workgroup_info 0
		.amdhsa_system_vgpr_workitem_id 0
		.amdhsa_next_free_vgpr 66
		.amdhsa_next_free_sgpr 63
		.amdhsa_accum_offset 68
		.amdhsa_reserve_vcc 1
		.amdhsa_reserve_flat_scratch 1
		.amdhsa_float_round_mode_32 0
		.amdhsa_float_round_mode_16_64 0
		.amdhsa_float_denorm_mode_32 3
		.amdhsa_float_denorm_mode_16_64 3
		.amdhsa_dx10_clamp 1
		.amdhsa_ieee_mode 1
		.amdhsa_fp16_overflow 0
		.amdhsa_tg_split 0
		.amdhsa_exception_fp_ieee_invalid_op 0
		.amdhsa_exception_fp_denorm_src 0
		.amdhsa_exception_fp_ieee_div_zero 0
		.amdhsa_exception_fp_ieee_overflow 0
		.amdhsa_exception_fp_ieee_underflow 0
		.amdhsa_exception_fp_ieee_inexact 0
		.amdhsa_exception_int_div_zero 0
	.end_amdhsa_kernel
	.section	.text._ZN2at6native12_GLOBAL__N_125multi_tensor_apply_kernelINS1_18TensorListMetadataILi1EEENS1_14UnaryOpFunctorIN3c107complexIdEELi1ELi1ELi0EEEJNS0_4CoshIS8_EEEEEvT_T0_DpT1_,"axG",@progbits,_ZN2at6native12_GLOBAL__N_125multi_tensor_apply_kernelINS1_18TensorListMetadataILi1EEENS1_14UnaryOpFunctorIN3c107complexIdEELi1ELi1ELi0EEEJNS0_4CoshIS8_EEEEEvT_T0_DpT1_,comdat
.Lfunc_end88:
	.size	_ZN2at6native12_GLOBAL__N_125multi_tensor_apply_kernelINS1_18TensorListMetadataILi1EEENS1_14UnaryOpFunctorIN3c107complexIdEELi1ELi1ELi0EEEJNS0_4CoshIS8_EEEEEvT_T0_DpT1_, .Lfunc_end88-_ZN2at6native12_GLOBAL__N_125multi_tensor_apply_kernelINS1_18TensorListMetadataILi1EEENS1_14UnaryOpFunctorIN3c107complexIdEELi1ELi1ELi0EEEJNS0_4CoshIS8_EEEEEvT_T0_DpT1_
                                        ; -- End function
	.section	.AMDGPU.csdata,"",@progbits
; Kernel info:
; codeLenInByte = 1428
; NumSgprs: 69
; NumVgprs: 66
; NumAgprs: 0
; TotalNumVgprs: 66
; ScratchSize: 8
; MemoryBound: 1
; FloatMode: 240
; IeeeMode: 1
; LDSByteSize: 0 bytes/workgroup (compile time only)
; SGPRBlocks: 8
; VGPRBlocks: 8
; NumSGPRsForWavesPerEU: 69
; NumVGPRsForWavesPerEU: 66
; AccumOffset: 68
; Occupancy: 7
; WaveLimiterHint : 0
; COMPUTE_PGM_RSRC2:SCRATCH_EN: 1
; COMPUTE_PGM_RSRC2:USER_SGPR: 8
; COMPUTE_PGM_RSRC2:TRAP_HANDLER: 0
; COMPUTE_PGM_RSRC2:TGID_X_EN: 1
; COMPUTE_PGM_RSRC2:TGID_Y_EN: 0
; COMPUTE_PGM_RSRC2:TGID_Z_EN: 0
; COMPUTE_PGM_RSRC2:TIDIG_COMP_CNT: 0
; COMPUTE_PGM_RSRC3_GFX90A:ACCUM_OFFSET: 16
; COMPUTE_PGM_RSRC3_GFX90A:TG_SPLIT: 0
	.section	.text._ZN2at6native12_GLOBAL__N_125multi_tensor_apply_kernelINS1_18TensorListMetadataILi1EEENS1_14UnaryOpFunctorIN3c107complexIfEELi1ELi1ELi0EEEJNS0_4CoshIS8_EEEEEvT_T0_DpT1_,"axG",@progbits,_ZN2at6native12_GLOBAL__N_125multi_tensor_apply_kernelINS1_18TensorListMetadataILi1EEENS1_14UnaryOpFunctorIN3c107complexIfEELi1ELi1ELi0EEEJNS0_4CoshIS8_EEEEEvT_T0_DpT1_,comdat
	.globl	_ZN2at6native12_GLOBAL__N_125multi_tensor_apply_kernelINS1_18TensorListMetadataILi1EEENS1_14UnaryOpFunctorIN3c107complexIfEELi1ELi1ELi0EEEJNS0_4CoshIS8_EEEEEvT_T0_DpT1_ ; -- Begin function _ZN2at6native12_GLOBAL__N_125multi_tensor_apply_kernelINS1_18TensorListMetadataILi1EEENS1_14UnaryOpFunctorIN3c107complexIfEELi1ELi1ELi0EEEJNS0_4CoshIS8_EEEEEvT_T0_DpT1_
	.p2align	8
	.type	_ZN2at6native12_GLOBAL__N_125multi_tensor_apply_kernelINS1_18TensorListMetadataILi1EEENS1_14UnaryOpFunctorIN3c107complexIfEELi1ELi1ELi0EEEJNS0_4CoshIS8_EEEEEvT_T0_DpT1_,@function
_ZN2at6native12_GLOBAL__N_125multi_tensor_apply_kernelINS1_18TensorListMetadataILi1EEENS1_14UnaryOpFunctorIN3c107complexIfEELi1ELi1ELi0EEEJNS0_4CoshIS8_EEEEEvT_T0_DpT1_: ; @_ZN2at6native12_GLOBAL__N_125multi_tensor_apply_kernelINS1_18TensorListMetadataILi1EEENS1_14UnaryOpFunctorIN3c107complexIfEELi1ELi1ELi0EEEJNS0_4CoshIS8_EEEEEvT_T0_DpT1_
; %bb.0:
	v_mov_b32_e32 v22, v0
	v_mov_b32_e32 v0, s8
	global_load_ubyte v0, v0, s[4:5] offset:1760
	s_add_u32 flat_scratch_lo, s6, s9
	s_addc_u32 flat_scratch_hi, s7, 0
	s_add_u32 s0, s0, s9
	s_addc_u32 s1, s1, 0
	s_mov_b64 s[26:27], s[4:5]
	s_add_u32 s4, s26, s8
	s_mul_hi_u32 s5, s8, 3
	s_mul_i32 s8, s8, 3
	s_addc_u32 s6, s27, 0
	s_add_u32 s4, s4, s8
	s_addc_u32 s5, s6, s5
	s_load_dword s4, s[4:5], 0x820
	s_mov_b32 s9, 0
	s_mov_b32 s32, 0
	s_waitcnt vmcnt(0)
	v_readfirstlane_b32 s5, v0
	s_lshl_b32 s5, s5, 3
	s_load_dwordx2 s[40:41], s[26:27], s5 offset:0x0
	s_load_dwordx2 s[6:7], s[26:27], s5 offset:0x370
	s_waitcnt lgkmcnt(0)
	s_ashr_i32 s5, s4, 31
	s_lshl_b64 s[42:43], s[4:5], 19
	s_add_u32 s33, s40, s42
	s_addc_u32 s50, s41, s43
	s_lshl_b64 s[4:5], s[4:5], 16
	s_and_b32 s8, s33, 31
	s_sub_u32 s38, s6, s4
	s_subb_u32 s39, s7, s5
	s_and_b32 s4, s6, 3
	s_mov_b32 s5, s9
	s_or_b64 s[4:5], s[8:9], s[4:5]
	s_cmp_eq_u64 s[4:5], 0
	s_cbranch_scc1 .LBB89_21
; %bb.1:
	v_cmp_lt_i64_e64 s[4:5], s[38:39], 1
	s_and_b64 vcc, exec, s[4:5]
	s_cbranch_vccnz .LBB89_20
; %bb.2:
	s_load_dword s4, s[26:27], 0xd3c
	v_mov_b32_e32 v0, 0x10000
	v_mov_b32_e32 v1, 0
	v_cmp_lt_u64_e32 vcc, s[38:39], v[0:1]
	v_mov_b32_e32 v31, 0
	s_waitcnt lgkmcnt(0)
	s_and_b32 s6, s4, 0xffff
	s_mul_i32 s8, s6, 3
	s_and_b64 s[4:5], vcc, exec
	v_lshlrev_b32_e32 v30, 3, v22
	v_add_co_u32_e32 v23, vcc, s8, v22
	v_mad_u64_u32 v[32:33], s[4:5], s6, 24, v[30:31]
	v_addc_co_u32_e64 v31, s[4:5], 0, 0, vcc
	s_cselect_b32 s45, s39, 0
	s_cselect_b32 s44, s38, 0x10000
	s_lshl_b32 s4, s6, 4
	s_lshl_b32 s7, s6, 1
	v_add_co_u32_e32 v35, vcc, s4, v30
	v_addc_co_u32_e64 v38, s[4:5], 0, 0, vcc
	v_add_co_u32_e32 v39, vcc, s7, v22
	v_addc_co_u32_e64 v40, s[4:5], 0, 0, vcc
	v_add_co_u32_e32 v41, vcc, s6, v22
	s_lshl_b32 s51, s6, 2
	s_lshl_b32 s52, s6, 5
	v_addc_co_u32_e64 v42, s[4:5], 0, 0, vcc
	v_lshlrev_b32_e32 v34, 3, v41
	s_mov_b64 s[46:47], 0
	v_pk_mov_b32 v[36:37], s[38:39], s[38:39] op_sel:[0,1]
	s_branch .LBB89_4
.LBB89_3:                               ;   in Loop: Header=BB89_4 Depth=1
	s_or_b64 exec, exec, s[28:29]
	s_add_u32 s46, s46, s51
	s_waitcnt vmcnt(0)
	v_mov_b32_e32 v0, 0x10000
	s_addc_u32 s47, s47, 0
	v_mov_b32_e32 v1, 0
	v_cmp_lt_i64_e32 vcc, s[46:47], v[36:37]
	v_cmp_lt_u64_e64 s[4:5], s[46:47], v[0:1]
	s_and_b64 s[4:5], vcc, s[4:5]
	s_add_u32 s33, s33, s52
	s_addc_u32 s50, s50, 0
	s_and_b64 vcc, exec, s[4:5]
	s_cbranch_vccz .LBB89_20
.LBB89_4:                               ; =>This Inner Loop Header: Depth=1
	v_mov_b32_e32 v1, s47
	v_add_co_u32_e32 v0, vcc, s46, v22
	v_addc_co_u32_e32 v1, vcc, 0, v1, vcc
	v_cmp_gt_u64_e32 vcc, s[44:45], v[0:1]
	v_mov_b32_e32 v0, 0
	v_mov_b32_e32 v1, 0
	s_and_saveexec_b64 s[6:7], vcc
	s_cbranch_execz .LBB89_6
; %bb.5:                                ;   in Loop: Header=BB89_4 Depth=1
	v_mov_b32_e32 v1, s50
	v_add_co_u32_e64 v0, s[4:5], s33, v30
	v_addc_co_u32_e64 v1, s[4:5], 0, v1, s[4:5]
	global_load_dwordx2 v[0:1], v[0:1], off
.LBB89_6:                               ;   in Loop: Header=BB89_4 Depth=1
	s_or_b64 exec, exec, s[6:7]
	v_mov_b32_e32 v3, s47
	v_add_co_u32_e64 v2, s[4:5], s46, v41
	v_addc_co_u32_e64 v3, s[4:5], v42, v3, s[4:5]
	v_cmp_gt_u64_e64 s[28:29], s[44:45], v[2:3]
	v_mov_b32_e32 v24, 0
	v_mov_b32_e32 v26, 0
	;; [unrolled: 1-line block ×3, first 2 shown]
	s_and_saveexec_b64 s[6:7], s[28:29]
	s_cbranch_execz .LBB89_8
; %bb.7:                                ;   in Loop: Header=BB89_4 Depth=1
	v_mov_b32_e32 v3, s50
	v_add_co_u32_e64 v2, s[4:5], s33, v34
	v_addc_co_u32_e64 v3, s[4:5], 0, v3, s[4:5]
	global_load_dwordx2 v[26:27], v[2:3], off
.LBB89_8:                               ;   in Loop: Header=BB89_4 Depth=1
	s_or_b64 exec, exec, s[6:7]
	v_mov_b32_e32 v3, s47
	v_add_co_u32_e64 v2, s[4:5], s46, v39
	v_addc_co_u32_e64 v3, s[4:5], v40, v3, s[4:5]
	v_cmp_gt_u64_e64 s[34:35], s[44:45], v[2:3]
	v_mov_b32_e32 v25, 0
	s_and_saveexec_b64 s[6:7], s[34:35]
	s_cbranch_execz .LBB89_10
; %bb.9:                                ;   in Loop: Header=BB89_4 Depth=1
	v_mov_b32_e32 v3, s50
	v_add_co_u32_e64 v2, s[4:5], s33, v35
	v_addc_co_u32_e64 v3, s[4:5], v3, v38, s[4:5]
	global_load_dwordx2 v[24:25], v[2:3], off
.LBB89_10:                              ;   in Loop: Header=BB89_4 Depth=1
	s_or_b64 exec, exec, s[6:7]
	v_mov_b32_e32 v3, s47
	v_add_co_u32_e64 v2, s[4:5], s46, v23
	v_addc_co_u32_e64 v3, s[4:5], v31, v3, s[4:5]
	v_cmp_gt_u64_e64 s[36:37], s[44:45], v[2:3]
	v_mov_b32_e32 v28, 0
	v_mov_b32_e32 v29, 0
	s_and_saveexec_b64 s[6:7], s[36:37]
	s_cbranch_execnz .LBB89_15
; %bb.11:                               ;   in Loop: Header=BB89_4 Depth=1
	s_or_b64 exec, exec, s[6:7]
	s_and_saveexec_b64 s[48:49], vcc
	s_cbranch_execnz .LBB89_16
.LBB89_12:                              ;   in Loop: Header=BB89_4 Depth=1
	s_or_b64 exec, exec, s[48:49]
	s_and_saveexec_b64 s[48:49], s[28:29]
	s_cbranch_execnz .LBB89_17
.LBB89_13:                              ;   in Loop: Header=BB89_4 Depth=1
	s_or_b64 exec, exec, s[48:49]
	s_and_saveexec_b64 s[28:29], s[34:35]
	s_cbranch_execnz .LBB89_18
.LBB89_14:                              ;   in Loop: Header=BB89_4 Depth=1
	s_or_b64 exec, exec, s[28:29]
	s_and_saveexec_b64 s[28:29], s[36:37]
	s_cbranch_execz .LBB89_3
	s_branch .LBB89_19
.LBB89_15:                              ;   in Loop: Header=BB89_4 Depth=1
	v_mov_b32_e32 v3, s50
	v_add_co_u32_e64 v2, s[4:5], s33, v32
	v_addc_co_u32_e64 v3, s[4:5], v3, v33, s[4:5]
	global_load_dwordx2 v[28:29], v[2:3], off
	s_or_b64 exec, exec, s[6:7]
	s_and_saveexec_b64 s[48:49], vcc
	s_cbranch_execz .LBB89_12
.LBB89_16:                              ;   in Loop: Header=BB89_4 Depth=1
	s_getpc_b64 s[4:5]
	s_add_u32 s4, s4, _ZN6thrust23THRUST_200600_302600_NS6detail7complex6ccoshfERKNS0_7complexIfEE@rel32@lo+4
	s_addc_u32 s5, s5, _ZN6thrust23THRUST_200600_302600_NS6detail7complex6ccoshfERKNS0_7complexIfEE@rel32@hi+12
	s_swappc_b64 s[30:31], s[4:5]
	v_mov_b32_e32 v3, s50
	v_add_co_u32_e32 v2, vcc, s33, v30
	v_addc_co_u32_e32 v3, vcc, 0, v3, vcc
	global_store_dwordx2 v[2:3], v[0:1], off
	s_or_b64 exec, exec, s[48:49]
	s_and_saveexec_b64 s[48:49], s[28:29]
	s_cbranch_execz .LBB89_13
.LBB89_17:                              ;   in Loop: Header=BB89_4 Depth=1
	s_waitcnt vmcnt(0)
	v_mov_b32_e32 v0, v26
	v_mov_b32_e32 v1, v27
	s_getpc_b64 s[4:5]
	s_add_u32 s4, s4, _ZN6thrust23THRUST_200600_302600_NS6detail7complex6ccoshfERKNS0_7complexIfEE@rel32@lo+4
	s_addc_u32 s5, s5, _ZN6thrust23THRUST_200600_302600_NS6detail7complex6ccoshfERKNS0_7complexIfEE@rel32@hi+12
	s_swappc_b64 s[30:31], s[4:5]
	v_mov_b32_e32 v3, s50
	v_add_co_u32_e32 v2, vcc, s33, v34
	v_addc_co_u32_e32 v3, vcc, 0, v3, vcc
	global_store_dwordx2 v[2:3], v[0:1], off
	s_or_b64 exec, exec, s[48:49]
	s_and_saveexec_b64 s[28:29], s[34:35]
	s_cbranch_execz .LBB89_14
.LBB89_18:                              ;   in Loop: Header=BB89_4 Depth=1
	s_waitcnt vmcnt(0)
	v_mov_b32_e32 v0, v24
	v_mov_b32_e32 v1, v25
	s_getpc_b64 s[4:5]
	s_add_u32 s4, s4, _ZN6thrust23THRUST_200600_302600_NS6detail7complex6ccoshfERKNS0_7complexIfEE@rel32@lo+4
	s_addc_u32 s5, s5, _ZN6thrust23THRUST_200600_302600_NS6detail7complex6ccoshfERKNS0_7complexIfEE@rel32@hi+12
	s_swappc_b64 s[30:31], s[4:5]
	v_mov_b32_e32 v3, s50
	v_add_co_u32_e32 v2, vcc, s33, v35
	v_addc_co_u32_e32 v3, vcc, v3, v38, vcc
	global_store_dwordx2 v[2:3], v[0:1], off
	s_or_b64 exec, exec, s[28:29]
	s_and_saveexec_b64 s[28:29], s[36:37]
	s_cbranch_execz .LBB89_3
.LBB89_19:                              ;   in Loop: Header=BB89_4 Depth=1
	s_waitcnt vmcnt(0)
	v_mov_b32_e32 v0, v28
	v_mov_b32_e32 v1, v29
	s_getpc_b64 s[4:5]
	s_add_u32 s4, s4, _ZN6thrust23THRUST_200600_302600_NS6detail7complex6ccoshfERKNS0_7complexIfEE@rel32@lo+4
	s_addc_u32 s5, s5, _ZN6thrust23THRUST_200600_302600_NS6detail7complex6ccoshfERKNS0_7complexIfEE@rel32@hi+12
	s_swappc_b64 s[30:31], s[4:5]
	v_mov_b32_e32 v3, s50
	v_add_co_u32_e32 v2, vcc, s33, v32
	v_addc_co_u32_e32 v3, vcc, v3, v33, vcc
	global_store_dwordx2 v[2:3], v[0:1], off
	s_branch .LBB89_3
.LBB89_20:
	s_cbranch_execz .LBB89_22
	s_branch .LBB89_25
.LBB89_21:
.LBB89_22:
	v_mov_b32_e32 v31, 0
	v_lshlrev_b32_e32 v30, 2, v22
	s_mov_b32 s4, 0
	v_cmp_gt_i64_e32 vcc, s[38:39], v[30:31]
	s_and_saveexec_b64 s[6:7], vcc
	s_cbranch_execz .LBB89_25
; %bb.23:
	s_load_dword s5, s[26:27], 0xd3c
	v_lshlrev_b32_e32 v0, 5, v22
	s_mov_b64 s[26:27], 0
	s_mov_b64 s[28:29], 0xffff
	v_mov_b32_e32 v34, s4
	s_waitcnt lgkmcnt(0)
	s_and_b32 s5, s5, 0xffff
	s_lshl_b32 s33, s5, 2
	s_add_u32 s6, s40, s42
	s_addc_u32 s7, s41, s43
	v_mov_b32_e32 v1, s7
	v_add_co_u32_e32 v32, vcc, s6, v0
	v_add_lshl_u32 v30, v22, s5, 2
	v_addc_co_u32_e32 v33, vcc, 0, v1, vcc
	s_lshl_b32 s34, s5, 5
	v_mov_b32_e32 v35, s4
.LBB89_24:                              ; =>This Inner Loop Header: Depth=1
	global_load_dwordx4 v[22:25], v[32:33], off
	global_load_dwordx4 v[26:29], v[32:33], off offset:16
	s_getpc_b64 s[36:37]
	s_add_u32 s36, s36, _ZN6thrust23THRUST_200600_302600_NS6detail7complex6ccoshfERKNS0_7complexIfEE@rel32@lo+4
	s_addc_u32 s37, s37, _ZN6thrust23THRUST_200600_302600_NS6detail7complex6ccoshfERKNS0_7complexIfEE@rel32@hi+12
	s_waitcnt vmcnt(1)
	v_mov_b32_e32 v0, v22
	v_mov_b32_e32 v1, v23
	s_swappc_b64 s[30:31], s[36:37]
	v_mov_b32_e32 v22, v0
	v_mov_b32_e32 v23, v1
	v_mov_b32_e32 v0, v24
	v_mov_b32_e32 v1, v25
	s_swappc_b64 s[30:31], s[36:37]
	v_mov_b32_e32 v24, v0
	v_mov_b32_e32 v25, v1
	;; [unrolled: 5-line block ×3, first 2 shown]
	v_mov_b32_e32 v0, v28
	v_mov_b32_e32 v1, v29
	s_swappc_b64 s[30:31], s[36:37]
	v_cmp_le_i64_e32 vcc, s[38:39], v[30:31]
	v_cmp_lt_u64_e64 s[4:5], s[28:29], v[30:31]
	v_mov_b32_e32 v28, v0
	v_mov_b32_e32 v29, v1
	s_or_b64 s[4:5], vcc, s[4:5]
	global_store_dwordx4 v[32:33], v[22:25], off
	v_add_co_u32_e64 v30, s[6:7], s33, v30
	global_store_dwordx4 v[32:33], v[26:29], off offset:16
	v_add_co_u32_e32 v32, vcc, s34, v32
	s_and_b64 s[4:5], exec, s[4:5]
	v_addc_co_u32_e64 v31, s[6:7], v31, v34, s[6:7]
	s_or_b64 s[26:27], s[4:5], s[26:27]
	v_addc_co_u32_e32 v33, vcc, v33, v35, vcc
	s_andn2_b64 exec, exec, s[26:27]
	s_cbranch_execnz .LBB89_24
.LBB89_25:
	s_endpgm
	.section	.rodata,"a",@progbits
	.p2align	6, 0x0
	.amdhsa_kernel _ZN2at6native12_GLOBAL__N_125multi_tensor_apply_kernelINS1_18TensorListMetadataILi1EEENS1_14UnaryOpFunctorIN3c107complexIfEELi1ELi1ELi0EEEJNS0_4CoshIS8_EEEEEvT_T0_DpT1_
		.amdhsa_group_segment_fixed_size 0
		.amdhsa_private_segment_fixed_size 0
		.amdhsa_kernarg_size 3632
		.amdhsa_user_sgpr_count 8
		.amdhsa_user_sgpr_private_segment_buffer 1
		.amdhsa_user_sgpr_dispatch_ptr 0
		.amdhsa_user_sgpr_queue_ptr 0
		.amdhsa_user_sgpr_kernarg_segment_ptr 1
		.amdhsa_user_sgpr_dispatch_id 0
		.amdhsa_user_sgpr_flat_scratch_init 1
		.amdhsa_user_sgpr_kernarg_preload_length 0
		.amdhsa_user_sgpr_kernarg_preload_offset 0
		.amdhsa_user_sgpr_private_segment_size 0
		.amdhsa_uses_dynamic_stack 0
		.amdhsa_system_sgpr_private_segment_wavefront_offset 0
		.amdhsa_system_sgpr_workgroup_id_x 1
		.amdhsa_system_sgpr_workgroup_id_y 0
		.amdhsa_system_sgpr_workgroup_id_z 0
		.amdhsa_system_sgpr_workgroup_info 0
		.amdhsa_system_vgpr_workitem_id 0
		.amdhsa_next_free_vgpr 43
		.amdhsa_next_free_sgpr 53
		.amdhsa_accum_offset 44
		.amdhsa_reserve_vcc 1
		.amdhsa_reserve_flat_scratch 1
		.amdhsa_float_round_mode_32 0
		.amdhsa_float_round_mode_16_64 0
		.amdhsa_float_denorm_mode_32 3
		.amdhsa_float_denorm_mode_16_64 3
		.amdhsa_dx10_clamp 1
		.amdhsa_ieee_mode 1
		.amdhsa_fp16_overflow 0
		.amdhsa_tg_split 0
		.amdhsa_exception_fp_ieee_invalid_op 0
		.amdhsa_exception_fp_denorm_src 0
		.amdhsa_exception_fp_ieee_div_zero 0
		.amdhsa_exception_fp_ieee_overflow 0
		.amdhsa_exception_fp_ieee_underflow 0
		.amdhsa_exception_fp_ieee_inexact 0
		.amdhsa_exception_int_div_zero 0
	.end_amdhsa_kernel
	.section	.text._ZN2at6native12_GLOBAL__N_125multi_tensor_apply_kernelINS1_18TensorListMetadataILi1EEENS1_14UnaryOpFunctorIN3c107complexIfEELi1ELi1ELi0EEEJNS0_4CoshIS8_EEEEEvT_T0_DpT1_,"axG",@progbits,_ZN2at6native12_GLOBAL__N_125multi_tensor_apply_kernelINS1_18TensorListMetadataILi1EEENS1_14UnaryOpFunctorIN3c107complexIfEELi1ELi1ELi0EEEJNS0_4CoshIS8_EEEEEvT_T0_DpT1_,comdat
.Lfunc_end89:
	.size	_ZN2at6native12_GLOBAL__N_125multi_tensor_apply_kernelINS1_18TensorListMetadataILi1EEENS1_14UnaryOpFunctorIN3c107complexIfEELi1ELi1ELi0EEEJNS0_4CoshIS8_EEEEEvT_T0_DpT1_, .Lfunc_end89-_ZN2at6native12_GLOBAL__N_125multi_tensor_apply_kernelINS1_18TensorListMetadataILi1EEENS1_14UnaryOpFunctorIN3c107complexIfEELi1ELi1ELi0EEEJNS0_4CoshIS8_EEEEEvT_T0_DpT1_
                                        ; -- End function
	.section	.AMDGPU.csdata,"",@progbits
; Kernel info:
; codeLenInByte = 1304
; NumSgprs: 59
; NumVgprs: 43
; NumAgprs: 0
; TotalNumVgprs: 43
; ScratchSize: 0
; MemoryBound: 0
; FloatMode: 240
; IeeeMode: 1
; LDSByteSize: 0 bytes/workgroup (compile time only)
; SGPRBlocks: 7
; VGPRBlocks: 5
; NumSGPRsForWavesPerEU: 59
; NumVGPRsForWavesPerEU: 43
; AccumOffset: 44
; Occupancy: 8
; WaveLimiterHint : 0
; COMPUTE_PGM_RSRC2:SCRATCH_EN: 0
; COMPUTE_PGM_RSRC2:USER_SGPR: 8
; COMPUTE_PGM_RSRC2:TRAP_HANDLER: 0
; COMPUTE_PGM_RSRC2:TGID_X_EN: 1
; COMPUTE_PGM_RSRC2:TGID_Y_EN: 0
; COMPUTE_PGM_RSRC2:TGID_Z_EN: 0
; COMPUTE_PGM_RSRC2:TIDIG_COMP_CNT: 0
; COMPUTE_PGM_RSRC3_GFX90A:ACCUM_OFFSET: 10
; COMPUTE_PGM_RSRC3_GFX90A:TG_SPLIT: 0
	.section	.text._ZN2at6native12_GLOBAL__N_125multi_tensor_apply_kernelINS1_18TensorListMetadataILi1EEENS1_14UnaryOpFunctorIN3c104HalfELi1ELi1ELi0EEEJNS0_4CoshIfEEEEEvT_T0_DpT1_,"axG",@progbits,_ZN2at6native12_GLOBAL__N_125multi_tensor_apply_kernelINS1_18TensorListMetadataILi1EEENS1_14UnaryOpFunctorIN3c104HalfELi1ELi1ELi0EEEJNS0_4CoshIfEEEEEvT_T0_DpT1_,comdat
	.globl	_ZN2at6native12_GLOBAL__N_125multi_tensor_apply_kernelINS1_18TensorListMetadataILi1EEENS1_14UnaryOpFunctorIN3c104HalfELi1ELi1ELi0EEEJNS0_4CoshIfEEEEEvT_T0_DpT1_ ; -- Begin function _ZN2at6native12_GLOBAL__N_125multi_tensor_apply_kernelINS1_18TensorListMetadataILi1EEENS1_14UnaryOpFunctorIN3c104HalfELi1ELi1ELi0EEEJNS0_4CoshIfEEEEEvT_T0_DpT1_
	.p2align	8
	.type	_ZN2at6native12_GLOBAL__N_125multi_tensor_apply_kernelINS1_18TensorListMetadataILi1EEENS1_14UnaryOpFunctorIN3c104HalfELi1ELi1ELi0EEEJNS0_4CoshIfEEEEEvT_T0_DpT1_,@function
_ZN2at6native12_GLOBAL__N_125multi_tensor_apply_kernelINS1_18TensorListMetadataILi1EEENS1_14UnaryOpFunctorIN3c104HalfELi1ELi1ELi0EEEJNS0_4CoshIfEEEEEvT_T0_DpT1_: ; @_ZN2at6native12_GLOBAL__N_125multi_tensor_apply_kernelINS1_18TensorListMetadataILi1EEENS1_14UnaryOpFunctorIN3c104HalfELi1ELi1ELi0EEEJNS0_4CoshIfEEEEEvT_T0_DpT1_
; %bb.0:
	v_mov_b32_e32 v1, s6
	global_load_ubyte v1, v1, s[4:5] offset:1760
	s_add_u32 s0, s4, s6
	s_mul_hi_u32 s1, s6, 3
	s_mul_i32 s6, s6, 3
	s_addc_u32 s2, s5, 0
	s_add_u32 s0, s0, s6
	s_addc_u32 s1, s2, s1
	s_load_dword s0, s[0:1], 0x820
	s_mov_b32 s7, 0
	s_waitcnt vmcnt(0)
	v_readfirstlane_b32 s2, v1
	s_lshl_b32 s1, s2, 3
	s_load_dwordx2 s[2:3], s[4:5], s1 offset:0x370
	s_load_dwordx2 s[12:13], s[4:5], s1 offset:0x0
	s_waitcnt lgkmcnt(0)
	s_ashr_i32 s1, s0, 31
	s_lshl_b64 s[14:15], s[0:1], 17
	s_lshl_b64 s[0:1], s[0:1], 16
	s_and_b32 s6, s12, 7
	s_sub_u32 s10, s2, s0
	s_subb_u32 s11, s3, s1
	s_and_b32 s0, s2, 3
	s_mov_b32 s1, s7
	s_or_b64 s[0:1], s[6:7], s[0:1]
	s_cmp_eq_u64 s[0:1], 0
	s_cbranch_scc1 .LBB90_21
; %bb.1:
	v_cmp_lt_i64_e64 s[0:1], s[10:11], 1
	s_and_b64 vcc, exec, s[0:1]
	s_cbranch_vccnz .LBB90_20
; %bb.2:
	s_load_dword s0, s[4:5], 0xd3c
	v_mov_b32_e32 v2, 0x10000
	v_mov_b32_e32 v3, 0
	v_cmp_lt_u64_e32 vcc, s[10:11], v[2:3]
	v_lshlrev_b32_e32 v1, 1, v0
	s_waitcnt lgkmcnt(0)
	s_and_b32 s2, s0, 0xffff
	s_and_b64 s[0:1], vcc, exec
	s_cselect_b32 s17, s11, 0
	s_cselect_b32 s16, s10, 0x10000
	s_lshl_b32 s3, s2, 1
	s_lshl_b32 s24, s2, 2
	s_add_u32 s6, s12, s14
	s_addc_u32 s7, s13, s15
	v_mov_b32_e32 v3, s7
	v_add_co_u32_e32 v2, vcc, s6, v1
	s_mul_i32 s0, s2, 3
	v_addc_co_u32_e32 v3, vcc, 0, v3, vcc
	v_add_co_u32_e32 v1, vcc, s0, v0
	v_addc_co_u32_e64 v12, s[0:1], 0, 0, vcc
	v_add_co_u32_e32 v13, vcc, s3, v0
	v_addc_co_u32_e64 v14, s[0:1], 0, 0, vcc
	v_add_co_u32_e32 v15, vcc, s2, v0
	v_lshlrev_b32_e32 v4, 1, v15
	s_mov_b32 s20, 0
	v_addc_co_u32_e64 v16, s[0:1], 0, 0, vcc
	v_mov_b32_e32 v5, s7
	v_add_co_u32_e32 v4, vcc, s6, v4
	s_lshl_b32 s25, s2, 3
	s_mov_b32 s26, s20
	s_mul_i32 s27, s2, 6
	s_mov_b32 s28, s20
	v_addc_co_u32_e32 v5, vcc, 0, v5, vcc
	s_mov_b64 s[18:19], 0
	v_mov_b32_e32 v7, 0x3f317218
	v_mov_b32_e32 v17, 0x3d2aadcc
	;; [unrolled: 1-line block ×4, first 2 shown]
	s_mov_b32 s21, -1.0
	s_mov_b32 s29, 0x42b2d4fc
	v_mov_b32_e32 v9, -1.0
	v_mov_b32_e32 v11, 1.0
	v_mov_b32_e32 v20, 0x7f800000
	s_branch .LBB90_4
.LBB90_3:                               ;   in Loop: Header=BB90_4 Depth=1
	s_or_b64 exec, exec, s[0:1]
	s_add_u32 s18, s18, s24
	s_addc_u32 s19, s19, 0
	s_waitcnt vmcnt(0)
	v_pk_mov_b32 v[22:23], s[10:11], s[10:11] op_sel:[0,1]
	v_cmp_lt_i64_e32 vcc, s[18:19], v[22:23]
	v_mov_b32_e32 v22, 0x10000
	v_mov_b32_e32 v23, 0
	v_cmp_lt_u64_e64 s[0:1], s[18:19], v[22:23]
	s_and_b64 s[0:1], vcc, s[0:1]
	v_mov_b32_e32 v6, s26
	v_add_co_u32_e32 v2, vcc, s25, v2
	v_addc_co_u32_e32 v3, vcc, v3, v6, vcc
	v_add_co_u32_e32 v4, vcc, s25, v4
	v_addc_co_u32_e32 v5, vcc, v5, v6, vcc
	s_and_b64 vcc, exec, s[0:1]
	s_cbranch_vccz .LBB90_20
.LBB90_4:                               ; =>This Inner Loop Header: Depth=1
	v_mov_b32_e32 v6, s19
	v_add_co_u32_e32 v22, vcc, s18, v0
	v_addc_co_u32_e32 v23, vcc, 0, v6, vcc
	v_cmp_gt_u64_e64 s[6:7], s[16:17], v[22:23]
	v_mov_b32_e32 v6, 0
	s_and_saveexec_b64 s[0:1], s[6:7]
	s_cbranch_execz .LBB90_6
; %bb.5:                                ;   in Loop: Header=BB90_4 Depth=1
	global_load_ushort v6, v[2:3], off
.LBB90_6:                               ;   in Loop: Header=BB90_4 Depth=1
	s_or_b64 exec, exec, s[0:1]
	v_mov_b32_e32 v8, s19
	v_add_co_u32_e32 v22, vcc, s18, v15
	v_addc_co_u32_e32 v23, vcc, v16, v8, vcc
	v_cmp_gt_u64_e64 s[2:3], s[16:17], v[22:23]
	v_mov_b32_e32 v23, 0
	s_and_saveexec_b64 s[0:1], s[2:3]
	s_cbranch_execz .LBB90_8
; %bb.7:                                ;   in Loop: Header=BB90_4 Depth=1
	global_load_ushort v23, v[4:5], off
.LBB90_8:                               ;   in Loop: Header=BB90_4 Depth=1
	s_or_b64 exec, exec, s[0:1]
	v_mov_b32_e32 v8, s19
	v_add_co_u32_e32 v24, vcc, s18, v13
	v_addc_co_u32_e32 v25, vcc, v14, v8, vcc
	v_cmp_gt_u64_e64 s[0:1], s[16:17], v[24:25]
	v_mov_b32_e32 v21, 0
	v_mov_b32_e32 v22, 0
	s_and_saveexec_b64 s[8:9], s[0:1]
	s_cbranch_execz .LBB90_10
; %bb.9:                                ;   in Loop: Header=BB90_4 Depth=1
	v_mov_b32_e32 v8, s20
	v_add_co_u32_e32 v24, vcc, s24, v2
	v_addc_co_u32_e32 v25, vcc, v3, v8, vcc
	global_load_ushort v22, v[24:25], off
.LBB90_10:                              ;   in Loop: Header=BB90_4 Depth=1
	s_or_b64 exec, exec, s[8:9]
	v_mov_b32_e32 v8, s19
	v_add_co_u32_e32 v24, vcc, s18, v1
	v_addc_co_u32_e32 v25, vcc, v12, v8, vcc
	v_cmp_gt_u64_e32 vcc, s[16:17], v[24:25]
	s_and_saveexec_b64 s[22:23], vcc
	s_cbranch_execnz .LBB90_15
; %bb.11:                               ;   in Loop: Header=BB90_4 Depth=1
	s_or_b64 exec, exec, s[22:23]
	s_and_saveexec_b64 s[8:9], s[6:7]
	s_cbranch_execnz .LBB90_16
.LBB90_12:                              ;   in Loop: Header=BB90_4 Depth=1
	s_or_b64 exec, exec, s[8:9]
	s_and_saveexec_b64 s[6:7], s[2:3]
	s_cbranch_execnz .LBB90_17
.LBB90_13:                              ;   in Loop: Header=BB90_4 Depth=1
	s_or_b64 exec, exec, s[6:7]
	s_and_saveexec_b64 s[2:3], s[0:1]
	s_cbranch_execnz .LBB90_18
.LBB90_14:                              ;   in Loop: Header=BB90_4 Depth=1
	s_or_b64 exec, exec, s[2:3]
	s_and_saveexec_b64 s[0:1], vcc
	s_cbranch_execz .LBB90_3
	s_branch .LBB90_19
.LBB90_15:                              ;   in Loop: Header=BB90_4 Depth=1
	v_mov_b32_e32 v8, s28
	v_add_co_u32_e64 v24, s[8:9], s27, v2
	v_addc_co_u32_e64 v25, s[8:9], v3, v8, s[8:9]
	global_load_ushort v21, v[24:25], off
	s_or_b64 exec, exec, s[22:23]
	s_and_saveexec_b64 s[8:9], s[6:7]
	s_cbranch_execz .LBB90_12
.LBB90_16:                              ;   in Loop: Header=BB90_4 Depth=1
	s_waitcnt vmcnt(0)
	v_cvt_f32_f16_e64 v6, |v6|
	v_add_f32_e32 v8, 0xbf317218, v6
	v_sub_f32_e32 v25, v8, v6
	v_sub_f32_e32 v24, v25, v8
	v_pk_add_f32 v[24:25], v[24:25], v[6:7]
	v_sub_f32_e32 v10, v24, v25
	v_add_f32_e32 v10, 0x3102e308, v10
	v_add_f32_e32 v24, v8, v10
	v_sub_f32_e32 v8, v8, v24
	v_mul_f32_e32 v25, 0x3fb8aa3b, v24
	v_add_f32_e32 v8, v10, v8
	v_rndne_f32_e32 v10, v25
	v_fmac_f32_e32 v24, 0xbf317200, v10
	v_mul_f32_e32 v27, 0x35bfbc00, v10
	v_add_f32_e32 v28, v8, v24
	v_sub_f32_e32 v24, v24, v28
	v_sub_f32_e32 v26, v28, v27
	v_add_f32_e32 v8, v8, v24
	v_sub_f32_e32 v24, v28, v26
	v_sub_f32_e32 v24, v24, v27
	v_add_f32_e32 v8, v8, v24
	v_add_f32_e32 v27, v26, v8
	v_mul_f32_e32 v25, 0x2ea39ef3, v10
	v_mov_b32_e32 v24, v27
	v_pk_add_f32 v[28:29], v[26:27], v[24:25] neg_lo:[0,1] neg_hi:[0,1]
	v_sub_f32_e32 v24, v27, v29
	v_sub_f32_e32 v24, v24, v25
	v_add_f32_e32 v8, v8, v28
	v_add_f32_e32 v8, v8, v24
	;; [unrolled: 1-line block ×3, first 2 shown]
	v_mov_b32_e32 v25, 0x3c091de6
	v_sub_f32_e32 v27, v29, v24
	v_fmac_f32_e32 v25, 0x3ab42872, v24
	v_mul_f32_e32 v26, v24, v24
	v_add_f32_e32 v27, v8, v27
	v_fma_f32 v25, v24, v25, v17
	v_add_f32_e32 v8, v27, v27
	v_fma_f32 v28, v24, v24, -v26
	v_fma_f32 v25, v24, v25, v18
	v_fmac_f32_e32 v28, v24, v8
	v_fma_f32 v25, v24, v25, v19
	v_add_f32_e32 v8, v26, v28
	v_mul_f32_e32 v29, v25, v8
	v_sub_f32_e32 v26, v8, v26
	v_sub_f32_e32 v26, v28, v26
	v_fma_f32 v28, v8, v25, -v29
	v_fmac_f32_e32 v28, v26, v25
	v_add_f32_e32 v25, v29, v28
	v_add_f32_e32 v8, v24, v25
	v_sub_f32_e32 v26, v25, v29
	v_sub_f32_e32 v26, v28, v26
	;; [unrolled: 1-line block ×3, first 2 shown]
	v_add_f32_e32 v26, v27, v26
	v_sub_f32_e32 v24, v25, v24
	v_add_f32_e32 v24, v26, v24
	v_add_f32_e32 v26, v8, v24
	v_add_f32_e32 v27, 1.0, v26
	v_pk_add_f32 v[28:29], v[26:27], v[8:9] neg_lo:[0,1] neg_hi:[0,1]
	v_pk_add_f32 v[30:31], v[26:27], s[20:21]
	v_mov_b32_e32 v29, v31
	v_mov_b32_e32 v25, v26
	v_cvt_i32_f32_e32 v8, v10
	v_pk_add_f32 v[24:25], v[24:25], v[28:29] neg_lo:[0,1] neg_hi:[0,1]
	v_add_f32_e32 v10, v24, v25
	v_add_f32_e32 v25, v27, v10
	v_ldexp_f32 v32, v25, v8
	v_rcp_f32_e32 v33, v32
	v_sub_f32_e32 v25, v25, v27
	v_sub_f32_e32 v10, v10, v25
	v_ldexp_f32 v8, v10, v8
	v_mul_f32_e32 v24, v32, v33
	v_fma_f32 v26, v33, v32, -v24
	v_fmac_f32_e32 v26, v33, v8
	v_add_f32_e32 v10, v24, v26
	v_sub_f32_e32 v25, 1.0, v10
	v_pk_add_f32 v[28:29], v[10:11], v[24:25] neg_lo:[0,1] neg_hi:[0,1]
	v_mov_b32_e32 v27, v10
	v_pk_add_f32 v[26:27], v[28:29], v[26:27] neg_lo:[0,1] neg_hi:[0,1]
	v_add_f32_e32 v10, v26, v27
	v_add_f32_e32 v27, v25, v10
	v_mul_f32_e32 v26, v33, v27
	v_add_f32_e32 v34, v33, v26
	v_sub_f32_e32 v24, v34, v33
	v_mul_f32_e32 v28, v32, v26
	v_sub_f32_e32 v35, v26, v24
	v_fma_f32 v24, v26, v32, -v28
	v_fmac_f32_e32 v24, v26, v8
	v_add_f32_e32 v26, v28, v24
	v_sub_f32_e32 v29, v27, v26
	v_sub_f32_e32 v25, v25, v27
	v_add_f32_e32 v10, v10, v25
	v_pk_add_f32 v[30:31], v[26:27], v[28:29] neg_lo:[0,1] neg_hi:[0,1]
	v_mov_b32_e32 v25, v26
	v_pk_add_f32 v[24:25], v[30:31], v[24:25] neg_lo:[0,1] neg_hi:[0,1]
	v_add_f32_e32 v10, v10, v25
	v_add_f32_e32 v10, v24, v10
	;; [unrolled: 1-line block ×3, first 2 shown]
	v_mul_f32_e32 v10, v33, v10
	v_add_f32_e32 v10, v35, v10
	v_add_f32_e32 v24, v34, v10
	v_ldexp_f32 v25, v24, -2
	v_sub_f32_e32 v24, v24, v34
	v_sub_f32_e32 v10, v10, v24
	v_add_f32_e32 v26, v32, v25
	v_ldexp_f32 v10, v10, -2
	v_add_f32_e32 v8, v8, v10
	v_sub_f32_e32 v10, v26, v32
	v_sub_f32_e32 v10, v25, v10
	v_add_f32_e32 v8, v8, v10
	v_add_f32_e32 v8, v26, v8
	v_cmp_nlt_f32_e64 s[6:7], s29, v6
	v_cndmask_b32_e64 v6, v20, v8, s[6:7]
	v_cvt_f16_f32_e32 v6, v6
	global_store_short v[2:3], v6, off
	s_or_b64 exec, exec, s[8:9]
	s_and_saveexec_b64 s[6:7], s[2:3]
	s_cbranch_execz .LBB90_13
.LBB90_17:                              ;   in Loop: Header=BB90_4 Depth=1
	s_waitcnt vmcnt(0)
	v_cvt_f32_f16_e64 v6, |v23|
	v_add_f32_e32 v8, 0xbf317218, v6
	v_sub_f32_e32 v10, v8, v6
	v_sub_f32_e32 v23, v10, v8
	v_add_f32_e32 v10, 0x3f317218, v10
	v_add_f32_e32 v23, v23, v6
	v_sub_f32_e32 v10, v23, v10
	v_add_f32_e32 v10, 0x3102e308, v10
	v_add_f32_e32 v23, v8, v10
	v_sub_f32_e32 v8, v8, v23
	v_mul_f32_e32 v24, 0x3fb8aa3b, v23
	v_add_f32_e32 v8, v10, v8
	v_rndne_f32_e32 v10, v24
	v_fmac_f32_e32 v23, 0xbf317200, v10
	v_add_f32_e32 v24, v8, v23
	v_sub_f32_e32 v23, v23, v24
	v_add_f32_e32 v8, v8, v23
	v_mul_f32_e32 v23, 0x35bfbc00, v10
	v_sub_f32_e32 v25, v24, v23
	v_sub_f32_e32 v24, v24, v25
	;; [unrolled: 1-line block ×3, first 2 shown]
	v_add_f32_e32 v8, v8, v23
	v_add_f32_e32 v23, v25, v8
	v_sub_f32_e32 v24, v25, v23
	v_add_f32_e32 v8, v8, v24
	v_mul_f32_e32 v24, 0x2ea39ef3, v10
	v_sub_f32_e32 v25, v23, v24
	v_sub_f32_e32 v23, v23, v25
	;; [unrolled: 1-line block ×3, first 2 shown]
	v_add_f32_e32 v8, v8, v23
	v_add_f32_e32 v23, v25, v8
	v_sub_f32_e32 v25, v25, v23
	v_mov_b32_e32 v24, 0x3c091de6
	v_add_f32_e32 v8, v8, v25
	v_mul_f32_e32 v26, v23, v23
	v_fmac_f32_e32 v24, 0x3ab42872, v23
	v_add_f32_e32 v25, v8, v8
	v_fma_f32 v27, v23, v23, -v26
	v_fma_f32 v24, v23, v24, v17
	v_fmac_f32_e32 v27, v23, v25
	v_fma_f32 v24, v23, v24, v18
	v_add_f32_e32 v25, v26, v27
	v_fma_f32 v24, v23, v24, v19
	v_sub_f32_e32 v26, v25, v26
	v_sub_f32_e32 v26, v27, v26
	v_mul_f32_e32 v27, v24, v25
	v_fma_f32 v25, v25, v24, -v27
	v_fmac_f32_e32 v25, v26, v24
	v_add_f32_e32 v24, v27, v25
	v_sub_f32_e32 v26, v24, v27
	v_sub_f32_e32 v25, v25, v26
	v_add_f32_e32 v26, v23, v24
	v_sub_f32_e32 v23, v26, v23
	v_sub_f32_e32 v23, v24, v23
	v_add_f32_e32 v8, v8, v25
	v_add_f32_e32 v8, v8, v23
	;; [unrolled: 1-line block ×3, first 2 shown]
	v_sub_f32_e32 v24, v23, v26
	v_sub_f32_e32 v8, v8, v24
	v_add_f32_e32 v24, 1.0, v23
	v_add_f32_e32 v25, -1.0, v24
	v_cvt_i32_f32_e32 v10, v10
	v_sub_f32_e32 v23, v23, v25
	v_add_f32_e32 v8, v8, v23
	v_add_f32_e32 v23, v24, v8
	v_ldexp_f32 v25, v23, v10
	v_rcp_f32_e32 v26, v25
	v_sub_f32_e32 v23, v23, v24
	v_sub_f32_e32 v8, v8, v23
	v_ldexp_f32 v8, v8, v10
	v_mul_f32_e32 v10, v25, v26
	v_fma_f32 v23, v26, v25, -v10
	v_fmac_f32_e32 v23, v26, v8
	v_add_f32_e32 v24, v10, v23
	v_sub_f32_e32 v27, 1.0, v24
	v_sub_f32_e32 v28, 1.0, v27
	v_sub_f32_e32 v10, v24, v10
	v_sub_f32_e32 v28, v28, v24
	;; [unrolled: 1-line block ×3, first 2 shown]
	v_add_f32_e32 v10, v10, v28
	v_add_f32_e32 v23, v27, v10
	v_mul_f32_e32 v24, v26, v23
	v_mul_f32_e32 v28, v25, v24
	v_fma_f32 v29, v24, v25, -v28
	v_fmac_f32_e32 v29, v24, v8
	v_sub_f32_e32 v27, v27, v23
	v_add_f32_e32 v10, v10, v27
	v_add_f32_e32 v27, v28, v29
	v_sub_f32_e32 v30, v23, v27
	v_sub_f32_e32 v23, v23, v30
	;; [unrolled: 1-line block ×4, first 2 shown]
	v_add_f32_e32 v10, v10, v23
	v_sub_f32_e32 v23, v28, v29
	v_add_f32_e32 v10, v23, v10
	v_add_f32_e32 v10, v30, v10
	;; [unrolled: 1-line block ×3, first 2 shown]
	v_mul_f32_e32 v10, v26, v10
	v_sub_f32_e32 v26, v23, v26
	v_sub_f32_e32 v24, v24, v26
	v_add_f32_e32 v10, v24, v10
	v_add_f32_e32 v24, v23, v10
	v_sub_f32_e32 v23, v24, v23
	v_sub_f32_e32 v10, v10, v23
	v_ldexp_f32 v23, v24, -2
	v_add_f32_e32 v24, v25, v23
	v_ldexp_f32 v10, v10, -2
	v_sub_f32_e32 v25, v24, v25
	v_sub_f32_e32 v23, v23, v25
	v_add_f32_e32 v8, v8, v10
	v_add_f32_e32 v8, v8, v23
	;; [unrolled: 1-line block ×3, first 2 shown]
	v_cmp_nlt_f32_e64 s[2:3], s29, v6
	v_cndmask_b32_e64 v6, v20, v8, s[2:3]
	v_cvt_f16_f32_e32 v6, v6
	global_store_short v[4:5], v6, off
	s_or_b64 exec, exec, s[6:7]
	s_and_saveexec_b64 s[2:3], s[0:1]
	s_cbranch_execz .LBB90_14
.LBB90_18:                              ;   in Loop: Header=BB90_4 Depth=1
	s_waitcnt vmcnt(0)
	v_cvt_f32_f16_e64 v6, |v22|
	v_add_f32_e32 v8, 0xbf317218, v6
	v_sub_f32_e32 v10, v8, v6
	v_sub_f32_e32 v22, v10, v8
	v_add_f32_e32 v10, 0x3f317218, v10
	v_add_f32_e32 v22, v22, v6
	v_sub_f32_e32 v10, v22, v10
	v_add_f32_e32 v10, 0x3102e308, v10
	v_add_f32_e32 v22, v8, v10
	v_sub_f32_e32 v8, v8, v22
	v_mul_f32_e32 v23, 0x3fb8aa3b, v22
	v_add_f32_e32 v8, v10, v8
	v_rndne_f32_e32 v10, v23
	v_fmac_f32_e32 v22, 0xbf317200, v10
	v_add_f32_e32 v23, v8, v22
	v_sub_f32_e32 v22, v22, v23
	v_add_f32_e32 v8, v8, v22
	v_mul_f32_e32 v22, 0x35bfbc00, v10
	v_sub_f32_e32 v24, v23, v22
	v_sub_f32_e32 v23, v23, v24
	;; [unrolled: 1-line block ×3, first 2 shown]
	v_add_f32_e32 v8, v8, v22
	v_add_f32_e32 v22, v24, v8
	v_sub_f32_e32 v23, v24, v22
	v_add_f32_e32 v8, v8, v23
	v_mul_f32_e32 v23, 0x2ea39ef3, v10
	v_sub_f32_e32 v24, v22, v23
	v_sub_f32_e32 v22, v22, v24
	;; [unrolled: 1-line block ×3, first 2 shown]
	v_add_f32_e32 v8, v8, v22
	v_add_f32_e32 v22, v24, v8
	v_sub_f32_e32 v24, v24, v22
	v_mov_b32_e32 v23, 0x3c091de6
	v_add_f32_e32 v8, v8, v24
	v_mul_f32_e32 v25, v22, v22
	v_fmac_f32_e32 v23, 0x3ab42872, v22
	v_add_f32_e32 v24, v8, v8
	v_fma_f32 v26, v22, v22, -v25
	v_fma_f32 v23, v22, v23, v17
	v_fmac_f32_e32 v26, v22, v24
	v_fma_f32 v23, v22, v23, v18
	v_add_f32_e32 v24, v25, v26
	v_fma_f32 v23, v22, v23, v19
	v_sub_f32_e32 v25, v24, v25
	v_sub_f32_e32 v25, v26, v25
	v_mul_f32_e32 v26, v23, v24
	v_fma_f32 v24, v24, v23, -v26
	v_fmac_f32_e32 v24, v25, v23
	v_add_f32_e32 v23, v26, v24
	v_sub_f32_e32 v25, v23, v26
	v_sub_f32_e32 v24, v24, v25
	v_add_f32_e32 v25, v22, v23
	v_sub_f32_e32 v22, v25, v22
	v_sub_f32_e32 v22, v23, v22
	v_add_f32_e32 v8, v8, v24
	v_add_f32_e32 v8, v8, v22
	;; [unrolled: 1-line block ×3, first 2 shown]
	v_sub_f32_e32 v23, v22, v25
	v_sub_f32_e32 v8, v8, v23
	v_add_f32_e32 v23, 1.0, v22
	v_add_f32_e32 v24, -1.0, v23
	v_cvt_i32_f32_e32 v10, v10
	v_sub_f32_e32 v22, v22, v24
	v_add_f32_e32 v8, v8, v22
	v_add_f32_e32 v22, v23, v8
	v_ldexp_f32 v24, v22, v10
	v_rcp_f32_e32 v25, v24
	v_sub_f32_e32 v22, v22, v23
	v_sub_f32_e32 v8, v8, v22
	v_ldexp_f32 v8, v8, v10
	v_mul_f32_e32 v10, v24, v25
	v_fma_f32 v22, v25, v24, -v10
	v_fmac_f32_e32 v22, v25, v8
	v_add_f32_e32 v23, v10, v22
	v_sub_f32_e32 v26, 1.0, v23
	v_sub_f32_e32 v27, 1.0, v26
	v_sub_f32_e32 v10, v23, v10
	v_sub_f32_e32 v27, v27, v23
	;; [unrolled: 1-line block ×3, first 2 shown]
	v_add_f32_e32 v10, v10, v27
	v_add_f32_e32 v22, v26, v10
	v_mul_f32_e32 v23, v25, v22
	v_mul_f32_e32 v27, v24, v23
	v_fma_f32 v28, v23, v24, -v27
	v_fmac_f32_e32 v28, v23, v8
	v_sub_f32_e32 v26, v26, v22
	v_add_f32_e32 v10, v10, v26
	v_add_f32_e32 v26, v27, v28
	v_sub_f32_e32 v29, v22, v26
	v_sub_f32_e32 v22, v22, v29
	;; [unrolled: 1-line block ×4, first 2 shown]
	v_add_f32_e32 v10, v10, v22
	v_sub_f32_e32 v22, v27, v28
	v_add_f32_e32 v10, v22, v10
	v_add_f32_e32 v10, v29, v10
	;; [unrolled: 1-line block ×3, first 2 shown]
	v_mul_f32_e32 v10, v25, v10
	v_sub_f32_e32 v25, v22, v25
	v_sub_f32_e32 v23, v23, v25
	v_add_f32_e32 v10, v23, v10
	v_add_f32_e32 v23, v22, v10
	v_sub_f32_e32 v22, v23, v22
	v_sub_f32_e32 v10, v10, v22
	v_ldexp_f32 v22, v23, -2
	v_add_f32_e32 v23, v24, v22
	v_ldexp_f32 v10, v10, -2
	v_sub_f32_e32 v24, v23, v24
	v_sub_f32_e32 v22, v22, v24
	v_add_f32_e32 v8, v8, v10
	v_add_f32_e32 v8, v8, v22
	;; [unrolled: 1-line block ×3, first 2 shown]
	v_cmp_nlt_f32_e64 s[0:1], s29, v6
	v_cndmask_b32_e64 v6, v20, v8, s[0:1]
	v_cvt_f16_f32_e32 v6, v6
	v_mov_b32_e32 v8, s20
	v_add_co_u32_e64 v22, s[0:1], s24, v2
	v_addc_co_u32_e64 v23, s[0:1], v3, v8, s[0:1]
	global_store_short v[22:23], v6, off
	s_or_b64 exec, exec, s[2:3]
	s_and_saveexec_b64 s[0:1], vcc
	s_cbranch_execz .LBB90_3
.LBB90_19:                              ;   in Loop: Header=BB90_4 Depth=1
	s_waitcnt vmcnt(0)
	v_cvt_f32_f16_e64 v6, |v21|
	v_add_f32_e32 v8, 0xbf317218, v6
	v_sub_f32_e32 v10, v8, v6
	v_sub_f32_e32 v21, v10, v8
	v_add_f32_e32 v10, 0x3f317218, v10
	v_add_f32_e32 v21, v21, v6
	v_sub_f32_e32 v10, v21, v10
	v_add_f32_e32 v10, 0x3102e308, v10
	v_add_f32_e32 v21, v8, v10
	v_sub_f32_e32 v8, v8, v21
	v_mul_f32_e32 v22, 0x3fb8aa3b, v21
	v_add_f32_e32 v8, v10, v8
	v_rndne_f32_e32 v10, v22
	v_fmac_f32_e32 v21, 0xbf317200, v10
	v_add_f32_e32 v22, v8, v21
	v_sub_f32_e32 v21, v21, v22
	v_add_f32_e32 v8, v8, v21
	v_mul_f32_e32 v21, 0x35bfbc00, v10
	v_sub_f32_e32 v23, v22, v21
	v_sub_f32_e32 v22, v22, v23
	v_sub_f32_e32 v21, v22, v21
	v_add_f32_e32 v8, v8, v21
	v_add_f32_e32 v21, v23, v8
	v_sub_f32_e32 v22, v23, v21
	v_add_f32_e32 v8, v8, v22
	v_mul_f32_e32 v22, 0x2ea39ef3, v10
	v_sub_f32_e32 v23, v21, v22
	v_sub_f32_e32 v21, v21, v23
	;; [unrolled: 1-line block ×3, first 2 shown]
	v_add_f32_e32 v8, v8, v21
	v_add_f32_e32 v21, v23, v8
	v_sub_f32_e32 v23, v23, v21
	v_mov_b32_e32 v22, 0x3c091de6
	v_add_f32_e32 v8, v8, v23
	v_mul_f32_e32 v24, v21, v21
	v_fmac_f32_e32 v22, 0x3ab42872, v21
	v_add_f32_e32 v23, v8, v8
	v_fma_f32 v25, v21, v21, -v24
	v_fma_f32 v22, v21, v22, v17
	v_fmac_f32_e32 v25, v21, v23
	v_fma_f32 v22, v21, v22, v18
	v_add_f32_e32 v23, v24, v25
	v_fma_f32 v22, v21, v22, v19
	v_sub_f32_e32 v24, v23, v24
	v_sub_f32_e32 v24, v25, v24
	v_mul_f32_e32 v25, v22, v23
	v_fma_f32 v23, v23, v22, -v25
	v_fmac_f32_e32 v23, v24, v22
	v_add_f32_e32 v22, v25, v23
	v_sub_f32_e32 v24, v22, v25
	v_sub_f32_e32 v23, v23, v24
	v_add_f32_e32 v24, v21, v22
	v_sub_f32_e32 v21, v24, v21
	v_sub_f32_e32 v21, v22, v21
	v_add_f32_e32 v8, v8, v23
	v_add_f32_e32 v8, v8, v21
	;; [unrolled: 1-line block ×3, first 2 shown]
	v_sub_f32_e32 v22, v21, v24
	v_sub_f32_e32 v8, v8, v22
	v_add_f32_e32 v22, 1.0, v21
	v_add_f32_e32 v23, -1.0, v22
	v_cvt_i32_f32_e32 v10, v10
	v_sub_f32_e32 v21, v21, v23
	v_add_f32_e32 v8, v8, v21
	v_add_f32_e32 v21, v22, v8
	v_ldexp_f32 v23, v21, v10
	v_rcp_f32_e32 v24, v23
	v_sub_f32_e32 v21, v21, v22
	v_sub_f32_e32 v8, v8, v21
	v_ldexp_f32 v8, v8, v10
	v_mul_f32_e32 v10, v23, v24
	v_fma_f32 v21, v24, v23, -v10
	v_fmac_f32_e32 v21, v24, v8
	v_add_f32_e32 v22, v10, v21
	v_sub_f32_e32 v25, 1.0, v22
	v_sub_f32_e32 v26, 1.0, v25
	v_sub_f32_e32 v10, v22, v10
	v_sub_f32_e32 v26, v26, v22
	;; [unrolled: 1-line block ×3, first 2 shown]
	v_add_f32_e32 v10, v10, v26
	v_add_f32_e32 v21, v25, v10
	v_mul_f32_e32 v22, v24, v21
	v_mul_f32_e32 v26, v23, v22
	v_fma_f32 v27, v22, v23, -v26
	v_fmac_f32_e32 v27, v22, v8
	v_sub_f32_e32 v25, v25, v21
	v_add_f32_e32 v10, v10, v25
	v_add_f32_e32 v25, v26, v27
	v_sub_f32_e32 v28, v21, v25
	v_sub_f32_e32 v21, v21, v28
	;; [unrolled: 1-line block ×4, first 2 shown]
	v_add_f32_e32 v10, v10, v21
	v_sub_f32_e32 v21, v26, v27
	v_add_f32_e32 v10, v21, v10
	v_add_f32_e32 v10, v28, v10
	;; [unrolled: 1-line block ×3, first 2 shown]
	v_mul_f32_e32 v10, v24, v10
	v_sub_f32_e32 v24, v21, v24
	v_sub_f32_e32 v22, v22, v24
	v_add_f32_e32 v10, v22, v10
	v_add_f32_e32 v22, v21, v10
	v_sub_f32_e32 v21, v22, v21
	v_sub_f32_e32 v10, v10, v21
	v_ldexp_f32 v21, v22, -2
	v_add_f32_e32 v22, v23, v21
	v_ldexp_f32 v10, v10, -2
	v_sub_f32_e32 v23, v22, v23
	v_sub_f32_e32 v21, v21, v23
	v_add_f32_e32 v8, v8, v10
	v_add_f32_e32 v8, v8, v21
	;; [unrolled: 1-line block ×3, first 2 shown]
	v_cmp_nlt_f32_e32 vcc, s29, v6
	v_cndmask_b32_e32 v6, v20, v8, vcc
	v_cvt_f16_f32_e32 v6, v6
	v_mov_b32_e32 v8, s28
	v_add_co_u32_e32 v22, vcc, s27, v2
	v_addc_co_u32_e32 v23, vcc, v3, v8, vcc
	global_store_short v[22:23], v6, off
	s_branch .LBB90_3
.LBB90_20:
	s_cbranch_execz .LBB90_22
	s_branch .LBB90_25
.LBB90_21:
.LBB90_22:
	v_mov_b32_e32 v3, 0
	v_lshlrev_b32_e32 v2, 2, v0
	s_mov_b32 s0, 0
	v_cmp_gt_i64_e32 vcc, s[10:11], v[2:3]
	s_and_saveexec_b64 s[2:3], vcc
	s_cbranch_execz .LBB90_25
; %bb.23:
	s_load_dword s1, s[4:5], 0xd3c
	v_lshlrev_b32_e32 v1, 3, v0
	v_mov_b32_e32 v22, 0x3d2aadcc
	v_mov_b32_e32 v23, 0x3e2aaa47
	;; [unrolled: 1-line block ×3, first 2 shown]
	s_waitcnt lgkmcnt(0)
	s_and_b32 s1, s1, 0xffff
	s_add_u32 s2, s12, s14
	s_addc_u32 s3, s13, s15
	v_mov_b32_e32 v2, s3
	v_add_co_u32_e32 v4, vcc, s2, v1
	v_addc_co_u32_e32 v5, vcc, 0, v2, vcc
	s_lshl_b32 s4, s1, 3
	v_add_lshl_u32 v2, v0, s1, 2
	s_lshl_b32 s8, s1, 2
	s_mov_b64 s[2:3], 0
	s_mov_b32 s5, -1.0
	s_mov_b32 s9, 0x42b2d4fc
	v_mov_b32_e32 v25, 0x7f800000
	s_mov_b64 s[6:7], 0xffff
	v_mov_b32_e32 v26, s0
	v_mov_b32_e32 v27, s0
	;; [unrolled: 1-line block ×3, first 2 shown]
	v_mov_b32_e32 v7, -1.0
	v_mov_b32_e32 v9, 1.0
.LBB90_24:                              ; =>This Inner Loop Header: Depth=1
	global_load_dwordx2 v[12:13], v[4:5], off
	v_mov_b32_e32 v11, v1
	v_mov_b32_e32 v6, 0x3c091de6
	;; [unrolled: 1-line block ×3, first 2 shown]
	v_cmp_lt_u64_e64 s[0:1], s[6:7], v[2:3]
	s_waitcnt vmcnt(0)
	v_cvt_f32_f16_e64 v0, |v12|
	v_cvt_f32_f16_sdwa v10, |v12| dst_sel:DWORD dst_unused:UNUSED_PAD src0_sel:WORD_1
	v_cvt_f32_f16_sdwa v12, |v13| dst_sel:DWORD dst_unused:UNUSED_PAD src0_sel:WORD_1
	v_cvt_f32_f16_e64 v14, |v13|
	v_add_f32_e32 v13, 0xbf317218, v0
	v_add_f32_e32 v15, 0xbf317218, v10
	v_sub_f32_e32 v17, v13, v0
	v_sub_f32_e32 v19, v15, v10
	;; [unrolled: 1-line block ×4, first 2 shown]
	v_pk_add_f32 v[16:17], v[16:17], v[0:1]
	v_pk_add_f32 v[18:19], v[18:19], v[10:11]
	v_sub_f32_e32 v11, v16, v17
	v_sub_f32_e32 v16, v18, v19
	v_add_f32_e32 v11, 0x3102e308, v11
	v_add_f32_e32 v16, 0x3102e308, v16
	;; [unrolled: 1-line block ×4, first 2 shown]
	v_sub_f32_e32 v13, v13, v18
	v_mul_f32_e32 v17, 0x3fb8aa3b, v18
	v_mul_f32_e32 v19, 0x3fb8aa3b, v21
	v_add_f32_e32 v11, v11, v13
	v_rndne_f32_e32 v13, v17
	v_sub_f32_e32 v15, v15, v21
	v_rndne_f32_e32 v38, v19
	v_fmac_f32_e32 v18, 0xbf317200, v13
	v_add_f32_e32 v15, v16, v15
	v_mul_f32_e32 v16, 0x35bfbc00, v13
	v_fmac_f32_e32 v21, 0xbf317200, v38
	v_add_f32_e32 v30, v11, v18
	v_mul_f32_e32 v29, 0x35bfbc00, v38
	v_add_f32_e32 v31, v15, v21
	v_sub_f32_e32 v18, v18, v30
	v_sub_f32_e32 v20, v30, v16
	;; [unrolled: 1-line block ×4, first 2 shown]
	v_add_f32_e32 v11, v11, v18
	v_sub_f32_e32 v18, v30, v20
	v_add_f32_e32 v15, v15, v21
	v_sub_f32_e32 v21, v31, v28
	v_sub_f32_e32 v16, v18, v16
	;; [unrolled: 1-line block ×3, first 2 shown]
	v_add_f32_e32 v11, v11, v16
	v_add_f32_e32 v15, v15, v18
	v_add_f32_e32 v21, v20, v11
	v_mul_f32_e32 v17, 0x2ea39ef3, v13
	v_add_f32_e32 v29, v28, v15
	v_mov_b32_e32 v16, v21
	v_mul_f32_e32 v19, 0x2ea39ef3, v38
	v_mov_b32_e32 v18, v29
	v_pk_add_f32 v[30:31], v[20:21], v[16:17] neg_lo:[0,1] neg_hi:[0,1]
	v_pk_add_f32 v[32:33], v[28:29], v[18:19] neg_lo:[0,1] neg_hi:[0,1]
	v_sub_f32_e32 v16, v21, v31
	v_add_f32_e32 v11, v11, v30
	v_sub_f32_e32 v18, v29, v33
	v_sub_f32_e32 v16, v16, v17
	v_add_f32_e32 v15, v15, v32
	v_sub_f32_e32 v17, v18, v19
	v_add_f32_e32 v11, v11, v16
	v_add_f32_e32 v15, v15, v17
	v_add_f32_e32 v16, v31, v11
	v_add_f32_e32 v32, v33, v15
	v_sub_f32_e32 v17, v31, v16
	v_fmac_f32_e32 v6, 0x3ab42872, v16
	v_mul_f32_e32 v18, v16, v16
	v_sub_f32_e32 v19, v33, v32
	v_add_f32_e32 v11, v11, v17
	v_fmac_f32_e32 v8, 0x3ab42872, v32
	v_mul_f32_e32 v20, v32, v32
	v_fma_f32 v6, v16, v6, v22
	v_fma_f32 v17, v16, v16, -v18
	v_add_f32_e32 v15, v15, v19
	v_add_f32_e32 v21, v11, v11
	v_fma_f32 v8, v32, v8, v22
	v_fma_f32 v19, v32, v32, -v20
	v_fma_f32 v6, v16, v6, v23
	v_add_f32_e32 v28, v15, v15
	v_fmac_f32_e32 v17, v16, v21
	v_fma_f32 v8, v32, v8, v23
	v_fma_f32 v6, v16, v6, v24
	v_fmac_f32_e32 v19, v32, v28
	v_add_f32_e32 v21, v18, v17
	v_fma_f32 v8, v32, v8, v24
	v_add_f32_e32 v28, v20, v19
	v_sub_f32_e32 v18, v21, v18
	v_mul_f32_e32 v29, v6, v21
	v_sub_f32_e32 v20, v28, v20
	v_mul_f32_e32 v30, v8, v28
	v_sub_f32_e32 v17, v17, v18
	v_fma_f32 v18, v21, v6, -v29
	v_sub_f32_e32 v19, v19, v20
	v_fma_f32 v33, v28, v8, -v30
	v_fmac_f32_e32 v18, v17, v6
	v_fmac_f32_e32 v33, v19, v8
	v_add_f32_e32 v8, v29, v18
	v_sub_f32_e32 v17, v8, v29
	v_add_f32_e32 v6, v16, v8
	v_sub_f32_e32 v17, v18, v17
	v_sub_f32_e32 v16, v6, v16
	;; [unrolled: 1-line block ×3, first 2 shown]
	v_add_f32_e32 v11, v11, v17
	v_add_f32_e32 v16, v11, v8
	;; [unrolled: 1-line block ×3, first 2 shown]
	v_add_f32_e32 v19, 1.0, v18
	v_pk_add_f32 v[20:21], v[18:19], v[6:7] neg_lo:[0,1] neg_hi:[0,1]
	v_pk_add_f32 v[28:29], v[18:19], s[4:5]
	v_cvt_i32_f32_e32 v13, v13
	v_mov_b32_e32 v17, v18
	v_mov_b32_e32 v21, v29
	v_pk_add_f32 v[16:17], v[16:17], v[20:21] neg_lo:[0,1] neg_hi:[0,1]
	v_add_f32_e32 v6, v16, v17
	v_add_f32_e32 v8, v19, v6
	v_ldexp_f32 v18, v8, v13
	v_rcp_f32_e32 v11, v18
	v_sub_f32_e32 v8, v8, v19
	v_sub_f32_e32 v6, v6, v8
	v_ldexp_f32 v20, v6, v13
	v_mul_f32_e32 v16, v18, v11
	v_fma_f32 v28, v11, v18, -v16
	v_fmac_f32_e32 v28, v11, v20
	v_add_f32_e32 v8, v16, v28
	v_add_f32_e32 v34, v30, v33
	v_sub_f32_e32 v17, 1.0, v8
	v_sub_f32_e32 v35, v34, v30
	v_mov_b32_e32 v29, v8
	v_pk_add_f32 v[30:31], v[8:9], v[16:17] neg_lo:[0,1] neg_hi:[0,1]
	v_pk_add_f32 v[28:29], v[30:31], v[28:29] neg_lo:[0,1] neg_hi:[0,1]
	v_add_f32_e32 v6, v28, v29
	v_add_f32_e32 v29, v17, v6
	v_mul_f32_e32 v8, v11, v29
	v_mul_f32_e32 v16, v18, v8
	v_sub_f32_e32 v13, v17, v29
	v_fma_f32 v30, v8, v18, -v16
	v_add_f32_e32 v6, v6, v13
	v_add_f32_e32 v13, v11, v8
	v_fmac_f32_e32 v30, v8, v20
	v_sub_f32_e32 v17, v13, v11
	v_add_f32_e32 v28, v16, v30
	v_sub_f32_e32 v8, v8, v17
	v_sub_f32_e32 v17, v29, v28
	v_mov_b32_e32 v31, v28
	v_pk_add_f32 v[28:29], v[28:29], v[16:17] neg_lo:[0,1] neg_hi:[0,1]
	v_pk_add_f32 v[28:29], v[28:29], v[30:31] neg_lo:[0,1] neg_hi:[0,1]
	v_add_f32_e32 v6, v6, v29
	v_add_f32_e32 v6, v28, v6
	;; [unrolled: 1-line block ×3, first 2 shown]
	v_mul_f32_e32 v6, v11, v6
	v_add_f32_e32 v6, v8, v6
	v_add_f32_e32 v8, v13, v6
	v_sub_f32_e32 v11, v8, v13
	v_sub_f32_e32 v6, v6, v11
	v_ldexp_f32 v30, v6, -2
	v_add_f32_e32 v6, v32, v34
	v_ldexp_f32 v28, v8, -2
	v_sub_f32_e32 v8, v33, v35
	v_sub_f32_e32 v11, v6, v32
	;; [unrolled: 1-line block ×3, first 2 shown]
	v_add_f32_e32 v8, v15, v8
	v_add_f32_e32 v16, v8, v11
	;; [unrolled: 1-line block ×3, first 2 shown]
	v_add_f32_e32 v33, 1.0, v32
	v_pk_add_f32 v[34:35], v[32:33], v[6:7] neg_lo:[0,1] neg_hi:[0,1]
	v_pk_add_f32 v[36:37], v[32:33], s[4:5]
	v_mov_b32_e32 v35, v37
	v_mov_b32_e32 v17, v32
	v_cvt_i32_f32_e32 v6, v38
	v_pk_add_f32 v[16:17], v[16:17], v[34:35] neg_lo:[0,1] neg_hi:[0,1]
	v_add_f32_e32 v8, v16, v17
	v_add_f32_e32 v11, v33, v8
	v_ldexp_f32 v19, v11, v6
	v_rcp_f32_e32 v13, v19
	v_sub_f32_e32 v11, v11, v33
	v_sub_f32_e32 v8, v8, v11
	v_ldexp_f32 v21, v8, v6
	v_mul_f32_e32 v16, v19, v13
	v_fma_f32 v32, v13, v19, -v16
	v_fmac_f32_e32 v32, v13, v21
	v_add_f32_e32 v8, v16, v32
	v_sub_f32_e32 v17, 1.0, v8
	v_pk_add_f32 v[34:35], v[8:9], v[16:17] neg_lo:[0,1] neg_hi:[0,1]
	v_mov_b32_e32 v33, v8
	v_pk_add_f32 v[32:33], v[34:35], v[32:33] neg_lo:[0,1] neg_hi:[0,1]
	v_add_f32_e32 v6, v32, v33
	v_add_f32_e32 v33, v17, v6
	v_mul_f32_e32 v8, v13, v33
	v_mul_f32_e32 v16, v19, v8
	v_fma_f32 v34, v8, v19, -v16
	v_fmac_f32_e32 v34, v8, v21
	v_add_f32_e32 v32, v16, v34
	v_sub_f32_e32 v11, v17, v33
	v_sub_f32_e32 v17, v33, v32
	v_pk_add_f32 v[36:37], v[32:33], v[16:17] neg_lo:[0,1] neg_hi:[0,1]
	v_mov_b32_e32 v35, v32
	v_add_f32_e32 v6, v6, v11
	v_pk_add_f32 v[32:33], v[36:37], v[34:35] neg_lo:[0,1] neg_hi:[0,1]
	v_add_f32_e32 v6, v6, v33
	v_add_f32_e32 v6, v32, v6
	;; [unrolled: 1-line block ×4, first 2 shown]
	v_mul_f32_e32 v6, v13, v6
	v_sub_f32_e32 v13, v11, v13
	v_sub_f32_e32 v8, v8, v13
	v_add_f32_e32 v6, v8, v6
	v_add_f32_e32 v8, v11, v6
	v_sub_f32_e32 v11, v8, v11
	v_ldexp_f32 v29, v8, -2
	v_sub_f32_e32 v6, v6, v11
	v_pk_add_f32 v[16:17], v[18:19], v[28:29]
	v_ldexp_f32 v31, v6, -2
	v_pk_add_f32 v[18:19], v[16:17], v[18:19] neg_lo:[0,1] neg_hi:[0,1]
	v_add_f32_e32 v6, 0xbf317218, v14
	v_pk_add_f32 v[18:19], v[28:29], v[18:19] neg_lo:[0,1] neg_hi:[0,1]
	v_sub_f32_e32 v29, v6, v14
	v_sub_f32_e32 v28, v29, v6
	v_mov_b32_e32 v15, v1
	v_pk_add_f32 v[28:29], v[28:29], v[14:15]
	v_sub_f32_e32 v8, v28, v29
	v_add_f32_e32 v8, 0x3102e308, v8
	v_add_f32_e32 v11, v6, v8
	v_sub_f32_e32 v6, v6, v11
	v_add_f32_e32 v6, v8, v6
	v_mul_f32_e32 v8, 0x3fb8aa3b, v11
	v_rndne_f32_e32 v8, v8
	v_fmac_f32_e32 v11, 0xbf317200, v8
	v_add_f32_e32 v13, v6, v11
	v_sub_f32_e32 v11, v11, v13
	v_add_f32_e32 v6, v6, v11
	v_mul_f32_e32 v11, 0x35bfbc00, v8
	v_pk_add_f32 v[20:21], v[20:21], v[30:31]
	v_sub_f32_e32 v30, v13, v11
	v_sub_f32_e32 v13, v13, v30
	;; [unrolled: 1-line block ×3, first 2 shown]
	v_add_f32_e32 v6, v6, v11
	v_add_f32_e32 v31, v30, v6
	v_mul_f32_e32 v29, 0x2ea39ef3, v8
	v_mov_b32_e32 v28, v31
	v_pk_add_f32 v[32:33], v[30:31], v[28:29] neg_lo:[0,1] neg_hi:[0,1]
	v_sub_f32_e32 v11, v31, v33
	v_sub_f32_e32 v11, v11, v29
	v_add_f32_e32 v6, v6, v32
	v_add_f32_e32 v6, v6, v11
	;; [unrolled: 1-line block ×3, first 2 shown]
	v_sub_f32_e32 v15, v33, v11
	v_mov_b32_e32 v13, 0x3c091de6
	v_add_f32_e32 v15, v6, v15
	v_mul_f32_e32 v28, v11, v11
	v_fmac_f32_e32 v13, 0x3ab42872, v11
	v_add_f32_e32 v6, v15, v15
	v_fma_f32 v29, v11, v11, -v28
	v_fma_f32 v13, v11, v13, v22
	v_fmac_f32_e32 v29, v11, v6
	v_fma_f32 v13, v11, v13, v23
	v_add_f32_e32 v6, v28, v29
	v_fma_f32 v13, v11, v13, v24
	v_sub_f32_e32 v28, v6, v28
	v_sub_f32_e32 v28, v29, v28
	v_mul_f32_e32 v29, v13, v6
	v_fma_f32 v6, v6, v13, -v29
	v_fmac_f32_e32 v6, v28, v13
	v_add_f32_e32 v13, v29, v6
	v_sub_f32_e32 v28, v13, v29
	v_sub_f32_e32 v28, v6, v28
	v_add_f32_e32 v6, v11, v13
	v_sub_f32_e32 v11, v6, v11
	v_sub_f32_e32 v11, v13, v11
	v_add_f32_e32 v13, v15, v28
	v_add_f32_e32 v28, v13, v11
	;; [unrolled: 1-line block ×3, first 2 shown]
	v_add_f32_e32 v31, 1.0, v30
	v_pk_add_f32 v[32:33], v[30:31], v[6:7] neg_lo:[0,1] neg_hi:[0,1]
	v_pk_add_f32 v[34:35], v[30:31], s[4:5]
	v_mov_b32_e32 v33, v35
	v_mov_b32_e32 v29, v30
	v_cvt_i32_f32_e32 v6, v8
	v_pk_add_f32 v[28:29], v[28:29], v[32:33] neg_lo:[0,1] neg_hi:[0,1]
	v_add_f32_e32 v8, v28, v29
	v_add_f32_e32 v11, v31, v8
	v_ldexp_f32 v13, v11, v6
	v_rcp_f32_e32 v15, v13
	v_sub_f32_e32 v11, v11, v31
	v_sub_f32_e32 v8, v8, v11
	v_ldexp_f32 v6, v8, v6
	v_mul_f32_e32 v28, v13, v15
	v_fma_f32 v30, v15, v13, -v28
	v_fmac_f32_e32 v30, v15, v6
	v_add_f32_e32 v8, v28, v30
	v_sub_f32_e32 v29, 1.0, v8
	v_pk_add_f32 v[32:33], v[8:9], v[28:29] neg_lo:[0,1] neg_hi:[0,1]
	v_mov_b32_e32 v31, v8
	v_pk_add_f32 v[30:31], v[32:33], v[30:31] neg_lo:[0,1] neg_hi:[0,1]
	v_add_f32_e32 v8, v30, v31
	v_add_f32_e32 v31, v29, v8
	v_mul_f32_e32 v11, v15, v31
	v_mul_f32_e32 v28, v13, v11
	v_fma_f32 v32, v11, v13, -v28
	v_fmac_f32_e32 v32, v11, v6
	v_sub_f32_e32 v29, v29, v31
	v_add_f32_e32 v30, v28, v32
	v_add_f32_e32 v8, v8, v29
	v_sub_f32_e32 v29, v31, v30
	v_pk_add_f32 v[34:35], v[30:31], v[28:29] neg_lo:[0,1] neg_hi:[0,1]
	v_mov_b32_e32 v33, v30
	v_pk_add_f32 v[30:31], v[34:35], v[32:33] neg_lo:[0,1] neg_hi:[0,1]
	v_add_f32_e32 v8, v8, v31
	v_add_f32_e32 v8, v30, v8
	;; [unrolled: 1-line block ×4, first 2 shown]
	v_mul_f32_e32 v8, v15, v8
	v_sub_f32_e32 v15, v28, v15
	v_sub_f32_e32 v11, v11, v15
	v_add_f32_e32 v8, v11, v8
	v_add_f32_e32 v11, v28, v8
	v_sub_f32_e32 v15, v11, v28
	v_sub_f32_e32 v8, v8, v15
	v_ldexp_f32 v11, v11, -2
	v_ldexp_f32 v8, v8, -2
	v_add_f32_e32 v28, v13, v11
	v_add_f32_e32 v32, v6, v8
	;; [unrolled: 1-line block ×3, first 2 shown]
	v_sub_f32_e32 v13, v28, v13
	v_sub_f32_e32 v35, v6, v12
	;; [unrolled: 1-line block ×4, first 2 shown]
	v_mov_b32_e32 v13, v1
	v_pk_add_f32 v[34:35], v[34:35], v[12:13]
	v_sub_f32_e32 v8, v34, v35
	v_add_f32_e32 v8, 0x3102e308, v8
	v_add_f32_e32 v11, v6, v8
	v_sub_f32_e32 v6, v6, v11
	v_add_f32_e32 v6, v8, v6
	v_mul_f32_e32 v8, 0x3fb8aa3b, v11
	v_rndne_f32_e32 v8, v8
	v_fmac_f32_e32 v11, 0xbf317200, v8
	v_add_f32_e32 v13, v6, v11
	v_sub_f32_e32 v11, v11, v13
	v_add_f32_e32 v6, v6, v11
	v_mul_f32_e32 v11, 0x35bfbc00, v8
	v_sub_f32_e32 v36, v13, v11
	v_sub_f32_e32 v13, v13, v36
	;; [unrolled: 1-line block ×3, first 2 shown]
	v_add_f32_e32 v6, v6, v11
	v_add_f32_e32 v37, v36, v6
	v_mul_f32_e32 v35, 0x2ea39ef3, v8
	v_mov_b32_e32 v34, v37
	v_pk_add_f32 v[38:39], v[36:37], v[34:35] neg_lo:[0,1] neg_hi:[0,1]
	v_sub_f32_e32 v11, v37, v39
	v_sub_f32_e32 v11, v11, v35
	v_add_f32_e32 v6, v6, v38
	v_add_f32_e32 v6, v6, v11
	;; [unrolled: 1-line block ×3, first 2 shown]
	v_sub_f32_e32 v15, v39, v11
	v_mov_b32_e32 v13, 0x3c091de6
	v_add_f32_e32 v15, v6, v15
	v_mul_f32_e32 v29, v11, v11
	v_fmac_f32_e32 v13, 0x3ab42872, v11
	v_add_f32_e32 v6, v15, v15
	v_fma_f32 v31, v11, v11, -v29
	v_fma_f32 v13, v11, v13, v22
	v_fmac_f32_e32 v31, v11, v6
	v_fma_f32 v13, v11, v13, v23
	v_add_f32_e32 v6, v29, v31
	v_fma_f32 v13, v11, v13, v24
	v_sub_f32_e32 v29, v6, v29
	v_sub_f32_e32 v29, v31, v29
	v_mul_f32_e32 v31, v13, v6
	v_fma_f32 v6, v6, v13, -v31
	v_fmac_f32_e32 v6, v29, v13
	v_add_f32_e32 v13, v31, v6
	v_sub_f32_e32 v29, v13, v31
	v_sub_f32_e32 v29, v6, v29
	v_add_f32_e32 v6, v11, v13
	v_sub_f32_e32 v11, v6, v11
	v_sub_f32_e32 v11, v13, v11
	v_add_f32_e32 v13, v15, v29
	v_add_f32_e32 v34, v13, v11
	;; [unrolled: 1-line block ×3, first 2 shown]
	v_add_f32_e32 v37, 1.0, v36
	v_pk_add_f32 v[38:39], v[36:37], v[6:7] neg_lo:[0,1] neg_hi:[0,1]
	v_pk_add_f32 v[40:41], v[36:37], s[4:5]
	v_mov_b32_e32 v39, v41
	v_mov_b32_e32 v35, v36
	v_cvt_i32_f32_e32 v6, v8
	v_pk_add_f32 v[34:35], v[34:35], v[38:39] neg_lo:[0,1] neg_hi:[0,1]
	v_add_f32_e32 v8, v34, v35
	v_add_f32_e32 v11, v37, v8
	v_ldexp_f32 v33, v11, v6
	v_rcp_f32_e32 v13, v33
	v_sub_f32_e32 v11, v11, v37
	v_sub_f32_e32 v8, v8, v11
	v_ldexp_f32 v6, v8, v6
	v_mul_f32_e32 v34, v33, v13
	v_fma_f32 v36, v13, v33, -v34
	v_fmac_f32_e32 v36, v13, v6
	v_add_f32_e32 v8, v34, v36
	v_sub_f32_e32 v35, 1.0, v8
	v_pk_add_f32 v[38:39], v[8:9], v[34:35] neg_lo:[0,1] neg_hi:[0,1]
	v_mov_b32_e32 v37, v8
	v_pk_add_f32 v[36:37], v[38:39], v[36:37] neg_lo:[0,1] neg_hi:[0,1]
	v_add_f32_e32 v8, v36, v37
	v_add_f32_e32 v37, v35, v8
	v_mul_f32_e32 v11, v13, v37
	v_mul_f32_e32 v34, v33, v11
	v_fma_f32 v38, v11, v33, -v34
	v_fmac_f32_e32 v38, v11, v6
	v_add_f32_e32 v36, v34, v38
	v_sub_f32_e32 v15, v35, v37
	v_sub_f32_e32 v35, v37, v36
	v_pk_add_f32 v[40:41], v[36:37], v[34:35] neg_lo:[0,1] neg_hi:[0,1]
	v_mov_b32_e32 v39, v36
	v_add_f32_e32 v8, v8, v15
	v_pk_add_f32 v[36:37], v[40:41], v[38:39] neg_lo:[0,1] neg_hi:[0,1]
	v_add_f32_e32 v8, v8, v37
	v_add_f32_e32 v8, v36, v8
	;; [unrolled: 1-line block ×4, first 2 shown]
	v_mul_f32_e32 v8, v13, v8
	v_sub_f32_e32 v13, v15, v13
	v_sub_f32_e32 v11, v11, v13
	v_add_f32_e32 v8, v11, v8
	v_add_f32_e32 v11, v15, v8
	v_sub_f32_e32 v13, v11, v15
	v_ldexp_f32 v31, v11, -2
	v_sub_f32_e32 v8, v8, v13
	v_pk_add_f32 v[18:19], v[20:21], v[18:19]
	v_pk_add_f32 v[20:21], v[32:33], v[30:31]
	v_ldexp_f32 v8, v8, -2
	v_sub_f32_e32 v11, v21, v33
	v_sub_f32_e32 v11, v31, v11
	v_add_f32_e32 v6, v6, v8
	v_add_f32_e32 v29, v6, v11
	v_pk_add_f32 v[16:17], v[18:19], v[16:17]
	v_pk_add_f32 v[18:19], v[20:21], v[28:29]
	v_cmp_nlt_f32_e32 vcc, s9, v14
	v_cndmask_b32_e32 v6, v25, v18, vcc
	v_cmp_nlt_f32_e32 vcc, s9, v12
	v_cndmask_b32_e32 v8, v25, v19, vcc
	;; [unrolled: 2-line block ×4, first 2 shown]
	v_cvt_f16_f32_e32 v10, v10
	v_cvt_f16_f32_e32 v0, v0
	v_cvt_f16_f32_e32 v8, v8
	v_cvt_f16_f32_e32 v6, v6
	v_cmp_le_i64_e32 vcc, s[10:11], v[2:3]
	v_pack_b32_f16 v10, v0, v10
	s_or_b64 s[0:1], vcc, s[0:1]
	v_pack_b32_f16 v11, v6, v8
	global_store_dwordx2 v[4:5], v[10:11], off
	v_add_co_u32_e32 v4, vcc, s4, v4
	v_addc_co_u32_e32 v5, vcc, v5, v26, vcc
	s_and_b64 s[0:1], exec, s[0:1]
	v_add_co_u32_e32 v2, vcc, s8, v2
	s_or_b64 s[2:3], s[0:1], s[2:3]
	v_addc_co_u32_e32 v3, vcc, v3, v27, vcc
	s_andn2_b64 exec, exec, s[2:3]
	s_cbranch_execnz .LBB90_24
.LBB90_25:
	s_endpgm
	.section	.rodata,"a",@progbits
	.p2align	6, 0x0
	.amdhsa_kernel _ZN2at6native12_GLOBAL__N_125multi_tensor_apply_kernelINS1_18TensorListMetadataILi1EEENS1_14UnaryOpFunctorIN3c104HalfELi1ELi1ELi0EEEJNS0_4CoshIfEEEEEvT_T0_DpT1_
		.amdhsa_group_segment_fixed_size 0
		.amdhsa_private_segment_fixed_size 0
		.amdhsa_kernarg_size 3632
		.amdhsa_user_sgpr_count 6
		.amdhsa_user_sgpr_private_segment_buffer 1
		.amdhsa_user_sgpr_dispatch_ptr 0
		.amdhsa_user_sgpr_queue_ptr 0
		.amdhsa_user_sgpr_kernarg_segment_ptr 1
		.amdhsa_user_sgpr_dispatch_id 0
		.amdhsa_user_sgpr_flat_scratch_init 0
		.amdhsa_user_sgpr_kernarg_preload_length 0
		.amdhsa_user_sgpr_kernarg_preload_offset 0
		.amdhsa_user_sgpr_private_segment_size 0
		.amdhsa_uses_dynamic_stack 0
		.amdhsa_system_sgpr_private_segment_wavefront_offset 0
		.amdhsa_system_sgpr_workgroup_id_x 1
		.amdhsa_system_sgpr_workgroup_id_y 0
		.amdhsa_system_sgpr_workgroup_id_z 0
		.amdhsa_system_sgpr_workgroup_info 0
		.amdhsa_system_vgpr_workitem_id 0
		.amdhsa_next_free_vgpr 42
		.amdhsa_next_free_sgpr 30
		.amdhsa_accum_offset 44
		.amdhsa_reserve_vcc 1
		.amdhsa_reserve_flat_scratch 0
		.amdhsa_float_round_mode_32 0
		.amdhsa_float_round_mode_16_64 0
		.amdhsa_float_denorm_mode_32 3
		.amdhsa_float_denorm_mode_16_64 3
		.amdhsa_dx10_clamp 1
		.amdhsa_ieee_mode 1
		.amdhsa_fp16_overflow 0
		.amdhsa_tg_split 0
		.amdhsa_exception_fp_ieee_invalid_op 0
		.amdhsa_exception_fp_denorm_src 0
		.amdhsa_exception_fp_ieee_div_zero 0
		.amdhsa_exception_fp_ieee_overflow 0
		.amdhsa_exception_fp_ieee_underflow 0
		.amdhsa_exception_fp_ieee_inexact 0
		.amdhsa_exception_int_div_zero 0
	.end_amdhsa_kernel
	.section	.text._ZN2at6native12_GLOBAL__N_125multi_tensor_apply_kernelINS1_18TensorListMetadataILi1EEENS1_14UnaryOpFunctorIN3c104HalfELi1ELi1ELi0EEEJNS0_4CoshIfEEEEEvT_T0_DpT1_,"axG",@progbits,_ZN2at6native12_GLOBAL__N_125multi_tensor_apply_kernelINS1_18TensorListMetadataILi1EEENS1_14UnaryOpFunctorIN3c104HalfELi1ELi1ELi0EEEJNS0_4CoshIfEEEEEvT_T0_DpT1_,comdat
.Lfunc_end90:
	.size	_ZN2at6native12_GLOBAL__N_125multi_tensor_apply_kernelINS1_18TensorListMetadataILi1EEENS1_14UnaryOpFunctorIN3c104HalfELi1ELi1ELi0EEEJNS0_4CoshIfEEEEEvT_T0_DpT1_, .Lfunc_end90-_ZN2at6native12_GLOBAL__N_125multi_tensor_apply_kernelINS1_18TensorListMetadataILi1EEENS1_14UnaryOpFunctorIN3c104HalfELi1ELi1ELi0EEEJNS0_4CoshIfEEEEEvT_T0_DpT1_
                                        ; -- End function
	.section	.AMDGPU.csdata,"",@progbits
; Kernel info:
; codeLenInByte = 5600
; NumSgprs: 34
; NumVgprs: 42
; NumAgprs: 0
; TotalNumVgprs: 42
; ScratchSize: 0
; MemoryBound: 0
; FloatMode: 240
; IeeeMode: 1
; LDSByteSize: 0 bytes/workgroup (compile time only)
; SGPRBlocks: 4
; VGPRBlocks: 5
; NumSGPRsForWavesPerEU: 34
; NumVGPRsForWavesPerEU: 42
; AccumOffset: 44
; Occupancy: 8
; WaveLimiterHint : 0
; COMPUTE_PGM_RSRC2:SCRATCH_EN: 0
; COMPUTE_PGM_RSRC2:USER_SGPR: 6
; COMPUTE_PGM_RSRC2:TRAP_HANDLER: 0
; COMPUTE_PGM_RSRC2:TGID_X_EN: 1
; COMPUTE_PGM_RSRC2:TGID_Y_EN: 0
; COMPUTE_PGM_RSRC2:TGID_Z_EN: 0
; COMPUTE_PGM_RSRC2:TIDIG_COMP_CNT: 0
; COMPUTE_PGM_RSRC3_GFX90A:ACCUM_OFFSET: 10
; COMPUTE_PGM_RSRC3_GFX90A:TG_SPLIT: 0
	.section	.text._ZN2at6native12_GLOBAL__N_125multi_tensor_apply_kernelINS1_18TensorListMetadataILi1EEENS1_14UnaryOpFunctorIN3c108BFloat16ELi1ELi1ELi0EEEJNS0_4CoshIfEEEEEvT_T0_DpT1_,"axG",@progbits,_ZN2at6native12_GLOBAL__N_125multi_tensor_apply_kernelINS1_18TensorListMetadataILi1EEENS1_14UnaryOpFunctorIN3c108BFloat16ELi1ELi1ELi0EEEJNS0_4CoshIfEEEEEvT_T0_DpT1_,comdat
	.globl	_ZN2at6native12_GLOBAL__N_125multi_tensor_apply_kernelINS1_18TensorListMetadataILi1EEENS1_14UnaryOpFunctorIN3c108BFloat16ELi1ELi1ELi0EEEJNS0_4CoshIfEEEEEvT_T0_DpT1_ ; -- Begin function _ZN2at6native12_GLOBAL__N_125multi_tensor_apply_kernelINS1_18TensorListMetadataILi1EEENS1_14UnaryOpFunctorIN3c108BFloat16ELi1ELi1ELi0EEEJNS0_4CoshIfEEEEEvT_T0_DpT1_
	.p2align	8
	.type	_ZN2at6native12_GLOBAL__N_125multi_tensor_apply_kernelINS1_18TensorListMetadataILi1EEENS1_14UnaryOpFunctorIN3c108BFloat16ELi1ELi1ELi0EEEJNS0_4CoshIfEEEEEvT_T0_DpT1_,@function
_ZN2at6native12_GLOBAL__N_125multi_tensor_apply_kernelINS1_18TensorListMetadataILi1EEENS1_14UnaryOpFunctorIN3c108BFloat16ELi1ELi1ELi0EEEJNS0_4CoshIfEEEEEvT_T0_DpT1_: ; @_ZN2at6native12_GLOBAL__N_125multi_tensor_apply_kernelINS1_18TensorListMetadataILi1EEENS1_14UnaryOpFunctorIN3c108BFloat16ELi1ELi1ELi0EEEJNS0_4CoshIfEEEEEvT_T0_DpT1_
; %bb.0:
	v_mov_b32_e32 v1, s6
	global_load_ubyte v1, v1, s[4:5] offset:1760
	s_add_u32 s0, s4, s6
	s_mul_hi_u32 s1, s6, 3
	s_mul_i32 s6, s6, 3
	s_addc_u32 s2, s5, 0
	s_add_u32 s0, s0, s6
	s_addc_u32 s1, s2, s1
	s_load_dword s0, s[0:1], 0x820
	s_mov_b32 s7, 0
	s_waitcnt vmcnt(0)
	v_readfirstlane_b32 s2, v1
	s_lshl_b32 s1, s2, 3
	s_load_dwordx2 s[2:3], s[4:5], s1 offset:0x370
	s_load_dwordx2 s[12:13], s[4:5], s1 offset:0x0
	s_waitcnt lgkmcnt(0)
	s_ashr_i32 s1, s0, 31
	s_lshl_b64 s[14:15], s[0:1], 17
	s_lshl_b64 s[0:1], s[0:1], 16
	s_and_b32 s6, s12, 7
	s_sub_u32 s10, s2, s0
	s_subb_u32 s11, s3, s1
	s_and_b32 s0, s2, 3
	s_mov_b32 s1, s7
	s_or_b64 s[0:1], s[6:7], s[0:1]
	s_cmp_eq_u64 s[0:1], 0
	s_cbranch_scc1 .LBB91_21
; %bb.1:
	v_cmp_lt_i64_e64 s[0:1], s[10:11], 1
	s_and_b64 vcc, exec, s[0:1]
	s_cbranch_vccnz .LBB91_20
; %bb.2:
	s_load_dword s0, s[4:5], 0xd3c
	v_mov_b32_e32 v2, 0x10000
	v_mov_b32_e32 v3, 0
	v_cmp_lt_u64_e32 vcc, s[10:11], v[2:3]
	v_lshlrev_b32_e32 v1, 1, v0
	s_waitcnt lgkmcnt(0)
	s_and_b32 s2, s0, 0xffff
	s_and_b64 s[0:1], vcc, exec
	s_cselect_b32 s17, s11, 0
	s_cselect_b32 s16, s10, 0x10000
	s_lshl_b32 s3, s2, 1
	s_lshl_b32 s24, s2, 2
	s_add_u32 s6, s12, s14
	s_addc_u32 s7, s13, s15
	v_mov_b32_e32 v3, s7
	v_add_co_u32_e32 v2, vcc, s6, v1
	s_mul_i32 s0, s2, 3
	v_addc_co_u32_e32 v3, vcc, 0, v3, vcc
	v_add_co_u32_e32 v1, vcc, s0, v0
	v_addc_co_u32_e64 v12, s[0:1], 0, 0, vcc
	v_add_co_u32_e32 v13, vcc, s3, v0
	v_addc_co_u32_e64 v14, s[0:1], 0, 0, vcc
	v_add_co_u32_e32 v15, vcc, s2, v0
	v_lshlrev_b32_e32 v4, 1, v15
	s_mov_b32 s20, 0
	v_addc_co_u32_e64 v16, s[0:1], 0, 0, vcc
	v_mov_b32_e32 v5, s7
	v_add_co_u32_e32 v4, vcc, s6, v4
	s_lshl_b32 s25, s2, 3
	s_mov_b32 s26, s20
	s_mul_i32 s27, s2, 6
	s_mov_b32 s28, s20
	v_addc_co_u32_e32 v5, vcc, 0, v5, vcc
	s_mov_b64 s[18:19], 0
	s_mov_b32 s29, 0xbf317218
	v_mov_b32_e32 v7, 0x3f317218
	v_mov_b32_e32 v17, 0x3d2aadcc
	;; [unrolled: 1-line block ×4, first 2 shown]
	s_mov_b32 s21, -1.0
	s_mov_b32 s30, 0x42b2d4fc
	s_movk_i32 s31, 0x7fff
	v_mov_b32_e32 v9, -1.0
	v_mov_b32_e32 v11, 1.0
	v_mov_b32_e32 v20, 0x7f800000
	v_mov_b32_e32 v21, 0x7fc0
	s_branch .LBB91_4
.LBB91_3:                               ;   in Loop: Header=BB91_4 Depth=1
	s_or_b64 exec, exec, s[0:1]
	s_add_u32 s18, s18, s24
	s_addc_u32 s19, s19, 0
	s_waitcnt vmcnt(0)
	v_pk_mov_b32 v[22:23], s[10:11], s[10:11] op_sel:[0,1]
	v_cmp_lt_i64_e32 vcc, s[18:19], v[22:23]
	v_mov_b32_e32 v22, 0x10000
	v_mov_b32_e32 v23, 0
	v_cmp_lt_u64_e64 s[0:1], s[18:19], v[22:23]
	s_and_b64 s[0:1], vcc, s[0:1]
	v_mov_b32_e32 v6, s26
	v_add_co_u32_e32 v2, vcc, s25, v2
	v_addc_co_u32_e32 v3, vcc, v3, v6, vcc
	v_add_co_u32_e32 v4, vcc, s25, v4
	v_addc_co_u32_e32 v5, vcc, v5, v6, vcc
	s_and_b64 vcc, exec, s[0:1]
	s_cbranch_vccz .LBB91_20
.LBB91_4:                               ; =>This Inner Loop Header: Depth=1
	v_mov_b32_e32 v6, s19
	v_add_co_u32_e32 v22, vcc, s18, v0
	v_addc_co_u32_e32 v23, vcc, 0, v6, vcc
	v_cmp_gt_u64_e64 s[6:7], s[16:17], v[22:23]
	v_mov_b32_e32 v6, 0
	s_and_saveexec_b64 s[0:1], s[6:7]
	s_cbranch_execz .LBB91_6
; %bb.5:                                ;   in Loop: Header=BB91_4 Depth=1
	global_load_ushort v6, v[2:3], off
.LBB91_6:                               ;   in Loop: Header=BB91_4 Depth=1
	s_or_b64 exec, exec, s[0:1]
	v_mov_b32_e32 v8, s19
	v_add_co_u32_e32 v22, vcc, s18, v15
	v_addc_co_u32_e32 v23, vcc, v16, v8, vcc
	v_cmp_gt_u64_e64 s[2:3], s[16:17], v[22:23]
	v_mov_b32_e32 v24, 0
	s_and_saveexec_b64 s[0:1], s[2:3]
	s_cbranch_execz .LBB91_8
; %bb.7:                                ;   in Loop: Header=BB91_4 Depth=1
	global_load_ushort v24, v[4:5], off
.LBB91_8:                               ;   in Loop: Header=BB91_4 Depth=1
	s_or_b64 exec, exec, s[0:1]
	v_mov_b32_e32 v8, s19
	v_add_co_u32_e32 v22, vcc, s18, v13
	v_addc_co_u32_e32 v23, vcc, v14, v8, vcc
	v_cmp_gt_u64_e64 s[0:1], s[16:17], v[22:23]
	v_mov_b32_e32 v22, 0
	v_mov_b32_e32 v23, 0
	s_and_saveexec_b64 s[8:9], s[0:1]
	s_cbranch_execz .LBB91_10
; %bb.9:                                ;   in Loop: Header=BB91_4 Depth=1
	v_mov_b32_e32 v8, s20
	v_add_co_u32_e32 v26, vcc, s24, v2
	v_addc_co_u32_e32 v27, vcc, v3, v8, vcc
	global_load_ushort v23, v[26:27], off
.LBB91_10:                              ;   in Loop: Header=BB91_4 Depth=1
	s_or_b64 exec, exec, s[8:9]
	v_mov_b32_e32 v8, s19
	v_add_co_u32_e32 v26, vcc, s18, v1
	v_addc_co_u32_e32 v27, vcc, v12, v8, vcc
	v_cmp_gt_u64_e32 vcc, s[16:17], v[26:27]
	s_and_saveexec_b64 s[22:23], vcc
	s_cbranch_execnz .LBB91_15
; %bb.11:                               ;   in Loop: Header=BB91_4 Depth=1
	s_or_b64 exec, exec, s[22:23]
	s_and_saveexec_b64 s[8:9], s[6:7]
	s_cbranch_execnz .LBB91_16
.LBB91_12:                              ;   in Loop: Header=BB91_4 Depth=1
	s_or_b64 exec, exec, s[8:9]
	s_and_saveexec_b64 s[6:7], s[2:3]
	s_cbranch_execnz .LBB91_17
.LBB91_13:                              ;   in Loop: Header=BB91_4 Depth=1
	s_or_b64 exec, exec, s[6:7]
	s_and_saveexec_b64 s[2:3], s[0:1]
	s_cbranch_execnz .LBB91_18
.LBB91_14:                              ;   in Loop: Header=BB91_4 Depth=1
	s_or_b64 exec, exec, s[2:3]
	s_and_saveexec_b64 s[0:1], vcc
	s_cbranch_execz .LBB91_3
	s_branch .LBB91_19
.LBB91_15:                              ;   in Loop: Header=BB91_4 Depth=1
	v_mov_b32_e32 v8, s28
	v_add_co_u32_e64 v26, s[8:9], s27, v2
	v_addc_co_u32_e64 v27, s[8:9], v3, v8, s[8:9]
	global_load_ushort v22, v[26:27], off
	s_or_b64 exec, exec, s[22:23]
	s_and_saveexec_b64 s[8:9], s[6:7]
	s_cbranch_execz .LBB91_12
.LBB91_16:                              ;   in Loop: Header=BB91_4 Depth=1
	s_waitcnt vmcnt(0)
	v_lshlrev_b32_e32 v25, 16, v6
	v_add_f32_e64 v8, |v25|, s29
	v_sub_f32_e64 v27, v8, |v25|
	v_and_b32_e32 v6, 0x7fffffff, v25
	v_sub_f32_e32 v26, v27, v8
	v_pk_add_f32 v[26:27], v[6:7], v[26:27]
	v_sub_f32_e32 v6, v26, v27
	v_add_f32_e32 v6, 0x3102e308, v6
	v_add_f32_e32 v10, v8, v6
	v_sub_f32_e32 v8, v8, v10
	v_add_f32_e32 v6, v6, v8
	v_mul_f32_e32 v8, 0x3fb8aa3b, v10
	v_rndne_f32_e32 v34, v8
	v_fmac_f32_e32 v10, 0xbf317200, v34
	v_add_f32_e32 v8, v6, v10
	v_mul_f32_e32 v26, 0x35bfbc00, v34
	v_sub_f32_e32 v28, v8, v26
	v_sub_f32_e32 v10, v10, v8
	;; [unrolled: 1-line block ×3, first 2 shown]
	v_add_f32_e32 v6, v6, v10
	v_sub_f32_e32 v8, v8, v26
	v_add_f32_e32 v6, v6, v8
	v_add_f32_e32 v29, v28, v6
	v_mul_f32_e32 v27, 0x2ea39ef3, v34
	v_mov_b32_e32 v26, v29
	v_pk_add_f32 v[30:31], v[28:29], v[26:27] neg_lo:[0,1] neg_hi:[0,1]
	v_sub_f32_e32 v8, v29, v31
	v_sub_f32_e32 v8, v8, v27
	v_add_f32_e32 v6, v6, v30
	v_add_f32_e32 v6, v6, v8
	;; [unrolled: 1-line block ×3, first 2 shown]
	v_mov_b32_e32 v8, 0x3c091de6
	v_sub_f32_e32 v27, v31, v10
	v_fmac_f32_e32 v8, 0x3ab42872, v10
	v_mul_f32_e32 v26, v10, v10
	v_add_f32_e32 v6, v6, v27
	v_fma_f32 v8, v10, v8, v17
	v_add_f32_e32 v27, v6, v6
	v_fma_f32 v28, v10, v10, -v26
	v_fma_f32 v8, v10, v8, v18
	v_fmac_f32_e32 v28, v10, v27
	v_fma_f32 v8, v10, v8, v19
	v_add_f32_e32 v27, v26, v28
	v_mul_f32_e32 v29, v8, v27
	v_sub_f32_e32 v26, v27, v26
	v_sub_f32_e32 v26, v28, v26
	v_fma_f32 v27, v27, v8, -v29
	v_fmac_f32_e32 v27, v26, v8
	v_add_f32_e32 v26, v29, v27
	v_add_f32_e32 v8, v10, v26
	v_sub_f32_e32 v28, v26, v29
	v_sub_f32_e32 v27, v27, v28
	;; [unrolled: 1-line block ×3, first 2 shown]
	v_add_f32_e32 v6, v6, v27
	v_sub_f32_e32 v10, v26, v10
	v_add_f32_e32 v26, v6, v10
	v_add_f32_e32 v28, v8, v26
	v_add_f32_e32 v29, 1.0, v28
	v_pk_add_f32 v[30:31], v[28:29], v[8:9] neg_lo:[0,1] neg_hi:[0,1]
	v_pk_add_f32 v[32:33], v[28:29], s[20:21]
	v_mov_b32_e32 v31, v33
	v_mov_b32_e32 v27, v28
	v_cvt_i32_f32_e32 v6, v34
	v_pk_add_f32 v[26:27], v[26:27], v[30:31] neg_lo:[0,1] neg_hi:[0,1]
	v_add_f32_e32 v8, v26, v27
	v_add_f32_e32 v10, v29, v8
	v_ldexp_f32 v34, v10, v6
	v_rcp_f32_e32 v35, v34
	v_sub_f32_e32 v10, v10, v29
	v_sub_f32_e32 v8, v8, v10
	v_ldexp_f32 v6, v8, v6
	v_mul_f32_e32 v26, v34, v35
	v_fma_f32 v28, v35, v34, -v26
	v_fmac_f32_e32 v28, v35, v6
	v_add_f32_e32 v10, v26, v28
	v_sub_f32_e32 v27, 1.0, v10
	v_pk_add_f32 v[30:31], v[10:11], v[26:27] neg_lo:[0,1] neg_hi:[0,1]
	v_mov_b32_e32 v29, v10
	v_pk_add_f32 v[28:29], v[30:31], v[28:29] neg_lo:[0,1] neg_hi:[0,1]
	v_add_f32_e32 v8, v28, v29
	v_add_f32_e32 v29, v27, v8
	v_mul_f32_e32 v10, v35, v29
	v_add_f32_e32 v36, v35, v10
	v_sub_f32_e32 v26, v36, v35
	v_mul_f32_e32 v30, v34, v10
	v_sub_f32_e32 v37, v10, v26
	v_fma_f32 v26, v10, v34, -v30
	v_fmac_f32_e32 v26, v10, v6
	v_add_f32_e32 v28, v30, v26
	v_sub_f32_e32 v31, v29, v28
	v_sub_f32_e32 v10, v27, v29
	v_pk_add_f32 v[32:33], v[28:29], v[30:31] neg_lo:[0,1] neg_hi:[0,1]
	v_mov_b32_e32 v27, v28
	v_add_f32_e32 v8, v8, v10
	v_pk_add_f32 v[26:27], v[32:33], v[26:27] neg_lo:[0,1] neg_hi:[0,1]
	v_add_f32_e32 v8, v8, v27
	v_add_f32_e32 v8, v26, v8
	;; [unrolled: 1-line block ×3, first 2 shown]
	v_mul_f32_e32 v8, v35, v8
	v_add_f32_e32 v8, v37, v8
	v_add_f32_e32 v10, v36, v8
	v_ldexp_f32 v26, v10, -2
	v_sub_f32_e32 v10, v10, v36
	v_sub_f32_e32 v8, v8, v10
	v_add_f32_e32 v27, v34, v26
	v_ldexp_f32 v8, v8, -2
	v_add_f32_e32 v6, v6, v8
	v_sub_f32_e32 v8, v27, v34
	v_sub_f32_e32 v8, v26, v8
	v_add_f32_e32 v6, v6, v8
	v_add_f32_e32 v6, v27, v6
	v_cmp_ngt_f32_e64 s[6:7], |v25|, s30
	v_cndmask_b32_e64 v6, v20, v6, s[6:7]
	v_bfe_u32 v8, v6, 16, 1
	v_add3_u32 v8, v6, v8, s31
	v_lshrrev_b32_e32 v8, 16, v8
	v_cmp_o_f32_e64 s[6:7], v6, v6
	v_cndmask_b32_e64 v6, v21, v8, s[6:7]
	global_store_short v[2:3], v6, off
	s_or_b64 exec, exec, s[8:9]
	s_and_saveexec_b64 s[6:7], s[2:3]
	s_cbranch_execz .LBB91_13
.LBB91_17:                              ;   in Loop: Header=BB91_4 Depth=1
	s_waitcnt vmcnt(0)
	v_lshlrev_b32_e32 v32, 16, v24
	v_add_f32_e64 v8, |v32|, s29
	v_sub_f32_e64 v25, v8, |v32|
	v_and_b32_e32 v6, 0x7fffffff, v32
	v_sub_f32_e32 v24, v25, v8
	v_pk_add_f32 v[24:25], v[6:7], v[24:25]
	v_sub_f32_e32 v6, v24, v25
	v_add_f32_e32 v6, 0x3102e308, v6
	v_add_f32_e32 v10, v8, v6
	v_sub_f32_e32 v8, v8, v10
	v_add_f32_e32 v6, v6, v8
	v_mul_f32_e32 v8, 0x3fb8aa3b, v10
	v_rndne_f32_e32 v33, v8
	v_fmac_f32_e32 v10, 0xbf317200, v33
	v_add_f32_e32 v8, v6, v10
	v_sub_f32_e32 v10, v10, v8
	v_add_f32_e32 v6, v6, v10
	v_mul_f32_e32 v10, 0x35bfbc00, v33
	v_sub_f32_e32 v26, v8, v10
	v_sub_f32_e32 v8, v8, v26
	;; [unrolled: 1-line block ×3, first 2 shown]
	v_add_f32_e32 v6, v6, v8
	v_add_f32_e32 v27, v26, v6
	v_mul_f32_e32 v25, 0x2ea39ef3, v33
	v_mov_b32_e32 v24, v27
	v_pk_add_f32 v[28:29], v[26:27], v[24:25] neg_lo:[0,1] neg_hi:[0,1]
	v_sub_f32_e32 v8, v27, v29
	v_sub_f32_e32 v8, v8, v25
	v_add_f32_e32 v6, v6, v28
	v_add_f32_e32 v6, v6, v8
	;; [unrolled: 1-line block ×3, first 2 shown]
	v_sub_f32_e32 v24, v29, v10
	v_mov_b32_e32 v8, 0x3c091de6
	v_add_f32_e32 v6, v6, v24
	v_mul_f32_e32 v25, v10, v10
	v_fmac_f32_e32 v8, 0x3ab42872, v10
	v_add_f32_e32 v24, v6, v6
	v_fma_f32 v26, v10, v10, -v25
	v_fma_f32 v8, v10, v8, v17
	v_fmac_f32_e32 v26, v10, v24
	v_fma_f32 v8, v10, v8, v18
	v_add_f32_e32 v24, v25, v26
	v_fma_f32 v8, v10, v8, v19
	v_sub_f32_e32 v25, v24, v25
	v_sub_f32_e32 v25, v26, v25
	v_mul_f32_e32 v26, v8, v24
	v_fma_f32 v24, v24, v8, -v26
	v_fmac_f32_e32 v24, v25, v8
	v_add_f32_e32 v25, v26, v24
	v_sub_f32_e32 v8, v25, v26
	v_sub_f32_e32 v24, v24, v8
	v_add_f32_e32 v8, v10, v25
	v_sub_f32_e32 v10, v8, v10
	v_sub_f32_e32 v10, v25, v10
	v_add_f32_e32 v6, v6, v24
	v_add_f32_e32 v24, v6, v10
	;; [unrolled: 1-line block ×3, first 2 shown]
	v_add_f32_e32 v27, 1.0, v26
	v_pk_add_f32 v[28:29], v[26:27], v[8:9] neg_lo:[0,1] neg_hi:[0,1]
	v_pk_add_f32 v[30:31], v[26:27], s[20:21]
	v_mov_b32_e32 v29, v31
	v_mov_b32_e32 v25, v26
	v_cvt_i32_f32_e32 v6, v33
	v_pk_add_f32 v[24:25], v[24:25], v[28:29] neg_lo:[0,1] neg_hi:[0,1]
	v_add_f32_e32 v8, v24, v25
	v_add_f32_e32 v10, v27, v8
	v_ldexp_f32 v33, v10, v6
	v_rcp_f32_e32 v34, v33
	v_sub_f32_e32 v10, v10, v27
	v_sub_f32_e32 v8, v8, v10
	v_ldexp_f32 v6, v8, v6
	v_mul_f32_e32 v24, v33, v34
	v_fma_f32 v26, v34, v33, -v24
	v_fmac_f32_e32 v26, v34, v6
	v_add_f32_e32 v10, v24, v26
	v_sub_f32_e32 v25, 1.0, v10
	v_pk_add_f32 v[28:29], v[10:11], v[24:25] neg_lo:[0,1] neg_hi:[0,1]
	v_mov_b32_e32 v27, v10
	v_pk_add_f32 v[26:27], v[28:29], v[26:27] neg_lo:[0,1] neg_hi:[0,1]
	v_add_f32_e32 v8, v26, v27
	v_add_f32_e32 v27, v25, v8
	v_mul_f32_e32 v10, v34, v27
	v_mul_f32_e32 v24, v33, v10
	v_fma_f32 v28, v10, v33, -v24
	v_fmac_f32_e32 v28, v10, v6
	v_sub_f32_e32 v25, v25, v27
	v_add_f32_e32 v26, v24, v28
	v_add_f32_e32 v8, v8, v25
	v_sub_f32_e32 v25, v27, v26
	v_pk_add_f32 v[30:31], v[26:27], v[24:25] neg_lo:[0,1] neg_hi:[0,1]
	v_mov_b32_e32 v29, v26
	v_pk_add_f32 v[26:27], v[30:31], v[28:29] neg_lo:[0,1] neg_hi:[0,1]
	v_add_f32_e32 v8, v8, v27
	v_add_f32_e32 v8, v26, v8
	;; [unrolled: 1-line block ×4, first 2 shown]
	v_sub_f32_e32 v25, v24, v34
	v_mul_f32_e32 v8, v34, v8
	v_sub_f32_e32 v10, v10, v25
	v_add_f32_e32 v8, v10, v8
	v_add_f32_e32 v10, v24, v8
	v_sub_f32_e32 v24, v10, v24
	v_ldexp_f32 v10, v10, -2
	v_sub_f32_e32 v8, v8, v24
	v_add_f32_e32 v24, v33, v10
	v_ldexp_f32 v8, v8, -2
	v_sub_f32_e32 v25, v24, v33
	v_sub_f32_e32 v10, v10, v25
	v_add_f32_e32 v6, v6, v8
	v_add_f32_e32 v6, v6, v10
	;; [unrolled: 1-line block ×3, first 2 shown]
	v_cmp_ngt_f32_e64 s[2:3], |v32|, s30
	v_cndmask_b32_e64 v6, v20, v6, s[2:3]
	v_bfe_u32 v8, v6, 16, 1
	v_add3_u32 v8, v6, v8, s31
	v_lshrrev_b32_e32 v8, 16, v8
	v_cmp_o_f32_e64 s[2:3], v6, v6
	v_cndmask_b32_e64 v6, v21, v8, s[2:3]
	global_store_short v[4:5], v6, off
	s_or_b64 exec, exec, s[6:7]
	s_and_saveexec_b64 s[2:3], s[0:1]
	s_cbranch_execz .LBB91_14
.LBB91_18:                              ;   in Loop: Header=BB91_4 Depth=1
	s_waitcnt vmcnt(0)
	v_lshlrev_b32_e32 v23, 16, v23
	v_add_f32_e64 v8, |v23|, s29
	v_sub_f32_e64 v25, v8, |v23|
	v_and_b32_e32 v6, 0x7fffffff, v23
	v_sub_f32_e32 v24, v25, v8
	v_pk_add_f32 v[24:25], v[6:7], v[24:25]
	v_sub_f32_e32 v6, v24, v25
	v_add_f32_e32 v6, 0x3102e308, v6
	v_add_f32_e32 v10, v8, v6
	v_sub_f32_e32 v8, v8, v10
	v_add_f32_e32 v6, v6, v8
	v_mul_f32_e32 v8, 0x3fb8aa3b, v10
	v_rndne_f32_e32 v32, v8
	v_fmac_f32_e32 v10, 0xbf317200, v32
	v_add_f32_e32 v8, v6, v10
	v_sub_f32_e32 v10, v10, v8
	v_add_f32_e32 v6, v6, v10
	v_mul_f32_e32 v10, 0x35bfbc00, v32
	v_sub_f32_e32 v26, v8, v10
	v_sub_f32_e32 v8, v8, v26
	;; [unrolled: 1-line block ×3, first 2 shown]
	v_add_f32_e32 v6, v6, v8
	v_add_f32_e32 v27, v26, v6
	v_mul_f32_e32 v25, 0x2ea39ef3, v32
	v_mov_b32_e32 v24, v27
	v_pk_add_f32 v[28:29], v[26:27], v[24:25] neg_lo:[0,1] neg_hi:[0,1]
	v_sub_f32_e32 v8, v27, v29
	v_sub_f32_e32 v8, v8, v25
	v_add_f32_e32 v6, v6, v28
	v_add_f32_e32 v6, v6, v8
	;; [unrolled: 1-line block ×3, first 2 shown]
	v_sub_f32_e32 v24, v29, v10
	v_mov_b32_e32 v8, 0x3c091de6
	v_add_f32_e32 v6, v6, v24
	v_mul_f32_e32 v25, v10, v10
	v_fmac_f32_e32 v8, 0x3ab42872, v10
	v_add_f32_e32 v24, v6, v6
	v_fma_f32 v26, v10, v10, -v25
	v_fma_f32 v8, v10, v8, v17
	v_fmac_f32_e32 v26, v10, v24
	v_fma_f32 v8, v10, v8, v18
	v_add_f32_e32 v24, v25, v26
	v_fma_f32 v8, v10, v8, v19
	v_sub_f32_e32 v25, v24, v25
	v_sub_f32_e32 v25, v26, v25
	v_mul_f32_e32 v26, v8, v24
	v_fma_f32 v24, v24, v8, -v26
	v_fmac_f32_e32 v24, v25, v8
	v_add_f32_e32 v25, v26, v24
	v_sub_f32_e32 v8, v25, v26
	v_sub_f32_e32 v24, v24, v8
	v_add_f32_e32 v8, v10, v25
	v_sub_f32_e32 v10, v8, v10
	v_sub_f32_e32 v10, v25, v10
	v_add_f32_e32 v6, v6, v24
	v_add_f32_e32 v24, v6, v10
	;; [unrolled: 1-line block ×3, first 2 shown]
	v_add_f32_e32 v27, 1.0, v26
	v_pk_add_f32 v[28:29], v[26:27], v[8:9] neg_lo:[0,1] neg_hi:[0,1]
	v_pk_add_f32 v[30:31], v[26:27], s[20:21]
	v_mov_b32_e32 v29, v31
	v_mov_b32_e32 v25, v26
	v_cvt_i32_f32_e32 v6, v32
	v_pk_add_f32 v[24:25], v[24:25], v[28:29] neg_lo:[0,1] neg_hi:[0,1]
	v_add_f32_e32 v8, v24, v25
	v_add_f32_e32 v10, v27, v8
	v_ldexp_f32 v32, v10, v6
	v_rcp_f32_e32 v33, v32
	v_sub_f32_e32 v10, v10, v27
	v_sub_f32_e32 v8, v8, v10
	v_ldexp_f32 v6, v8, v6
	v_mul_f32_e32 v24, v32, v33
	v_fma_f32 v26, v33, v32, -v24
	v_fmac_f32_e32 v26, v33, v6
	v_add_f32_e32 v10, v24, v26
	v_sub_f32_e32 v25, 1.0, v10
	v_pk_add_f32 v[28:29], v[10:11], v[24:25] neg_lo:[0,1] neg_hi:[0,1]
	v_mov_b32_e32 v27, v10
	v_pk_add_f32 v[26:27], v[28:29], v[26:27] neg_lo:[0,1] neg_hi:[0,1]
	v_add_f32_e32 v8, v26, v27
	v_add_f32_e32 v27, v25, v8
	v_mul_f32_e32 v10, v33, v27
	v_mul_f32_e32 v24, v32, v10
	v_fma_f32 v28, v10, v32, -v24
	v_fmac_f32_e32 v28, v10, v6
	v_sub_f32_e32 v25, v25, v27
	v_add_f32_e32 v26, v24, v28
	v_add_f32_e32 v8, v8, v25
	v_sub_f32_e32 v25, v27, v26
	v_pk_add_f32 v[30:31], v[26:27], v[24:25] neg_lo:[0,1] neg_hi:[0,1]
	v_mov_b32_e32 v29, v26
	v_pk_add_f32 v[26:27], v[30:31], v[28:29] neg_lo:[0,1] neg_hi:[0,1]
	v_add_f32_e32 v8, v8, v27
	v_add_f32_e32 v8, v26, v8
	;; [unrolled: 1-line block ×4, first 2 shown]
	v_sub_f32_e32 v25, v24, v33
	v_mul_f32_e32 v8, v33, v8
	v_sub_f32_e32 v10, v10, v25
	v_add_f32_e32 v8, v10, v8
	v_add_f32_e32 v10, v24, v8
	v_sub_f32_e32 v24, v10, v24
	v_ldexp_f32 v10, v10, -2
	v_sub_f32_e32 v8, v8, v24
	v_add_f32_e32 v24, v32, v10
	v_ldexp_f32 v8, v8, -2
	v_sub_f32_e32 v25, v24, v32
	v_sub_f32_e32 v10, v10, v25
	v_add_f32_e32 v6, v6, v8
	v_add_f32_e32 v6, v6, v10
	v_add_f32_e32 v6, v24, v6
	v_cmp_ngt_f32_e64 s[0:1], |v23|, s30
	v_cndmask_b32_e64 v6, v20, v6, s[0:1]
	v_bfe_u32 v8, v6, 16, 1
	v_add3_u32 v8, v6, v8, s31
	v_lshrrev_b32_e32 v8, 16, v8
	v_cmp_o_f32_e64 s[0:1], v6, v6
	v_cndmask_b32_e64 v6, v21, v8, s[0:1]
	v_mov_b32_e32 v8, s20
	v_add_co_u32_e64 v24, s[0:1], s24, v2
	v_addc_co_u32_e64 v25, s[0:1], v3, v8, s[0:1]
	global_store_short v[24:25], v6, off
	s_or_b64 exec, exec, s[2:3]
	s_and_saveexec_b64 s[0:1], vcc
	s_cbranch_execz .LBB91_3
.LBB91_19:                              ;   in Loop: Header=BB91_4 Depth=1
	s_waitcnt vmcnt(0)
	v_lshlrev_b32_e32 v30, 16, v22
	v_add_f32_e64 v8, |v30|, s29
	v_sub_f32_e64 v23, v8, |v30|
	v_and_b32_e32 v6, 0x7fffffff, v30
	v_sub_f32_e32 v22, v23, v8
	v_pk_add_f32 v[22:23], v[6:7], v[22:23]
	v_sub_f32_e32 v6, v22, v23
	v_add_f32_e32 v6, 0x3102e308, v6
	v_add_f32_e32 v10, v8, v6
	v_sub_f32_e32 v8, v8, v10
	v_add_f32_e32 v6, v6, v8
	v_mul_f32_e32 v8, 0x3fb8aa3b, v10
	v_rndne_f32_e32 v31, v8
	v_fmac_f32_e32 v10, 0xbf317200, v31
	v_add_f32_e32 v8, v6, v10
	v_sub_f32_e32 v10, v10, v8
	v_add_f32_e32 v6, v6, v10
	v_mul_f32_e32 v10, 0x35bfbc00, v31
	v_sub_f32_e32 v24, v8, v10
	v_sub_f32_e32 v8, v8, v24
	;; [unrolled: 1-line block ×3, first 2 shown]
	v_add_f32_e32 v6, v6, v8
	v_add_f32_e32 v25, v24, v6
	v_mul_f32_e32 v23, 0x2ea39ef3, v31
	v_mov_b32_e32 v22, v25
	v_pk_add_f32 v[26:27], v[24:25], v[22:23] neg_lo:[0,1] neg_hi:[0,1]
	v_sub_f32_e32 v8, v25, v27
	v_sub_f32_e32 v8, v8, v23
	v_add_f32_e32 v6, v6, v26
	v_add_f32_e32 v6, v6, v8
	;; [unrolled: 1-line block ×3, first 2 shown]
	v_sub_f32_e32 v22, v27, v10
	v_mov_b32_e32 v8, 0x3c091de6
	v_add_f32_e32 v6, v6, v22
	v_mul_f32_e32 v23, v10, v10
	v_fmac_f32_e32 v8, 0x3ab42872, v10
	v_add_f32_e32 v22, v6, v6
	v_fma_f32 v24, v10, v10, -v23
	v_fma_f32 v8, v10, v8, v17
	v_fmac_f32_e32 v24, v10, v22
	v_fma_f32 v8, v10, v8, v18
	v_add_f32_e32 v22, v23, v24
	v_fma_f32 v8, v10, v8, v19
	v_sub_f32_e32 v23, v22, v23
	v_sub_f32_e32 v23, v24, v23
	v_mul_f32_e32 v24, v8, v22
	v_fma_f32 v22, v22, v8, -v24
	v_fmac_f32_e32 v22, v23, v8
	v_add_f32_e32 v23, v24, v22
	v_sub_f32_e32 v8, v23, v24
	v_sub_f32_e32 v22, v22, v8
	v_add_f32_e32 v8, v10, v23
	v_sub_f32_e32 v10, v8, v10
	v_sub_f32_e32 v10, v23, v10
	v_add_f32_e32 v6, v6, v22
	v_add_f32_e32 v22, v6, v10
	;; [unrolled: 1-line block ×3, first 2 shown]
	v_add_f32_e32 v25, 1.0, v24
	v_pk_add_f32 v[26:27], v[24:25], v[8:9] neg_lo:[0,1] neg_hi:[0,1]
	v_pk_add_f32 v[28:29], v[24:25], s[20:21]
	v_mov_b32_e32 v27, v29
	v_mov_b32_e32 v23, v24
	v_cvt_i32_f32_e32 v6, v31
	v_pk_add_f32 v[22:23], v[22:23], v[26:27] neg_lo:[0,1] neg_hi:[0,1]
	v_add_f32_e32 v8, v22, v23
	v_add_f32_e32 v10, v25, v8
	v_ldexp_f32 v31, v10, v6
	v_rcp_f32_e32 v32, v31
	v_sub_f32_e32 v10, v10, v25
	v_sub_f32_e32 v8, v8, v10
	v_ldexp_f32 v6, v8, v6
	v_mul_f32_e32 v22, v31, v32
	v_fma_f32 v24, v32, v31, -v22
	v_fmac_f32_e32 v24, v32, v6
	v_add_f32_e32 v10, v22, v24
	v_sub_f32_e32 v23, 1.0, v10
	v_pk_add_f32 v[26:27], v[10:11], v[22:23] neg_lo:[0,1] neg_hi:[0,1]
	v_mov_b32_e32 v25, v10
	v_pk_add_f32 v[24:25], v[26:27], v[24:25] neg_lo:[0,1] neg_hi:[0,1]
	v_add_f32_e32 v8, v24, v25
	v_add_f32_e32 v25, v23, v8
	v_mul_f32_e32 v10, v32, v25
	v_mul_f32_e32 v22, v31, v10
	v_fma_f32 v26, v10, v31, -v22
	v_fmac_f32_e32 v26, v10, v6
	v_sub_f32_e32 v23, v23, v25
	v_add_f32_e32 v24, v22, v26
	v_add_f32_e32 v8, v8, v23
	v_sub_f32_e32 v23, v25, v24
	v_pk_add_f32 v[28:29], v[24:25], v[22:23] neg_lo:[0,1] neg_hi:[0,1]
	v_mov_b32_e32 v27, v24
	v_pk_add_f32 v[24:25], v[28:29], v[26:27] neg_lo:[0,1] neg_hi:[0,1]
	v_add_f32_e32 v8, v8, v25
	v_add_f32_e32 v8, v24, v8
	;; [unrolled: 1-line block ×4, first 2 shown]
	v_sub_f32_e32 v23, v22, v32
	v_mul_f32_e32 v8, v32, v8
	v_sub_f32_e32 v10, v10, v23
	v_add_f32_e32 v8, v10, v8
	v_add_f32_e32 v10, v22, v8
	v_sub_f32_e32 v22, v10, v22
	v_ldexp_f32 v10, v10, -2
	v_sub_f32_e32 v8, v8, v22
	v_add_f32_e32 v22, v31, v10
	v_ldexp_f32 v8, v8, -2
	v_sub_f32_e32 v23, v22, v31
	v_sub_f32_e32 v10, v10, v23
	v_add_f32_e32 v6, v6, v8
	v_add_f32_e32 v6, v6, v10
	;; [unrolled: 1-line block ×3, first 2 shown]
	v_cmp_ngt_f32_e64 vcc, |v30|, s30
	v_cndmask_b32_e32 v6, v20, v6, vcc
	v_bfe_u32 v8, v6, 16, 1
	v_add3_u32 v8, v6, v8, s31
	v_lshrrev_b32_e32 v8, 16, v8
	v_cmp_o_f32_e32 vcc, v6, v6
	v_cndmask_b32_e32 v6, v21, v8, vcc
	v_mov_b32_e32 v8, s28
	v_add_co_u32_e32 v22, vcc, s27, v2
	v_addc_co_u32_e32 v23, vcc, v3, v8, vcc
	global_store_short v[22:23], v6, off
	s_branch .LBB91_3
.LBB91_20:
	s_cbranch_execz .LBB91_22
	s_branch .LBB91_25
.LBB91_21:
.LBB91_22:
	v_mov_b32_e32 v3, 0
	v_lshlrev_b32_e32 v2, 2, v0
	s_mov_b32 s0, 0
	v_cmp_gt_i64_e32 vcc, s[10:11], v[2:3]
	s_and_saveexec_b64 s[2:3], vcc
	s_cbranch_execz .LBB91_25
; %bb.23:
	s_load_dword s1, s[4:5], 0xd3c
	v_lshlrev_b32_e32 v1, 3, v0
	s_mov_b32 s9, 0xbf317218
	v_mov_b32_e32 v12, 0x3d2aadcc
	v_mov_b32_e32 v13, 0x3e2aaa47
	s_waitcnt lgkmcnt(0)
	s_and_b32 s1, s1, 0xffff
	s_add_u32 s2, s12, s14
	s_addc_u32 s3, s13, s15
	v_mov_b32_e32 v2, s3
	v_add_co_u32_e32 v4, vcc, s2, v1
	v_addc_co_u32_e32 v5, vcc, 0, v2, vcc
	s_lshl_b32 s4, s1, 3
	v_add_lshl_u32 v2, v0, s1, 2
	s_lshl_b32 s8, s1, 2
	s_mov_b64 s[2:3], 0
	v_mov_b32_e32 v14, 0x3efffffc
	s_mov_b32 s5, -1.0
	s_mov_b32 s12, 0x42b2d4fc
	v_mov_b32_e32 v15, 0x7f800000
	s_movk_i32 s13, 0x7fff
	v_mov_b32_e32 v16, 0x7fc00000
	v_mov_b32_e32 v17, 0x7fc0
	s_mov_b64 s[6:7], 0xffff
	v_mov_b32_e32 v18, s0
	v_mov_b32_e32 v19, s0
	;; [unrolled: 1-line block ×3, first 2 shown]
	v_mov_b32_e32 v7, -1.0
	v_mov_b32_e32 v9, 1.0
.LBB91_24:                              ; =>This Inner Loop Header: Depth=1
	global_load_dwordx2 v[10:11], v[4:5], off
	v_mov_b32_e32 v6, 0x3c091de6
	v_mov_b32_e32 v8, 0x3c091de6
	v_cmp_lt_u64_e64 s[0:1], s[6:7], v[2:3]
	s_waitcnt vmcnt(0)
	v_lshlrev_b32_e32 v31, 16, v10
	v_add_f32_e64 v24, |v31|, s9
	v_and_b32_e32 v30, 0xffff0000, v10
	v_sub_f32_e64 v21, v24, |v31|
	v_and_b32_e32 v0, 0x7fffffff, v31
	v_add_f32_e64 v25, |v30|, s9
	v_sub_f32_e32 v20, v21, v24
	v_sub_f32_e64 v23, v25, |v30|
	v_pk_add_f32 v[20:21], v[0:1], v[20:21]
	v_sub_f32_e32 v22, v23, v25
	v_and_b32_e32 v0, 0x7fffffff, v30
	v_sub_f32_e32 v26, v20, v21
	v_pk_add_f32 v[20:21], v[0:1], v[22:23]
	v_add_f32_e32 v0, 0x3102e308, v26
	v_sub_f32_e32 v20, v20, v21
	v_add_f32_e32 v22, v24, v0
	v_add_f32_e32 v20, 0x3102e308, v20
	v_mul_f32_e32 v23, 0x3fb8aa3b, v22
	v_sub_f32_e32 v21, v24, v22
	v_add_f32_e32 v26, v25, v20
	v_rndne_f32_e32 v23, v23
	v_add_f32_e32 v0, v0, v21
	v_sub_f32_e32 v24, v25, v26
	v_mul_f32_e32 v25, 0x3fb8aa3b, v26
	v_fmac_f32_e32 v22, 0xbf317200, v23
	v_mul_f32_e32 v27, 0x35bfbc00, v23
	v_rndne_f32_e32 v33, v25
	v_add_f32_e32 v25, v0, v22
	v_add_f32_e32 v20, v20, v24
	v_fmac_f32_e32 v26, 0xbf317200, v33
	v_sub_f32_e32 v22, v22, v25
	v_sub_f32_e32 v24, v25, v27
	v_mul_f32_e32 v28, 0x35bfbc00, v33
	v_add_f32_e32 v29, v20, v26
	v_add_f32_e32 v0, v0, v22
	v_sub_f32_e32 v22, v25, v24
	v_sub_f32_e32 v25, v26, v29
	;; [unrolled: 1-line block ×4, first 2 shown]
	v_add_f32_e32 v20, v20, v25
	v_sub_f32_e32 v25, v29, v26
	v_add_f32_e32 v0, v0, v22
	v_sub_f32_e32 v22, v25, v28
	v_add_f32_e32 v25, v24, v0
	v_mul_f32_e32 v21, 0x2ea39ef3, v23
	v_add_f32_e32 v34, v20, v22
	v_mov_b32_e32 v20, v25
	v_add_f32_e32 v27, v26, v34
	v_pk_add_f32 v[28:29], v[24:25], v[20:21] neg_lo:[0,1] neg_hi:[0,1]
	v_cvt_i32_f32_e32 v32, v23
	v_mul_f32_e32 v23, 0x2ea39ef3, v33
	v_mov_b32_e32 v22, v27
	v_sub_f32_e32 v20, v25, v29
	v_add_f32_e32 v0, v0, v28
	v_pk_add_f32 v[24:25], v[26:27], v[22:23] neg_lo:[0,1] neg_hi:[0,1]
	v_sub_f32_e32 v20, v20, v21
	v_sub_f32_e32 v21, v27, v25
	v_add_f32_e32 v0, v0, v20
	v_add_f32_e32 v22, v34, v24
	v_sub_f32_e32 v20, v21, v23
	v_add_f32_e32 v21, v29, v0
	v_add_f32_e32 v20, v22, v20
	v_sub_f32_e32 v22, v29, v21
	v_fmac_f32_e32 v6, 0x3ab42872, v21
	v_mul_f32_e32 v23, v21, v21
	v_add_f32_e32 v28, v25, v20
	v_add_f32_e32 v0, v0, v22
	v_fma_f32 v6, v21, v6, v12
	v_fma_f32 v22, v21, v21, -v23
	v_fmac_f32_e32 v8, 0x3ab42872, v28
	v_sub_f32_e32 v24, v25, v28
	v_add_f32_e32 v26, v0, v0
	v_mul_f32_e32 v25, v28, v28
	v_fma_f32 v6, v21, v6, v13
	v_fma_f32 v8, v28, v8, v12
	v_add_f32_e32 v29, v20, v24
	v_fmac_f32_e32 v22, v21, v26
	v_fma_f32 v34, v28, v28, -v25
	v_fma_f32 v6, v21, v6, v14
	v_fma_f32 v8, v28, v8, v13
	v_add_f32_e32 v20, v29, v29
	v_add_f32_e32 v24, v23, v22
	v_fma_f32 v35, v28, v8, v14
	v_fmac_f32_e32 v34, v28, v20
	v_sub_f32_e32 v8, v24, v23
	v_mul_f32_e32 v20, v6, v24
	v_sub_f32_e32 v8, v22, v8
	v_fma_f32 v22, v24, v6, -v20
	v_fmac_f32_e32 v22, v8, v6
	v_add_f32_e32 v8, v20, v22
	v_sub_f32_e32 v20, v8, v20
	v_add_f32_e32 v6, v21, v8
	v_sub_f32_e32 v20, v22, v20
	v_sub_f32_e32 v21, v6, v21
	v_sub_f32_e32 v8, v8, v21
	v_add_f32_e32 v0, v0, v20
	v_add_f32_e32 v20, v0, v8
	;; [unrolled: 1-line block ×4, first 2 shown]
	v_add_f32_e32 v23, 1.0, v22
	v_sub_f32_e32 v37, v36, v25
	v_pk_add_f32 v[24:25], v[22:23], v[6:7] neg_lo:[0,1] neg_hi:[0,1]
	v_pk_add_f32 v[26:27], v[22:23], s[4:5]
	v_mov_b32_e32 v21, v22
	v_mov_b32_e32 v25, v27
	v_pk_add_f32 v[20:21], v[20:21], v[24:25] neg_lo:[0,1] neg_hi:[0,1]
	v_add_f32_e32 v0, v20, v21
	v_add_f32_e32 v6, v23, v0
	v_ldexp_f32 v26, v6, v32
	v_rcp_f32_e32 v27, v26
	v_sub_f32_e32 v6, v6, v23
	v_sub_f32_e32 v0, v0, v6
	v_ldexp_f32 v0, v0, v32
	v_mul_f32_e32 v20, v26, v27
	v_fma_f32 v22, v27, v26, -v20
	v_fmac_f32_e32 v22, v27, v0
	v_add_f32_e32 v8, v20, v22
	v_sub_f32_e32 v21, 1.0, v8
	v_mov_b32_e32 v23, v8
	v_pk_add_f32 v[24:25], v[8:9], v[20:21] neg_lo:[0,1] neg_hi:[0,1]
	v_pk_add_f32 v[22:23], v[24:25], v[22:23] neg_lo:[0,1] neg_hi:[0,1]
	v_add_f32_e32 v6, v22, v23
	v_add_f32_e32 v23, v21, v6
	v_mul_f32_e32 v8, v27, v23
	v_mul_f32_e32 v20, v26, v8
	v_fma_f32 v24, v8, v26, -v20
	v_sub_f32_e32 v21, v21, v23
	v_add_f32_e32 v32, v27, v8
	v_fmac_f32_e32 v24, v8, v0
	v_add_f32_e32 v6, v6, v21
	v_sub_f32_e32 v21, v32, v27
	v_add_f32_e32 v22, v20, v24
	v_sub_f32_e32 v8, v8, v21
	v_sub_f32_e32 v21, v23, v22
	v_mov_b32_e32 v25, v22
	v_pk_add_f32 v[22:23], v[22:23], v[20:21] neg_lo:[0,1] neg_hi:[0,1]
	v_pk_add_f32 v[22:23], v[22:23], v[24:25] neg_lo:[0,1] neg_hi:[0,1]
	v_add_f32_e32 v6, v6, v23
	v_add_f32_e32 v6, v22, v6
	v_add_f32_e32 v6, v21, v6
	v_mul_f32_e32 v6, v27, v6
	v_add_f32_e32 v6, v8, v6
	v_add_f32_e32 v8, v32, v6
	v_sub_f32_e32 v20, v8, v32
	v_ldexp_f32 v8, v8, -2
	v_sub_f32_e32 v6, v6, v20
	v_add_f32_e32 v20, v26, v8
	v_ldexp_f32 v6, v6, -2
	v_sub_f32_e32 v21, v20, v26
	v_sub_f32_e32 v8, v8, v21
	v_add_f32_e32 v0, v0, v6
	v_add_f32_e32 v0, v0, v8
	;; [unrolled: 1-line block ×3, first 2 shown]
	v_cmp_ngt_f32_e64 vcc, |v31|, s12
	v_cndmask_b32_e32 v31, v15, v0, vcc
	v_bfe_u32 v0, v31, 16, 1
	v_add3_u32 v0, v31, v0, s13
	v_mul_f32_e32 v6, v35, v36
	v_lshrrev_b32_e32 v32, 16, v0
	v_sub_f32_e32 v0, v34, v37
	v_fma_f32 v8, v36, v35, -v6
	v_fmac_f32_e32 v8, v0, v35
	v_add_f32_e32 v0, v6, v8
	v_sub_f32_e32 v6, v0, v6
	v_sub_f32_e32 v8, v8, v6
	v_add_f32_e32 v6, v28, v0
	v_sub_f32_e32 v20, v6, v28
	v_sub_f32_e32 v0, v0, v20
	v_add_f32_e32 v8, v29, v8
	v_add_f32_e32 v20, v8, v0
	;; [unrolled: 1-line block ×3, first 2 shown]
	v_add_f32_e32 v23, 1.0, v22
	v_pk_add_f32 v[24:25], v[22:23], v[6:7] neg_lo:[0,1] neg_hi:[0,1]
	v_pk_add_f32 v[26:27], v[22:23], s[4:5]
	v_mov_b32_e32 v25, v27
	v_mov_b32_e32 v21, v22
	v_cvt_i32_f32_e32 v0, v33
	v_pk_add_f32 v[20:21], v[20:21], v[24:25] neg_lo:[0,1] neg_hi:[0,1]
	v_add_f32_e32 v6, v20, v21
	v_add_f32_e32 v8, v23, v6
	v_ldexp_f32 v28, v8, v0
	v_rcp_f32_e32 v29, v28
	v_sub_f32_e32 v8, v8, v23
	v_sub_f32_e32 v6, v6, v8
	v_ldexp_f32 v0, v6, v0
	v_mul_f32_e32 v20, v28, v29
	v_fma_f32 v22, v29, v28, -v20
	v_fmac_f32_e32 v22, v29, v0
	v_add_f32_e32 v8, v20, v22
	v_sub_f32_e32 v21, 1.0, v8
	v_pk_add_f32 v[24:25], v[8:9], v[20:21] neg_lo:[0,1] neg_hi:[0,1]
	v_mov_b32_e32 v23, v8
	v_pk_add_f32 v[22:23], v[24:25], v[22:23] neg_lo:[0,1] neg_hi:[0,1]
	v_add_f32_e32 v6, v22, v23
	v_add_f32_e32 v23, v21, v6
	v_mul_f32_e32 v8, v29, v23
	v_mul_f32_e32 v20, v28, v8
	v_fma_f32 v24, v8, v28, -v20
	v_fmac_f32_e32 v24, v8, v0
	v_sub_f32_e32 v21, v21, v23
	v_add_f32_e32 v22, v20, v24
	v_add_f32_e32 v6, v6, v21
	v_sub_f32_e32 v21, v23, v22
	v_pk_add_f32 v[26:27], v[22:23], v[20:21] neg_lo:[0,1] neg_hi:[0,1]
	v_mov_b32_e32 v25, v22
	v_pk_add_f32 v[22:23], v[26:27], v[24:25] neg_lo:[0,1] neg_hi:[0,1]
	v_add_f32_e32 v6, v6, v23
	v_add_f32_e32 v6, v22, v6
	;; [unrolled: 1-line block ×4, first 2 shown]
	v_sub_f32_e32 v21, v20, v29
	v_mul_f32_e32 v6, v29, v6
	v_sub_f32_e32 v8, v8, v21
	v_add_f32_e32 v6, v8, v6
	v_add_f32_e32 v8, v20, v6
	v_sub_f32_e32 v20, v8, v20
	v_ldexp_f32 v8, v8, -2
	v_sub_f32_e32 v6, v6, v20
	v_add_f32_e32 v20, v28, v8
	v_ldexp_f32 v6, v6, -2
	v_sub_f32_e32 v21, v20, v28
	v_sub_f32_e32 v8, v8, v21
	v_add_f32_e32 v0, v0, v6
	v_add_f32_e32 v0, v0, v8
	;; [unrolled: 1-line block ×3, first 2 shown]
	v_cmp_ngt_f32_e64 vcc, |v30|, s12
	v_cndmask_b32_e32 v28, v15, v0, vcc
	v_bfe_u32 v0, v28, 16, 1
	v_add3_u32 v0, v28, v0, s13
	v_and_b32_e32 v29, 0xffff0000, v0
	v_alignbit_b32 v0, v11, v10, 16
	v_and_b32_e32 v10, 0xffff0000, v0
	v_add_f32_e64 v6, |v10|, s9
	v_sub_f32_e64 v21, v6, |v10|
	v_and_b32_e32 v0, 0x7fffffff, v10
	v_sub_f32_e32 v20, v21, v6
	v_pk_add_f32 v[20:21], v[0:1], v[20:21]
	v_sub_f32_e32 v0, v20, v21
	v_add_f32_e32 v0, 0x3102e308, v0
	v_add_f32_e32 v8, v6, v0
	v_sub_f32_e32 v6, v6, v8
	v_add_f32_e32 v0, v0, v6
	v_mul_f32_e32 v6, 0x3fb8aa3b, v8
	v_rndne_f32_e32 v30, v6
	v_fmac_f32_e32 v8, 0xbf317200, v30
	v_add_f32_e32 v6, v0, v8
	v_sub_f32_e32 v8, v8, v6
	v_add_f32_e32 v0, v0, v8
	v_mul_f32_e32 v8, 0x35bfbc00, v30
	v_sub_f32_e32 v22, v6, v8
	v_sub_f32_e32 v6, v6, v22
	;; [unrolled: 1-line block ×3, first 2 shown]
	v_add_f32_e32 v0, v0, v6
	v_add_f32_e32 v23, v22, v0
	v_mul_f32_e32 v21, 0x2ea39ef3, v30
	v_mov_b32_e32 v20, v23
	v_pk_add_f32 v[24:25], v[22:23], v[20:21] neg_lo:[0,1] neg_hi:[0,1]
	v_sub_f32_e32 v6, v23, v25
	v_sub_f32_e32 v6, v6, v21
	v_add_f32_e32 v0, v0, v24
	v_add_f32_e32 v0, v0, v6
	;; [unrolled: 1-line block ×3, first 2 shown]
	v_sub_f32_e32 v20, v25, v8
	v_mov_b32_e32 v6, 0x3c091de6
	v_add_f32_e32 v0, v0, v20
	v_mul_f32_e32 v21, v8, v8
	v_fmac_f32_e32 v6, 0x3ab42872, v8
	v_add_f32_e32 v20, v0, v0
	v_fma_f32 v22, v8, v8, -v21
	v_fma_f32 v6, v8, v6, v12
	v_fmac_f32_e32 v22, v8, v20
	v_fma_f32 v6, v8, v6, v13
	v_add_f32_e32 v20, v21, v22
	v_fma_f32 v6, v8, v6, v14
	v_sub_f32_e32 v21, v20, v21
	v_sub_f32_e32 v21, v22, v21
	v_mul_f32_e32 v22, v6, v20
	v_fma_f32 v20, v20, v6, -v22
	v_fmac_f32_e32 v20, v21, v6
	v_add_f32_e32 v21, v22, v20
	v_sub_f32_e32 v6, v21, v22
	v_sub_f32_e32 v20, v20, v6
	v_add_f32_e32 v6, v8, v21
	v_sub_f32_e32 v8, v6, v8
	v_sub_f32_e32 v8, v21, v8
	v_add_f32_e32 v0, v0, v20
	v_add_f32_e32 v20, v0, v8
	;; [unrolled: 1-line block ×3, first 2 shown]
	v_add_f32_e32 v23, 1.0, v22
	v_pk_add_f32 v[24:25], v[22:23], v[6:7] neg_lo:[0,1] neg_hi:[0,1]
	v_pk_add_f32 v[26:27], v[22:23], s[4:5]
	v_mov_b32_e32 v25, v27
	v_mov_b32_e32 v21, v22
	v_cvt_i32_f32_e32 v0, v30
	v_pk_add_f32 v[20:21], v[20:21], v[24:25] neg_lo:[0,1] neg_hi:[0,1]
	v_add_f32_e32 v6, v20, v21
	v_add_f32_e32 v8, v23, v6
	v_ldexp_f32 v30, v8, v0
	v_rcp_f32_e32 v33, v30
	v_sub_f32_e32 v8, v8, v23
	v_sub_f32_e32 v6, v6, v8
	v_ldexp_f32 v0, v6, v0
	v_mul_f32_e32 v20, v30, v33
	v_fma_f32 v22, v33, v30, -v20
	v_fmac_f32_e32 v22, v33, v0
	v_add_f32_e32 v8, v20, v22
	v_sub_f32_e32 v21, 1.0, v8
	v_pk_add_f32 v[24:25], v[8:9], v[20:21] neg_lo:[0,1] neg_hi:[0,1]
	v_mov_b32_e32 v23, v8
	v_pk_add_f32 v[22:23], v[24:25], v[22:23] neg_lo:[0,1] neg_hi:[0,1]
	v_add_f32_e32 v6, v22, v23
	v_add_f32_e32 v23, v21, v6
	v_mul_f32_e32 v8, v33, v23
	v_mul_f32_e32 v20, v30, v8
	v_fma_f32 v24, v8, v30, -v20
	v_fmac_f32_e32 v24, v8, v0
	v_sub_f32_e32 v21, v21, v23
	v_add_f32_e32 v22, v20, v24
	v_add_f32_e32 v6, v6, v21
	v_sub_f32_e32 v21, v23, v22
	v_pk_add_f32 v[26:27], v[22:23], v[20:21] neg_lo:[0,1] neg_hi:[0,1]
	v_mov_b32_e32 v25, v22
	v_pk_add_f32 v[22:23], v[26:27], v[24:25] neg_lo:[0,1] neg_hi:[0,1]
	v_add_f32_e32 v6, v6, v23
	v_add_f32_e32 v6, v22, v6
	;; [unrolled: 1-line block ×4, first 2 shown]
	v_sub_f32_e32 v21, v20, v33
	v_mul_f32_e32 v6, v33, v6
	v_sub_f32_e32 v8, v8, v21
	v_add_f32_e32 v6, v8, v6
	v_add_f32_e32 v8, v20, v6
	v_sub_f32_e32 v20, v8, v20
	v_ldexp_f32 v8, v8, -2
	v_sub_f32_e32 v6, v6, v20
	v_add_f32_e32 v20, v30, v8
	v_ldexp_f32 v6, v6, -2
	v_sub_f32_e32 v21, v20, v30
	v_sub_f32_e32 v8, v8, v21
	v_add_f32_e32 v0, v0, v6
	v_add_f32_e32 v0, v0, v8
	;; [unrolled: 1-line block ×3, first 2 shown]
	v_cmp_ngt_f32_e64 vcc, |v10|, s12
	v_cndmask_b32_e32 v26, v15, v0, vcc
	v_and_b32_e32 v30, 0xffff0000, v11
	v_bfe_u32 v0, v26, 16, 1
	v_add_f32_e64 v6, |v30|, s9
	v_add3_u32 v0, v26, v0, s13
	v_sub_f32_e64 v11, v6, |v30|
	v_lshrrev_b32_e32 v27, 16, v0
	v_and_b32_e32 v0, 0x7fffffff, v30
	v_sub_f32_e32 v10, v11, v6
	v_pk_add_f32 v[10:11], v[0:1], v[10:11]
	v_sub_f32_e32 v0, v10, v11
	v_add_f32_e32 v0, 0x3102e308, v0
	v_add_f32_e32 v8, v6, v0
	v_sub_f32_e32 v6, v6, v8
	v_add_f32_e32 v0, v0, v6
	v_mul_f32_e32 v6, 0x3fb8aa3b, v8
	v_rndne_f32_e32 v33, v6
	v_fmac_f32_e32 v8, 0xbf317200, v33
	v_add_f32_e32 v6, v0, v8
	v_sub_f32_e32 v8, v8, v6
	v_add_f32_e32 v0, v0, v8
	v_mul_f32_e32 v8, 0x35bfbc00, v33
	v_sub_f32_e32 v20, v6, v8
	v_sub_f32_e32 v6, v6, v20
	v_sub_f32_e32 v6, v6, v8
	v_add_f32_e32 v0, v0, v6
	v_add_f32_e32 v21, v20, v0
	v_mul_f32_e32 v11, 0x2ea39ef3, v33
	v_mov_b32_e32 v10, v21
	v_pk_add_f32 v[22:23], v[20:21], v[10:11] neg_lo:[0,1] neg_hi:[0,1]
	v_sub_f32_e32 v6, v21, v23
	v_sub_f32_e32 v6, v6, v11
	v_add_f32_e32 v0, v0, v22
	v_add_f32_e32 v0, v0, v6
	;; [unrolled: 1-line block ×3, first 2 shown]
	v_sub_f32_e32 v10, v23, v8
	v_mov_b32_e32 v6, 0x3c091de6
	v_add_f32_e32 v0, v0, v10
	v_mul_f32_e32 v11, v8, v8
	v_fmac_f32_e32 v6, 0x3ab42872, v8
	v_add_f32_e32 v10, v0, v0
	v_fma_f32 v20, v8, v8, -v11
	v_fma_f32 v6, v8, v6, v12
	v_fmac_f32_e32 v20, v8, v10
	v_fma_f32 v6, v8, v6, v13
	v_add_f32_e32 v10, v11, v20
	v_fma_f32 v6, v8, v6, v14
	v_sub_f32_e32 v11, v10, v11
	v_sub_f32_e32 v11, v20, v11
	v_mul_f32_e32 v20, v6, v10
	v_fma_f32 v10, v10, v6, -v20
	v_fmac_f32_e32 v10, v11, v6
	v_add_f32_e32 v11, v20, v10
	v_sub_f32_e32 v6, v11, v20
	v_sub_f32_e32 v10, v10, v6
	v_add_f32_e32 v6, v8, v11
	v_sub_f32_e32 v8, v6, v8
	v_sub_f32_e32 v8, v11, v8
	v_add_f32_e32 v0, v0, v10
	v_add_f32_e32 v10, v0, v8
	;; [unrolled: 1-line block ×3, first 2 shown]
	v_add_f32_e32 v21, 1.0, v20
	v_pk_add_f32 v[22:23], v[20:21], v[6:7] neg_lo:[0,1] neg_hi:[0,1]
	v_pk_add_f32 v[24:25], v[20:21], s[4:5]
	v_mov_b32_e32 v23, v25
	v_mov_b32_e32 v11, v20
	v_cvt_i32_f32_e32 v0, v33
	v_pk_add_f32 v[10:11], v[10:11], v[22:23] neg_lo:[0,1] neg_hi:[0,1]
	v_add_f32_e32 v6, v10, v11
	v_add_f32_e32 v8, v21, v6
	v_ldexp_f32 v33, v8, v0
	v_rcp_f32_e32 v34, v33
	v_sub_f32_e32 v8, v8, v21
	v_sub_f32_e32 v6, v6, v8
	v_ldexp_f32 v0, v6, v0
	v_mul_f32_e32 v10, v33, v34
	v_fma_f32 v20, v34, v33, -v10
	v_fmac_f32_e32 v20, v34, v0
	v_add_f32_e32 v8, v10, v20
	v_sub_f32_e32 v11, 1.0, v8
	v_pk_add_f32 v[22:23], v[8:9], v[10:11] neg_lo:[0,1] neg_hi:[0,1]
	v_mov_b32_e32 v21, v8
	v_pk_add_f32 v[20:21], v[22:23], v[20:21] neg_lo:[0,1] neg_hi:[0,1]
	v_add_f32_e32 v6, v20, v21
	v_add_f32_e32 v21, v11, v6
	v_mul_f32_e32 v8, v34, v21
	v_mul_f32_e32 v10, v33, v8
	v_fma_f32 v22, v8, v33, -v10
	v_fmac_f32_e32 v22, v8, v0
	v_sub_f32_e32 v11, v11, v21
	v_add_f32_e32 v20, v10, v22
	v_add_f32_e32 v6, v6, v11
	v_sub_f32_e32 v11, v21, v20
	v_pk_add_f32 v[24:25], v[20:21], v[10:11] neg_lo:[0,1] neg_hi:[0,1]
	v_mov_b32_e32 v23, v20
	v_pk_add_f32 v[20:21], v[24:25], v[22:23] neg_lo:[0,1] neg_hi:[0,1]
	v_add_f32_e32 v6, v6, v21
	v_add_f32_e32 v6, v20, v6
	;; [unrolled: 1-line block ×4, first 2 shown]
	v_sub_f32_e32 v11, v10, v34
	v_mul_f32_e32 v6, v34, v6
	v_sub_f32_e32 v8, v8, v11
	v_add_f32_e32 v6, v8, v6
	v_add_f32_e32 v8, v10, v6
	v_sub_f32_e32 v10, v8, v10
	v_ldexp_f32 v8, v8, -2
	v_sub_f32_e32 v6, v6, v10
	v_add_f32_e32 v10, v33, v8
	v_ldexp_f32 v6, v6, -2
	v_sub_f32_e32 v11, v10, v33
	v_sub_f32_e32 v8, v8, v11
	v_add_f32_e32 v0, v0, v6
	v_add_f32_e32 v0, v0, v8
	;; [unrolled: 1-line block ×3, first 2 shown]
	v_cmp_ngt_f32_e64 vcc, |v30|, s12
	v_cndmask_b32_e32 v0, v15, v0, vcc
	v_bfe_u32 v6, v0, 16, 1
	v_add3_u32 v6, v0, v6, s13
	v_and_b32_e32 v6, 0xffff0000, v6
	v_cmp_o_f32_e32 vcc, v0, v0
	v_cndmask_b32_e32 v0, v16, v6, vcc
	v_cmp_o_f32_e32 vcc, v26, v26
	v_cndmask_b32_e32 v6, v17, v27, vcc
	;; [unrolled: 2-line block ×4, first 2 shown]
	v_or_b32_e32 v8, v10, v8
	v_or3_b32 v11, 0, v6, v0
	v_or3_b32 v10, v8, 0, 0
	v_cmp_le_i64_e32 vcc, s[10:11], v[2:3]
	global_store_dwordx2 v[4:5], v[10:11], off
	s_or_b64 s[0:1], vcc, s[0:1]
	v_add_co_u32_e32 v4, vcc, s4, v4
	v_addc_co_u32_e32 v5, vcc, v5, v18, vcc
	s_and_b64 s[0:1], exec, s[0:1]
	v_add_co_u32_e32 v2, vcc, s8, v2
	s_or_b64 s[2:3], s[0:1], s[2:3]
	v_addc_co_u32_e32 v3, vcc, v3, v19, vcc
	s_andn2_b64 exec, exec, s[2:3]
	s_cbranch_execnz .LBB91_24
.LBB91_25:
	s_endpgm
	.section	.rodata,"a",@progbits
	.p2align	6, 0x0
	.amdhsa_kernel _ZN2at6native12_GLOBAL__N_125multi_tensor_apply_kernelINS1_18TensorListMetadataILi1EEENS1_14UnaryOpFunctorIN3c108BFloat16ELi1ELi1ELi0EEEJNS0_4CoshIfEEEEEvT_T0_DpT1_
		.amdhsa_group_segment_fixed_size 0
		.amdhsa_private_segment_fixed_size 0
		.amdhsa_kernarg_size 3632
		.amdhsa_user_sgpr_count 6
		.amdhsa_user_sgpr_private_segment_buffer 1
		.amdhsa_user_sgpr_dispatch_ptr 0
		.amdhsa_user_sgpr_queue_ptr 0
		.amdhsa_user_sgpr_kernarg_segment_ptr 1
		.amdhsa_user_sgpr_dispatch_id 0
		.amdhsa_user_sgpr_flat_scratch_init 0
		.amdhsa_user_sgpr_kernarg_preload_length 0
		.amdhsa_user_sgpr_kernarg_preload_offset 0
		.amdhsa_user_sgpr_private_segment_size 0
		.amdhsa_uses_dynamic_stack 0
		.amdhsa_system_sgpr_private_segment_wavefront_offset 0
		.amdhsa_system_sgpr_workgroup_id_x 1
		.amdhsa_system_sgpr_workgroup_id_y 0
		.amdhsa_system_sgpr_workgroup_id_z 0
		.amdhsa_system_sgpr_workgroup_info 0
		.amdhsa_system_vgpr_workitem_id 0
		.amdhsa_next_free_vgpr 38
		.amdhsa_next_free_sgpr 32
		.amdhsa_accum_offset 40
		.amdhsa_reserve_vcc 1
		.amdhsa_reserve_flat_scratch 0
		.amdhsa_float_round_mode_32 0
		.amdhsa_float_round_mode_16_64 0
		.amdhsa_float_denorm_mode_32 3
		.amdhsa_float_denorm_mode_16_64 3
		.amdhsa_dx10_clamp 1
		.amdhsa_ieee_mode 1
		.amdhsa_fp16_overflow 0
		.amdhsa_tg_split 0
		.amdhsa_exception_fp_ieee_invalid_op 0
		.amdhsa_exception_fp_denorm_src 0
		.amdhsa_exception_fp_ieee_div_zero 0
		.amdhsa_exception_fp_ieee_overflow 0
		.amdhsa_exception_fp_ieee_underflow 0
		.amdhsa_exception_fp_ieee_inexact 0
		.amdhsa_exception_int_div_zero 0
	.end_amdhsa_kernel
	.section	.text._ZN2at6native12_GLOBAL__N_125multi_tensor_apply_kernelINS1_18TensorListMetadataILi1EEENS1_14UnaryOpFunctorIN3c108BFloat16ELi1ELi1ELi0EEEJNS0_4CoshIfEEEEEvT_T0_DpT1_,"axG",@progbits,_ZN2at6native12_GLOBAL__N_125multi_tensor_apply_kernelINS1_18TensorListMetadataILi1EEENS1_14UnaryOpFunctorIN3c108BFloat16ELi1ELi1ELi0EEEJNS0_4CoshIfEEEEEvT_T0_DpT1_,comdat
.Lfunc_end91:
	.size	_ZN2at6native12_GLOBAL__N_125multi_tensor_apply_kernelINS1_18TensorListMetadataILi1EEENS1_14UnaryOpFunctorIN3c108BFloat16ELi1ELi1ELi0EEEJNS0_4CoshIfEEEEEvT_T0_DpT1_, .Lfunc_end91-_ZN2at6native12_GLOBAL__N_125multi_tensor_apply_kernelINS1_18TensorListMetadataILi1EEENS1_14UnaryOpFunctorIN3c108BFloat16ELi1ELi1ELi0EEEJNS0_4CoshIfEEEEEvT_T0_DpT1_
                                        ; -- End function
	.section	.AMDGPU.csdata,"",@progbits
; Kernel info:
; codeLenInByte = 6040
; NumSgprs: 36
; NumVgprs: 38
; NumAgprs: 0
; TotalNumVgprs: 38
; ScratchSize: 0
; MemoryBound: 0
; FloatMode: 240
; IeeeMode: 1
; LDSByteSize: 0 bytes/workgroup (compile time only)
; SGPRBlocks: 4
; VGPRBlocks: 4
; NumSGPRsForWavesPerEU: 36
; NumVGPRsForWavesPerEU: 38
; AccumOffset: 40
; Occupancy: 8
; WaveLimiterHint : 0
; COMPUTE_PGM_RSRC2:SCRATCH_EN: 0
; COMPUTE_PGM_RSRC2:USER_SGPR: 6
; COMPUTE_PGM_RSRC2:TRAP_HANDLER: 0
; COMPUTE_PGM_RSRC2:TGID_X_EN: 1
; COMPUTE_PGM_RSRC2:TGID_Y_EN: 0
; COMPUTE_PGM_RSRC2:TGID_Z_EN: 0
; COMPUTE_PGM_RSRC2:TIDIG_COMP_CNT: 0
; COMPUTE_PGM_RSRC3_GFX90A:ACCUM_OFFSET: 9
; COMPUTE_PGM_RSRC3_GFX90A:TG_SPLIT: 0
	.section	.text._ZN2at6native12_GLOBAL__N_125multi_tensor_apply_kernelINS1_18TensorListMetadataILi2EEENS1_14UnaryOpFunctorIdLi2ELi1ELi1EEEJNS0_3TanIdEEEEEvT_T0_DpT1_,"axG",@progbits,_ZN2at6native12_GLOBAL__N_125multi_tensor_apply_kernelINS1_18TensorListMetadataILi2EEENS1_14UnaryOpFunctorIdLi2ELi1ELi1EEEJNS0_3TanIdEEEEEvT_T0_DpT1_,comdat
	.globl	_ZN2at6native12_GLOBAL__N_125multi_tensor_apply_kernelINS1_18TensorListMetadataILi2EEENS1_14UnaryOpFunctorIdLi2ELi1ELi1EEEJNS0_3TanIdEEEEEvT_T0_DpT1_ ; -- Begin function _ZN2at6native12_GLOBAL__N_125multi_tensor_apply_kernelINS1_18TensorListMetadataILi2EEENS1_14UnaryOpFunctorIdLi2ELi1ELi1EEEJNS0_3TanIdEEEEEvT_T0_DpT1_
	.p2align	8
	.type	_ZN2at6native12_GLOBAL__N_125multi_tensor_apply_kernelINS1_18TensorListMetadataILi2EEENS1_14UnaryOpFunctorIdLi2ELi1ELi1EEEJNS0_3TanIdEEEEEvT_T0_DpT1_,@function
_ZN2at6native12_GLOBAL__N_125multi_tensor_apply_kernelINS1_18TensorListMetadataILi2EEENS1_14UnaryOpFunctorIdLi2ELi1ELi1EEEJNS0_3TanIdEEEEEvT_T0_DpT1_: ; @_ZN2at6native12_GLOBAL__N_125multi_tensor_apply_kernelINS1_18TensorListMetadataILi2EEENS1_14UnaryOpFunctorIdLi2ELi1ELi1EEEJNS0_3TanIdEEEEEvT_T0_DpT1_
; %bb.0:
	v_mov_b32_e32 v1, s6
	global_load_ubyte v1, v1, s[4:5] offset:1536
	s_add_u32 s0, s4, s6
	s_mul_hi_u32 s3, s6, 3
	s_mul_i32 s6, s6, 3
	s_addc_u32 s7, s5, 0
	s_add_u32 s2, s0, s6
	s_addc_u32 s3, s7, s3
	s_load_dword s14, s[2:3], 0x740
	s_mov_b32 s9, 0
	s_mov_b32 s13, s9
	s_mov_b32 s1, s9
	s_waitcnt lgkmcnt(0)
	s_ashr_i32 s15, s14, 31
	s_lshl_b64 s[10:11], s[14:15], 19
	s_waitcnt vmcnt(0)
	v_readfirstlane_b32 s0, v1
	s_lshl_b32 s0, s0, 3
	s_load_dwordx2 s[6:7], s[4:5], s0 offset:0x0
	s_load_dwordx2 s[16:17], s[4:5], s0 offset:0x400
	s_load_dwordx2 s[2:3], s[4:5], s0 offset:0x200
	s_waitcnt lgkmcnt(0)
	s_add_u32 s33, s6, s10
	s_addc_u32 s72, s7, s11
	s_and_b32 s8, s33, 31
	s_add_u32 s73, s2, s10
	s_addc_u32 s74, s3, s11
	s_and_b32 s12, s16, 3
	s_and_b32 s0, s73, 31
	s_or_b64 s[12:13], s[8:9], s[12:13]
	s_or_b64 s[0:1], s[0:1], s[12:13]
	s_lshl_b64 s[12:13], s[14:15], 16
	s_sub_u32 s12, s16, s12
	s_subb_u32 s13, s17, s13
	s_cmp_eq_u64 s[0:1], 0
	s_mov_b64 s[0:1], -1
	s_cbranch_scc0 .LBB92_21
; %bb.1:
	v_mov_b32_e32 v10, 0
	v_lshlrev_b32_e32 v2, 2, v0
	v_mov_b32_e32 v3, v10
	v_cmp_gt_i64_e32 vcc, s[12:13], v[2:3]
	s_and_saveexec_b64 s[14:15], vcc
	s_cbranch_execz .LBB92_20
; %bb.2:
	s_load_dword s0, s[4:5], 0xc5c
	s_mov_b32 s18, 0
	s_mov_b32 s20, 0
	;; [unrolled: 1-line block ×4, first 2 shown]
	s_waitcnt lgkmcnt(0)
	s_and_b32 s0, s0, 0xffff
	s_mov_b32 s34, 0x6dc9c883
	s_mov_b32 s36, 0x33145c00
	;; [unrolled: 1-line block ×17, first 2 shown]
	v_mov_b32_e32 v13, v10
	v_lshlrev_b32_e32 v14, 5, v0
	v_add_lshl_u32 v12, v0, s0, 2
	s_lshl_b32 s8, s0, 2
	s_lshl_b32 s75, s0, 5
	s_mov_b64 s[16:17], 0
	s_mov_b32 s19, 0x41d00000
	s_mov_b32 s21, 0x7b000000
	s_movk_i32 s76, 0xff80
	s_mov_b32 s23, 0x7ff00000
	s_mov_b32 s25, 0x3ff921fb
	;; [unrolled: 1-line block ×22, first 2 shown]
	s_movk_i32 s77, 0x1f8
	s_mov_b64 s[68:69], 0xffff
	v_mov_b32_e32 v1, 0x40100000
	v_mov_b32_e32 v15, 0x3ff00000
	;; [unrolled: 1-line block ×3, first 2 shown]
	s_branch .LBB92_4
.LBB92_3:                               ;   in Loop: Header=BB92_4 Depth=1
	s_or_b64 exec, exec, s[0:1]
	v_mul_f64 v[38:39], v[28:29], v[28:29]
	v_fma_f64 v[40:41], v[28:29], v[28:29], -v[38:39]
	v_add_f64 v[42:43], v[30:31], v[30:31]
	v_fmac_f64_e32 v[40:41], v[28:29], v[42:43]
	v_add_f64 v[38:39], v[38:39], v[40:41]
	v_pk_mov_b32 v[40:41], s[40:41], s[40:41] op_sel:[0,1]
	v_fma_f64 v[42:43], s[42:43], v[38:39], v[40:41]
	v_fma_f64 v[42:43], v[38:39], v[42:43], s[44:45]
	v_fma_f64 v[42:43], v[38:39], v[42:43], s[46:47]
	v_fma_f64 v[42:43], v[38:39], v[42:43], s[48:49]
	v_fma_f64 v[42:43], v[38:39], v[42:43], s[50:51]
	v_fma_f64 v[42:43], v[38:39], v[42:43], s[52:53]
	v_fma_f64 v[42:43], v[38:39], v[42:43], s[54:55]
	v_fma_f64 v[42:43], v[38:39], v[42:43], s[56:57]
	v_fma_f64 v[42:43], v[38:39], v[42:43], s[58:59]
	v_fma_f64 v[42:43], v[38:39], v[42:43], s[60:61]
	v_fma_f64 v[42:43], v[38:39], v[42:43], s[62:63]
	v_fma_f64 v[42:43], v[38:39], v[42:43], s[64:65]
	v_fma_f64 v[42:43], v[38:39], v[42:43], s[66:67]
	v_mul_f64 v[38:39], v[38:39], v[42:43]
	v_mul_f64 v[42:43], v[28:29], v[38:39]
	v_add_f64 v[44:45], v[28:29], v[42:43]
	v_fma_f64 v[38:39], v[28:29], v[38:39], -v[42:43]
	v_add_f64 v[28:29], v[44:45], -v[28:29]
	v_add_f64 v[28:29], v[42:43], -v[28:29]
	v_add_f64 v[30:31], v[30:31], v[38:39]
	v_add_f64 v[28:29], v[30:31], v[28:29]
	;; [unrolled: 1-line block ×3, first 2 shown]
	v_rcp_f64_e32 v[38:39], v[30:31]
	v_and_b32_e32 v11, 1, v36
	v_add_f64 v[36:37], v[30:31], -v[44:45]
	v_add_f64 v[28:29], v[28:29], -v[36:37]
	v_fma_f64 v[36:37], -v[30:31], v[38:39], 1.0
	v_fmac_f64_e32 v[38:39], v[36:37], v[38:39]
	v_fma_f64 v[36:37], -v[30:31], v[38:39], 1.0
	v_fmac_f64_e32 v[38:39], v[36:37], v[38:39]
	v_mul_f64 v[36:37], v[30:31], v[38:39]
	v_fma_f64 v[42:43], v[38:39], v[30:31], -v[36:37]
	v_fmac_f64_e32 v[42:43], v[38:39], v[28:29]
	v_add_f64 v[28:29], v[36:37], v[42:43]
	v_add_f64 v[44:45], -v[28:29], 1.0
	v_add_f64 v[36:37], v[28:29], -v[36:37]
	v_add_f64 v[46:47], -v[44:45], 1.0
	v_add_f64 v[28:29], v[46:47], -v[28:29]
	v_add_f64 v[36:37], v[36:37], -v[42:43]
	v_add_f64 v[28:29], v[36:37], v[28:29]
	v_add_f64 v[28:29], v[44:45], v[28:29]
	v_mul_f64 v[28:29], v[38:39], v[28:29]
	v_add_f64 v[28:29], v[38:39], v[28:29]
	v_xor_b32_e32 v29, 0x80000000, v29
	v_cmp_eq_u32_e32 vcc, 0, v11
	v_cndmask_b32_e32 v11, v28, v30, vcc
	v_cndmask_b32_e32 v28, v29, v31, vcc
	v_and_b32_e32 v29, 0x80000000, v3
	v_xor_b32_e32 v28, v28, v29
	v_cmp_class_f64_e64 vcc, v[2:3], s77
	v_cndmask_b32_e32 v3, v32, v28, vcc
	v_mul_f64 v[28:29], v[20:21], v[20:21]
	v_fma_f64 v[30:31], v[20:21], v[20:21], -v[28:29]
	v_add_f64 v[36:37], v[22:23], v[22:23]
	v_fmac_f64_e32 v[30:31], v[20:21], v[36:37]
	v_add_f64 v[28:29], v[28:29], v[30:31]
	v_fma_f64 v[30:31], s[42:43], v[28:29], v[40:41]
	v_fma_f64 v[30:31], v[28:29], v[30:31], s[44:45]
	v_fma_f64 v[30:31], v[28:29], v[30:31], s[46:47]
	v_fma_f64 v[30:31], v[28:29], v[30:31], s[48:49]
	v_fma_f64 v[30:31], v[28:29], v[30:31], s[50:51]
	v_fma_f64 v[30:31], v[28:29], v[30:31], s[52:53]
	v_fma_f64 v[30:31], v[28:29], v[30:31], s[54:55]
	v_fma_f64 v[30:31], v[28:29], v[30:31], s[56:57]
	v_fma_f64 v[30:31], v[28:29], v[30:31], s[58:59]
	v_fma_f64 v[30:31], v[28:29], v[30:31], s[60:61]
	v_fma_f64 v[30:31], v[28:29], v[30:31], s[62:63]
	v_fma_f64 v[30:31], v[28:29], v[30:31], s[64:65]
	v_fma_f64 v[30:31], v[28:29], v[30:31], s[66:67]
	v_mul_f64 v[28:29], v[28:29], v[30:31]
	v_mul_f64 v[30:31], v[20:21], v[28:29]
	v_add_f64 v[36:37], v[20:21], v[30:31]
	v_fma_f64 v[28:29], v[20:21], v[28:29], -v[30:31]
	v_add_f64 v[20:21], v[36:37], -v[20:21]
	v_add_f64 v[20:21], v[30:31], -v[20:21]
	v_add_f64 v[22:23], v[22:23], v[28:29]
	v_add_f64 v[20:21], v[22:23], v[20:21]
	v_add_f64 v[22:23], v[36:37], v[20:21]
	v_rcp_f64_e32 v[28:29], v[22:23]
	v_add_f64 v[30:31], v[22:23], -v[36:37]
	v_add_f64 v[20:21], v[20:21], -v[30:31]
	v_cndmask_b32_e32 v2, 0, v11, vcc
	v_fma_f64 v[30:31], -v[22:23], v[28:29], 1.0
	v_fmac_f64_e32 v[28:29], v[30:31], v[28:29]
	v_fma_f64 v[30:31], -v[22:23], v[28:29], 1.0
	v_fmac_f64_e32 v[28:29], v[30:31], v[28:29]
	v_mul_f64 v[30:31], v[22:23], v[28:29]
	v_fma_f64 v[36:37], v[28:29], v[22:23], -v[30:31]
	v_fmac_f64_e32 v[36:37], v[28:29], v[20:21]
	v_add_f64 v[20:21], v[30:31], v[36:37]
	v_add_f64 v[38:39], -v[20:21], 1.0
	v_add_f64 v[30:31], v[20:21], -v[30:31]
	v_add_f64 v[42:43], -v[38:39], 1.0
	v_add_f64 v[20:21], v[42:43], -v[20:21]
	v_add_f64 v[30:31], v[30:31], -v[36:37]
	v_add_f64 v[20:21], v[30:31], v[20:21]
	v_add_f64 v[20:21], v[38:39], v[20:21]
	v_mul_f64 v[20:21], v[28:29], v[20:21]
	v_and_b32_e32 v11, 1, v34
	v_add_f64 v[20:21], v[28:29], v[20:21]
	v_xor_b32_e32 v21, 0x80000000, v21
	v_cmp_eq_u32_e32 vcc, 0, v11
	v_cndmask_b32_e32 v11, v20, v22, vcc
	v_cndmask_b32_e32 v20, v21, v23, vcc
	v_and_b32_e32 v21, 0x80000000, v9
	v_xor_b32_e32 v20, v20, v21
	v_cmp_class_f64_e64 vcc, v[8:9], s77
	v_cndmask_b32_e32 v9, v32, v20, vcc
	v_mul_f64 v[20:21], v[16:17], v[16:17]
	v_fma_f64 v[22:23], v[16:17], v[16:17], -v[20:21]
	v_add_f64 v[28:29], v[18:19], v[18:19]
	v_fmac_f64_e32 v[22:23], v[16:17], v[28:29]
	v_add_f64 v[20:21], v[20:21], v[22:23]
	v_fma_f64 v[22:23], s[42:43], v[20:21], v[40:41]
	v_fma_f64 v[22:23], v[20:21], v[22:23], s[44:45]
	v_fma_f64 v[22:23], v[20:21], v[22:23], s[46:47]
	v_fma_f64 v[22:23], v[20:21], v[22:23], s[48:49]
	v_fma_f64 v[22:23], v[20:21], v[22:23], s[50:51]
	v_fma_f64 v[22:23], v[20:21], v[22:23], s[52:53]
	v_fma_f64 v[22:23], v[20:21], v[22:23], s[54:55]
	v_fma_f64 v[22:23], v[20:21], v[22:23], s[56:57]
	v_fma_f64 v[22:23], v[20:21], v[22:23], s[58:59]
	v_fma_f64 v[22:23], v[20:21], v[22:23], s[60:61]
	v_fma_f64 v[22:23], v[20:21], v[22:23], s[62:63]
	v_fma_f64 v[22:23], v[20:21], v[22:23], s[64:65]
	v_fma_f64 v[22:23], v[20:21], v[22:23], s[66:67]
	v_mul_f64 v[20:21], v[20:21], v[22:23]
	v_mul_f64 v[22:23], v[16:17], v[20:21]
	v_add_f64 v[28:29], v[16:17], v[22:23]
	v_fma_f64 v[20:21], v[16:17], v[20:21], -v[22:23]
	v_add_f64 v[16:17], v[28:29], -v[16:17]
	v_add_f64 v[16:17], v[22:23], -v[16:17]
	v_add_f64 v[18:19], v[18:19], v[20:21]
	v_add_f64 v[16:17], v[18:19], v[16:17]
	v_add_f64 v[18:19], v[28:29], v[16:17]
	v_rcp_f64_e32 v[20:21], v[18:19]
	v_add_f64 v[22:23], v[18:19], -v[28:29]
	v_add_f64 v[16:17], v[16:17], -v[22:23]
	v_cndmask_b32_e32 v8, 0, v11, vcc
	v_fma_f64 v[22:23], -v[18:19], v[20:21], 1.0
	v_fmac_f64_e32 v[20:21], v[22:23], v[20:21]
	v_fma_f64 v[22:23], -v[18:19], v[20:21], 1.0
	v_fmac_f64_e32 v[20:21], v[22:23], v[20:21]
	v_mul_f64 v[22:23], v[18:19], v[20:21]
	v_fma_f64 v[28:29], v[20:21], v[18:19], -v[22:23]
	v_fmac_f64_e32 v[28:29], v[20:21], v[16:17]
	v_add_f64 v[16:17], v[22:23], v[28:29]
	v_add_f64 v[30:31], -v[16:17], 1.0
	v_add_f64 v[22:23], v[16:17], -v[22:23]
	v_add_f64 v[36:37], -v[30:31], 1.0
	v_add_f64 v[16:17], v[36:37], -v[16:17]
	v_add_f64 v[22:23], v[22:23], -v[28:29]
	v_add_f64 v[16:17], v[22:23], v[16:17]
	v_add_f64 v[16:17], v[30:31], v[16:17]
	v_mul_f64 v[16:17], v[20:21], v[16:17]
	v_and_b32_e32 v11, 1, v33
	;; [unrolled: 57-line block ×3, first 2 shown]
	v_add_f64 v[16:17], v[22:23], v[16:17]
	v_xor_b32_e32 v17, 0x80000000, v17
	v_cmp_eq_u32_e32 vcc, 0, v11
	v_cndmask_b32_e32 v11, v16, v18, vcc
	v_cndmask_b32_e32 v16, v17, v19, vcc
	v_and_b32_e32 v17, 0x80000000, v5
	v_xor_b32_e32 v16, v16, v17
	v_cmp_class_f64_e64 vcc, v[4:5], s77
	v_cndmask_b32_e32 v4, 0, v11, vcc
	v_cndmask_b32_e32 v5, v32, v16, vcc
	v_mov_b32_e32 v11, s74
	v_add_co_u32_e32 v16, vcc, s73, v14
	v_addc_co_u32_e32 v17, vcc, 0, v11, vcc
	v_cmp_le_i64_e32 vcc, s[12:13], v[12:13]
	v_cmp_lt_u64_e64 s[0:1], s[68:69], v[12:13]
	s_or_b64 s[0:1], vcc, s[0:1]
	s_add_u32 s33, s33, s75
	s_addc_u32 s72, s72, 0
	s_add_u32 s73, s73, s75
	s_addc_u32 s74, s74, 0
	global_store_dwordx4 v[16:17], v[6:9], off
	global_store_dwordx4 v[16:17], v[2:5], off offset:16
	s_and_b64 s[0:1], exec, s[0:1]
	v_mov_b32_e32 v2, s9
	v_add_co_u32_e32 v12, vcc, s8, v12
	s_or_b64 s[16:17], s[0:1], s[16:17]
	v_addc_co_u32_e32 v13, vcc, v13, v2, vcc
	s_andn2_b64 exec, exec, s[16:17]
	s_cbranch_execz .LBB92_20
.LBB92_4:                               ; =>This Inner Loop Header: Depth=1
	v_mov_b32_e32 v3, s72
	v_add_co_u32_e32 v2, vcc, s33, v14
	v_addc_co_u32_e32 v3, vcc, 0, v3, vcc
	global_load_dwordx4 v[6:9], v[2:3], off
	s_nop 0
	global_load_dwordx4 v[2:5], v[2:3], off offset:16
                                        ; implicit-def: $vgpr33
                                        ; implicit-def: $vgpr16_vgpr17
                                        ; implicit-def: $vgpr18_vgpr19
	s_waitcnt vmcnt(1)
	v_cmp_nlt_f64_e64 s[0:1], |v[6:7]|, s[18:19]
	s_and_saveexec_b64 s[70:71], s[0:1]
	s_xor_b64 s[70:71], exec, s[70:71]
	s_cbranch_execz .LBB92_6
; %bb.5:                                ;   in Loop: Header=BB92_4 Depth=1
	v_and_b32_e32 v11, 0x7fffffff, v7
	v_ldexp_f64 v[20:21], |v[6:7]|, s76
	v_cmp_ge_f64_e64 vcc, |v[6:7]|, s[20:21]
	v_trig_preop_f64 v[16:17], |v[6:7]|, 0
	v_cndmask_b32_e32 v21, v11, v21, vcc
	v_cndmask_b32_e32 v20, v6, v20, vcc
	v_trig_preop_f64 v[18:19], |v[6:7]|, 1
	v_mul_f64 v[24:25], v[16:17], v[20:21]
	v_mul_f64 v[22:23], v[18:19], v[20:21]
	v_fma_f64 v[16:17], v[16:17], v[20:21], -v[24:25]
	v_add_f64 v[26:27], v[22:23], v[16:17]
	v_add_f64 v[28:29], v[24:25], v[26:27]
	v_ldexp_f64 v[30:31], v[28:29], -2
	v_fract_f64_e32 v[34:35], v[30:31]
	v_cmp_neq_f64_e64 vcc, |v[30:31]|, s[22:23]
	v_cndmask_b32_e32 v31, 0, v35, vcc
	v_cndmask_b32_e32 v30, 0, v34, vcc
	v_add_f64 v[34:35], v[26:27], -v[22:23]
	v_add_f64 v[16:17], v[16:17], -v[34:35]
	;; [unrolled: 1-line block ×4, first 2 shown]
	v_fma_f64 v[18:19], v[18:19], v[20:21], -v[22:23]
	v_trig_preop_f64 v[22:23], |v[6:7]|, 2
	v_add_f64 v[16:17], v[16:17], v[34:35]
	v_mul_f64 v[34:35], v[22:23], v[20:21]
	v_add_f64 v[36:37], v[34:35], v[18:19]
	v_add_f64 v[38:39], v[36:37], v[16:17]
	v_add_f64 v[24:25], v[28:29], -v[24:25]
	v_add_f64 v[28:29], v[38:39], -v[36:37]
	;; [unrolled: 1-line block ×5, first 2 shown]
	v_add_f64 v[16:17], v[16:17], v[28:29]
	v_add_f64 v[28:29], v[36:37], -v[34:35]
	v_add_f64 v[18:19], v[18:19], -v[28:29]
	;; [unrolled: 1-line block ×4, first 2 shown]
	v_add_f64 v[18:19], v[18:19], v[28:29]
	v_add_f64 v[24:25], v[26:27], -v[24:25]
	v_add_f64 v[16:17], v[18:19], v[16:17]
	v_fma_f64 v[18:19], v[22:23], v[20:21], -v[34:35]
	v_add_f64 v[26:27], v[24:25], v[38:39]
	v_add_f64 v[16:17], v[18:19], v[16:17]
	v_ldexp_f64 v[18:19], v[30:31], 2
	v_add_f64 v[20:21], v[26:27], v[18:19]
	v_cmp_gt_f64_e32 vcc, 0, v[20:21]
	v_cndmask_b32_e32 v11, 0, v1, vcc
	v_add_f64 v[18:19], v[18:19], v[10:11]
	v_add_f64 v[20:21], v[26:27], v[18:19]
	v_cvt_i32_f64_e32 v11, v[20:21]
	v_cvt_f64_i32_e32 v[20:21], v11
	v_add_f64 v[18:19], v[18:19], -v[20:21]
	v_add_f64 v[24:25], v[26:27], -v[24:25]
	v_add_f64 v[20:21], v[26:27], v[18:19]
	v_add_f64 v[24:25], v[38:39], -v[24:25]
	v_add_f64 v[18:19], v[20:21], -v[18:19]
	v_cmp_le_f64_e32 vcc, 0.5, v[20:21]
	v_add_f64 v[16:17], v[24:25], v[16:17]
	v_add_f64 v[18:19], v[26:27], -v[18:19]
	v_addc_co_u32_e64 v33, s[0:1], 0, v11, vcc
	v_cndmask_b32_e32 v11, 0, v15, vcc
	v_add_f64 v[16:17], v[16:17], v[18:19]
	v_add_f64 v[18:19], v[20:21], -v[10:11]
	v_add_f64 v[20:21], v[18:19], v[16:17]
	v_add_f64 v[18:19], v[20:21], -v[18:19]
	s_mov_b32 s24, s26
	v_add_f64 v[16:17], v[16:17], -v[18:19]
	v_mul_f64 v[18:19], v[20:21], s[24:25]
	v_fma_f64 v[22:23], v[20:21], s[24:25], -v[18:19]
	s_mov_b32 s31, s29
	v_fmac_f64_e32 v[22:23], s[30:31], v[20:21]
	v_fmac_f64_e32 v[22:23], s[24:25], v[16:17]
	v_add_f64 v[16:17], v[18:19], v[22:23]
	v_add_f64 v[18:19], v[16:17], -v[18:19]
	v_add_f64 v[18:19], v[22:23], -v[18:19]
.LBB92_6:                               ;   in Loop: Header=BB92_4 Depth=1
	s_andn2_saveexec_b64 s[0:1], s[70:71]
	s_cbranch_execz .LBB92_8
; %bb.7:                                ;   in Loop: Header=BB92_4 Depth=1
	v_mul_f64 v[16:17], |v[6:7]|, s[34:35]
	v_rndne_f64_e32 v[20:21], v[16:17]
	v_fma_f64 v[16:17], v[20:21], s[26:27], |v[6:7]|
	v_mul_f64 v[22:23], v[20:21], s[36:37]
	v_add_f64 v[26:27], v[16:17], v[22:23]
	v_fma_f64 v[18:19], s[36:37], v[20:21], v[16:17]
	s_mov_b32 s28, s36
	v_add_f64 v[16:17], v[16:17], -v[26:27]
	v_fma_f64 v[24:25], s[28:29], v[20:21], v[22:23]
	v_add_f64 v[16:17], v[16:17], v[22:23]
	v_add_f64 v[22:23], v[26:27], -v[18:19]
	v_add_f64 v[16:17], v[22:23], v[16:17]
	v_add_f64 v[22:23], v[16:17], -v[24:25]
	v_fmac_f64_e32 v[22:23], s[38:39], v[20:21]
	v_add_f64 v[16:17], v[18:19], v[22:23]
	v_add_f64 v[18:19], v[16:17], -v[18:19]
	v_add_f64 v[18:19], v[22:23], -v[18:19]
	v_cvt_i32_f64_e32 v33, v[20:21]
.LBB92_8:                               ;   in Loop: Header=BB92_4 Depth=1
	s_or_b64 exec, exec, s[0:1]
	v_cmp_nlt_f64_e64 s[0:1], |v[8:9]|, s[18:19]
                                        ; implicit-def: $vgpr34
                                        ; implicit-def: $vgpr20_vgpr21
                                        ; implicit-def: $vgpr22_vgpr23
	s_and_saveexec_b64 s[70:71], s[0:1]
	s_xor_b64 s[70:71], exec, s[70:71]
	s_cbranch_execz .LBB92_10
; %bb.9:                                ;   in Loop: Header=BB92_4 Depth=1
	v_and_b32_e32 v11, 0x7fffffff, v9
	v_ldexp_f64 v[24:25], |v[8:9]|, s76
	v_cmp_ge_f64_e64 vcc, |v[8:9]|, s[20:21]
	v_trig_preop_f64 v[20:21], |v[8:9]|, 0
	v_cndmask_b32_e32 v25, v11, v25, vcc
	v_cndmask_b32_e32 v24, v8, v24, vcc
	v_trig_preop_f64 v[22:23], |v[8:9]|, 1
	v_mul_f64 v[28:29], v[20:21], v[24:25]
	v_mul_f64 v[26:27], v[22:23], v[24:25]
	v_fma_f64 v[20:21], v[20:21], v[24:25], -v[28:29]
	v_add_f64 v[30:31], v[26:27], v[20:21]
	v_add_f64 v[34:35], v[28:29], v[30:31]
	v_ldexp_f64 v[36:37], v[34:35], -2
	v_fract_f64_e32 v[38:39], v[36:37]
	v_cmp_neq_f64_e64 vcc, |v[36:37]|, s[22:23]
	v_cndmask_b32_e32 v37, 0, v39, vcc
	v_cndmask_b32_e32 v36, 0, v38, vcc
	v_add_f64 v[38:39], v[30:31], -v[26:27]
	v_add_f64 v[20:21], v[20:21], -v[38:39]
	;; [unrolled: 1-line block ×4, first 2 shown]
	v_fma_f64 v[22:23], v[22:23], v[24:25], -v[26:27]
	v_trig_preop_f64 v[26:27], |v[8:9]|, 2
	v_add_f64 v[20:21], v[20:21], v[38:39]
	v_mul_f64 v[38:39], v[26:27], v[24:25]
	v_add_f64 v[40:41], v[38:39], v[22:23]
	v_add_f64 v[42:43], v[40:41], v[20:21]
	v_add_f64 v[28:29], v[34:35], -v[28:29]
	v_add_f64 v[34:35], v[42:43], -v[40:41]
	;; [unrolled: 1-line block ×5, first 2 shown]
	v_add_f64 v[20:21], v[20:21], v[34:35]
	v_add_f64 v[34:35], v[40:41], -v[38:39]
	v_add_f64 v[22:23], v[22:23], -v[34:35]
	;; [unrolled: 1-line block ×4, first 2 shown]
	v_add_f64 v[22:23], v[22:23], v[34:35]
	v_add_f64 v[28:29], v[30:31], -v[28:29]
	v_add_f64 v[20:21], v[22:23], v[20:21]
	v_fma_f64 v[22:23], v[26:27], v[24:25], -v[38:39]
	v_add_f64 v[30:31], v[28:29], v[42:43]
	v_add_f64 v[20:21], v[22:23], v[20:21]
	v_ldexp_f64 v[22:23], v[36:37], 2
	v_add_f64 v[24:25], v[30:31], v[22:23]
	v_cmp_gt_f64_e32 vcc, 0, v[24:25]
	v_cndmask_b32_e32 v11, 0, v1, vcc
	v_add_f64 v[22:23], v[22:23], v[10:11]
	v_add_f64 v[24:25], v[30:31], v[22:23]
	v_cvt_i32_f64_e32 v11, v[24:25]
	v_cvt_f64_i32_e32 v[24:25], v11
	v_add_f64 v[22:23], v[22:23], -v[24:25]
	v_add_f64 v[28:29], v[30:31], -v[28:29]
	v_add_f64 v[24:25], v[30:31], v[22:23]
	v_add_f64 v[28:29], v[42:43], -v[28:29]
	v_add_f64 v[22:23], v[24:25], -v[22:23]
	v_cmp_le_f64_e32 vcc, 0.5, v[24:25]
	v_add_f64 v[20:21], v[28:29], v[20:21]
	v_add_f64 v[22:23], v[30:31], -v[22:23]
	v_addc_co_u32_e64 v34, s[0:1], 0, v11, vcc
	v_cndmask_b32_e32 v11, 0, v15, vcc
	v_add_f64 v[20:21], v[20:21], v[22:23]
	v_add_f64 v[22:23], v[24:25], -v[10:11]
	v_add_f64 v[24:25], v[22:23], v[20:21]
	v_add_f64 v[22:23], v[24:25], -v[22:23]
	s_mov_b32 s24, s26
	v_add_f64 v[20:21], v[20:21], -v[22:23]
	v_mul_f64 v[22:23], v[24:25], s[24:25]
	v_fma_f64 v[26:27], v[24:25], s[24:25], -v[22:23]
	s_mov_b32 s31, s29
	v_fmac_f64_e32 v[26:27], s[30:31], v[24:25]
	v_fmac_f64_e32 v[26:27], s[24:25], v[20:21]
	v_add_f64 v[20:21], v[22:23], v[26:27]
	v_add_f64 v[22:23], v[20:21], -v[22:23]
	v_add_f64 v[22:23], v[26:27], -v[22:23]
.LBB92_10:                              ;   in Loop: Header=BB92_4 Depth=1
	s_andn2_saveexec_b64 s[0:1], s[70:71]
	s_cbranch_execz .LBB92_12
; %bb.11:                               ;   in Loop: Header=BB92_4 Depth=1
	v_mul_f64 v[20:21], |v[8:9]|, s[34:35]
	v_rndne_f64_e32 v[24:25], v[20:21]
	v_fma_f64 v[20:21], v[24:25], s[26:27], |v[8:9]|
	v_mul_f64 v[26:27], v[24:25], s[36:37]
	v_add_f64 v[30:31], v[20:21], v[26:27]
	v_fma_f64 v[22:23], s[36:37], v[24:25], v[20:21]
	s_mov_b32 s28, s36
	v_add_f64 v[20:21], v[20:21], -v[30:31]
	v_fma_f64 v[28:29], s[28:29], v[24:25], v[26:27]
	v_add_f64 v[20:21], v[20:21], v[26:27]
	v_add_f64 v[26:27], v[30:31], -v[22:23]
	v_add_f64 v[20:21], v[26:27], v[20:21]
	v_add_f64 v[26:27], v[20:21], -v[28:29]
	v_fmac_f64_e32 v[26:27], s[38:39], v[24:25]
	v_add_f64 v[20:21], v[22:23], v[26:27]
	v_add_f64 v[22:23], v[20:21], -v[22:23]
	v_add_f64 v[22:23], v[26:27], -v[22:23]
	v_cvt_i32_f64_e32 v34, v[24:25]
.LBB92_12:                              ;   in Loop: Header=BB92_4 Depth=1
	s_or_b64 exec, exec, s[0:1]
	s_waitcnt vmcnt(0)
	v_cmp_nlt_f64_e64 s[0:1], |v[2:3]|, s[18:19]
                                        ; implicit-def: $vgpr36
                                        ; implicit-def: $vgpr28_vgpr29
                                        ; implicit-def: $vgpr30_vgpr31
	s_and_saveexec_b64 s[70:71], s[0:1]
	s_xor_b64 s[70:71], exec, s[70:71]
	s_cbranch_execz .LBB92_14
; %bb.13:                               ;   in Loop: Header=BB92_4 Depth=1
	v_and_b32_e32 v11, 0x7fffffff, v3
	v_ldexp_f64 v[28:29], |v[2:3]|, s76
	v_cmp_ge_f64_e64 vcc, |v[2:3]|, s[20:21]
	v_trig_preop_f64 v[24:25], |v[2:3]|, 0
	v_cndmask_b32_e32 v29, v11, v29, vcc
	v_cndmask_b32_e32 v28, v2, v28, vcc
	v_trig_preop_f64 v[26:27], |v[2:3]|, 1
	v_mul_f64 v[36:37], v[24:25], v[28:29]
	v_mul_f64 v[30:31], v[26:27], v[28:29]
	v_fma_f64 v[24:25], v[24:25], v[28:29], -v[36:37]
	v_add_f64 v[38:39], v[30:31], v[24:25]
	v_add_f64 v[40:41], v[36:37], v[38:39]
	v_ldexp_f64 v[42:43], v[40:41], -2
	v_fract_f64_e32 v[44:45], v[42:43]
	v_cmp_neq_f64_e64 vcc, |v[42:43]|, s[22:23]
	v_cndmask_b32_e32 v43, 0, v45, vcc
	v_cndmask_b32_e32 v42, 0, v44, vcc
	v_add_f64 v[44:45], v[38:39], -v[30:31]
	v_add_f64 v[24:25], v[24:25], -v[44:45]
	;; [unrolled: 1-line block ×4, first 2 shown]
	v_fma_f64 v[26:27], v[26:27], v[28:29], -v[30:31]
	v_trig_preop_f64 v[30:31], |v[2:3]|, 2
	v_add_f64 v[24:25], v[24:25], v[44:45]
	v_mul_f64 v[44:45], v[30:31], v[28:29]
	v_add_f64 v[46:47], v[44:45], v[26:27]
	v_add_f64 v[48:49], v[46:47], v[24:25]
	v_add_f64 v[36:37], v[40:41], -v[36:37]
	v_add_f64 v[40:41], v[48:49], -v[46:47]
	;; [unrolled: 1-line block ×5, first 2 shown]
	v_add_f64 v[24:25], v[24:25], v[40:41]
	v_add_f64 v[40:41], v[46:47], -v[44:45]
	v_add_f64 v[26:27], v[26:27], -v[40:41]
	v_add_f64 v[40:41], v[46:47], -v[40:41]
	v_add_f64 v[40:41], v[44:45], -v[40:41]
	v_add_f64 v[26:27], v[26:27], v[40:41]
	v_add_f64 v[36:37], v[38:39], -v[36:37]
	v_add_f64 v[24:25], v[26:27], v[24:25]
	v_fma_f64 v[26:27], v[30:31], v[28:29], -v[44:45]
	v_add_f64 v[38:39], v[36:37], v[48:49]
	v_add_f64 v[24:25], v[26:27], v[24:25]
	v_ldexp_f64 v[26:27], v[42:43], 2
	v_add_f64 v[28:29], v[38:39], v[26:27]
	v_cmp_gt_f64_e32 vcc, 0, v[28:29]
	v_cndmask_b32_e32 v11, 0, v1, vcc
	v_add_f64 v[26:27], v[26:27], v[10:11]
	v_add_f64 v[28:29], v[38:39], v[26:27]
	v_cvt_i32_f64_e32 v11, v[28:29]
	v_cvt_f64_i32_e32 v[28:29], v11
	v_add_f64 v[26:27], v[26:27], -v[28:29]
	v_add_f64 v[36:37], v[38:39], -v[36:37]
	v_add_f64 v[28:29], v[38:39], v[26:27]
	v_add_f64 v[36:37], v[48:49], -v[36:37]
	v_add_f64 v[26:27], v[28:29], -v[26:27]
	v_cmp_le_f64_e32 vcc, 0.5, v[28:29]
	v_add_f64 v[24:25], v[36:37], v[24:25]
	v_add_f64 v[26:27], v[38:39], -v[26:27]
	v_addc_co_u32_e64 v36, s[0:1], 0, v11, vcc
	v_cndmask_b32_e32 v11, 0, v15, vcc
	v_add_f64 v[24:25], v[24:25], v[26:27]
	v_add_f64 v[26:27], v[28:29], -v[10:11]
	v_add_f64 v[28:29], v[26:27], v[24:25]
	v_add_f64 v[26:27], v[28:29], -v[26:27]
	s_mov_b32 s24, s26
	v_add_f64 v[24:25], v[24:25], -v[26:27]
	v_mul_f64 v[26:27], v[28:29], s[24:25]
	v_fma_f64 v[30:31], v[28:29], s[24:25], -v[26:27]
	s_mov_b32 s31, s29
	v_fmac_f64_e32 v[30:31], s[30:31], v[28:29]
	v_fmac_f64_e32 v[30:31], s[24:25], v[24:25]
	v_add_f64 v[28:29], v[26:27], v[30:31]
	v_add_f64 v[24:25], v[28:29], -v[26:27]
	v_add_f64 v[30:31], v[30:31], -v[24:25]
.LBB92_14:                              ;   in Loop: Header=BB92_4 Depth=1
	s_andn2_saveexec_b64 s[0:1], s[70:71]
	s_cbranch_execz .LBB92_16
; %bb.15:                               ;   in Loop: Header=BB92_4 Depth=1
	v_mul_f64 v[24:25], |v[2:3]|, s[34:35]
	v_rndne_f64_e32 v[24:25], v[24:25]
	v_fma_f64 v[26:27], v[24:25], s[26:27], |v[2:3]|
	v_mul_f64 v[28:29], v[24:25], s[36:37]
	v_add_f64 v[38:39], v[26:27], v[28:29]
	v_fma_f64 v[30:31], s[36:37], v[24:25], v[26:27]
	s_mov_b32 s28, s36
	v_add_f64 v[26:27], v[26:27], -v[38:39]
	v_fma_f64 v[36:37], s[28:29], v[24:25], v[28:29]
	v_add_f64 v[26:27], v[26:27], v[28:29]
	v_add_f64 v[28:29], v[38:39], -v[30:31]
	v_add_f64 v[26:27], v[28:29], v[26:27]
	v_add_f64 v[26:27], v[26:27], -v[36:37]
	v_fmac_f64_e32 v[26:27], s[38:39], v[24:25]
	v_add_f64 v[28:29], v[30:31], v[26:27]
	v_add_f64 v[30:31], v[28:29], -v[30:31]
	v_add_f64 v[30:31], v[26:27], -v[30:31]
	v_cvt_i32_f64_e32 v36, v[24:25]
.LBB92_16:                              ;   in Loop: Header=BB92_4 Depth=1
	s_or_b64 exec, exec, s[0:1]
	v_cmp_nlt_f64_e64 s[0:1], |v[4:5]|, s[18:19]
                                        ; implicit-def: $vgpr35
                                        ; implicit-def: $vgpr24_vgpr25
                                        ; implicit-def: $vgpr26_vgpr27
	s_and_saveexec_b64 s[70:71], s[0:1]
	s_xor_b64 s[70:71], exec, s[70:71]
	s_cbranch_execz .LBB92_18
; %bb.17:                               ;   in Loop: Header=BB92_4 Depth=1
	v_and_b32_e32 v11, 0x7fffffff, v5
	v_ldexp_f64 v[38:39], |v[4:5]|, s76
	v_cmp_ge_f64_e64 vcc, |v[4:5]|, s[20:21]
	v_trig_preop_f64 v[24:25], |v[4:5]|, 0
	v_cndmask_b32_e32 v39, v11, v39, vcc
	v_cndmask_b32_e32 v38, v4, v38, vcc
	v_trig_preop_f64 v[26:27], |v[4:5]|, 1
	v_mul_f64 v[42:43], v[24:25], v[38:39]
	v_mul_f64 v[40:41], v[26:27], v[38:39]
	v_fma_f64 v[24:25], v[24:25], v[38:39], -v[42:43]
	v_add_f64 v[44:45], v[40:41], v[24:25]
	v_add_f64 v[46:47], v[42:43], v[44:45]
	v_ldexp_f64 v[48:49], v[46:47], -2
	v_fract_f64_e32 v[50:51], v[48:49]
	v_cmp_neq_f64_e64 vcc, |v[48:49]|, s[22:23]
	v_cndmask_b32_e32 v49, 0, v51, vcc
	v_cndmask_b32_e32 v48, 0, v50, vcc
	v_add_f64 v[50:51], v[44:45], -v[40:41]
	v_add_f64 v[24:25], v[24:25], -v[50:51]
	;; [unrolled: 1-line block ×4, first 2 shown]
	v_fma_f64 v[26:27], v[26:27], v[38:39], -v[40:41]
	v_trig_preop_f64 v[40:41], |v[4:5]|, 2
	v_add_f64 v[24:25], v[24:25], v[50:51]
	v_mul_f64 v[50:51], v[40:41], v[38:39]
	v_add_f64 v[52:53], v[50:51], v[26:27]
	v_add_f64 v[54:55], v[52:53], v[24:25]
	v_add_f64 v[42:43], v[46:47], -v[42:43]
	v_add_f64 v[46:47], v[54:55], -v[52:53]
	;; [unrolled: 1-line block ×5, first 2 shown]
	v_add_f64 v[24:25], v[24:25], v[46:47]
	v_add_f64 v[46:47], v[52:53], -v[50:51]
	v_add_f64 v[26:27], v[26:27], -v[46:47]
	;; [unrolled: 1-line block ×4, first 2 shown]
	v_add_f64 v[26:27], v[26:27], v[46:47]
	v_add_f64 v[42:43], v[44:45], -v[42:43]
	v_add_f64 v[24:25], v[26:27], v[24:25]
	v_fma_f64 v[26:27], v[40:41], v[38:39], -v[50:51]
	v_add_f64 v[44:45], v[42:43], v[54:55]
	v_add_f64 v[24:25], v[26:27], v[24:25]
	v_ldexp_f64 v[26:27], v[48:49], 2
	v_add_f64 v[38:39], v[44:45], v[26:27]
	v_cmp_gt_f64_e32 vcc, 0, v[38:39]
	v_cndmask_b32_e32 v11, 0, v1, vcc
	v_add_f64 v[26:27], v[26:27], v[10:11]
	v_add_f64 v[38:39], v[44:45], v[26:27]
	v_cvt_i32_f64_e32 v11, v[38:39]
	v_cvt_f64_i32_e32 v[38:39], v11
	v_add_f64 v[26:27], v[26:27], -v[38:39]
	v_add_f64 v[42:43], v[44:45], -v[42:43]
	v_add_f64 v[38:39], v[44:45], v[26:27]
	v_add_f64 v[42:43], v[54:55], -v[42:43]
	v_add_f64 v[26:27], v[38:39], -v[26:27]
	v_cmp_le_f64_e32 vcc, 0.5, v[38:39]
	v_add_f64 v[24:25], v[42:43], v[24:25]
	v_add_f64 v[26:27], v[44:45], -v[26:27]
	v_addc_co_u32_e64 v35, s[0:1], 0, v11, vcc
	v_cndmask_b32_e32 v11, 0, v15, vcc
	v_add_f64 v[24:25], v[24:25], v[26:27]
	v_add_f64 v[26:27], v[38:39], -v[10:11]
	v_add_f64 v[38:39], v[26:27], v[24:25]
	v_add_f64 v[26:27], v[38:39], -v[26:27]
	s_mov_b32 s24, s26
	v_add_f64 v[24:25], v[24:25], -v[26:27]
	v_mul_f64 v[26:27], v[38:39], s[24:25]
	v_fma_f64 v[40:41], v[38:39], s[24:25], -v[26:27]
	s_mov_b32 s31, s29
	v_fmac_f64_e32 v[40:41], s[30:31], v[38:39]
	v_fmac_f64_e32 v[40:41], s[24:25], v[24:25]
	v_add_f64 v[24:25], v[26:27], v[40:41]
	v_add_f64 v[26:27], v[24:25], -v[26:27]
	v_add_f64 v[26:27], v[40:41], -v[26:27]
.LBB92_18:                              ;   in Loop: Header=BB92_4 Depth=1
	s_andn2_saveexec_b64 s[0:1], s[70:71]
	s_cbranch_execz .LBB92_3
; %bb.19:                               ;   in Loop: Header=BB92_4 Depth=1
	v_mul_f64 v[24:25], |v[4:5]|, s[34:35]
	v_rndne_f64_e32 v[38:39], v[24:25]
	v_fma_f64 v[24:25], v[38:39], s[26:27], |v[4:5]|
	v_mul_f64 v[40:41], v[38:39], s[36:37]
	v_add_f64 v[44:45], v[24:25], v[40:41]
	v_fma_f64 v[26:27], s[36:37], v[38:39], v[24:25]
	s_mov_b32 s28, s36
	v_add_f64 v[24:25], v[24:25], -v[44:45]
	v_fma_f64 v[42:43], s[28:29], v[38:39], v[40:41]
	v_add_f64 v[24:25], v[24:25], v[40:41]
	v_add_f64 v[40:41], v[44:45], -v[26:27]
	v_add_f64 v[24:25], v[40:41], v[24:25]
	v_add_f64 v[40:41], v[24:25], -v[42:43]
	v_fmac_f64_e32 v[40:41], s[38:39], v[38:39]
	v_add_f64 v[24:25], v[26:27], v[40:41]
	v_add_f64 v[26:27], v[24:25], -v[26:27]
	v_add_f64 v[26:27], v[40:41], -v[26:27]
	v_cvt_i32_f64_e32 v35, v[38:39]
	s_branch .LBB92_3
.LBB92_20:
	s_or_b64 exec, exec, s[14:15]
	s_mov_b64 s[0:1], 0
.LBB92_21:
	s_andn2_b64 vcc, exec, s[0:1]
	s_cbranch_vccnz .LBB92_57
; %bb.22:
	v_cmp_lt_i64_e64 s[0:1], s[12:13], 1
	s_and_b64 vcc, exec, s[0:1]
	s_cbranch_vccnz .LBB92_57
; %bb.23:
	s_load_dword s0, s[4:5], 0xc5c
	v_mov_b32_e32 v4, 0x10000
	v_mov_b32_e32 v5, 0
	v_mov_b32_e32 v2, 0
	v_cmp_lt_u64_e32 vcc, s[12:13], v[4:5]
	s_waitcnt lgkmcnt(0)
	s_and_b32 s4, s0, 0xffff
	v_lshlrev_b32_e32 v42, 3, v0
	s_and_b64 s[0:1], vcc, exec
	v_mov_b32_e32 v43, v2
	v_mov_b32_e32 v3, s7
	v_add_co_u32_e32 v4, vcc, s6, v42
	v_addc_co_u32_e32 v1, vcc, 0, v3, vcc
	v_mad_u64_u32 v[8:9], s[0:1], s4, 24, v[42:43]
	v_add_co_u32_e32 v6, vcc, s6, v8
	v_addc_co_u32_e32 v5, vcc, v3, v9, vcc
	v_mov_b32_e32 v46, s3
	v_add_co_u32_e32 v8, vcc, s2, v8
	s_mul_i32 s8, s4, 3
	v_addc_co_u32_e32 v7, vcc, v46, v9, vcc
	v_add_co_u32_e32 v45, vcc, s8, v0
	v_addc_co_u32_e64 v70, s[0:1], 0, 0, vcc
	s_cselect_b32 s15, s13, 0
	s_cselect_b32 s14, s12, 0x10000
	s_lshl_b32 s0, s4, 4
	v_add_co_u32_e32 v11, vcc, s0, v42
	v_addc_co_u32_e64 v13, s[0:1], 0, 0, vcc
	v_add_co_u32_e32 v10, vcc, s6, v11
	v_addc_co_u32_e32 v9, vcc, v3, v13, vcc
	v_add_co_u32_e32 v12, vcc, s2, v11
	s_lshl_b32 s5, s4, 1
	v_addc_co_u32_e32 v11, vcc, v46, v13, vcc
	v_add_co_u32_e32 v71, vcc, s5, v0
	v_addc_co_u32_e64 v72, s[0:1], 0, 0, vcc
	v_add_co_u32_e32 v73, vcc, s4, v0
	v_lshlrev_b32_e32 v43, 3, v73
	v_addc_co_u32_e64 v74, s[0:1], 0, 0, vcc
	v_add_co_u32_e32 v40, vcc, s6, v43
	v_addc_co_u32_e32 v13, vcc, 0, v3, vcc
	v_add_co_u32_e32 v42, vcc, s2, v42
	v_addc_co_u32_e32 v41, vcc, 0, v46, vcc
	s_mov_b32 s18, 0
	s_mov_b32 s20, 0
	;; [unrolled: 1-line block ×8, first 2 shown]
	v_add_co_u32_e32 v44, vcc, s2, v43
	s_mov_b32 s33, 0
	s_lshl_b32 s44, s4, 2
	s_lshl_b32 s45, s4, 5
	s_mov_b64 s[16:17], 0
	s_mov_b32 s19, 0x41d00000
	s_mov_b32 s21, 0x7b000000
	s_movk_i32 s46, 0xff80
	s_mov_b32 s23, 0x7ff00000
	s_mov_b32 s25, 0x3ff921fb
	;; [unrolled: 1-line block ×9, first 2 shown]
	s_movk_i32 s47, 0x1f8
	v_mov_b32_e32 v14, 0xa9a29f71
	v_mov_b32_e32 v15, 0xbf078809
	;; [unrolled: 1-line block ×26, first 2 shown]
	v_addc_co_u32_e32 v43, vcc, 0, v46, vcc
	v_mov_b32_e32 v75, 0x40100000
	v_mov_b32_e32 v76, 0x3ff00000
	;; [unrolled: 1-line block ×3, first 2 shown]
	s_branch .LBB92_25
.LBB92_24:                              ;   in Loop: Header=BB92_25 Depth=1
	s_or_b64 exec, exec, s[0:1]
	s_add_u32 s16, s16, s44
	s_addc_u32 s17, s17, 0
	v_pk_mov_b32 v[46:47], s[12:13], s[12:13] op_sel:[0,1]
	v_cmp_ge_i64_e32 vcc, s[16:17], v[46:47]
	v_mov_b32_e32 v46, 0xffff
	v_mov_b32_e32 v47, 0
	v_cmp_gt_u64_e64 s[0:1], s[16:17], v[46:47]
	s_or_b64 s[0:1], vcc, s[0:1]
	v_mov_b32_e32 v3, s33
	v_add_co_u32_e32 v4, vcc, s45, v4
	v_addc_co_u32_e32 v1, vcc, v1, v3, vcc
	v_add_co_u32_e32 v42, vcc, s45, v42
	v_addc_co_u32_e32 v41, vcc, v41, v3, vcc
	;; [unrolled: 2-line block ×8, first 2 shown]
	s_and_b64 vcc, exec, s[0:1]
	s_cbranch_vccnz .LBB92_57
.LBB92_25:                              ; =>This Inner Loop Header: Depth=1
	v_mov_b32_e32 v3, s17
	v_add_co_u32_e32 v46, vcc, s16, v0
	v_addc_co_u32_e32 v47, vcc, 0, v3, vcc
	v_cmp_gt_u64_e64 s[4:5], s[14:15], v[46:47]
	v_mov_b32_e32 v52, 0
	v_mov_b32_e32 v53, 0
	s_and_saveexec_b64 s[0:1], s[4:5]
	s_cbranch_execz .LBB92_27
; %bb.26:                               ;   in Loop: Header=BB92_25 Depth=1
	v_mov_b32_e32 v3, s11
	v_add_co_u32_e32 v46, vcc, s10, v4
	v_addc_co_u32_e32 v47, vcc, v1, v3, vcc
	global_load_dwordx2 v[52:53], v[46:47], off
.LBB92_27:                              ;   in Loop: Header=BB92_25 Depth=1
	s_or_b64 exec, exec, s[0:1]
	v_mov_b32_e32 v3, s17
	v_add_co_u32_e32 v46, vcc, s16, v73
	v_addc_co_u32_e32 v47, vcc, v74, v3, vcc
	v_cmp_gt_u64_e64 s[2:3], s[14:15], v[46:47]
	v_mov_b32_e32 v48, 0
	v_mov_b32_e32 v50, 0
	;; [unrolled: 1-line block ×3, first 2 shown]
	s_and_saveexec_b64 s[0:1], s[2:3]
	s_cbranch_execz .LBB92_29
; %bb.28:                               ;   in Loop: Header=BB92_25 Depth=1
	v_mov_b32_e32 v3, s11
	v_add_co_u32_e32 v46, vcc, s10, v40
	v_addc_co_u32_e32 v47, vcc, v13, v3, vcc
	global_load_dwordx2 v[50:51], v[46:47], off
.LBB92_29:                              ;   in Loop: Header=BB92_25 Depth=1
	s_or_b64 exec, exec, s[0:1]
	v_mov_b32_e32 v3, s17
	v_add_co_u32_e32 v46, vcc, s16, v71
	v_addc_co_u32_e32 v47, vcc, v72, v3, vcc
	v_cmp_gt_u64_e64 s[0:1], s[14:15], v[46:47]
	v_mov_b32_e32 v49, 0
	s_and_saveexec_b64 s[6:7], s[0:1]
	s_cbranch_execz .LBB92_31
; %bb.30:                               ;   in Loop: Header=BB92_25 Depth=1
	v_mov_b32_e32 v3, s11
	v_add_co_u32_e32 v46, vcc, s10, v10
	v_addc_co_u32_e32 v47, vcc, v9, v3, vcc
	global_load_dwordx2 v[48:49], v[46:47], off
.LBB92_31:                              ;   in Loop: Header=BB92_25 Depth=1
	s_or_b64 exec, exec, s[6:7]
	v_mov_b32_e32 v3, s17
	v_add_co_u32_e32 v46, vcc, s16, v45
	v_addc_co_u32_e32 v47, vcc, v70, v3, vcc
	v_cmp_gt_u64_e32 vcc, s[14:15], v[46:47]
	v_pk_mov_b32 v[46:47], 0, 0
	s_and_saveexec_b64 s[8:9], vcc
	s_cbranch_execz .LBB92_33
; %bb.32:                               ;   in Loop: Header=BB92_25 Depth=1
	v_mov_b32_e32 v3, s11
	v_add_co_u32_e64 v46, s[6:7], s10, v6
	v_addc_co_u32_e64 v47, s[6:7], v5, v3, s[6:7]
	global_load_dwordx2 v[46:47], v[46:47], off
.LBB92_33:                              ;   in Loop: Header=BB92_25 Depth=1
	s_or_b64 exec, exec, s[8:9]
	s_waitcnt vmcnt(0)
	v_cmp_nlt_f64_e64 s[6:7], |v[52:53]|, s[18:19]
                                        ; implicit-def: $vgpr78
                                        ; implicit-def: $vgpr54_vgpr55
                                        ; implicit-def: $vgpr56_vgpr57
	s_and_saveexec_b64 s[8:9], s[6:7]
	s_xor_b64 s[42:43], exec, s[8:9]
	s_cbranch_execz .LBB92_35
; %bb.34:                               ;   in Loop: Header=BB92_25 Depth=1
	v_and_b32_e32 v3, 0x7fffffff, v53
	v_ldexp_f64 v[58:59], |v[52:53]|, s46
	v_cmp_ge_f64_e64 s[6:7], |v[52:53]|, s[20:21]
	v_trig_preop_f64 v[54:55], |v[52:53]|, 0
	v_cndmask_b32_e64 v59, v3, v59, s[6:7]
	v_cndmask_b32_e64 v58, v52, v58, s[6:7]
	v_trig_preop_f64 v[56:57], |v[52:53]|, 1
	v_mul_f64 v[62:63], v[54:55], v[58:59]
	v_mul_f64 v[60:61], v[56:57], v[58:59]
	v_fma_f64 v[54:55], v[54:55], v[58:59], -v[62:63]
	v_add_f64 v[64:65], v[60:61], v[54:55]
	v_add_f64 v[66:67], v[62:63], v[64:65]
	v_ldexp_f64 v[68:69], v[66:67], -2
	v_fract_f64_e32 v[78:79], v[68:69]
	v_cmp_neq_f64_e64 s[6:7], |v[68:69]|, s[22:23]
	v_cndmask_b32_e64 v69, 0, v79, s[6:7]
	v_cndmask_b32_e64 v68, 0, v78, s[6:7]
	v_add_f64 v[78:79], v[64:65], -v[60:61]
	v_add_f64 v[54:55], v[54:55], -v[78:79]
	;; [unrolled: 1-line block ×4, first 2 shown]
	v_fma_f64 v[56:57], v[56:57], v[58:59], -v[60:61]
	v_trig_preop_f64 v[60:61], |v[52:53]|, 2
	v_add_f64 v[54:55], v[54:55], v[78:79]
	v_mul_f64 v[78:79], v[60:61], v[58:59]
	v_add_f64 v[80:81], v[78:79], v[56:57]
	v_add_f64 v[82:83], v[80:81], v[54:55]
	v_add_f64 v[62:63], v[66:67], -v[62:63]
	v_add_f64 v[66:67], v[82:83], -v[80:81]
	;; [unrolled: 1-line block ×5, first 2 shown]
	v_add_f64 v[54:55], v[54:55], v[66:67]
	v_add_f64 v[66:67], v[80:81], -v[78:79]
	v_add_f64 v[56:57], v[56:57], -v[66:67]
	;; [unrolled: 1-line block ×4, first 2 shown]
	v_add_f64 v[56:57], v[56:57], v[66:67]
	v_add_f64 v[62:63], v[64:65], -v[62:63]
	v_add_f64 v[54:55], v[56:57], v[54:55]
	v_fma_f64 v[56:57], v[60:61], v[58:59], -v[78:79]
	v_add_f64 v[64:65], v[62:63], v[82:83]
	v_add_f64 v[54:55], v[56:57], v[54:55]
	v_ldexp_f64 v[56:57], v[68:69], 2
	v_add_f64 v[58:59], v[64:65], v[56:57]
	v_cmp_gt_f64_e64 s[6:7], 0, v[58:59]
	v_cndmask_b32_e64 v3, 0, v75, s[6:7]
	v_add_f64 v[56:57], v[56:57], v[2:3]
	v_add_f64 v[58:59], v[64:65], v[56:57]
	v_cvt_i32_f64_e32 v3, v[58:59]
	v_cvt_f64_i32_e32 v[58:59], v3
	v_add_f64 v[56:57], v[56:57], -v[58:59]
	v_add_f64 v[62:63], v[64:65], -v[62:63]
	v_add_f64 v[58:59], v[64:65], v[56:57]
	v_add_f64 v[62:63], v[82:83], -v[62:63]
	v_add_f64 v[56:57], v[58:59], -v[56:57]
	v_cmp_le_f64_e64 s[6:7], 0.5, v[58:59]
	v_add_f64 v[54:55], v[62:63], v[54:55]
	v_add_f64 v[56:57], v[64:65], -v[56:57]
	v_addc_co_u32_e64 v78, s[8:9], 0, v3, s[6:7]
	v_cndmask_b32_e64 v3, 0, v76, s[6:7]
	v_add_f64 v[54:55], v[54:55], v[56:57]
	v_add_f64 v[56:57], v[58:59], -v[2:3]
	v_add_f64 v[58:59], v[56:57], v[54:55]
	v_add_f64 v[56:57], v[58:59], -v[56:57]
	s_mov_b32 s24, s26
	v_add_f64 v[54:55], v[54:55], -v[56:57]
	v_mul_f64 v[56:57], v[58:59], s[24:25]
	v_fma_f64 v[60:61], v[58:59], s[24:25], -v[56:57]
	s_mov_b32 s31, s29
	v_fmac_f64_e32 v[60:61], s[30:31], v[58:59]
	v_fmac_f64_e32 v[60:61], s[24:25], v[54:55]
	v_add_f64 v[54:55], v[56:57], v[60:61]
	v_add_f64 v[56:57], v[54:55], -v[56:57]
	v_add_f64 v[56:57], v[60:61], -v[56:57]
.LBB92_35:                              ;   in Loop: Header=BB92_25 Depth=1
	s_andn2_saveexec_b64 s[6:7], s[42:43]
	s_cbranch_execz .LBB92_37
; %bb.36:                               ;   in Loop: Header=BB92_25 Depth=1
	v_mul_f64 v[54:55], |v[52:53]|, s[34:35]
	v_rndne_f64_e32 v[58:59], v[54:55]
	v_fma_f64 v[54:55], v[58:59], s[26:27], |v[52:53]|
	v_mul_f64 v[60:61], v[58:59], s[36:37]
	v_add_f64 v[64:65], v[54:55], v[60:61]
	v_fma_f64 v[56:57], s[36:37], v[58:59], v[54:55]
	s_mov_b32 s28, s36
	v_add_f64 v[54:55], v[54:55], -v[64:65]
	v_fma_f64 v[62:63], s[28:29], v[58:59], v[60:61]
	v_add_f64 v[54:55], v[54:55], v[60:61]
	v_add_f64 v[60:61], v[64:65], -v[56:57]
	v_add_f64 v[54:55], v[60:61], v[54:55]
	v_add_f64 v[60:61], v[54:55], -v[62:63]
	v_fmac_f64_e32 v[60:61], s[38:39], v[58:59]
	v_add_f64 v[54:55], v[56:57], v[60:61]
	v_add_f64 v[56:57], v[54:55], -v[56:57]
	v_add_f64 v[56:57], v[60:61], -v[56:57]
	v_cvt_i32_f64_e32 v78, v[58:59]
.LBB92_37:                              ;   in Loop: Header=BB92_25 Depth=1
	s_or_b64 exec, exec, s[6:7]
	v_cmp_nlt_f64_e64 s[6:7], |v[50:51]|, s[18:19]
                                        ; implicit-def: $vgpr79
                                        ; implicit-def: $vgpr58_vgpr59
                                        ; implicit-def: $vgpr60_vgpr61
	s_and_saveexec_b64 s[8:9], s[6:7]
	s_xor_b64 s[42:43], exec, s[8:9]
	s_cbranch_execz .LBB92_39
; %bb.38:                               ;   in Loop: Header=BB92_25 Depth=1
	v_and_b32_e32 v3, 0x7fffffff, v51
	v_ldexp_f64 v[62:63], |v[50:51]|, s46
	v_cmp_ge_f64_e64 s[6:7], |v[50:51]|, s[20:21]
	v_trig_preop_f64 v[58:59], |v[50:51]|, 0
	v_cndmask_b32_e64 v63, v3, v63, s[6:7]
	v_cndmask_b32_e64 v62, v50, v62, s[6:7]
	v_trig_preop_f64 v[60:61], |v[50:51]|, 1
	v_mul_f64 v[66:67], v[58:59], v[62:63]
	v_mul_f64 v[64:65], v[60:61], v[62:63]
	v_fma_f64 v[58:59], v[58:59], v[62:63], -v[66:67]
	v_add_f64 v[68:69], v[64:65], v[58:59]
	v_add_f64 v[80:81], v[66:67], v[68:69]
	v_ldexp_f64 v[82:83], v[80:81], -2
	v_fract_f64_e32 v[84:85], v[82:83]
	v_cmp_neq_f64_e64 s[6:7], |v[82:83]|, s[22:23]
	v_cndmask_b32_e64 v83, 0, v85, s[6:7]
	v_cndmask_b32_e64 v82, 0, v84, s[6:7]
	v_add_f64 v[84:85], v[68:69], -v[64:65]
	v_add_f64 v[58:59], v[58:59], -v[84:85]
	;; [unrolled: 1-line block ×4, first 2 shown]
	v_fma_f64 v[60:61], v[60:61], v[62:63], -v[64:65]
	v_trig_preop_f64 v[64:65], |v[50:51]|, 2
	v_add_f64 v[58:59], v[58:59], v[84:85]
	v_mul_f64 v[84:85], v[64:65], v[62:63]
	v_add_f64 v[86:87], v[84:85], v[60:61]
	v_add_f64 v[88:89], v[86:87], v[58:59]
	v_add_f64 v[66:67], v[80:81], -v[66:67]
	v_add_f64 v[80:81], v[88:89], -v[86:87]
	;; [unrolled: 1-line block ×5, first 2 shown]
	v_add_f64 v[58:59], v[58:59], v[80:81]
	v_add_f64 v[80:81], v[86:87], -v[84:85]
	v_add_f64 v[60:61], v[60:61], -v[80:81]
	;; [unrolled: 1-line block ×4, first 2 shown]
	v_add_f64 v[60:61], v[60:61], v[80:81]
	v_add_f64 v[66:67], v[68:69], -v[66:67]
	v_add_f64 v[58:59], v[60:61], v[58:59]
	v_fma_f64 v[60:61], v[64:65], v[62:63], -v[84:85]
	v_add_f64 v[68:69], v[66:67], v[88:89]
	v_add_f64 v[58:59], v[60:61], v[58:59]
	v_ldexp_f64 v[60:61], v[82:83], 2
	v_add_f64 v[62:63], v[68:69], v[60:61]
	v_cmp_gt_f64_e64 s[6:7], 0, v[62:63]
	v_cndmask_b32_e64 v3, 0, v75, s[6:7]
	v_add_f64 v[60:61], v[60:61], v[2:3]
	v_add_f64 v[62:63], v[68:69], v[60:61]
	v_cvt_i32_f64_e32 v3, v[62:63]
	v_cvt_f64_i32_e32 v[62:63], v3
	v_add_f64 v[60:61], v[60:61], -v[62:63]
	v_add_f64 v[66:67], v[68:69], -v[66:67]
	v_add_f64 v[62:63], v[68:69], v[60:61]
	v_add_f64 v[66:67], v[88:89], -v[66:67]
	v_add_f64 v[60:61], v[62:63], -v[60:61]
	v_cmp_le_f64_e64 s[6:7], 0.5, v[62:63]
	v_add_f64 v[58:59], v[66:67], v[58:59]
	v_add_f64 v[60:61], v[68:69], -v[60:61]
	v_addc_co_u32_e64 v79, s[8:9], 0, v3, s[6:7]
	v_cndmask_b32_e64 v3, 0, v76, s[6:7]
	v_add_f64 v[58:59], v[58:59], v[60:61]
	v_add_f64 v[60:61], v[62:63], -v[2:3]
	v_add_f64 v[62:63], v[60:61], v[58:59]
	v_add_f64 v[60:61], v[62:63], -v[60:61]
	s_mov_b32 s24, s26
	v_add_f64 v[58:59], v[58:59], -v[60:61]
	v_mul_f64 v[60:61], v[62:63], s[24:25]
	v_fma_f64 v[64:65], v[62:63], s[24:25], -v[60:61]
	s_mov_b32 s31, s29
	v_fmac_f64_e32 v[64:65], s[30:31], v[62:63]
	v_fmac_f64_e32 v[64:65], s[24:25], v[58:59]
	v_add_f64 v[58:59], v[60:61], v[64:65]
	v_add_f64 v[60:61], v[58:59], -v[60:61]
	v_add_f64 v[60:61], v[64:65], -v[60:61]
.LBB92_39:                              ;   in Loop: Header=BB92_25 Depth=1
	s_andn2_saveexec_b64 s[6:7], s[42:43]
	s_cbranch_execz .LBB92_41
; %bb.40:                               ;   in Loop: Header=BB92_25 Depth=1
	v_mul_f64 v[58:59], |v[50:51]|, s[34:35]
	v_rndne_f64_e32 v[62:63], v[58:59]
	v_fma_f64 v[58:59], v[62:63], s[26:27], |v[50:51]|
	v_mul_f64 v[64:65], v[62:63], s[36:37]
	v_add_f64 v[68:69], v[58:59], v[64:65]
	v_fma_f64 v[60:61], s[36:37], v[62:63], v[58:59]
	s_mov_b32 s28, s36
	v_add_f64 v[58:59], v[58:59], -v[68:69]
	v_fma_f64 v[66:67], s[28:29], v[62:63], v[64:65]
	v_add_f64 v[58:59], v[58:59], v[64:65]
	v_add_f64 v[64:65], v[68:69], -v[60:61]
	v_add_f64 v[58:59], v[64:65], v[58:59]
	v_add_f64 v[64:65], v[58:59], -v[66:67]
	v_fmac_f64_e32 v[64:65], s[38:39], v[62:63]
	v_add_f64 v[58:59], v[60:61], v[64:65]
	v_add_f64 v[60:61], v[58:59], -v[60:61]
	v_add_f64 v[60:61], v[64:65], -v[60:61]
	v_cvt_i32_f64_e32 v79, v[62:63]
.LBB92_41:                              ;   in Loop: Header=BB92_25 Depth=1
	s_or_b64 exec, exec, s[6:7]
	v_cmp_nlt_f64_e64 s[6:7], |v[48:49]|, s[18:19]
                                        ; implicit-def: $vgpr80
                                        ; implicit-def: $vgpr62_vgpr63
                                        ; implicit-def: $vgpr64_vgpr65
	s_and_saveexec_b64 s[8:9], s[6:7]
	s_xor_b64 s[42:43], exec, s[8:9]
	s_cbranch_execz .LBB92_43
; %bb.42:                               ;   in Loop: Header=BB92_25 Depth=1
	v_and_b32_e32 v3, 0x7fffffff, v49
	v_ldexp_f64 v[66:67], |v[48:49]|, s46
	v_cmp_ge_f64_e64 s[6:7], |v[48:49]|, s[20:21]
	v_trig_preop_f64 v[62:63], |v[48:49]|, 0
	v_cndmask_b32_e64 v67, v3, v67, s[6:7]
	v_cndmask_b32_e64 v66, v48, v66, s[6:7]
	v_trig_preop_f64 v[64:65], |v[48:49]|, 1
	v_mul_f64 v[80:81], v[62:63], v[66:67]
	v_mul_f64 v[68:69], v[64:65], v[66:67]
	v_fma_f64 v[62:63], v[62:63], v[66:67], -v[80:81]
	v_add_f64 v[82:83], v[68:69], v[62:63]
	v_add_f64 v[84:85], v[80:81], v[82:83]
	v_ldexp_f64 v[86:87], v[84:85], -2
	v_fract_f64_e32 v[88:89], v[86:87]
	v_cmp_neq_f64_e64 s[6:7], |v[86:87]|, s[22:23]
	v_cndmask_b32_e64 v87, 0, v89, s[6:7]
	v_cndmask_b32_e64 v86, 0, v88, s[6:7]
	v_add_f64 v[88:89], v[82:83], -v[68:69]
	v_add_f64 v[62:63], v[62:63], -v[88:89]
	;; [unrolled: 1-line block ×4, first 2 shown]
	v_fma_f64 v[64:65], v[64:65], v[66:67], -v[68:69]
	v_trig_preop_f64 v[68:69], |v[48:49]|, 2
	v_add_f64 v[62:63], v[62:63], v[88:89]
	v_mul_f64 v[88:89], v[68:69], v[66:67]
	v_add_f64 v[90:91], v[88:89], v[64:65]
	v_add_f64 v[92:93], v[90:91], v[62:63]
	v_add_f64 v[80:81], v[84:85], -v[80:81]
	v_add_f64 v[84:85], v[92:93], -v[90:91]
	;; [unrolled: 1-line block ×5, first 2 shown]
	v_add_f64 v[62:63], v[62:63], v[84:85]
	v_add_f64 v[84:85], v[90:91], -v[88:89]
	v_add_f64 v[64:65], v[64:65], -v[84:85]
	;; [unrolled: 1-line block ×4, first 2 shown]
	v_add_f64 v[64:65], v[64:65], v[84:85]
	v_add_f64 v[80:81], v[82:83], -v[80:81]
	v_add_f64 v[62:63], v[64:65], v[62:63]
	v_fma_f64 v[64:65], v[68:69], v[66:67], -v[88:89]
	v_add_f64 v[82:83], v[80:81], v[92:93]
	v_add_f64 v[62:63], v[64:65], v[62:63]
	v_ldexp_f64 v[64:65], v[86:87], 2
	v_add_f64 v[66:67], v[82:83], v[64:65]
	v_cmp_gt_f64_e64 s[6:7], 0, v[66:67]
	v_cndmask_b32_e64 v3, 0, v75, s[6:7]
	v_add_f64 v[64:65], v[64:65], v[2:3]
	v_add_f64 v[66:67], v[82:83], v[64:65]
	v_cvt_i32_f64_e32 v3, v[66:67]
	v_cvt_f64_i32_e32 v[66:67], v3
	v_add_f64 v[64:65], v[64:65], -v[66:67]
	v_add_f64 v[80:81], v[82:83], -v[80:81]
	v_add_f64 v[66:67], v[82:83], v[64:65]
	v_add_f64 v[80:81], v[92:93], -v[80:81]
	v_add_f64 v[64:65], v[66:67], -v[64:65]
	v_cmp_le_f64_e64 s[6:7], 0.5, v[66:67]
	v_add_f64 v[62:63], v[80:81], v[62:63]
	v_add_f64 v[64:65], v[82:83], -v[64:65]
	v_addc_co_u32_e64 v80, s[8:9], 0, v3, s[6:7]
	v_cndmask_b32_e64 v3, 0, v76, s[6:7]
	v_add_f64 v[62:63], v[62:63], v[64:65]
	v_add_f64 v[64:65], v[66:67], -v[2:3]
	v_add_f64 v[66:67], v[64:65], v[62:63]
	v_add_f64 v[64:65], v[66:67], -v[64:65]
	s_mov_b32 s24, s26
	v_add_f64 v[62:63], v[62:63], -v[64:65]
	v_mul_f64 v[64:65], v[66:67], s[24:25]
	v_fma_f64 v[68:69], v[66:67], s[24:25], -v[64:65]
	s_mov_b32 s31, s29
	v_fmac_f64_e32 v[68:69], s[30:31], v[66:67]
	v_fmac_f64_e32 v[68:69], s[24:25], v[62:63]
	v_add_f64 v[62:63], v[64:65], v[68:69]
	v_add_f64 v[64:65], v[62:63], -v[64:65]
	v_add_f64 v[64:65], v[68:69], -v[64:65]
.LBB92_43:                              ;   in Loop: Header=BB92_25 Depth=1
	s_andn2_saveexec_b64 s[6:7], s[42:43]
	s_cbranch_execz .LBB92_45
; %bb.44:                               ;   in Loop: Header=BB92_25 Depth=1
	v_mul_f64 v[62:63], |v[48:49]|, s[34:35]
	v_rndne_f64_e32 v[66:67], v[62:63]
	v_fma_f64 v[62:63], v[66:67], s[26:27], |v[48:49]|
	v_mul_f64 v[68:69], v[66:67], s[36:37]
	v_add_f64 v[82:83], v[62:63], v[68:69]
	v_fma_f64 v[64:65], s[36:37], v[66:67], v[62:63]
	s_mov_b32 s28, s36
	v_add_f64 v[62:63], v[62:63], -v[82:83]
	v_fma_f64 v[80:81], s[28:29], v[66:67], v[68:69]
	v_add_f64 v[62:63], v[62:63], v[68:69]
	v_add_f64 v[68:69], v[82:83], -v[64:65]
	v_add_f64 v[62:63], v[68:69], v[62:63]
	v_add_f64 v[68:69], v[62:63], -v[80:81]
	v_fmac_f64_e32 v[68:69], s[38:39], v[66:67]
	v_add_f64 v[62:63], v[64:65], v[68:69]
	v_add_f64 v[64:65], v[62:63], -v[64:65]
	v_add_f64 v[64:65], v[68:69], -v[64:65]
	v_cvt_i32_f64_e32 v80, v[66:67]
.LBB92_45:                              ;   in Loop: Header=BB92_25 Depth=1
	s_or_b64 exec, exec, s[6:7]
	v_cmp_nlt_f64_e64 s[6:7], |v[46:47]|, s[18:19]
                                        ; implicit-def: $vgpr81
                                        ; implicit-def: $vgpr66_vgpr67
                                        ; implicit-def: $vgpr68_vgpr69
	s_and_saveexec_b64 s[8:9], s[6:7]
	s_xor_b64 s[42:43], exec, s[8:9]
	s_cbranch_execnz .LBB92_51
; %bb.46:                               ;   in Loop: Header=BB92_25 Depth=1
	s_andn2_saveexec_b64 s[6:7], s[42:43]
	s_cbranch_execnz .LBB92_52
.LBB92_47:                              ;   in Loop: Header=BB92_25 Depth=1
	s_or_b64 exec, exec, s[6:7]
	s_and_saveexec_b64 s[6:7], s[4:5]
	s_xor_b64 s[6:7], exec, s[6:7]
	s_cbranch_execnz .LBB92_53
.LBB92_48:                              ;   in Loop: Header=BB92_25 Depth=1
	s_or_b64 exec, exec, s[6:7]
	s_and_saveexec_b64 s[4:5], s[2:3]
	s_cbranch_execnz .LBB92_54
.LBB92_49:                              ;   in Loop: Header=BB92_25 Depth=1
	s_or_b64 exec, exec, s[4:5]
	s_and_saveexec_b64 s[2:3], s[0:1]
	s_cbranch_execnz .LBB92_55
.LBB92_50:                              ;   in Loop: Header=BB92_25 Depth=1
	s_or_b64 exec, exec, s[2:3]
	s_and_saveexec_b64 s[0:1], vcc
	s_cbranch_execz .LBB92_24
	s_branch .LBB92_56
.LBB92_51:                              ;   in Loop: Header=BB92_25 Depth=1
	v_and_b32_e32 v3, 0x7fffffff, v47
	v_ldexp_f64 v[82:83], |v[46:47]|, s46
	v_cmp_ge_f64_e64 s[6:7], |v[46:47]|, s[20:21]
	v_trig_preop_f64 v[66:67], |v[46:47]|, 0
	v_cndmask_b32_e64 v83, v3, v83, s[6:7]
	v_cndmask_b32_e64 v82, v46, v82, s[6:7]
	v_trig_preop_f64 v[68:69], |v[46:47]|, 1
	v_mul_f64 v[86:87], v[66:67], v[82:83]
	v_mul_f64 v[84:85], v[68:69], v[82:83]
	v_fma_f64 v[66:67], v[66:67], v[82:83], -v[86:87]
	v_add_f64 v[88:89], v[84:85], v[66:67]
	v_add_f64 v[90:91], v[86:87], v[88:89]
	v_ldexp_f64 v[92:93], v[90:91], -2
	v_fract_f64_e32 v[94:95], v[92:93]
	v_cmp_neq_f64_e64 s[6:7], |v[92:93]|, s[22:23]
	v_cndmask_b32_e64 v93, 0, v95, s[6:7]
	v_cndmask_b32_e64 v92, 0, v94, s[6:7]
	v_add_f64 v[94:95], v[88:89], -v[84:85]
	v_add_f64 v[66:67], v[66:67], -v[94:95]
	;; [unrolled: 1-line block ×4, first 2 shown]
	v_fma_f64 v[68:69], v[68:69], v[82:83], -v[84:85]
	v_trig_preop_f64 v[84:85], |v[46:47]|, 2
	v_add_f64 v[66:67], v[66:67], v[94:95]
	v_mul_f64 v[94:95], v[84:85], v[82:83]
	v_add_f64 v[96:97], v[94:95], v[68:69]
	v_add_f64 v[98:99], v[96:97], v[66:67]
	v_add_f64 v[86:87], v[90:91], -v[86:87]
	v_add_f64 v[90:91], v[98:99], -v[96:97]
	;; [unrolled: 1-line block ×5, first 2 shown]
	v_add_f64 v[66:67], v[66:67], v[90:91]
	v_add_f64 v[90:91], v[96:97], -v[94:95]
	v_add_f64 v[68:69], v[68:69], -v[90:91]
	;; [unrolled: 1-line block ×4, first 2 shown]
	v_add_f64 v[68:69], v[68:69], v[90:91]
	v_add_f64 v[86:87], v[88:89], -v[86:87]
	v_add_f64 v[66:67], v[68:69], v[66:67]
	v_fma_f64 v[68:69], v[84:85], v[82:83], -v[94:95]
	v_add_f64 v[88:89], v[86:87], v[98:99]
	v_add_f64 v[66:67], v[68:69], v[66:67]
	v_ldexp_f64 v[68:69], v[92:93], 2
	v_add_f64 v[82:83], v[88:89], v[68:69]
	v_cmp_gt_f64_e64 s[6:7], 0, v[82:83]
	v_cndmask_b32_e64 v3, 0, v75, s[6:7]
	v_add_f64 v[68:69], v[68:69], v[2:3]
	v_add_f64 v[82:83], v[88:89], v[68:69]
	v_cvt_i32_f64_e32 v3, v[82:83]
	v_cvt_f64_i32_e32 v[82:83], v3
	v_add_f64 v[68:69], v[68:69], -v[82:83]
	v_add_f64 v[86:87], v[88:89], -v[86:87]
	v_add_f64 v[82:83], v[88:89], v[68:69]
	v_add_f64 v[86:87], v[98:99], -v[86:87]
	v_add_f64 v[68:69], v[82:83], -v[68:69]
	v_cmp_le_f64_e64 s[6:7], 0.5, v[82:83]
	v_add_f64 v[66:67], v[86:87], v[66:67]
	v_add_f64 v[68:69], v[88:89], -v[68:69]
	v_addc_co_u32_e64 v81, s[8:9], 0, v3, s[6:7]
	v_cndmask_b32_e64 v3, 0, v76, s[6:7]
	v_add_f64 v[66:67], v[66:67], v[68:69]
	v_add_f64 v[68:69], v[82:83], -v[2:3]
	v_add_f64 v[82:83], v[68:69], v[66:67]
	v_add_f64 v[68:69], v[82:83], -v[68:69]
	s_mov_b32 s24, s26
	v_add_f64 v[66:67], v[66:67], -v[68:69]
	v_mul_f64 v[68:69], v[82:83], s[24:25]
	v_fma_f64 v[84:85], v[82:83], s[24:25], -v[68:69]
	s_mov_b32 s31, s29
	v_fmac_f64_e32 v[84:85], s[30:31], v[82:83]
	v_fmac_f64_e32 v[84:85], s[24:25], v[66:67]
	v_add_f64 v[66:67], v[68:69], v[84:85]
	v_add_f64 v[68:69], v[66:67], -v[68:69]
	v_add_f64 v[68:69], v[84:85], -v[68:69]
	s_andn2_saveexec_b64 s[6:7], s[42:43]
	s_cbranch_execz .LBB92_47
.LBB92_52:                              ;   in Loop: Header=BB92_25 Depth=1
	v_mul_f64 v[66:67], |v[46:47]|, s[34:35]
	v_rndne_f64_e32 v[82:83], v[66:67]
	v_fma_f64 v[66:67], v[82:83], s[26:27], |v[46:47]|
	v_mul_f64 v[84:85], v[82:83], s[36:37]
	v_add_f64 v[88:89], v[66:67], v[84:85]
	v_fma_f64 v[68:69], s[36:37], v[82:83], v[66:67]
	s_mov_b32 s28, s36
	v_add_f64 v[66:67], v[66:67], -v[88:89]
	v_fma_f64 v[86:87], s[28:29], v[82:83], v[84:85]
	v_add_f64 v[66:67], v[66:67], v[84:85]
	v_add_f64 v[84:85], v[88:89], -v[68:69]
	v_add_f64 v[66:67], v[84:85], v[66:67]
	v_add_f64 v[84:85], v[66:67], -v[86:87]
	v_fmac_f64_e32 v[84:85], s[38:39], v[82:83]
	v_add_f64 v[66:67], v[68:69], v[84:85]
	v_add_f64 v[68:69], v[66:67], -v[68:69]
	v_add_f64 v[68:69], v[84:85], -v[68:69]
	v_cvt_i32_f64_e32 v81, v[82:83]
	s_or_b64 exec, exec, s[6:7]
	s_and_saveexec_b64 s[6:7], s[4:5]
	s_xor_b64 s[6:7], exec, s[6:7]
	s_cbranch_execz .LBB92_48
.LBB92_53:                              ;   in Loop: Header=BB92_25 Depth=1
	v_mul_f64 v[82:83], v[54:55], v[54:55]
	v_fma_f64 v[84:85], v[54:55], v[54:55], -v[82:83]
	v_add_f64 v[86:87], v[56:57], v[56:57]
	v_fmac_f64_e32 v[84:85], v[54:55], v[86:87]
	v_add_f64 v[82:83], v[82:83], v[84:85]
	v_pk_mov_b32 v[84:85], v[14:15], v[14:15] op_sel:[0,1]
	v_fmac_f64_e32 v[84:85], s[40:41], v[82:83]
	v_pk_mov_b32 v[86:87], v[16:17], v[16:17] op_sel:[0,1]
	v_fmac_f64_e32 v[86:87], v[82:83], v[84:85]
	;; [unrolled: 2-line block ×13, first 2 shown]
	v_mul_f64 v[82:83], v[82:83], v[84:85]
	v_mul_f64 v[84:85], v[54:55], v[82:83]
	v_add_f64 v[86:87], v[54:55], v[84:85]
	v_fma_f64 v[82:83], v[54:55], v[82:83], -v[84:85]
	v_add_f64 v[54:55], v[86:87], -v[54:55]
	v_add_f64 v[54:55], v[84:85], -v[54:55]
	v_add_f64 v[56:57], v[56:57], v[82:83]
	v_add_f64 v[54:55], v[56:57], v[54:55]
	;; [unrolled: 1-line block ×3, first 2 shown]
	v_rcp_f64_e32 v[82:83], v[56:57]
	v_add_f64 v[84:85], v[56:57], -v[86:87]
	v_add_f64 v[54:55], v[54:55], -v[84:85]
	v_and_b32_e32 v3, 1, v78
	v_fma_f64 v[84:85], -v[56:57], v[82:83], 1.0
	v_fmac_f64_e32 v[82:83], v[84:85], v[82:83]
	v_fma_f64 v[84:85], -v[56:57], v[82:83], 1.0
	v_fmac_f64_e32 v[82:83], v[84:85], v[82:83]
	v_mul_f64 v[84:85], v[56:57], v[82:83]
	v_fma_f64 v[86:87], v[82:83], v[56:57], -v[84:85]
	v_fmac_f64_e32 v[86:87], v[82:83], v[54:55]
	v_add_f64 v[54:55], v[84:85], v[86:87]
	v_add_f64 v[88:89], -v[54:55], 1.0
	v_add_f64 v[84:85], v[54:55], -v[84:85]
	v_add_f64 v[90:91], -v[88:89], 1.0
	v_add_f64 v[54:55], v[90:91], -v[54:55]
	v_add_f64 v[84:85], v[84:85], -v[86:87]
	v_add_f64 v[54:55], v[84:85], v[54:55]
	v_add_f64 v[54:55], v[88:89], v[54:55]
	v_mul_f64 v[54:55], v[82:83], v[54:55]
	v_add_f64 v[54:55], v[82:83], v[54:55]
	v_xor_b32_e32 v55, 0x80000000, v55
	v_cmp_eq_u32_e64 s[4:5], 0, v3
	v_cndmask_b32_e64 v3, v54, v56, s[4:5]
	v_cndmask_b32_e64 v54, v55, v57, s[4:5]
	v_and_b32_e32 v55, 0x80000000, v53
	v_xor_b32_e32 v54, v54, v55
	v_cmp_class_f64_e64 s[4:5], v[52:53], s47
	v_cndmask_b32_e64 v52, 0, v3, s[4:5]
	v_cndmask_b32_e64 v53, v77, v54, s[4:5]
	v_mov_b32_e32 v3, s11
	v_add_co_u32_e64 v54, s[4:5], s10, v42
	v_addc_co_u32_e64 v55, s[4:5], v41, v3, s[4:5]
	global_store_dwordx2 v[54:55], v[52:53], off
	s_or_b64 exec, exec, s[6:7]
	s_and_saveexec_b64 s[4:5], s[2:3]
	s_cbranch_execz .LBB92_49
.LBB92_54:                              ;   in Loop: Header=BB92_25 Depth=1
	v_mul_f64 v[52:53], v[58:59], v[58:59]
	v_fma_f64 v[54:55], v[58:59], v[58:59], -v[52:53]
	v_add_f64 v[56:57], v[60:61], v[60:61]
	v_fmac_f64_e32 v[54:55], v[58:59], v[56:57]
	v_add_f64 v[52:53], v[52:53], v[54:55]
	v_pk_mov_b32 v[54:55], v[14:15], v[14:15] op_sel:[0,1]
	v_fmac_f64_e32 v[54:55], s[40:41], v[52:53]
	v_pk_mov_b32 v[56:57], v[16:17], v[16:17] op_sel:[0,1]
	v_fmac_f64_e32 v[56:57], v[52:53], v[54:55]
	;; [unrolled: 2-line block ×13, first 2 shown]
	v_mul_f64 v[52:53], v[52:53], v[54:55]
	v_mul_f64 v[54:55], v[58:59], v[52:53]
	v_add_f64 v[56:57], v[58:59], v[54:55]
	v_fma_f64 v[52:53], v[58:59], v[52:53], -v[54:55]
	v_add_f64 v[58:59], v[56:57], -v[58:59]
	v_add_f64 v[54:55], v[54:55], -v[58:59]
	v_add_f64 v[52:53], v[60:61], v[52:53]
	v_add_f64 v[52:53], v[52:53], v[54:55]
	;; [unrolled: 1-line block ×3, first 2 shown]
	v_rcp_f64_e32 v[58:59], v[54:55]
	v_add_f64 v[56:57], v[54:55], -v[56:57]
	v_add_f64 v[52:53], v[52:53], -v[56:57]
	v_and_b32_e32 v3, 1, v79
	v_fma_f64 v[56:57], -v[54:55], v[58:59], 1.0
	v_fmac_f64_e32 v[58:59], v[56:57], v[58:59]
	v_fma_f64 v[56:57], -v[54:55], v[58:59], 1.0
	v_fmac_f64_e32 v[58:59], v[56:57], v[58:59]
	v_mul_f64 v[56:57], v[54:55], v[58:59]
	v_fma_f64 v[60:61], v[58:59], v[54:55], -v[56:57]
	v_fmac_f64_e32 v[60:61], v[58:59], v[52:53]
	v_add_f64 v[52:53], v[56:57], v[60:61]
	v_add_f64 v[78:79], -v[52:53], 1.0
	v_add_f64 v[56:57], v[52:53], -v[56:57]
	v_add_f64 v[82:83], -v[78:79], 1.0
	v_add_f64 v[52:53], v[82:83], -v[52:53]
	v_add_f64 v[56:57], v[56:57], -v[60:61]
	v_add_f64 v[52:53], v[56:57], v[52:53]
	v_add_f64 v[52:53], v[78:79], v[52:53]
	v_mul_f64 v[52:53], v[58:59], v[52:53]
	v_add_f64 v[52:53], v[58:59], v[52:53]
	v_xor_b32_e32 v53, 0x80000000, v53
	v_cmp_eq_u32_e64 s[2:3], 0, v3
	v_cndmask_b32_e64 v3, v52, v54, s[2:3]
	v_cndmask_b32_e64 v52, v53, v55, s[2:3]
	v_and_b32_e32 v53, 0x80000000, v51
	v_xor_b32_e32 v52, v52, v53
	v_cmp_class_f64_e64 s[2:3], v[50:51], s47
	v_cndmask_b32_e64 v50, 0, v3, s[2:3]
	v_cndmask_b32_e64 v51, v77, v52, s[2:3]
	v_mov_b32_e32 v3, s11
	v_add_co_u32_e64 v52, s[2:3], s10, v44
	v_addc_co_u32_e64 v53, s[2:3], v43, v3, s[2:3]
	global_store_dwordx2 v[52:53], v[50:51], off
	s_or_b64 exec, exec, s[4:5]
	s_and_saveexec_b64 s[2:3], s[0:1]
	s_cbranch_execz .LBB92_50
.LBB92_55:                              ;   in Loop: Header=BB92_25 Depth=1
	v_mul_f64 v[50:51], v[62:63], v[62:63]
	v_fma_f64 v[52:53], v[62:63], v[62:63], -v[50:51]
	v_add_f64 v[54:55], v[64:65], v[64:65]
	v_fmac_f64_e32 v[52:53], v[62:63], v[54:55]
	v_add_f64 v[50:51], v[50:51], v[52:53]
	v_pk_mov_b32 v[52:53], v[14:15], v[14:15] op_sel:[0,1]
	v_fmac_f64_e32 v[52:53], s[40:41], v[50:51]
	v_pk_mov_b32 v[54:55], v[16:17], v[16:17] op_sel:[0,1]
	v_fmac_f64_e32 v[54:55], v[50:51], v[52:53]
	;; [unrolled: 2-line block ×13, first 2 shown]
	v_mul_f64 v[50:51], v[50:51], v[52:53]
	v_mul_f64 v[52:53], v[62:63], v[50:51]
	v_add_f64 v[54:55], v[62:63], v[52:53]
	v_fma_f64 v[50:51], v[62:63], v[50:51], -v[52:53]
	v_add_f64 v[56:57], v[54:55], -v[62:63]
	v_add_f64 v[52:53], v[52:53], -v[56:57]
	v_add_f64 v[50:51], v[64:65], v[50:51]
	v_add_f64 v[50:51], v[50:51], v[52:53]
	;; [unrolled: 1-line block ×3, first 2 shown]
	v_rcp_f64_e32 v[56:57], v[52:53]
	v_add_f64 v[54:55], v[52:53], -v[54:55]
	v_add_f64 v[50:51], v[50:51], -v[54:55]
	v_and_b32_e32 v3, 1, v80
	v_fma_f64 v[54:55], -v[52:53], v[56:57], 1.0
	v_fmac_f64_e32 v[56:57], v[54:55], v[56:57]
	v_fma_f64 v[54:55], -v[52:53], v[56:57], 1.0
	v_fmac_f64_e32 v[56:57], v[54:55], v[56:57]
	v_mul_f64 v[54:55], v[52:53], v[56:57]
	v_fma_f64 v[58:59], v[56:57], v[52:53], -v[54:55]
	v_fmac_f64_e32 v[58:59], v[56:57], v[50:51]
	v_add_f64 v[50:51], v[54:55], v[58:59]
	v_add_f64 v[60:61], -v[50:51], 1.0
	v_add_f64 v[54:55], v[50:51], -v[54:55]
	v_add_f64 v[62:63], -v[60:61], 1.0
	v_add_f64 v[50:51], v[62:63], -v[50:51]
	v_add_f64 v[54:55], v[54:55], -v[58:59]
	v_add_f64 v[50:51], v[54:55], v[50:51]
	v_add_f64 v[50:51], v[60:61], v[50:51]
	v_mul_f64 v[50:51], v[56:57], v[50:51]
	v_add_f64 v[50:51], v[56:57], v[50:51]
	v_xor_b32_e32 v51, 0x80000000, v51
	v_cmp_eq_u32_e64 s[0:1], 0, v3
	v_cndmask_b32_e64 v3, v50, v52, s[0:1]
	v_cndmask_b32_e64 v50, v51, v53, s[0:1]
	v_and_b32_e32 v51, 0x80000000, v49
	v_xor_b32_e32 v50, v50, v51
	v_cmp_class_f64_e64 s[0:1], v[48:49], s47
	v_cndmask_b32_e64 v48, 0, v3, s[0:1]
	v_cndmask_b32_e64 v49, v77, v50, s[0:1]
	v_mov_b32_e32 v3, s11
	v_add_co_u32_e64 v50, s[0:1], s10, v12
	v_addc_co_u32_e64 v51, s[0:1], v11, v3, s[0:1]
	global_store_dwordx2 v[50:51], v[48:49], off
	s_or_b64 exec, exec, s[2:3]
	s_and_saveexec_b64 s[0:1], vcc
	s_cbranch_execz .LBB92_24
.LBB92_56:                              ;   in Loop: Header=BB92_25 Depth=1
	v_mul_f64 v[48:49], v[66:67], v[66:67]
	v_fma_f64 v[50:51], v[66:67], v[66:67], -v[48:49]
	v_add_f64 v[52:53], v[68:69], v[68:69]
	v_fmac_f64_e32 v[50:51], v[66:67], v[52:53]
	v_add_f64 v[48:49], v[48:49], v[50:51]
	v_pk_mov_b32 v[50:51], v[14:15], v[14:15] op_sel:[0,1]
	v_fmac_f64_e32 v[50:51], s[40:41], v[48:49]
	v_pk_mov_b32 v[52:53], v[16:17], v[16:17] op_sel:[0,1]
	v_fmac_f64_e32 v[52:53], v[48:49], v[50:51]
	;; [unrolled: 2-line block ×13, first 2 shown]
	v_mul_f64 v[48:49], v[48:49], v[50:51]
	v_mul_f64 v[50:51], v[66:67], v[48:49]
	v_add_f64 v[52:53], v[66:67], v[50:51]
	v_fma_f64 v[48:49], v[66:67], v[48:49], -v[50:51]
	v_add_f64 v[54:55], v[52:53], -v[66:67]
	v_add_f64 v[50:51], v[50:51], -v[54:55]
	v_add_f64 v[48:49], v[68:69], v[48:49]
	v_add_f64 v[48:49], v[48:49], v[50:51]
	;; [unrolled: 1-line block ×3, first 2 shown]
	v_rcp_f64_e32 v[54:55], v[50:51]
	v_add_f64 v[52:53], v[50:51], -v[52:53]
	v_add_f64 v[48:49], v[48:49], -v[52:53]
	v_and_b32_e32 v3, 1, v81
	v_fma_f64 v[52:53], -v[50:51], v[54:55], 1.0
	v_fmac_f64_e32 v[54:55], v[52:53], v[54:55]
	v_fma_f64 v[52:53], -v[50:51], v[54:55], 1.0
	v_fmac_f64_e32 v[54:55], v[52:53], v[54:55]
	v_mul_f64 v[52:53], v[50:51], v[54:55]
	v_fma_f64 v[56:57], v[54:55], v[50:51], -v[52:53]
	v_fmac_f64_e32 v[56:57], v[54:55], v[48:49]
	v_add_f64 v[48:49], v[52:53], v[56:57]
	v_add_f64 v[58:59], -v[48:49], 1.0
	v_add_f64 v[52:53], v[48:49], -v[52:53]
	v_add_f64 v[60:61], -v[58:59], 1.0
	v_add_f64 v[48:49], v[60:61], -v[48:49]
	v_add_f64 v[52:53], v[52:53], -v[56:57]
	v_add_f64 v[48:49], v[52:53], v[48:49]
	v_add_f64 v[48:49], v[58:59], v[48:49]
	v_mul_f64 v[48:49], v[54:55], v[48:49]
	v_add_f64 v[48:49], v[54:55], v[48:49]
	v_xor_b32_e32 v49, 0x80000000, v49
	v_cmp_eq_u32_e32 vcc, 0, v3
	v_cndmask_b32_e32 v3, v48, v50, vcc
	v_cndmask_b32_e32 v48, v49, v51, vcc
	v_and_b32_e32 v49, 0x80000000, v47
	v_xor_b32_e32 v48, v48, v49
	v_cmp_class_f64_e64 vcc, v[46:47], s47
	v_cndmask_b32_e32 v46, 0, v3, vcc
	v_cndmask_b32_e32 v47, v77, v48, vcc
	v_mov_b32_e32 v3, s11
	v_add_co_u32_e32 v48, vcc, s10, v8
	v_addc_co_u32_e32 v49, vcc, v7, v3, vcc
	global_store_dwordx2 v[48:49], v[46:47], off
	s_branch .LBB92_24
.LBB92_57:
	s_endpgm
	.section	.rodata,"a",@progbits
	.p2align	6, 0x0
	.amdhsa_kernel _ZN2at6native12_GLOBAL__N_125multi_tensor_apply_kernelINS1_18TensorListMetadataILi2EEENS1_14UnaryOpFunctorIdLi2ELi1ELi1EEEJNS0_3TanIdEEEEEvT_T0_DpT1_
		.amdhsa_group_segment_fixed_size 0
		.amdhsa_private_segment_fixed_size 0
		.amdhsa_kernarg_size 3408
		.amdhsa_user_sgpr_count 6
		.amdhsa_user_sgpr_private_segment_buffer 1
		.amdhsa_user_sgpr_dispatch_ptr 0
		.amdhsa_user_sgpr_queue_ptr 0
		.amdhsa_user_sgpr_kernarg_segment_ptr 1
		.amdhsa_user_sgpr_dispatch_id 0
		.amdhsa_user_sgpr_flat_scratch_init 0
		.amdhsa_user_sgpr_kernarg_preload_length 0
		.amdhsa_user_sgpr_kernarg_preload_offset 0
		.amdhsa_user_sgpr_private_segment_size 0
		.amdhsa_uses_dynamic_stack 0
		.amdhsa_system_sgpr_private_segment_wavefront_offset 0
		.amdhsa_system_sgpr_workgroup_id_x 1
		.amdhsa_system_sgpr_workgroup_id_y 0
		.amdhsa_system_sgpr_workgroup_id_z 0
		.amdhsa_system_sgpr_workgroup_info 0
		.amdhsa_system_vgpr_workitem_id 0
		.amdhsa_next_free_vgpr 100
		.amdhsa_next_free_sgpr 78
		.amdhsa_accum_offset 100
		.amdhsa_reserve_vcc 1
		.amdhsa_reserve_flat_scratch 0
		.amdhsa_float_round_mode_32 0
		.amdhsa_float_round_mode_16_64 0
		.amdhsa_float_denorm_mode_32 3
		.amdhsa_float_denorm_mode_16_64 3
		.amdhsa_dx10_clamp 1
		.amdhsa_ieee_mode 1
		.amdhsa_fp16_overflow 0
		.amdhsa_tg_split 0
		.amdhsa_exception_fp_ieee_invalid_op 0
		.amdhsa_exception_fp_denorm_src 0
		.amdhsa_exception_fp_ieee_div_zero 0
		.amdhsa_exception_fp_ieee_overflow 0
		.amdhsa_exception_fp_ieee_underflow 0
		.amdhsa_exception_fp_ieee_inexact 0
		.amdhsa_exception_int_div_zero 0
	.end_amdhsa_kernel
	.section	.text._ZN2at6native12_GLOBAL__N_125multi_tensor_apply_kernelINS1_18TensorListMetadataILi2EEENS1_14UnaryOpFunctorIdLi2ELi1ELi1EEEJNS0_3TanIdEEEEEvT_T0_DpT1_,"axG",@progbits,_ZN2at6native12_GLOBAL__N_125multi_tensor_apply_kernelINS1_18TensorListMetadataILi2EEENS1_14UnaryOpFunctorIdLi2ELi1ELi1EEEJNS0_3TanIdEEEEEvT_T0_DpT1_,comdat
.Lfunc_end92:
	.size	_ZN2at6native12_GLOBAL__N_125multi_tensor_apply_kernelINS1_18TensorListMetadataILi2EEENS1_14UnaryOpFunctorIdLi2ELi1ELi1EEEJNS0_3TanIdEEEEEvT_T0_DpT1_, .Lfunc_end92-_ZN2at6native12_GLOBAL__N_125multi_tensor_apply_kernelINS1_18TensorListMetadataILi2EEENS1_14UnaryOpFunctorIdLi2ELi1ELi1EEEJNS0_3TanIdEEEEEvT_T0_DpT1_
                                        ; -- End function
	.section	.AMDGPU.csdata,"",@progbits
; Kernel info:
; codeLenInByte = 11268
; NumSgprs: 82
; NumVgprs: 100
; NumAgprs: 0
; TotalNumVgprs: 100
; ScratchSize: 0
; MemoryBound: 0
; FloatMode: 240
; IeeeMode: 1
; LDSByteSize: 0 bytes/workgroup (compile time only)
; SGPRBlocks: 10
; VGPRBlocks: 12
; NumSGPRsForWavesPerEU: 82
; NumVGPRsForWavesPerEU: 100
; AccumOffset: 100
; Occupancy: 4
; WaveLimiterHint : 0
; COMPUTE_PGM_RSRC2:SCRATCH_EN: 0
; COMPUTE_PGM_RSRC2:USER_SGPR: 6
; COMPUTE_PGM_RSRC2:TRAP_HANDLER: 0
; COMPUTE_PGM_RSRC2:TGID_X_EN: 1
; COMPUTE_PGM_RSRC2:TGID_Y_EN: 0
; COMPUTE_PGM_RSRC2:TGID_Z_EN: 0
; COMPUTE_PGM_RSRC2:TIDIG_COMP_CNT: 0
; COMPUTE_PGM_RSRC3_GFX90A:ACCUM_OFFSET: 24
; COMPUTE_PGM_RSRC3_GFX90A:TG_SPLIT: 0
	.section	.text._ZN2at6native12_GLOBAL__N_125multi_tensor_apply_kernelINS1_18TensorListMetadataILi2EEENS1_14UnaryOpFunctorIfLi2ELi1ELi1EEEJNS0_3TanIfEEEEEvT_T0_DpT1_,"axG",@progbits,_ZN2at6native12_GLOBAL__N_125multi_tensor_apply_kernelINS1_18TensorListMetadataILi2EEENS1_14UnaryOpFunctorIfLi2ELi1ELi1EEEJNS0_3TanIfEEEEEvT_T0_DpT1_,comdat
	.globl	_ZN2at6native12_GLOBAL__N_125multi_tensor_apply_kernelINS1_18TensorListMetadataILi2EEENS1_14UnaryOpFunctorIfLi2ELi1ELi1EEEJNS0_3TanIfEEEEEvT_T0_DpT1_ ; -- Begin function _ZN2at6native12_GLOBAL__N_125multi_tensor_apply_kernelINS1_18TensorListMetadataILi2EEENS1_14UnaryOpFunctorIfLi2ELi1ELi1EEEJNS0_3TanIfEEEEEvT_T0_DpT1_
	.p2align	8
	.type	_ZN2at6native12_GLOBAL__N_125multi_tensor_apply_kernelINS1_18TensorListMetadataILi2EEENS1_14UnaryOpFunctorIfLi2ELi1ELi1EEEJNS0_3TanIfEEEEEvT_T0_DpT1_,@function
_ZN2at6native12_GLOBAL__N_125multi_tensor_apply_kernelINS1_18TensorListMetadataILi2EEENS1_14UnaryOpFunctorIfLi2ELi1ELi1EEEJNS0_3TanIfEEEEEvT_T0_DpT1_: ; @_ZN2at6native12_GLOBAL__N_125multi_tensor_apply_kernelINS1_18TensorListMetadataILi2EEENS1_14UnaryOpFunctorIfLi2ELi1ELi1EEEJNS0_3TanIfEEEEEvT_T0_DpT1_
; %bb.0:
	v_mov_b32_e32 v1, s6
	global_load_ubyte v1, v1, s[4:5] offset:1536
	s_add_u32 s0, s4, s6
	s_mul_hi_u32 s2, s6, 3
	s_mul_i32 s6, s6, 3
	s_addc_u32 s7, s5, 0
	s_add_u32 s6, s0, s6
	s_addc_u32 s7, s7, s2
	s_load_dword s6, s[6:7], 0x740
	s_mov_b32 s13, 0
	s_mov_b32 s3, s13
	;; [unrolled: 1-line block ×3, first 2 shown]
	s_waitcnt lgkmcnt(0)
	s_ashr_i32 s7, s6, 31
	s_lshl_b64 s[14:15], s[6:7], 18
	s_waitcnt vmcnt(0)
	v_readfirstlane_b32 s0, v1
	s_lshl_b32 s0, s0, 3
	s_load_dwordx2 s[10:11], s[4:5], s0 offset:0x0
	s_load_dwordx2 s[16:17], s[4:5], s0 offset:0x400
	;; [unrolled: 1-line block ×3, first 2 shown]
	s_waitcnt lgkmcnt(0)
	s_add_u32 s26, s10, s14
	s_addc_u32 s27, s11, s15
	s_and_b32 s12, s26, 15
	s_add_u32 s28, s8, s14
	s_addc_u32 s29, s9, s15
	s_and_b32 s2, s16, 3
	s_and_b32 s0, s28, 15
	s_or_b64 s[2:3], s[12:13], s[2:3]
	s_or_b64 s[0:1], s[0:1], s[2:3]
	s_lshl_b64 s[2:3], s[6:7], 16
	s_sub_u32 s16, s16, s2
	s_subb_u32 s17, s17, s3
	s_cmp_eq_u64 s[0:1], 0
	s_mov_b64 s[0:1], -1
	s_cbranch_scc0 .LBB93_21
; %bb.1:
	v_mov_b32_e32 v7, 0
	v_lshlrev_b32_e32 v6, 2, v0
	v_cmp_gt_i64_e32 vcc, s[16:17], v[6:7]
	s_and_saveexec_b64 s[18:19], vcc
	s_cbranch_execz .LBB93_20
; %bb.2:
	s_load_dword s0, s[4:5], 0xc5c
	v_lshlrev_b32_e32 v8, 4, v0
	s_mov_b64 s[20:21], 0
	s_brev_b32 s31, 18
	s_mov_b32 s33, 0xfe5163ab
	s_waitcnt lgkmcnt(0)
	s_and_b32 s0, s0, 0xffff
	v_add_lshl_u32 v6, v0, s0, 2
	s_lshl_b32 s12, s0, 2
	s_lshl_b32 s30, s0, 4
	s_mov_b32 s34, 0x3c439041
	s_mov_b32 s35, 0xdb629599
	;; [unrolled: 1-line block ×9, first 2 shown]
	v_mov_b32_e32 v1, 0x3f93f425
	s_movk_i32 s43, 0x1f8
	s_mov_b64 s[22:23], 0xffff
	v_not_b32_e32 v9, 63
	v_not_b32_e32 v12, 31
	v_mov_b32_e32 v13, 0x7fc00000
	v_pk_mov_b32 v[10:11], v[6:7], v[6:7] op_sel:[0,1]
	s_branch .LBB93_4
.LBB93_3:                               ;   in Loop: Header=BB93_4 Depth=1
	s_or_b64 exec, exec, s[0:1]
	v_mul_f32_e32 v25, v22, v22
	v_mov_b32_e32 v26, 0xbf039337
	v_fmac_f32_e32 v26, 0x3c971480, v25
	v_fma_f32 v26, v25, v26, v1
	v_rcp_f32_e32 v26, v26
	v_mov_b32_e32 v27, 0x3ec54587
	v_fmac_f32_e32 v27, 0xbc8cedd3, v25
	v_and_b32_e32 v23, 1, v23
	v_mul_f32_e32 v26, v27, v26
	v_mul_f32_e32 v25, v25, v26
	v_fma_f32 v26, v25, v22, v22
	v_rcp_f32_e32 v27, v26
	v_sub_f32_e32 v28, v26, v22
	v_fma_f32 v22, v25, v22, -v28
	v_cmp_eq_u32_e32 vcc, 0, v23
	v_fma_f32 v25, v26, -v27, 1.0
	v_fma_f32 v22, v22, -v27, v25
	v_fma_f32 v22, v22, -v27, -v27
	v_cndmask_b32_e32 v22, v22, v26, vcc
	v_xor_b32_e32 v20, v20, v4
	v_xor_b32_e32 v20, v20, v22
	v_mul_f32_e32 v22, v18, v18
	v_mov_b32_e32 v23, 0xbf039337
	v_fmac_f32_e32 v23, 0x3c971480, v22
	v_fma_f32 v23, v22, v23, v1
	v_rcp_f32_e32 v23, v23
	v_cmp_class_f32_e64 vcc, v4, s43
	v_cndmask_b32_e32 v4, v13, v20, vcc
	v_mov_b32_e32 v20, 0x3ec54587
	v_fmac_f32_e32 v20, 0xbc8cedd3, v22
	v_mul_f32_e32 v20, v20, v23
	v_mul_f32_e32 v20, v22, v20
	v_fma_f32 v22, v20, v18, v18
	v_rcp_f32_e32 v23, v22
	v_sub_f32_e32 v25, v22, v18
	v_fma_f32 v18, v20, v18, -v25
	v_and_b32_e32 v19, 1, v19
	v_fma_f32 v20, v22, -v23, 1.0
	v_fma_f32 v18, v18, -v23, v20
	v_fma_f32 v18, v18, -v23, -v23
	v_cmp_eq_u32_e32 vcc, 0, v19
	v_cndmask_b32_e32 v18, v18, v22, vcc
	v_xor_b32_e32 v17, v17, v3
	v_xor_b32_e32 v17, v17, v18
	v_mul_f32_e32 v18, v15, v15
	v_mov_b32_e32 v19, 0xbf039337
	v_fmac_f32_e32 v19, 0x3c971480, v18
	v_fma_f32 v19, v18, v19, v1
	v_rcp_f32_e32 v19, v19
	v_cmp_class_f32_e64 vcc, v3, s43
	v_cndmask_b32_e32 v3, v13, v17, vcc
	v_mov_b32_e32 v17, 0x3ec54587
	v_fmac_f32_e32 v17, 0xbc8cedd3, v18
	v_mul_f32_e32 v17, v17, v19
	v_mul_f32_e32 v17, v18, v17
	v_fma_f32 v18, v17, v15, v15
	v_rcp_f32_e32 v19, v18
	v_sub_f32_e32 v20, v18, v15
	v_fma_f32 v15, v17, v15, -v20
	v_and_b32_e32 v16, 1, v16
	v_fma_f32 v17, v18, -v19, 1.0
	v_fma_f32 v15, v15, -v19, v17
	v_fma_f32 v15, v15, -v19, -v19
	v_cmp_eq_u32_e32 vcc, 0, v16
	;; [unrolled: 23-line block ×3, first 2 shown]
	v_cndmask_b32_e32 v6, v6, v15, vcc
	v_xor_b32_e32 v14, v21, v5
	v_xor_b32_e32 v6, v14, v6
	v_cmp_class_f32_e64 vcc, v5, s43
	v_cndmask_b32_e32 v5, v13, v6, vcc
	v_mov_b32_e32 v6, s29
	v_add_co_u32_e32 v14, vcc, s28, v8
	v_addc_co_u32_e32 v15, vcc, 0, v6, vcc
	v_cmp_le_i64_e32 vcc, s[16:17], v[10:11]
	v_cmp_lt_u64_e64 s[0:1], s[22:23], v[10:11]
	s_or_b64 s[0:1], vcc, s[0:1]
	s_add_u32 s26, s26, s30
	s_addc_u32 s27, s27, 0
	s_add_u32 s28, s28, s30
	s_addc_u32 s29, s29, 0
	global_store_dwordx4 v[14:15], v[2:5], off
	s_and_b64 s[0:1], exec, s[0:1]
	v_mov_b32_e32 v2, s13
	v_add_co_u32_e32 v10, vcc, s12, v10
	s_or_b64 s[20:21], s[0:1], s[20:21]
	v_addc_co_u32_e32 v11, vcc, v11, v2, vcc
	s_andn2_b64 exec, exec, s[20:21]
	s_cbranch_execz .LBB93_20
.LBB93_4:                               ; =>This Inner Loop Header: Depth=1
	v_mov_b32_e32 v3, s27
	v_add_co_u32_e32 v2, vcc, s26, v8
	v_addc_co_u32_e32 v3, vcc, 0, v3, vcc
	global_load_dwordx4 v[2:5], v[2:3], off
                                        ; implicit-def: $vgpr16
                                        ; implicit-def: $vgpr15
	s_waitcnt vmcnt(0)
	v_and_b32_e32 v14, 0x7fffffff, v2
	v_cmp_nlt_f32_e64 s[0:1], |v2|, s31
	s_and_saveexec_b64 s[2:3], s[0:1]
	s_xor_b64 s[24:25], exec, s[2:3]
	s_cbranch_execz .LBB93_6
; %bb.5:                                ;   in Loop: Header=BB93_4 Depth=1
	v_lshrrev_b32_e32 v6, 23, v14
	v_add_u32_e32 v6, 0xffffff88, v6
	v_cmp_lt_u32_e32 vcc, 63, v6
	v_cndmask_b32_e32 v15, 0, v9, vcc
	v_add_u32_e32 v6, v15, v6
	v_cmp_lt_u32_e64 s[0:1], 31, v6
	v_cndmask_b32_e64 v15, 0, v12, s[0:1]
	v_add_u32_e32 v6, v15, v6
	v_cmp_lt_u32_e64 s[2:3], 31, v6
	v_cndmask_b32_e64 v15, 0, v12, s[2:3]
	v_add_u32_e32 v15, v15, v6
	v_and_b32_e32 v6, 0x7fffff, v14
	v_or_b32_e32 v28, 0x800000, v6
	v_mad_u64_u32 v[16:17], s[6:7], v28, s33, 0
	v_mov_b32_e32 v6, v17
	v_mad_u64_u32 v[18:19], s[6:7], v28, s34, v[6:7]
	v_mov_b32_e32 v6, v19
	;; [unrolled: 2-line block ×6, first 2 shown]
	v_mad_u64_u32 v[28:29], s[6:7], v28, s39, v[6:7]
	v_cndmask_b32_e32 v17, v26, v22, vcc
	v_cndmask_b32_e32 v6, v28, v24, vcc
	;; [unrolled: 1-line block ×3, first 2 shown]
	v_cndmask_b32_e64 v19, v6, v17, s[0:1]
	v_cndmask_b32_e64 v6, v21, v6, s[0:1]
	v_cndmask_b32_e32 v21, v24, v20, vcc
	v_cndmask_b32_e64 v17, v17, v21, s[0:1]
	v_sub_u32_e32 v23, 32, v15
	v_cmp_eq_u32_e64 s[6:7], 0, v15
	v_cndmask_b32_e32 v15, v22, v18, vcc
	v_cndmask_b32_e64 v6, v6, v19, s[2:3]
	v_cndmask_b32_e64 v19, v19, v17, s[2:3]
	;; [unrolled: 1-line block ×3, first 2 shown]
	v_alignbit_b32 v24, v6, v19, v23
	v_cndmask_b32_e64 v17, v17, v18, s[2:3]
	v_cndmask_b32_e64 v6, v24, v6, s[6:7]
	v_alignbit_b32 v21, v19, v17, v23
	v_cndmask_b32_e64 v19, v21, v19, s[6:7]
	v_bfe_u32 v24, v6, 29, 1
	v_cndmask_b32_e32 v16, v20, v16, vcc
	v_alignbit_b32 v21, v6, v19, 30
	v_sub_u32_e32 v25, 0, v24
	v_cndmask_b32_e64 v15, v15, v16, s[0:1]
	v_xor_b32_e32 v26, v21, v25
	v_cndmask_b32_e64 v15, v18, v15, s[2:3]
	v_alignbit_b32 v16, v17, v15, v23
	v_ffbh_u32_e32 v18, v26
	v_cndmask_b32_e64 v16, v16, v17, s[6:7]
	v_add_u32_e32 v18, 1, v18
	v_cmp_ne_u32_e32 vcc, v21, v25
	v_alignbit_b32 v17, v19, v16, 30
	v_cndmask_b32_e32 v18, 33, v18, vcc
	v_alignbit_b32 v15, v16, v15, 30
	v_xor_b32_e32 v17, v17, v25
	v_sub_u32_e32 v19, 32, v18
	v_xor_b32_e32 v15, v15, v25
	v_alignbit_b32 v20, v26, v17, v19
	v_alignbit_b32 v15, v17, v15, v19
	v_alignbit_b32 v16, v20, v15, 9
	v_ffbh_u32_e32 v17, v16
	v_min_u32_e32 v17, 32, v17
	v_lshrrev_b32_e32 v22, 29, v6
	v_sub_u32_e32 v19, 31, v17
	v_alignbit_b32 v15, v16, v15, v19
	v_lshlrev_b32_e32 v16, 31, v22
	v_or_b32_e32 v19, 0x33800000, v16
	v_add_lshl_u32 v17, v17, v18, 23
	v_lshrrev_b32_e32 v15, 9, v15
	v_sub_u32_e32 v17, v19, v17
	v_or_b32_e32 v15, v17, v15
	v_alignbit_b32 v17, v18, v20, 9
	v_or_b32_e32 v16, v17, v16
	v_xor_b32_e32 v16, 1.0, v16
	v_mul_f32_e32 v17, 0x3fc90fda, v16
	v_fma_f32 v18, v16, s40, -v17
	v_fmac_f32_e32 v18, 0x33a22168, v16
	v_fmac_f32_e32 v18, 0x3fc90fda, v15
	v_lshrrev_b32_e32 v6, 30, v6
	v_add_f32_e32 v15, v17, v18
	v_add_u32_e32 v16, v24, v6
.LBB93_6:                               ;   in Loop: Header=BB93_4 Depth=1
	s_andn2_saveexec_b64 s[0:1], s[24:25]
; %bb.7:                                ;   in Loop: Header=BB93_4 Depth=1
	v_mul_f32_e64 v6, |v2|, s41
	v_rndne_f32_e32 v6, v6
	v_cvt_i32_f32_e32 v16, v6
	v_fma_f32 v15, v6, s42, |v2|
	v_fmac_f32_e32 v15, 0xb3a22168, v6
	v_fmac_f32_e32 v15, 0xa7c234c4, v6
; %bb.8:                                ;   in Loop: Header=BB93_4 Depth=1
	s_or_b64 exec, exec, s[0:1]
	v_and_b32_e32 v17, 0x7fffffff, v3
	v_cmp_nlt_f32_e64 s[0:1], |v3|, s31
                                        ; implicit-def: $vgpr19
                                        ; implicit-def: $vgpr18
	s_and_saveexec_b64 s[2:3], s[0:1]
	s_xor_b64 s[24:25], exec, s[2:3]
	s_cbranch_execz .LBB93_10
; %bb.9:                                ;   in Loop: Header=BB93_4 Depth=1
	v_lshrrev_b32_e32 v6, 23, v17
	v_add_u32_e32 v6, 0xffffff88, v6
	v_cmp_lt_u32_e32 vcc, 63, v6
	v_cndmask_b32_e32 v18, 0, v9, vcc
	v_add_u32_e32 v6, v18, v6
	v_cmp_lt_u32_e64 s[0:1], 31, v6
	v_cndmask_b32_e64 v18, 0, v12, s[0:1]
	v_add_u32_e32 v6, v18, v6
	v_cmp_lt_u32_e64 s[2:3], 31, v6
	v_cndmask_b32_e64 v18, 0, v12, s[2:3]
	v_add_u32_e32 v32, v18, v6
	v_and_b32_e32 v6, 0x7fffff, v17
	v_or_b32_e32 v30, 0x800000, v6
	v_mad_u64_u32 v[18:19], s[6:7], v30, s33, 0
	v_mov_b32_e32 v6, v19
	v_mad_u64_u32 v[20:21], s[6:7], v30, s34, v[6:7]
	v_mov_b32_e32 v6, v21
	;; [unrolled: 2-line block ×6, first 2 shown]
	v_mad_u64_u32 v[30:31], s[6:7], v30, s39, v[6:7]
	v_cndmask_b32_e32 v19, v28, v24, vcc
	v_cndmask_b32_e32 v6, v30, v26, vcc
	;; [unrolled: 1-line block ×3, first 2 shown]
	v_cndmask_b32_e64 v21, v6, v19, s[0:1]
	v_cndmask_b32_e64 v6, v23, v6, s[0:1]
	v_cndmask_b32_e32 v23, v26, v22, vcc
	v_cndmask_b32_e64 v19, v19, v23, s[0:1]
	v_cndmask_b32_e32 v20, v24, v20, vcc
	v_cndmask_b32_e64 v6, v6, v21, s[2:3]
	v_cndmask_b32_e64 v21, v21, v19, s[2:3]
	v_sub_u32_e32 v25, 32, v32
	v_cndmask_b32_e64 v23, v23, v20, s[0:1]
	v_alignbit_b32 v26, v6, v21, v25
	v_cmp_eq_u32_e64 s[6:7], 0, v32
	v_cndmask_b32_e64 v19, v19, v23, s[2:3]
	v_cndmask_b32_e32 v18, v22, v18, vcc
	v_cndmask_b32_e64 v6, v26, v6, s[6:7]
	v_alignbit_b32 v24, v21, v19, v25
	v_cndmask_b32_e64 v18, v20, v18, s[0:1]
	v_cndmask_b32_e64 v21, v24, v21, s[6:7]
	v_bfe_u32 v27, v6, 29, 1
	v_cndmask_b32_e64 v18, v23, v18, s[2:3]
	v_alignbit_b32 v24, v6, v21, 30
	v_sub_u32_e32 v28, 0, v27
	v_alignbit_b32 v20, v19, v18, v25
	v_xor_b32_e32 v29, v24, v28
	v_cndmask_b32_e64 v19, v20, v19, s[6:7]
	v_alignbit_b32 v20, v21, v19, 30
	v_ffbh_u32_e32 v21, v29
	v_add_u32_e32 v21, 1, v21
	v_cmp_ne_u32_e32 vcc, v24, v28
	v_cndmask_b32_e32 v21, 33, v21, vcc
	v_alignbit_b32 v18, v19, v18, 30
	v_xor_b32_e32 v20, v20, v28
	v_sub_u32_e32 v22, 32, v21
	v_xor_b32_e32 v18, v18, v28
	v_alignbit_b32 v23, v29, v20, v22
	v_alignbit_b32 v18, v20, v18, v22
	;; [unrolled: 1-line block ×3, first 2 shown]
	v_ffbh_u32_e32 v20, v19
	v_min_u32_e32 v20, 32, v20
	v_lshrrev_b32_e32 v26, 29, v6
	v_sub_u32_e32 v22, 31, v20
	v_alignbit_b32 v18, v19, v18, v22
	v_lshlrev_b32_e32 v19, 31, v26
	v_or_b32_e32 v22, 0x33800000, v19
	v_add_lshl_u32 v20, v20, v21, 23
	v_lshrrev_b32_e32 v18, 9, v18
	v_sub_u32_e32 v20, v22, v20
	v_or_b32_e32 v18, v20, v18
	v_alignbit_b32 v20, v21, v23, 9
	v_or_b32_e32 v19, v20, v19
	v_xor_b32_e32 v19, 1.0, v19
	v_mul_f32_e32 v20, 0x3fc90fda, v19
	v_fma_f32 v21, v19, s40, -v20
	v_fmac_f32_e32 v21, 0x33a22168, v19
	v_fmac_f32_e32 v21, 0x3fc90fda, v18
	v_lshrrev_b32_e32 v6, 30, v6
	v_add_f32_e32 v18, v20, v21
	v_add_u32_e32 v19, v27, v6
.LBB93_10:                              ;   in Loop: Header=BB93_4 Depth=1
	s_andn2_saveexec_b64 s[0:1], s[24:25]
; %bb.11:                               ;   in Loop: Header=BB93_4 Depth=1
	v_mul_f32_e64 v6, |v3|, s41
	v_rndne_f32_e32 v6, v6
	v_cvt_i32_f32_e32 v19, v6
	v_fma_f32 v18, v6, s42, |v3|
	v_fmac_f32_e32 v18, 0xb3a22168, v6
	v_fmac_f32_e32 v18, 0xa7c234c4, v6
; %bb.12:                               ;   in Loop: Header=BB93_4 Depth=1
	s_or_b64 exec, exec, s[0:1]
	v_and_b32_e32 v20, 0x7fffffff, v4
	v_cmp_nlt_f32_e64 s[0:1], |v4|, s31
                                        ; implicit-def: $vgpr23
                                        ; implicit-def: $vgpr22
	s_and_saveexec_b64 s[2:3], s[0:1]
	s_xor_b64 s[24:25], exec, s[2:3]
	s_cbranch_execz .LBB93_14
; %bb.13:                               ;   in Loop: Header=BB93_4 Depth=1
	v_lshrrev_b32_e32 v6, 23, v20
	v_add_u32_e32 v6, 0xffffff88, v6
	v_cmp_lt_u32_e32 vcc, 63, v6
	v_cndmask_b32_e32 v21, 0, v9, vcc
	v_add_u32_e32 v6, v21, v6
	v_cmp_lt_u32_e64 s[0:1], 31, v6
	v_cndmask_b32_e64 v21, 0, v12, s[0:1]
	v_add_u32_e32 v6, v21, v6
	v_cmp_lt_u32_e64 s[2:3], 31, v6
	v_cndmask_b32_e64 v21, 0, v12, s[2:3]
	v_add_u32_e32 v21, v21, v6
	v_and_b32_e32 v6, 0x7fffff, v20
	v_or_b32_e32 v34, 0x800000, v6
	v_mad_u64_u32 v[22:23], s[6:7], v34, s33, 0
	v_mov_b32_e32 v6, v23
	v_mad_u64_u32 v[24:25], s[6:7], v34, s34, v[6:7]
	v_mov_b32_e32 v6, v25
	;; [unrolled: 2-line block ×6, first 2 shown]
	v_mad_u64_u32 v[34:35], s[6:7], v34, s39, v[6:7]
	v_cndmask_b32_e32 v23, v32, v28, vcc
	v_cndmask_b32_e32 v6, v34, v30, vcc
	;; [unrolled: 1-line block ×3, first 2 shown]
	v_cndmask_b32_e64 v25, v6, v23, s[0:1]
	v_cndmask_b32_e64 v6, v27, v6, s[0:1]
	v_cndmask_b32_e32 v27, v30, v26, vcc
	v_cndmask_b32_e64 v23, v23, v27, s[0:1]
	v_sub_u32_e32 v29, 32, v21
	v_cmp_eq_u32_e64 s[6:7], 0, v21
	v_cndmask_b32_e32 v21, v28, v24, vcc
	v_cndmask_b32_e64 v6, v6, v25, s[2:3]
	v_cndmask_b32_e64 v25, v25, v23, s[2:3]
	;; [unrolled: 1-line block ×3, first 2 shown]
	v_alignbit_b32 v30, v6, v25, v29
	v_cndmask_b32_e64 v23, v23, v24, s[2:3]
	v_cndmask_b32_e64 v6, v30, v6, s[6:7]
	v_alignbit_b32 v27, v25, v23, v29
	v_cndmask_b32_e64 v25, v27, v25, s[6:7]
	v_bfe_u32 v30, v6, 29, 1
	v_cndmask_b32_e32 v22, v26, v22, vcc
	v_alignbit_b32 v27, v6, v25, 30
	v_sub_u32_e32 v31, 0, v30
	v_cndmask_b32_e64 v21, v21, v22, s[0:1]
	v_xor_b32_e32 v32, v27, v31
	v_cndmask_b32_e64 v21, v24, v21, s[2:3]
	v_alignbit_b32 v22, v23, v21, v29
	v_ffbh_u32_e32 v24, v32
	v_cndmask_b32_e64 v22, v22, v23, s[6:7]
	v_add_u32_e32 v24, 1, v24
	v_cmp_ne_u32_e32 vcc, v27, v31
	v_alignbit_b32 v23, v25, v22, 30
	v_cndmask_b32_e32 v24, 33, v24, vcc
	v_alignbit_b32 v21, v22, v21, 30
	v_xor_b32_e32 v23, v23, v31
	v_sub_u32_e32 v25, 32, v24
	v_xor_b32_e32 v21, v21, v31
	v_alignbit_b32 v26, v32, v23, v25
	v_alignbit_b32 v21, v23, v21, v25
	;; [unrolled: 1-line block ×3, first 2 shown]
	v_ffbh_u32_e32 v23, v22
	v_min_u32_e32 v23, 32, v23
	v_lshrrev_b32_e32 v28, 29, v6
	v_sub_u32_e32 v25, 31, v23
	v_alignbit_b32 v21, v22, v21, v25
	v_lshlrev_b32_e32 v22, 31, v28
	v_or_b32_e32 v25, 0x33800000, v22
	v_add_lshl_u32 v23, v23, v24, 23
	v_lshrrev_b32_e32 v21, 9, v21
	v_sub_u32_e32 v23, v25, v23
	v_or_b32_e32 v21, v23, v21
	v_alignbit_b32 v23, v24, v26, 9
	v_or_b32_e32 v22, v23, v22
	v_xor_b32_e32 v22, 1.0, v22
	v_mul_f32_e32 v23, 0x3fc90fda, v22
	v_fma_f32 v24, v22, s40, -v23
	v_fmac_f32_e32 v24, 0x33a22168, v22
	v_fmac_f32_e32 v24, 0x3fc90fda, v21
	v_lshrrev_b32_e32 v6, 30, v6
	v_add_f32_e32 v22, v23, v24
	v_add_u32_e32 v23, v30, v6
.LBB93_14:                              ;   in Loop: Header=BB93_4 Depth=1
	s_andn2_saveexec_b64 s[0:1], s[24:25]
; %bb.15:                               ;   in Loop: Header=BB93_4 Depth=1
	v_mul_f32_e64 v6, |v4|, s41
	v_rndne_f32_e32 v6, v6
	v_cvt_i32_f32_e32 v23, v6
	v_fma_f32 v22, v6, s42, |v4|
	v_fmac_f32_e32 v22, 0xb3a22168, v6
	v_fmac_f32_e32 v22, 0xa7c234c4, v6
; %bb.16:                               ;   in Loop: Header=BB93_4 Depth=1
	s_or_b64 exec, exec, s[0:1]
	v_and_b32_e32 v21, 0x7fffffff, v5
	v_cmp_nlt_f32_e64 s[0:1], |v5|, s31
                                        ; implicit-def: $vgpr24
                                        ; implicit-def: $vgpr6
	s_and_saveexec_b64 s[2:3], s[0:1]
	s_xor_b64 s[24:25], exec, s[2:3]
	s_cbranch_execz .LBB93_18
; %bb.17:                               ;   in Loop: Header=BB93_4 Depth=1
	v_lshrrev_b32_e32 v6, 23, v21
	v_add_u32_e32 v6, 0xffffff88, v6
	v_cmp_lt_u32_e32 vcc, 63, v6
	v_cndmask_b32_e32 v24, 0, v9, vcc
	v_add_u32_e32 v6, v24, v6
	v_cmp_lt_u32_e64 s[0:1], 31, v6
	v_cndmask_b32_e64 v24, 0, v12, s[0:1]
	v_add_u32_e32 v6, v24, v6
	v_cmp_lt_u32_e64 s[2:3], 31, v6
	v_cndmask_b32_e64 v24, 0, v12, s[2:3]
	v_add_u32_e32 v38, v24, v6
	v_and_b32_e32 v6, 0x7fffff, v21
	v_or_b32_e32 v36, 0x800000, v6
	v_mad_u64_u32 v[24:25], s[6:7], v36, s33, 0
	v_mov_b32_e32 v6, v25
	v_mad_u64_u32 v[26:27], s[6:7], v36, s34, v[6:7]
	v_mov_b32_e32 v6, v27
	;; [unrolled: 2-line block ×6, first 2 shown]
	v_mad_u64_u32 v[36:37], s[6:7], v36, s39, v[6:7]
	v_cndmask_b32_e32 v25, v34, v30, vcc
	v_cndmask_b32_e32 v6, v36, v32, vcc
	;; [unrolled: 1-line block ×3, first 2 shown]
	v_cndmask_b32_e64 v27, v6, v25, s[0:1]
	v_cndmask_b32_e64 v6, v29, v6, s[0:1]
	v_cndmask_b32_e32 v29, v32, v28, vcc
	v_cndmask_b32_e64 v25, v25, v29, s[0:1]
	v_cndmask_b32_e64 v6, v6, v27, s[2:3]
	;; [unrolled: 1-line block ×3, first 2 shown]
	v_sub_u32_e32 v31, 32, v38
	v_alignbit_b32 v32, v6, v27, v31
	v_cmp_eq_u32_e64 s[6:7], 0, v38
	v_cndmask_b32_e64 v32, v32, v6, s[6:7]
	v_cndmask_b32_e32 v6, v30, v26, vcc
	v_cndmask_b32_e64 v26, v29, v6, s[0:1]
	v_cndmask_b32_e64 v25, v25, v26, s[2:3]
	v_alignbit_b32 v29, v27, v25, v31
	v_cndmask_b32_e64 v27, v29, v27, s[6:7]
	v_bfe_u32 v33, v32, 29, 1
	v_cndmask_b32_e32 v24, v28, v24, vcc
	v_alignbit_b32 v29, v32, v27, 30
	v_sub_u32_e32 v34, 0, v33
	v_cndmask_b32_e64 v6, v6, v24, s[0:1]
	v_xor_b32_e32 v35, v29, v34
	v_cndmask_b32_e64 v6, v26, v6, s[2:3]
	v_alignbit_b32 v24, v25, v6, v31
	v_ffbh_u32_e32 v26, v35
	v_cndmask_b32_e64 v24, v24, v25, s[6:7]
	v_add_u32_e32 v26, 1, v26
	v_cmp_ne_u32_e32 vcc, v29, v34
	v_alignbit_b32 v25, v27, v24, 30
	v_cndmask_b32_e32 v26, 33, v26, vcc
	v_alignbit_b32 v6, v24, v6, 30
	v_xor_b32_e32 v25, v25, v34
	v_sub_u32_e32 v27, 32, v26
	v_xor_b32_e32 v6, v6, v34
	v_alignbit_b32 v28, v35, v25, v27
	v_alignbit_b32 v6, v25, v6, v27
	;; [unrolled: 1-line block ×3, first 2 shown]
	v_ffbh_u32_e32 v25, v24
	v_min_u32_e32 v25, 32, v25
	v_lshrrev_b32_e32 v30, 29, v32
	v_sub_u32_e32 v27, 31, v25
	v_alignbit_b32 v6, v24, v6, v27
	v_lshlrev_b32_e32 v24, 31, v30
	v_or_b32_e32 v27, 0x33800000, v24
	v_add_lshl_u32 v25, v25, v26, 23
	v_lshrrev_b32_e32 v6, 9, v6
	v_sub_u32_e32 v25, v27, v25
	v_or_b32_e32 v6, v25, v6
	v_alignbit_b32 v25, v26, v28, 9
	v_or_b32_e32 v24, v25, v24
	v_xor_b32_e32 v24, 1.0, v24
	v_mul_f32_e32 v25, 0x3fc90fda, v24
	v_fma_f32 v26, v24, s40, -v25
	v_fmac_f32_e32 v26, 0x33a22168, v24
	v_fmac_f32_e32 v26, 0x3fc90fda, v6
	v_lshrrev_b32_e32 v24, 30, v32
	v_add_f32_e32 v6, v25, v26
	v_add_u32_e32 v24, v33, v24
.LBB93_18:                              ;   in Loop: Header=BB93_4 Depth=1
	s_andn2_saveexec_b64 s[0:1], s[24:25]
	s_cbranch_execz .LBB93_3
; %bb.19:                               ;   in Loop: Header=BB93_4 Depth=1
	v_mul_f32_e64 v6, |v5|, s41
	v_rndne_f32_e32 v25, v6
	v_cvt_i32_f32_e32 v24, v25
	v_fma_f32 v6, v25, s42, |v5|
	v_fmac_f32_e32 v6, 0xb3a22168, v25
	v_fmac_f32_e32 v6, 0xa7c234c4, v25
	s_branch .LBB93_3
.LBB93_20:
	s_or_b64 exec, exec, s[18:19]
	s_mov_b64 s[0:1], 0
.LBB93_21:
	s_andn2_b64 vcc, exec, s[0:1]
	s_cbranch_vccnz .LBB93_57
; %bb.22:
	v_cmp_lt_i64_e64 s[0:1], s[16:17], 1
	s_and_b64 vcc, exec, s[0:1]
	s_cbranch_vccnz .LBB93_57
; %bb.23:
	s_load_dword s0, s[4:5], 0xc5c
	v_mov_b32_e32 v4, 0x10000
	v_mov_b32_e32 v5, 0
	v_cmp_lt_u64_e32 vcc, s[16:17], v[4:5]
	v_lshlrev_b32_e32 v2, 2, v0
	s_waitcnt lgkmcnt(0)
	s_and_b32 s2, s0, 0xffff
	s_and_b64 s[0:1], vcc, exec
	v_mov_b32_e32 v15, s11
	v_add_co_u32_e32 v4, vcc, s10, v2
	v_addc_co_u32_e32 v1, vcc, 0, v15, vcc
	v_mov_b32_e32 v3, 0
	v_mov_b32_e32 v17, s9
	v_add_co_u32_e32 v6, vcc, s8, v2
	v_addc_co_u32_e32 v5, vcc, 0, v17, vcc
	v_mad_u64_u32 v[10:11], s[0:1], s2, 12, v[2:3]
	v_add_co_u32_e32 v8, vcc, s10, v10
	v_addc_co_u32_e32 v7, vcc, v15, v11, vcc
	v_add_co_u32_e32 v10, vcc, s8, v10
	s_mul_i32 s4, s2, 3
	v_addc_co_u32_e32 v9, vcc, v17, v11, vcc
	v_add_co_u32_e32 v19, vcc, s4, v0
	v_addc_co_u32_e64 v20, s[0:1], 0, 0, vcc
	s_cselect_b32 s19, s17, 0
	s_cselect_b32 s18, s16, 0x10000
	s_lshl_b32 s0, s2, 3
	v_add_co_u32_e32 v2, vcc, s0, v2
	v_addc_co_u32_e64 v13, s[0:1], 0, 0, vcc
	v_add_co_u32_e32 v12, vcc, s10, v2
	v_addc_co_u32_e32 v11, vcc, v15, v13, vcc
	v_add_co_u32_e32 v14, vcc, s8, v2
	s_lshl_b32 s3, s2, 1
	v_addc_co_u32_e32 v13, vcc, v17, v13, vcc
	v_add_co_u32_e32 v21, vcc, s3, v0
	v_addc_co_u32_e64 v22, s[0:1], 0, 0, vcc
	v_add_co_u32_e32 v23, vcc, s2, v0
	v_lshlrev_b32_e32 v2, 2, v23
	v_addc_co_u32_e64 v24, s[0:1], 0, 0, vcc
	v_add_co_u32_e32 v16, vcc, s10, v2
	v_addc_co_u32_e32 v15, vcc, 0, v15, vcc
	v_add_co_u32_e32 v18, vcc, s8, v2
	s_mov_b32 s24, 0
	s_lshl_b32 s25, s2, 2
	s_lshl_b32 s26, s2, 4
	v_addc_co_u32_e32 v17, vcc, 0, v17, vcc
	s_mov_b64 s[20:21], 0
	s_brev_b32 s27, 18
	s_mov_b32 s28, 0xfe5163ab
	s_mov_b32 s29, 0x3c439041
	s_mov_b32 s30, 0xdb629599
	s_mov_b32 s31, 0xf534ddc0
	s_mov_b32 s33, 0xfc2757d1
	s_mov_b32 s34, 0x4e441529
	s_mov_b32 s35, 0xa2f9836e
	s_mov_b32 s36, 0x3fc90fda
	s_mov_b32 s37, 0x3f22f983
	s_mov_b32 s38, 0xbfc90fda
	v_mov_b32_e32 v25, 0x3f93f425
	s_movk_i32 s39, 0x1f8
	v_not_b32_e32 v26, 63
	v_not_b32_e32 v27, 31
	v_mov_b32_e32 v28, 0x7fc00000
	s_branch .LBB93_25
.LBB93_24:                              ;   in Loop: Header=BB93_25 Depth=1
	s_or_b64 exec, exec, s[0:1]
	s_add_u32 s20, s20, s25
	s_addc_u32 s21, s21, 0
	v_pk_mov_b32 v[30:31], s[16:17], s[16:17] op_sel:[0,1]
	v_cmp_ge_i64_e32 vcc, s[20:21], v[30:31]
	v_mov_b32_e32 v30, 0xffff
	v_mov_b32_e32 v31, 0
	v_cmp_gt_u64_e64 s[0:1], s[20:21], v[30:31]
	s_or_b64 s[0:1], vcc, s[0:1]
	v_mov_b32_e32 v2, s24
	v_add_co_u32_e32 v4, vcc, s26, v4
	v_addc_co_u32_e32 v1, vcc, v1, v2, vcc
	v_add_co_u32_e32 v6, vcc, s26, v6
	v_addc_co_u32_e32 v5, vcc, v5, v2, vcc
	;; [unrolled: 2-line block ×8, first 2 shown]
	s_and_b64 vcc, exec, s[0:1]
	s_cbranch_vccnz .LBB93_57
.LBB93_25:                              ; =>This Inner Loop Header: Depth=1
	v_mov_b32_e32 v2, s21
	v_add_co_u32_e32 v30, vcc, s20, v0
	v_addc_co_u32_e32 v31, vcc, 0, v2, vcc
	v_cmp_gt_u64_e64 s[4:5], s[18:19], v[30:31]
	v_mov_b32_e32 v32, 0
	s_and_saveexec_b64 s[0:1], s[4:5]
	s_cbranch_execz .LBB93_27
; %bb.26:                               ;   in Loop: Header=BB93_25 Depth=1
	v_mov_b32_e32 v2, s15
	v_add_co_u32_e32 v30, vcc, s14, v4
	v_addc_co_u32_e32 v31, vcc, v1, v2, vcc
	global_load_dword v32, v[30:31], off
.LBB93_27:                              ;   in Loop: Header=BB93_25 Depth=1
	s_or_b64 exec, exec, s[0:1]
	v_mov_b32_e32 v2, s21
	v_add_co_u32_e32 v30, vcc, s20, v23
	v_addc_co_u32_e32 v31, vcc, v24, v2, vcc
	v_cmp_gt_u64_e64 s[2:3], s[18:19], v[30:31]
	v_mov_b32_e32 v31, 0
	s_and_saveexec_b64 s[0:1], s[2:3]
	s_cbranch_execz .LBB93_29
; %bb.28:                               ;   in Loop: Header=BB93_25 Depth=1
	v_mov_b32_e32 v2, s15
	v_add_co_u32_e32 v30, vcc, s14, v16
	v_addc_co_u32_e32 v31, vcc, v15, v2, vcc
	global_load_dword v31, v[30:31], off
.LBB93_29:                              ;   in Loop: Header=BB93_25 Depth=1
	s_or_b64 exec, exec, s[0:1]
	v_mov_b32_e32 v2, s21
	v_add_co_u32_e32 v34, vcc, s20, v21
	v_addc_co_u32_e32 v35, vcc, v22, v2, vcc
	v_cmp_gt_u64_e64 s[0:1], s[18:19], v[34:35]
	v_mov_b32_e32 v29, 0
	v_mov_b32_e32 v30, 0
	s_and_saveexec_b64 s[6:7], s[0:1]
	s_cbranch_execz .LBB93_31
; %bb.30:                               ;   in Loop: Header=BB93_25 Depth=1
	v_mov_b32_e32 v2, s15
	v_add_co_u32_e32 v34, vcc, s14, v12
	v_addc_co_u32_e32 v35, vcc, v11, v2, vcc
	global_load_dword v30, v[34:35], off
.LBB93_31:                              ;   in Loop: Header=BB93_25 Depth=1
	s_or_b64 exec, exec, s[6:7]
	v_mov_b32_e32 v2, s21
	v_add_co_u32_e32 v34, vcc, s20, v19
	v_addc_co_u32_e32 v35, vcc, v20, v2, vcc
	v_cmp_gt_u64_e32 vcc, s[18:19], v[34:35]
	s_and_saveexec_b64 s[8:9], vcc
	s_cbranch_execz .LBB93_33
; %bb.32:                               ;   in Loop: Header=BB93_25 Depth=1
	v_mov_b32_e32 v2, s15
	v_add_co_u32_e64 v34, s[6:7], s14, v8
	v_addc_co_u32_e64 v35, s[6:7], v7, v2, s[6:7]
	global_load_dword v29, v[34:35], off
.LBB93_33:                              ;   in Loop: Header=BB93_25 Depth=1
	s_or_b64 exec, exec, s[8:9]
	s_waitcnt vmcnt(0)
	v_and_b32_e32 v33, 0x7fffffff, v32
	v_cmp_nlt_f32_e64 s[6:7], |v32|, s27
                                        ; implicit-def: $vgpr36
                                        ; implicit-def: $vgpr35
	s_and_saveexec_b64 s[8:9], s[6:7]
	s_xor_b64 s[22:23], exec, s[8:9]
	s_cbranch_execz .LBB93_35
; %bb.34:                               ;   in Loop: Header=BB93_25 Depth=1
	v_lshrrev_b32_e32 v2, 23, v33
	v_add_u32_e32 v2, 0xffffff88, v2
	v_cmp_lt_u32_e64 s[6:7], 63, v2
	v_cndmask_b32_e64 v34, 0, v26, s[6:7]
	v_add_u32_e32 v2, v34, v2
	v_cmp_lt_u32_e64 s[8:9], 31, v2
	v_cndmask_b32_e64 v34, 0, v27, s[8:9]
	;; [unrolled: 3-line block ×3, first 2 shown]
	v_add_u32_e32 v48, v34, v2
	v_and_b32_e32 v2, 0x7fffff, v33
	v_or_b32_e32 v46, 0x800000, v2
	v_mad_u64_u32 v[34:35], s[12:13], v46, s28, 0
	v_mov_b32_e32 v2, v35
	v_mad_u64_u32 v[36:37], s[12:13], v46, s29, v[2:3]
	v_mov_b32_e32 v2, v37
	;; [unrolled: 2-line block ×6, first 2 shown]
	v_mad_u64_u32 v[46:47], s[12:13], v46, s35, v[2:3]
	v_cndmask_b32_e64 v35, v44, v40, s[6:7]
	v_cndmask_b32_e64 v2, v46, v42, s[6:7]
	;; [unrolled: 1-line block ×10, first 2 shown]
	v_sub_u32_e32 v41, 32, v48
	v_cndmask_b32_e64 v39, v39, v36, s[8:9]
	v_alignbit_b32 v42, v2, v37, v41
	v_cmp_eq_u32_e64 s[12:13], 0, v48
	v_cndmask_b32_e64 v35, v35, v39, s[10:11]
	v_cndmask_b32_e64 v34, v38, v34, s[6:7]
	;; [unrolled: 1-line block ×3, first 2 shown]
	v_alignbit_b32 v40, v37, v35, v41
	v_cndmask_b32_e64 v34, v36, v34, s[8:9]
	v_cndmask_b32_e64 v37, v40, v37, s[12:13]
	v_bfe_u32 v43, v2, 29, 1
	v_cndmask_b32_e64 v34, v39, v34, s[10:11]
	v_alignbit_b32 v40, v2, v37, 30
	v_sub_u32_e32 v44, 0, v43
	v_alignbit_b32 v36, v35, v34, v41
	v_xor_b32_e32 v45, v40, v44
	v_cndmask_b32_e64 v35, v36, v35, s[12:13]
	v_alignbit_b32 v36, v37, v35, 30
	v_ffbh_u32_e32 v37, v45
	v_add_u32_e32 v37, 1, v37
	v_cmp_ne_u32_e64 s[6:7], v40, v44
	v_cndmask_b32_e64 v37, 33, v37, s[6:7]
	v_alignbit_b32 v34, v35, v34, 30
	v_xor_b32_e32 v36, v36, v44
	v_sub_u32_e32 v38, 32, v37
	v_xor_b32_e32 v34, v34, v44
	v_alignbit_b32 v39, v45, v36, v38
	v_alignbit_b32 v34, v36, v34, v38
	;; [unrolled: 1-line block ×3, first 2 shown]
	v_ffbh_u32_e32 v36, v35
	v_min_u32_e32 v36, 32, v36
	v_lshrrev_b32_e32 v42, 29, v2
	v_sub_u32_e32 v38, 31, v36
	v_alignbit_b32 v34, v35, v34, v38
	v_lshlrev_b32_e32 v35, 31, v42
	v_or_b32_e32 v38, 0x33800000, v35
	v_add_lshl_u32 v36, v36, v37, 23
	v_lshrrev_b32_e32 v34, 9, v34
	v_sub_u32_e32 v36, v38, v36
	v_or_b32_e32 v34, v36, v34
	v_alignbit_b32 v36, v37, v39, 9
	v_or_b32_e32 v35, v36, v35
	v_xor_b32_e32 v35, 1.0, v35
	v_mul_f32_e32 v36, 0x3fc90fda, v35
	v_fma_f32 v37, v35, s36, -v36
	v_fmac_f32_e32 v37, 0x33a22168, v35
	v_fmac_f32_e32 v37, 0x3fc90fda, v34
	v_lshrrev_b32_e32 v2, 30, v2
	v_add_f32_e32 v35, v36, v37
	v_add_u32_e32 v36, v43, v2
.LBB93_35:                              ;   in Loop: Header=BB93_25 Depth=1
	s_andn2_saveexec_b64 s[6:7], s[22:23]
; %bb.36:                               ;   in Loop: Header=BB93_25 Depth=1
	v_mul_f32_e64 v2, |v32|, s37
	v_rndne_f32_e32 v2, v2
	v_cvt_i32_f32_e32 v36, v2
	v_fma_f32 v35, v2, s38, |v32|
	v_fmac_f32_e32 v35, 0xb3a22168, v2
	v_fmac_f32_e32 v35, 0xa7c234c4, v2
; %bb.37:                               ;   in Loop: Header=BB93_25 Depth=1
	s_or_b64 exec, exec, s[6:7]
	v_and_b32_e32 v34, 0x7fffffff, v31
	v_cmp_nlt_f32_e64 s[6:7], |v31|, s27
                                        ; implicit-def: $vgpr39
                                        ; implicit-def: $vgpr38
	s_and_saveexec_b64 s[8:9], s[6:7]
	s_xor_b64 s[22:23], exec, s[8:9]
	s_cbranch_execz .LBB93_39
; %bb.38:                               ;   in Loop: Header=BB93_25 Depth=1
	v_lshrrev_b32_e32 v2, 23, v34
	v_add_u32_e32 v2, 0xffffff88, v2
	v_cmp_lt_u32_e64 s[6:7], 63, v2
	v_cndmask_b32_e64 v37, 0, v26, s[6:7]
	v_add_u32_e32 v2, v37, v2
	v_cmp_lt_u32_e64 s[8:9], 31, v2
	v_cndmask_b32_e64 v37, 0, v27, s[8:9]
	;; [unrolled: 3-line block ×3, first 2 shown]
	v_add_u32_e32 v37, v37, v2
	v_and_b32_e32 v2, 0x7fffff, v34
	v_or_b32_e32 v50, 0x800000, v2
	v_mad_u64_u32 v[38:39], s[12:13], v50, s28, 0
	v_mov_b32_e32 v2, v39
	v_mad_u64_u32 v[40:41], s[12:13], v50, s29, v[2:3]
	v_mov_b32_e32 v2, v41
	;; [unrolled: 2-line block ×6, first 2 shown]
	v_mad_u64_u32 v[50:51], s[12:13], v50, s35, v[2:3]
	v_cndmask_b32_e64 v39, v48, v44, s[6:7]
	v_cndmask_b32_e64 v2, v50, v46, s[6:7]
	;; [unrolled: 1-line block ×7, first 2 shown]
	v_sub_u32_e32 v45, 32, v37
	v_cmp_eq_u32_e64 s[12:13], 0, v37
	v_cndmask_b32_e64 v37, v44, v40, s[6:7]
	v_cndmask_b32_e64 v2, v2, v41, s[10:11]
	;; [unrolled: 1-line block ×4, first 2 shown]
	v_alignbit_b32 v46, v2, v41, v45
	v_cndmask_b32_e64 v39, v39, v40, s[10:11]
	v_cndmask_b32_e64 v2, v46, v2, s[12:13]
	v_alignbit_b32 v43, v41, v39, v45
	v_cndmask_b32_e64 v41, v43, v41, s[12:13]
	v_bfe_u32 v46, v2, 29, 1
	v_cndmask_b32_e64 v38, v42, v38, s[6:7]
	v_alignbit_b32 v43, v2, v41, 30
	v_sub_u32_e32 v47, 0, v46
	v_cndmask_b32_e64 v37, v37, v38, s[8:9]
	v_xor_b32_e32 v48, v43, v47
	v_cndmask_b32_e64 v37, v40, v37, s[10:11]
	v_alignbit_b32 v38, v39, v37, v45
	v_ffbh_u32_e32 v40, v48
	v_cndmask_b32_e64 v38, v38, v39, s[12:13]
	v_add_u32_e32 v40, 1, v40
	v_cmp_ne_u32_e64 s[6:7], v43, v47
	v_alignbit_b32 v39, v41, v38, 30
	v_cndmask_b32_e64 v40, 33, v40, s[6:7]
	v_alignbit_b32 v37, v38, v37, 30
	v_xor_b32_e32 v39, v39, v47
	v_sub_u32_e32 v41, 32, v40
	v_xor_b32_e32 v37, v37, v47
	v_alignbit_b32 v42, v48, v39, v41
	v_alignbit_b32 v37, v39, v37, v41
	;; [unrolled: 1-line block ×3, first 2 shown]
	v_ffbh_u32_e32 v39, v38
	v_min_u32_e32 v39, 32, v39
	v_lshrrev_b32_e32 v44, 29, v2
	v_sub_u32_e32 v41, 31, v39
	v_alignbit_b32 v37, v38, v37, v41
	v_lshlrev_b32_e32 v38, 31, v44
	v_or_b32_e32 v41, 0x33800000, v38
	v_add_lshl_u32 v39, v39, v40, 23
	v_lshrrev_b32_e32 v37, 9, v37
	v_sub_u32_e32 v39, v41, v39
	v_or_b32_e32 v37, v39, v37
	v_alignbit_b32 v39, v40, v42, 9
	v_or_b32_e32 v38, v39, v38
	v_xor_b32_e32 v38, 1.0, v38
	v_mul_f32_e32 v39, 0x3fc90fda, v38
	v_fma_f32 v40, v38, s36, -v39
	v_fmac_f32_e32 v40, 0x33a22168, v38
	v_fmac_f32_e32 v40, 0x3fc90fda, v37
	v_lshrrev_b32_e32 v2, 30, v2
	v_add_f32_e32 v38, v39, v40
	v_add_u32_e32 v39, v46, v2
.LBB93_39:                              ;   in Loop: Header=BB93_25 Depth=1
	s_andn2_saveexec_b64 s[6:7], s[22:23]
; %bb.40:                               ;   in Loop: Header=BB93_25 Depth=1
	v_mul_f32_e64 v2, |v31|, s37
	v_rndne_f32_e32 v2, v2
	v_cvt_i32_f32_e32 v39, v2
	v_fma_f32 v38, v2, s38, |v31|
	v_fmac_f32_e32 v38, 0xb3a22168, v2
	v_fmac_f32_e32 v38, 0xa7c234c4, v2
; %bb.41:                               ;   in Loop: Header=BB93_25 Depth=1
	s_or_b64 exec, exec, s[6:7]
	v_and_b32_e32 v37, 0x7fffffff, v30
	v_cmp_nlt_f32_e64 s[6:7], |v30|, s27
                                        ; implicit-def: $vgpr42
                                        ; implicit-def: $vgpr41
	s_and_saveexec_b64 s[8:9], s[6:7]
	s_xor_b64 s[22:23], exec, s[8:9]
	s_cbranch_execz .LBB93_43
; %bb.42:                               ;   in Loop: Header=BB93_25 Depth=1
	v_lshrrev_b32_e32 v2, 23, v37
	v_add_u32_e32 v2, 0xffffff88, v2
	v_cmp_lt_u32_e64 s[6:7], 63, v2
	v_cndmask_b32_e64 v40, 0, v26, s[6:7]
	v_add_u32_e32 v2, v40, v2
	v_cmp_lt_u32_e64 s[8:9], 31, v2
	v_cndmask_b32_e64 v40, 0, v27, s[8:9]
	;; [unrolled: 3-line block ×3, first 2 shown]
	v_add_u32_e32 v54, v40, v2
	v_and_b32_e32 v2, 0x7fffff, v37
	v_or_b32_e32 v52, 0x800000, v2
	v_mad_u64_u32 v[40:41], s[12:13], v52, s28, 0
	v_mov_b32_e32 v2, v41
	v_mad_u64_u32 v[42:43], s[12:13], v52, s29, v[2:3]
	v_mov_b32_e32 v2, v43
	;; [unrolled: 2-line block ×6, first 2 shown]
	v_mad_u64_u32 v[52:53], s[12:13], v52, s35, v[2:3]
	v_cndmask_b32_e64 v41, v50, v46, s[6:7]
	v_cndmask_b32_e64 v2, v52, v48, s[6:7]
	;; [unrolled: 1-line block ×10, first 2 shown]
	v_sub_u32_e32 v47, 32, v54
	v_cndmask_b32_e64 v45, v45, v42, s[8:9]
	v_alignbit_b32 v48, v2, v43, v47
	v_cmp_eq_u32_e64 s[12:13], 0, v54
	v_cndmask_b32_e64 v41, v41, v45, s[10:11]
	v_cndmask_b32_e64 v40, v44, v40, s[6:7]
	;; [unrolled: 1-line block ×3, first 2 shown]
	v_alignbit_b32 v46, v43, v41, v47
	v_cndmask_b32_e64 v40, v42, v40, s[8:9]
	v_cndmask_b32_e64 v43, v46, v43, s[12:13]
	v_bfe_u32 v49, v2, 29, 1
	v_cndmask_b32_e64 v40, v45, v40, s[10:11]
	v_alignbit_b32 v46, v2, v43, 30
	v_sub_u32_e32 v50, 0, v49
	v_alignbit_b32 v42, v41, v40, v47
	v_xor_b32_e32 v51, v46, v50
	v_cndmask_b32_e64 v41, v42, v41, s[12:13]
	v_alignbit_b32 v42, v43, v41, 30
	v_ffbh_u32_e32 v43, v51
	v_add_u32_e32 v43, 1, v43
	v_cmp_ne_u32_e64 s[6:7], v46, v50
	v_cndmask_b32_e64 v43, 33, v43, s[6:7]
	v_alignbit_b32 v40, v41, v40, 30
	v_xor_b32_e32 v42, v42, v50
	v_sub_u32_e32 v44, 32, v43
	v_xor_b32_e32 v40, v40, v50
	v_alignbit_b32 v45, v51, v42, v44
	v_alignbit_b32 v40, v42, v40, v44
	;; [unrolled: 1-line block ×3, first 2 shown]
	v_ffbh_u32_e32 v42, v41
	v_min_u32_e32 v42, 32, v42
	v_lshrrev_b32_e32 v48, 29, v2
	v_sub_u32_e32 v44, 31, v42
	v_alignbit_b32 v40, v41, v40, v44
	v_lshlrev_b32_e32 v41, 31, v48
	v_or_b32_e32 v44, 0x33800000, v41
	v_add_lshl_u32 v42, v42, v43, 23
	v_lshrrev_b32_e32 v40, 9, v40
	v_sub_u32_e32 v42, v44, v42
	v_or_b32_e32 v40, v42, v40
	v_alignbit_b32 v42, v43, v45, 9
	v_or_b32_e32 v41, v42, v41
	v_xor_b32_e32 v41, 1.0, v41
	v_mul_f32_e32 v42, 0x3fc90fda, v41
	v_fma_f32 v43, v41, s36, -v42
	v_fmac_f32_e32 v43, 0x33a22168, v41
	v_fmac_f32_e32 v43, 0x3fc90fda, v40
	v_lshrrev_b32_e32 v2, 30, v2
	v_add_f32_e32 v41, v42, v43
	v_add_u32_e32 v42, v49, v2
.LBB93_43:                              ;   in Loop: Header=BB93_25 Depth=1
	s_andn2_saveexec_b64 s[6:7], s[22:23]
; %bb.44:                               ;   in Loop: Header=BB93_25 Depth=1
	v_mul_f32_e64 v2, |v30|, s37
	v_rndne_f32_e32 v2, v2
	v_cvt_i32_f32_e32 v42, v2
	v_fma_f32 v41, v2, s38, |v30|
	v_fmac_f32_e32 v41, 0xb3a22168, v2
	v_fmac_f32_e32 v41, 0xa7c234c4, v2
; %bb.45:                               ;   in Loop: Header=BB93_25 Depth=1
	s_or_b64 exec, exec, s[6:7]
	v_and_b32_e32 v40, 0x7fffffff, v29
	v_cmp_nlt_f32_e64 s[6:7], |v29|, s27
                                        ; implicit-def: $vgpr43
                                        ; implicit-def: $vgpr2
	s_and_saveexec_b64 s[8:9], s[6:7]
	s_xor_b64 s[22:23], exec, s[8:9]
	s_cbranch_execnz .LBB93_51
; %bb.46:                               ;   in Loop: Header=BB93_25 Depth=1
	s_andn2_saveexec_b64 s[6:7], s[22:23]
	s_cbranch_execnz .LBB93_52
.LBB93_47:                              ;   in Loop: Header=BB93_25 Depth=1
	s_or_b64 exec, exec, s[6:7]
	s_and_saveexec_b64 s[6:7], s[4:5]
	s_xor_b64 s[6:7], exec, s[6:7]
	s_cbranch_execnz .LBB93_53
.LBB93_48:                              ;   in Loop: Header=BB93_25 Depth=1
	s_or_b64 exec, exec, s[6:7]
	s_and_saveexec_b64 s[4:5], s[2:3]
	s_cbranch_execnz .LBB93_54
.LBB93_49:                              ;   in Loop: Header=BB93_25 Depth=1
	s_or_b64 exec, exec, s[4:5]
	s_and_saveexec_b64 s[2:3], s[0:1]
	s_cbranch_execnz .LBB93_55
.LBB93_50:                              ;   in Loop: Header=BB93_25 Depth=1
	s_or_b64 exec, exec, s[2:3]
	s_and_saveexec_b64 s[0:1], vcc
	s_cbranch_execz .LBB93_24
	s_branch .LBB93_56
.LBB93_51:                              ;   in Loop: Header=BB93_25 Depth=1
	v_lshrrev_b32_e32 v2, 23, v40
	v_add_u32_e32 v2, 0xffffff88, v2
	v_cmp_lt_u32_e64 s[6:7], 63, v2
	v_cndmask_b32_e64 v43, 0, v26, s[6:7]
	v_add_u32_e32 v2, v43, v2
	v_cmp_lt_u32_e64 s[8:9], 31, v2
	v_cndmask_b32_e64 v43, 0, v27, s[8:9]
	;; [unrolled: 3-line block ×3, first 2 shown]
	v_add_u32_e32 v43, v43, v2
	v_and_b32_e32 v2, 0x7fffff, v40
	v_or_b32_e32 v56, 0x800000, v2
	v_mad_u64_u32 v[44:45], s[12:13], v56, s28, 0
	v_mov_b32_e32 v2, v45
	v_mad_u64_u32 v[46:47], s[12:13], v56, s29, v[2:3]
	v_mov_b32_e32 v2, v47
	;; [unrolled: 2-line block ×6, first 2 shown]
	v_mad_u64_u32 v[56:57], s[12:13], v56, s35, v[2:3]
	v_cndmask_b32_e64 v45, v54, v50, s[6:7]
	v_cndmask_b32_e64 v2, v56, v52, s[6:7]
	;; [unrolled: 1-line block ×9, first 2 shown]
	v_sub_u32_e32 v51, 32, v43
	v_alignbit_b32 v52, v2, v47, v51
	v_cmp_eq_u32_e64 s[12:13], 0, v43
	v_cndmask_b32_e64 v43, v52, v2, s[12:13]
	v_cndmask_b32_e64 v2, v50, v46, s[6:7]
	;; [unrolled: 1-line block ×4, first 2 shown]
	v_alignbit_b32 v49, v47, v45, v51
	v_cndmask_b32_e64 v47, v49, v47, s[12:13]
	v_bfe_u32 v52, v43, 29, 1
	v_cndmask_b32_e64 v44, v48, v44, s[6:7]
	v_alignbit_b32 v49, v43, v47, 30
	v_sub_u32_e32 v53, 0, v52
	v_cndmask_b32_e64 v2, v2, v44, s[8:9]
	v_xor_b32_e32 v54, v49, v53
	v_cndmask_b32_e64 v2, v46, v2, s[10:11]
	v_alignbit_b32 v44, v45, v2, v51
	v_ffbh_u32_e32 v46, v54
	v_cndmask_b32_e64 v44, v44, v45, s[12:13]
	v_add_u32_e32 v46, 1, v46
	v_cmp_ne_u32_e64 s[6:7], v49, v53
	v_alignbit_b32 v45, v47, v44, 30
	v_cndmask_b32_e64 v46, 33, v46, s[6:7]
	v_alignbit_b32 v2, v44, v2, 30
	v_xor_b32_e32 v45, v45, v53
	v_sub_u32_e32 v47, 32, v46
	v_xor_b32_e32 v2, v2, v53
	v_alignbit_b32 v48, v54, v45, v47
	v_alignbit_b32 v2, v45, v2, v47
	;; [unrolled: 1-line block ×3, first 2 shown]
	v_ffbh_u32_e32 v45, v44
	v_min_u32_e32 v45, 32, v45
	v_lshrrev_b32_e32 v50, 29, v43
	v_sub_u32_e32 v47, 31, v45
	v_alignbit_b32 v2, v44, v2, v47
	v_lshlrev_b32_e32 v44, 31, v50
	v_or_b32_e32 v47, 0x33800000, v44
	v_add_lshl_u32 v45, v45, v46, 23
	v_lshrrev_b32_e32 v2, 9, v2
	v_sub_u32_e32 v45, v47, v45
	v_or_b32_e32 v2, v45, v2
	v_alignbit_b32 v45, v46, v48, 9
	v_or_b32_e32 v44, v45, v44
	v_xor_b32_e32 v44, 1.0, v44
	v_mul_f32_e32 v45, 0x3fc90fda, v44
	v_fma_f32 v46, v44, s36, -v45
	v_fmac_f32_e32 v46, 0x33a22168, v44
	v_fmac_f32_e32 v46, 0x3fc90fda, v2
	v_lshrrev_b32_e32 v43, 30, v43
	v_add_f32_e32 v2, v45, v46
	v_add_u32_e32 v43, v52, v43
	s_andn2_saveexec_b64 s[6:7], s[22:23]
	s_cbranch_execz .LBB93_47
.LBB93_52:                              ;   in Loop: Header=BB93_25 Depth=1
	v_mul_f32_e64 v2, |v29|, s37
	v_rndne_f32_e32 v44, v2
	v_cvt_i32_f32_e32 v43, v44
	v_fma_f32 v2, v44, s38, |v29|
	v_fmac_f32_e32 v2, 0xb3a22168, v44
	v_fmac_f32_e32 v2, 0xa7c234c4, v44
	s_or_b64 exec, exec, s[6:7]
	s_and_saveexec_b64 s[6:7], s[4:5]
	s_xor_b64 s[6:7], exec, s[6:7]
	s_cbranch_execz .LBB93_48
.LBB93_53:                              ;   in Loop: Header=BB93_25 Depth=1
	v_mul_f32_e32 v44, v35, v35
	v_mov_b32_e32 v45, 0xbf039337
	v_fmac_f32_e32 v45, 0x3c971480, v44
	v_fma_f32 v45, v44, v45, v25
	v_rcp_f32_e32 v45, v45
	v_mov_b32_e32 v46, 0x3ec54587
	v_fmac_f32_e32 v46, 0xbc8cedd3, v44
	v_and_b32_e32 v36, 1, v36
	v_mul_f32_e32 v45, v46, v45
	v_mul_f32_e32 v44, v44, v45
	v_fma_f32 v45, v44, v35, v35
	v_rcp_f32_e32 v46, v45
	v_sub_f32_e32 v47, v45, v35
	v_fma_f32 v35, v44, v35, -v47
	v_cmp_eq_u32_e64 s[4:5], 0, v36
	v_fma_f32 v44, v45, -v46, 1.0
	v_fma_f32 v35, v35, -v46, v44
	v_fma_f32 v35, v35, -v46, -v46
	v_cndmask_b32_e64 v35, v35, v45, s[4:5]
	v_xor_b32_e32 v33, v33, v32
	v_xor_b32_e32 v33, v33, v35
	v_cmp_class_f32_e64 s[4:5], v32, s39
	v_cndmask_b32_e64 v35, v28, v33, s[4:5]
	v_mov_b32_e32 v33, s15
	v_add_co_u32_e64 v32, s[4:5], s14, v6
	v_addc_co_u32_e64 v33, s[4:5], v5, v33, s[4:5]
	global_store_dword v[32:33], v35, off
	s_or_b64 exec, exec, s[6:7]
	s_and_saveexec_b64 s[4:5], s[2:3]
	s_cbranch_execz .LBB93_49
.LBB93_54:                              ;   in Loop: Header=BB93_25 Depth=1
	v_mul_f32_e32 v32, v38, v38
	v_mov_b32_e32 v33, 0xbf039337
	v_fmac_f32_e32 v33, 0x3c971480, v32
	v_fma_f32 v33, v32, v33, v25
	v_rcp_f32_e32 v33, v33
	v_mov_b32_e32 v35, 0x3ec54587
	v_fmac_f32_e32 v35, 0xbc8cedd3, v32
	v_and_b32_e32 v36, 1, v39
	v_mul_f32_e32 v33, v35, v33
	v_mul_f32_e32 v32, v32, v33
	v_fma_f32 v33, v32, v38, v38
	v_rcp_f32_e32 v35, v33
	v_sub_f32_e32 v39, v33, v38
	v_fma_f32 v32, v32, v38, -v39
	v_cmp_eq_u32_e64 s[2:3], 0, v36
	v_fma_f32 v38, v33, -v35, 1.0
	v_fma_f32 v32, v32, -v35, v38
	v_fma_f32 v32, v32, -v35, -v35
	v_cndmask_b32_e64 v32, v32, v33, s[2:3]
	v_xor_b32_e32 v33, v34, v31
	v_xor_b32_e32 v32, v33, v32
	v_cmp_class_f32_e64 s[2:3], v31, s39
	v_cndmask_b32_e64 v31, v28, v32, s[2:3]
	v_mov_b32_e32 v33, s15
	v_add_co_u32_e64 v32, s[2:3], s14, v18
	v_addc_co_u32_e64 v33, s[2:3], v17, v33, s[2:3]
	global_store_dword v[32:33], v31, off
	s_or_b64 exec, exec, s[4:5]
	s_and_saveexec_b64 s[2:3], s[0:1]
	s_cbranch_execz .LBB93_50
.LBB93_55:                              ;   in Loop: Header=BB93_25 Depth=1
	v_mul_f32_e32 v31, v41, v41
	v_mov_b32_e32 v32, 0xbf039337
	v_fmac_f32_e32 v32, 0x3c971480, v31
	v_fma_f32 v32, v31, v32, v25
	v_rcp_f32_e32 v32, v32
	v_mov_b32_e32 v33, 0x3ec54587
	v_fmac_f32_e32 v33, 0xbc8cedd3, v31
	v_and_b32_e32 v34, 1, v42
	v_mul_f32_e32 v32, v33, v32
	v_mul_f32_e32 v31, v31, v32
	v_fma_f32 v32, v31, v41, v41
	v_rcp_f32_e32 v33, v32
	v_sub_f32_e32 v35, v32, v41
	v_fma_f32 v31, v31, v41, -v35
	v_cmp_eq_u32_e64 s[0:1], 0, v34
	v_fma_f32 v35, v32, -v33, 1.0
	v_fma_f32 v31, v31, -v33, v35
	v_fma_f32 v31, v31, -v33, -v33
	v_cndmask_b32_e64 v31, v31, v32, s[0:1]
	v_xor_b32_e32 v32, v37, v30
	v_xor_b32_e32 v31, v32, v31
	v_cmp_class_f32_e64 s[0:1], v30, s39
	v_cndmask_b32_e64 v32, v28, v31, s[0:1]
	v_mov_b32_e32 v31, s15
	v_add_co_u32_e64 v30, s[0:1], s14, v14
	v_addc_co_u32_e64 v31, s[0:1], v13, v31, s[0:1]
	global_store_dword v[30:31], v32, off
	s_or_b64 exec, exec, s[2:3]
	s_and_saveexec_b64 s[0:1], vcc
	s_cbranch_execz .LBB93_24
.LBB93_56:                              ;   in Loop: Header=BB93_25 Depth=1
	v_mul_f32_e32 v30, v2, v2
	v_mov_b32_e32 v31, 0xbf039337
	v_fmac_f32_e32 v31, 0x3c971480, v30
	v_fma_f32 v31, v30, v31, v25
	v_rcp_f32_e32 v31, v31
	v_mov_b32_e32 v32, 0x3ec54587
	v_fmac_f32_e32 v32, 0xbc8cedd3, v30
	v_and_b32_e32 v33, 1, v43
	v_mul_f32_e32 v31, v32, v31
	v_mul_f32_e32 v30, v30, v31
	v_fma_f32 v31, v30, v2, v2
	v_rcp_f32_e32 v32, v31
	v_sub_f32_e32 v34, v31, v2
	v_fma_f32 v2, v30, v2, -v34
	v_cmp_eq_u32_e32 vcc, 0, v33
	v_fma_f32 v30, v31, -v32, 1.0
	v_fma_f32 v2, v2, -v32, v30
	v_fma_f32 v2, v2, -v32, -v32
	v_cndmask_b32_e32 v2, v2, v31, vcc
	v_xor_b32_e32 v30, v40, v29
	v_xor_b32_e32 v2, v30, v2
	v_cmp_class_f32_e64 vcc, v29, s39
	v_cndmask_b32_e32 v2, v28, v2, vcc
	v_mov_b32_e32 v29, s15
	v_add_co_u32_e32 v30, vcc, s14, v10
	v_addc_co_u32_e32 v31, vcc, v9, v29, vcc
	global_store_dword v[30:31], v2, off
	s_branch .LBB93_24
.LBB93_57:
	s_endpgm
	.section	.rodata,"a",@progbits
	.p2align	6, 0x0
	.amdhsa_kernel _ZN2at6native12_GLOBAL__N_125multi_tensor_apply_kernelINS1_18TensorListMetadataILi2EEENS1_14UnaryOpFunctorIfLi2ELi1ELi1EEEJNS0_3TanIfEEEEEvT_T0_DpT1_
		.amdhsa_group_segment_fixed_size 0
		.amdhsa_private_segment_fixed_size 0
		.amdhsa_kernarg_size 3408
		.amdhsa_user_sgpr_count 6
		.amdhsa_user_sgpr_private_segment_buffer 1
		.amdhsa_user_sgpr_dispatch_ptr 0
		.amdhsa_user_sgpr_queue_ptr 0
		.amdhsa_user_sgpr_kernarg_segment_ptr 1
		.amdhsa_user_sgpr_dispatch_id 0
		.amdhsa_user_sgpr_flat_scratch_init 0
		.amdhsa_user_sgpr_kernarg_preload_length 0
		.amdhsa_user_sgpr_kernarg_preload_offset 0
		.amdhsa_user_sgpr_private_segment_size 0
		.amdhsa_uses_dynamic_stack 0
		.amdhsa_system_sgpr_private_segment_wavefront_offset 0
		.amdhsa_system_sgpr_workgroup_id_x 1
		.amdhsa_system_sgpr_workgroup_id_y 0
		.amdhsa_system_sgpr_workgroup_id_z 0
		.amdhsa_system_sgpr_workgroup_info 0
		.amdhsa_system_vgpr_workitem_id 0
		.amdhsa_next_free_vgpr 58
		.amdhsa_next_free_sgpr 44
		.amdhsa_accum_offset 60
		.amdhsa_reserve_vcc 1
		.amdhsa_reserve_flat_scratch 0
		.amdhsa_float_round_mode_32 0
		.amdhsa_float_round_mode_16_64 0
		.amdhsa_float_denorm_mode_32 3
		.amdhsa_float_denorm_mode_16_64 3
		.amdhsa_dx10_clamp 1
		.amdhsa_ieee_mode 1
		.amdhsa_fp16_overflow 0
		.amdhsa_tg_split 0
		.amdhsa_exception_fp_ieee_invalid_op 0
		.amdhsa_exception_fp_denorm_src 0
		.amdhsa_exception_fp_ieee_div_zero 0
		.amdhsa_exception_fp_ieee_overflow 0
		.amdhsa_exception_fp_ieee_underflow 0
		.amdhsa_exception_fp_ieee_inexact 0
		.amdhsa_exception_int_div_zero 0
	.end_amdhsa_kernel
	.section	.text._ZN2at6native12_GLOBAL__N_125multi_tensor_apply_kernelINS1_18TensorListMetadataILi2EEENS1_14UnaryOpFunctorIfLi2ELi1ELi1EEEJNS0_3TanIfEEEEEvT_T0_DpT1_,"axG",@progbits,_ZN2at6native12_GLOBAL__N_125multi_tensor_apply_kernelINS1_18TensorListMetadataILi2EEENS1_14UnaryOpFunctorIfLi2ELi1ELi1EEEJNS0_3TanIfEEEEEvT_T0_DpT1_,comdat
.Lfunc_end93:
	.size	_ZN2at6native12_GLOBAL__N_125multi_tensor_apply_kernelINS1_18TensorListMetadataILi2EEENS1_14UnaryOpFunctorIfLi2ELi1ELi1EEEJNS0_3TanIfEEEEEvT_T0_DpT1_, .Lfunc_end93-_ZN2at6native12_GLOBAL__N_125multi_tensor_apply_kernelINS1_18TensorListMetadataILi2EEENS1_14UnaryOpFunctorIfLi2ELi1ELi1EEEJNS0_3TanIfEEEEEvT_T0_DpT1_
                                        ; -- End function
	.section	.AMDGPU.csdata,"",@progbits
; Kernel info:
; codeLenInByte = 7512
; NumSgprs: 48
; NumVgprs: 58
; NumAgprs: 0
; TotalNumVgprs: 58
; ScratchSize: 0
; MemoryBound: 0
; FloatMode: 240
; IeeeMode: 1
; LDSByteSize: 0 bytes/workgroup (compile time only)
; SGPRBlocks: 5
; VGPRBlocks: 7
; NumSGPRsForWavesPerEU: 48
; NumVGPRsForWavesPerEU: 58
; AccumOffset: 60
; Occupancy: 8
; WaveLimiterHint : 0
; COMPUTE_PGM_RSRC2:SCRATCH_EN: 0
; COMPUTE_PGM_RSRC2:USER_SGPR: 6
; COMPUTE_PGM_RSRC2:TRAP_HANDLER: 0
; COMPUTE_PGM_RSRC2:TGID_X_EN: 1
; COMPUTE_PGM_RSRC2:TGID_Y_EN: 0
; COMPUTE_PGM_RSRC2:TGID_Z_EN: 0
; COMPUTE_PGM_RSRC2:TIDIG_COMP_CNT: 0
; COMPUTE_PGM_RSRC3_GFX90A:ACCUM_OFFSET: 14
; COMPUTE_PGM_RSRC3_GFX90A:TG_SPLIT: 0
	.section	.text._ZN2at6native12_GLOBAL__N_125multi_tensor_apply_kernelINS1_18TensorListMetadataILi2EEENS1_14UnaryOpFunctorIN3c107complexIdEELi2ELi1ELi1EEEJNS0_3TanIS8_EEEEEvT_T0_DpT1_,"axG",@progbits,_ZN2at6native12_GLOBAL__N_125multi_tensor_apply_kernelINS1_18TensorListMetadataILi2EEENS1_14UnaryOpFunctorIN3c107complexIdEELi2ELi1ELi1EEEJNS0_3TanIS8_EEEEEvT_T0_DpT1_,comdat
	.globl	_ZN2at6native12_GLOBAL__N_125multi_tensor_apply_kernelINS1_18TensorListMetadataILi2EEENS1_14UnaryOpFunctorIN3c107complexIdEELi2ELi1ELi1EEEJNS0_3TanIS8_EEEEEvT_T0_DpT1_ ; -- Begin function _ZN2at6native12_GLOBAL__N_125multi_tensor_apply_kernelINS1_18TensorListMetadataILi2EEENS1_14UnaryOpFunctorIN3c107complexIdEELi2ELi1ELi1EEEJNS0_3TanIS8_EEEEEvT_T0_DpT1_
	.p2align	8
	.type	_ZN2at6native12_GLOBAL__N_125multi_tensor_apply_kernelINS1_18TensorListMetadataILi2EEENS1_14UnaryOpFunctorIN3c107complexIdEELi2ELi1ELi1EEEJNS0_3TanIS8_EEEEEvT_T0_DpT1_,@function
_ZN2at6native12_GLOBAL__N_125multi_tensor_apply_kernelINS1_18TensorListMetadataILi2EEENS1_14UnaryOpFunctorIN3c107complexIdEELi2ELi1ELi1EEEJNS0_3TanIS8_EEEEEvT_T0_DpT1_: ; @_ZN2at6native12_GLOBAL__N_125multi_tensor_apply_kernelINS1_18TensorListMetadataILi2EEENS1_14UnaryOpFunctorIN3c107complexIdEELi2ELi1ELi1EEEJNS0_3TanIS8_EEEEEvT_T0_DpT1_
; %bb.0:
	v_mov_b32_e32 v1, s6
	global_load_ubyte v1, v1, s[4:5] offset:1536
	s_add_u32 s0, s4, s6
	s_mul_hi_u32 s3, s6, 3
	s_mul_i32 s6, s6, 3
	s_addc_u32 s7, s5, 0
	s_add_u32 s2, s0, s6
	s_addc_u32 s3, s7, s3
	s_load_dword s2, s[2:3], 0x740
                                        ; implicit-def: $vgpr114 : SGPR spill to VGPR lane
	s_mov_b32 s9, 0
	s_mov_b32 s1, s9
	s_waitcnt lgkmcnt(0)
	s_ashr_i32 s3, s2, 31
	s_lshl_b64 s[10:11], s[2:3], 20
	s_waitcnt vmcnt(0)
	v_readfirstlane_b32 s0, v1
	s_lshl_b32 s0, s0, 3
	s_load_dwordx2 s[14:15], s[4:5], s0 offset:0x0
	s_load_dwordx2 s[12:13], s[4:5], s0 offset:0x400
	;; [unrolled: 1-line block ×3, first 2 shown]
	s_waitcnt lgkmcnt(0)
	s_add_u32 s33, s14, s10
	v_writelane_b32 v114, s14, 0
	s_addc_u32 s64, s15, s11
	s_add_u32 s65, s6, s10
	v_writelane_b32 v114, s15, 1
	s_addc_u32 s66, s7, s11
	s_and_b32 s0, s33, 63
	s_and_b32 s14, s12, 3
	s_mov_b32 s15, s9
	s_and_b32 s8, s65, 63
	s_or_b64 s[0:1], s[0:1], s[14:15]
	s_lshl_b64 s[2:3], s[2:3], 16
	s_or_b64 s[0:1], s[8:9], s[0:1]
	s_sub_u32 s12, s12, s2
	s_subb_u32 s13, s13, s3
	s_cmp_eq_u64 s[0:1], 0
	s_mov_b64 s[0:1], -1
	s_cbranch_scc0 .LBB94_157
; %bb.1:
	v_mov_b32_e32 v22, 0
	v_lshlrev_b32_e32 v2, 2, v0
	v_mov_b32_e32 v3, v22
	v_cmp_gt_i64_e32 vcc, s[12:13], v[2:3]
	s_mov_b64 s[0:1], exec
	v_writelane_b32 v114, s0, 2
	v_writelane_b32 v114, s1, 3
	s_and_b64 s[0:1], s[0:1], vcc
	s_mov_b64 exec, s[0:1]
	s_cbranch_execz .LBB94_156
; %bb.2:
	s_load_dword s0, s[4:5], 0xc5c
	s_mov_b32 s18, 0
	s_mov_b32 s20, 0
	;; [unrolled: 1-line block ×4, first 2 shown]
	s_waitcnt lgkmcnt(0)
	s_and_b32 s0, s0, 0xffff
	s_mov_b32 s34, 0x6dc9c883
	s_mov_b32 s36, 0x33145c00
	;; [unrolled: 1-line block ×18, first 2 shown]
	v_mov_b32_e32 v25, v22
	v_lshlrev_b32_e32 v26, 6, v0
	v_add_lshl_u32 v24, v0, s0, 2
	s_lshl_b32 s8, s0, 2
	s_lshl_b32 s67, s0, 6
	s_mov_b64 s[16:17], 0
	s_brev_b32 s68, -2
	s_mov_b32 s69, 0x7ff00000
	s_movk_i32 s90, 0x1f8
	s_mov_b32 s91, 0x40360000
	s_mov_b32 s19, 0x41d00000
	;; [unrolled: 1-line block ×3, first 2 shown]
	s_movk_i32 s2, 0xff80
	s_mov_b32 s23, 0x7ff00000
	s_mov_b32 s25, 0x3ff921fb
	;; [unrolled: 1-line block ×17, first 2 shown]
	v_mov_b32_e32 v1, 0x260
	s_mov_b32 s71, 0x3e21eeb6
	s_mov_b32 s73, 0xbda907db
	;; [unrolled: 1-line block ×11, first 2 shown]
	s_mov_b64 s[92:93], 0xffff
	v_mov_b32_e32 v27, 0x40100000
	v_mov_b32_e32 v84, 0x3ff00000
	;; [unrolled: 1-line block ×49, first 2 shown]
	s_branch .LBB94_7
.LBB94_3:                               ;   in Loop: Header=BB94_7 Depth=1
	s_or_b64 exec, exec, s[0:1]
	v_mul_f64 v[72:73], v[4:5], v[4:5]
	v_pk_mov_b32 v[92:93], s[70:71], s[70:71] op_sel:[0,1]
	v_mul_f64 v[74:75], v[72:73], 0.5
	v_fma_f64 v[94:95], s[72:73], v[72:73], v[92:93]
	v_add_f64 v[76:77], -v[74:75], 1.0
	v_fma_f64 v[94:95], v[72:73], v[94:95], s[74:75]
	v_add_f64 v[78:79], -v[76:77], 1.0
	v_fma_f64 v[94:95], v[72:73], v[94:95], s[76:77]
	v_add_f64 v[74:75], v[78:79], -v[74:75]
	v_fma_f64 v[94:95], v[72:73], v[94:95], s[78:79]
	v_mul_f64 v[78:79], v[72:73], v[72:73]
	v_fma_f64 v[94:95], v[72:73], v[94:95], s[62:63]
	v_fma_f64 v[74:75], v[4:5], -v[10:11], v[74:75]
	v_fmac_f64_e32 v[74:75], v[78:79], v[94:95]
	v_add_f64 v[74:75], v[76:77], v[74:75]
	v_pk_mov_b32 v[76:77], s[80:81], s[80:81] op_sel:[0,1]
	v_fma_f64 v[78:79], s[82:83], v[72:73], v[76:77]
	v_fma_f64 v[78:79], v[72:73], v[78:79], s[84:85]
	;; [unrolled: 1-line block ×4, first 2 shown]
	v_mul_f64 v[94:95], v[4:5], -v[72:73]
	v_mul_f64 v[96:97], v[10:11], 0.5
	v_fmac_f64_e32 v[96:97], v[94:95], v[78:79]
	v_fma_f64 v[10:11], v[72:73], v[96:97], -v[10:11]
	s_mov_b32 s88, s62
	v_fmac_f64_e32 v[10:11], s[88:89], v[94:95]
	v_add_f64 v[4:5], v[4:5], -v[10:11]
	v_and_b32_e32 v10, 1, v88
	v_cmp_eq_u32_e32 vcc, 0, v10
	v_lshlrev_b32_e32 v10, 30, v88
	v_xor_b32_e32 v10, v10, v3
	v_cndmask_b32_e32 v5, v75, v5, vcc
	v_and_b32_e32 v10, 0x80000000, v10
	v_cndmask_b32_e32 v4, v74, v4, vcc
	v_xor_b32_e32 v5, v5, v10
	v_cmp_class_f64_e64 vcc, v[2:3], s90
	v_cndmask_b32_e32 v2, 0, v4, vcc
	v_cndmask_b32_e32 v3, v87, v5, vcc
	v_mul_f64 v[4:5], v[80:81], v[80:81]
	v_mul_f64 v[10:11], v[4:5], 0.5
	v_fmac_f64_e32 v[92:93], s[72:73], v[4:5]
	v_add_f64 v[72:73], -v[10:11], 1.0
	v_fma_f64 v[78:79], v[4:5], v[92:93], s[74:75]
	v_add_f64 v[74:75], -v[72:73], 1.0
	v_fma_f64 v[78:79], v[4:5], v[78:79], s[76:77]
	v_add_f64 v[10:11], v[74:75], -v[10:11]
	v_fma_f64 v[78:79], v[4:5], v[78:79], s[78:79]
	v_mul_f64 v[74:75], v[4:5], v[4:5]
	v_fma_f64 v[78:79], v[4:5], v[78:79], s[62:63]
	v_fma_f64 v[10:11], v[80:81], -v[82:83], v[10:11]
	v_fmac_f64_e32 v[10:11], v[74:75], v[78:79]
	v_fmac_f64_e32 v[76:77], s[82:83], v[4:5]
	v_add_f64 v[10:11], v[72:73], v[10:11]
	v_fma_f64 v[72:73], v[4:5], v[76:77], s[84:85]
	v_fma_f64 v[72:73], v[4:5], v[72:73], s[86:87]
	;; [unrolled: 1-line block ×3, first 2 shown]
	v_mul_f64 v[74:75], v[80:81], -v[4:5]
	v_mul_f64 v[76:77], v[82:83], 0.5
	v_fmac_f64_e32 v[76:77], v[74:75], v[72:73]
	v_fma_f64 v[4:5], v[4:5], v[76:77], -v[82:83]
	v_fmac_f64_e32 v[4:5], s[88:89], v[74:75]
	v_and_b32_e32 v23, 1, v90
	v_add_f64 v[4:5], v[80:81], -v[4:5]
	v_cmp_eq_u32_e64 s[0:1], 0, v23
	v_xor_b32_e32 v5, 0x80000000, v5
	v_cndmask_b32_e64 v4, v4, v10, s[0:1]
	v_lshlrev_b32_e32 v10, 30, v90
	v_cndmask_b32_e64 v5, v5, v11, s[0:1]
	v_and_b32_e32 v10, 0x80000000, v10
	v_xor_b32_e32 v5, v5, v10
	v_cndmask_b32_e32 v4, 0, v4, vcc
	v_cndmask_b32_e32 v5, v87, v5, vcc
	v_mul_f64 v[2:3], v[2:3], v[4:5]
.LBB94_4:                               ;   in Loop: Header=BB94_7 Depth=1
	s_or_b64 exec, exec, s[94:95]
	v_add_co_u32_e32 v12, vcc, 0, v12
	v_bfi_b32 v23, s68, 0, v3
	v_addc_co_u32_e32 v13, vcc, -2.0, v13, vcc
	v_pk_mov_b32 v[10:11], v[22:23], v[22:23] op_sel:[0,1]
.LBB94_5:                               ;   in Loop: Header=BB94_7 Depth=1
	s_or_b64 exec, exec, s[40:41]
.LBB94_6:                               ;   in Loop: Header=BB94_7 Depth=1
	s_or_b64 exec, exec, s[14:15]
	v_mov_b32_e32 v3, s66
	v_add_co_u32_e32 v2, vcc, s65, v26
	v_addc_co_u32_e32 v3, vcc, 0, v3, vcc
	v_cmp_le_i64_e32 vcc, s[12:13], v[24:25]
	v_cmp_lt_u64_e64 s[0:1], s[92:93], v[24:25]
	s_or_b64 s[0:1], vcc, s[0:1]
	s_add_u32 s33, s33, s67
	s_addc_u32 s64, s64, 0
	s_add_u32 s65, s65, s67
	v_xor_b32_e32 v9, 0x80000000, v9
	s_addc_u32 s66, s66, 0
	v_xor_b32_e32 v21, 0x80000000, v21
	v_xor_b32_e32 v17, 0x80000000, v17
	;; [unrolled: 1-line block ×3, first 2 shown]
	global_store_dwordx4 v[2:3], v[6:9], off
	global_store_dwordx4 v[2:3], v[14:17], off offset:16
	global_store_dwordx4 v[2:3], v[18:21], off offset:32
	;; [unrolled: 1-line block ×3, first 2 shown]
	v_mov_b32_e32 v2, s9
	s_and_b64 s[0:1], exec, s[0:1]
	v_add_co_u32_e32 v24, vcc, s8, v24
	s_or_b64 s[16:17], s[0:1], s[16:17]
	v_addc_co_u32_e32 v25, vcc, v25, v2, vcc
	s_andn2_b64 exec, exec, s[16:17]
	s_cbranch_execz .LBB94_156
.LBB94_7:                               ; =>This Inner Loop Header: Depth=1
	v_mov_b32_e32 v2, s64
	v_add_co_u32_e32 v6, vcc, s33, v26
	v_addc_co_u32_e32 v7, vcc, 0, v2, vcc
	global_load_dwordx4 v[14:17], v[6:7], off
	global_load_dwordx4 v[18:21], v[6:7], off offset:16
	global_load_dwordx4 v[2:5], v[6:7], off offset:48
	;; [unrolled: 1-line block ×3, first 2 shown]
	s_waitcnt vmcnt(3)
	v_xor_b32_e32 v9, 0x80000000, v17
	v_and_b32_e32 v23, 0x7fffffff, v9
	v_mov_b32_e32 v8, v16
	v_cmp_gt_u32_e32 vcc, s69, v23
	s_and_saveexec_b64 s[0:1], vcc
	s_xor_b64 s[94:95], exec, s[0:1]
	s_cbranch_execz .LBB94_29
; %bb.8:                                ;   in Loop: Header=BB94_7 Depth=1
	v_cmp_class_f64_e64 s[0:1], v[14:15], s90
                                        ; implicit-def: $vgpr6_vgpr7
	s_and_saveexec_b64 s[14:15], s[0:1]
	s_xor_b64 s[14:15], exec, s[14:15]
	s_cbranch_execz .LBB94_26
; %bb.9:                                ;   in Loop: Header=BB94_7 Depth=1
	v_cmp_gt_u32_e32 vcc, s91, v23
                                        ; implicit-def: $vgpr6_vgpr7
	s_and_saveexec_b64 s[0:1], vcc
	s_xor_b64 s[40:41], exec, s[0:1]
	s_cbranch_execz .LBB94_15
; %bb.10:                               ;   in Loop: Header=BB94_7 Depth=1
	v_cmp_nlt_f64_e64 s[0:1], |v[14:15]|, s[18:19]
                                        ; implicit-def: $vgpr72
                                        ; implicit-def: $vgpr6_vgpr7
                                        ; implicit-def: $vgpr8_vgpr9
	s_and_saveexec_b64 s[54:55], s[0:1]
	s_xor_b64 s[54:55], exec, s[54:55]
	s_cbranch_execz .LBB94_12
; %bb.11:                               ;   in Loop: Header=BB94_7 Depth=1
	v_and_b32_e32 v23, 0x7fffffff, v15
	v_ldexp_f64 v[72:73], |v[14:15]|, s2
	v_cmp_ge_f64_e64 vcc, |v[14:15]|, s[20:21]
	v_trig_preop_f64 v[6:7], |v[14:15]|, 0
	v_cndmask_b32_e32 v73, v23, v73, vcc
	v_cndmask_b32_e32 v72, v14, v72, vcc
	v_trig_preop_f64 v[8:9], |v[14:15]|, 1
	v_mul_f64 v[76:77], v[6:7], v[72:73]
	v_mul_f64 v[74:75], v[8:9], v[72:73]
	v_fma_f64 v[6:7], v[6:7], v[72:73], -v[76:77]
	v_add_f64 v[78:79], v[74:75], v[6:7]
	v_add_f64 v[80:81], v[76:77], v[78:79]
	v_ldexp_f64 v[82:83], v[80:81], -2
	v_fract_f64_e32 v[88:89], v[82:83]
	v_cmp_neq_f64_e64 vcc, |v[82:83]|, s[22:23]
	v_cndmask_b32_e32 v83, 0, v89, vcc
	v_cndmask_b32_e32 v82, 0, v88, vcc
	v_add_f64 v[88:89], v[78:79], -v[74:75]
	v_add_f64 v[6:7], v[6:7], -v[88:89]
	v_add_f64 v[88:89], v[78:79], -v[88:89]
	v_add_f64 v[88:89], v[74:75], -v[88:89]
	v_fma_f64 v[8:9], v[8:9], v[72:73], -v[74:75]
	v_trig_preop_f64 v[74:75], |v[14:15]|, 2
	v_add_f64 v[6:7], v[6:7], v[88:89]
	v_mul_f64 v[88:89], v[74:75], v[72:73]
	v_add_f64 v[90:91], v[88:89], v[8:9]
	v_add_f64 v[92:93], v[90:91], v[6:7]
	v_add_f64 v[76:77], v[80:81], -v[76:77]
	v_add_f64 v[80:81], v[92:93], -v[90:91]
	;; [unrolled: 1-line block ×5, first 2 shown]
	v_add_f64 v[6:7], v[6:7], v[80:81]
	v_add_f64 v[80:81], v[90:91], -v[88:89]
	v_add_f64 v[8:9], v[8:9], -v[80:81]
	;; [unrolled: 1-line block ×4, first 2 shown]
	v_add_f64 v[8:9], v[8:9], v[80:81]
	v_add_f64 v[76:77], v[78:79], -v[76:77]
	v_add_f64 v[6:7], v[8:9], v[6:7]
	v_fma_f64 v[8:9], v[74:75], v[72:73], -v[88:89]
	v_add_f64 v[78:79], v[76:77], v[92:93]
	v_add_f64 v[6:7], v[8:9], v[6:7]
	v_ldexp_f64 v[8:9], v[82:83], 2
	v_add_f64 v[72:73], v[78:79], v[8:9]
	v_cmp_gt_f64_e32 vcc, 0, v[72:73]
	v_cndmask_b32_e32 v23, 0, v27, vcc
	v_add_f64 v[8:9], v[8:9], v[22:23]
	v_add_f64 v[72:73], v[78:79], v[8:9]
	v_cvt_i32_f64_e32 v23, v[72:73]
	v_cvt_f64_i32_e32 v[72:73], v23
	v_add_f64 v[8:9], v[8:9], -v[72:73]
	v_add_f64 v[76:77], v[78:79], -v[76:77]
	v_add_f64 v[74:75], v[78:79], v[8:9]
	v_add_f64 v[76:77], v[92:93], -v[76:77]
	v_add_f64 v[8:9], v[74:75], -v[8:9]
	v_cmp_le_f64_e32 vcc, 0.5, v[74:75]
	v_add_f64 v[6:7], v[76:77], v[6:7]
	v_add_f64 v[8:9], v[78:79], -v[8:9]
	v_addc_co_u32_e64 v72, s[0:1], 0, v23, vcc
	v_cndmask_b32_e32 v23, 0, v84, vcc
	v_add_f64 v[6:7], v[6:7], v[8:9]
	v_add_f64 v[8:9], v[74:75], -v[22:23]
	v_add_f64 v[74:75], v[8:9], v[6:7]
	v_add_f64 v[8:9], v[74:75], -v[8:9]
	s_mov_b32 s24, s26
	v_add_f64 v[6:7], v[6:7], -v[8:9]
	v_mul_f64 v[8:9], v[74:75], s[24:25]
	v_fma_f64 v[76:77], v[74:75], s[24:25], -v[8:9]
	s_mov_b32 s31, s29
	v_fmac_f64_e32 v[76:77], s[30:31], v[74:75]
	v_fmac_f64_e32 v[76:77], s[24:25], v[6:7]
	v_add_f64 v[6:7], v[8:9], v[76:77]
	v_add_f64 v[8:9], v[6:7], -v[8:9]
	v_add_f64 v[8:9], v[76:77], -v[8:9]
.LBB94_12:                              ;   in Loop: Header=BB94_7 Depth=1
	s_andn2_saveexec_b64 s[0:1], s[54:55]
	s_cbranch_execz .LBB94_14
; %bb.13:                               ;   in Loop: Header=BB94_7 Depth=1
	v_mul_f64 v[6:7], |v[14:15]|, s[34:35]
	v_rndne_f64_e32 v[72:73], v[6:7]
	v_fma_f64 v[6:7], v[72:73], s[26:27], |v[14:15]|
	v_mul_f64 v[74:75], v[72:73], s[36:37]
	v_add_f64 v[78:79], v[6:7], v[74:75]
	v_fma_f64 v[8:9], s[36:37], v[72:73], v[6:7]
	s_mov_b32 s28, s36
	v_add_f64 v[6:7], v[6:7], -v[78:79]
	v_fma_f64 v[76:77], s[28:29], v[72:73], v[74:75]
	v_add_f64 v[6:7], v[6:7], v[74:75]
	v_add_f64 v[74:75], v[78:79], -v[8:9]
	v_add_f64 v[6:7], v[74:75], v[6:7]
	v_add_f64 v[74:75], v[6:7], -v[76:77]
	v_fmac_f64_e32 v[74:75], s[38:39], v[72:73]
	v_add_f64 v[6:7], v[8:9], v[74:75]
	v_add_f64 v[8:9], v[6:7], -v[8:9]
	v_add_f64 v[8:9], v[74:75], -v[8:9]
	v_cvt_i32_f64_e32 v72, v[72:73]
.LBB94_14:                              ;   in Loop: Header=BB94_7 Depth=1
	s_or_b64 exec, exec, s[0:1]
	v_mul_f64 v[74:75], v[6:7], v[6:7]
	v_fma_f64 v[76:77], v[6:7], v[6:7], -v[74:75]
	v_add_f64 v[78:79], v[8:9], v[8:9]
	v_fmac_f64_e32 v[76:77], v[6:7], v[78:79]
	s_mov_b32 s0, 0xc751c08c
	v_add_f64 v[74:75], v[74:75], v[76:77]
	v_pk_mov_b32 v[76:77], v[28:29], v[28:29] op_sel:[0,1]
	s_mov_b32 s1, 0x3ef5e089
	v_fmac_f64_e32 v[76:77], s[0:1], v[74:75]
	v_pk_mov_b32 v[78:79], v[30:31], v[30:31] op_sel:[0,1]
	v_fmac_f64_e32 v[78:79], v[74:75], v[76:77]
	v_pk_mov_b32 v[76:77], v[32:33], v[32:33] op_sel:[0,1]
	;; [unrolled: 2-line block ×12, first 2 shown]
	v_fmac_f64_e32 v[76:77], v[74:75], v[78:79]
	v_mul_f64 v[74:75], v[74:75], v[76:77]
	v_mul_f64 v[76:77], v[6:7], v[74:75]
	v_add_f64 v[78:79], v[6:7], v[76:77]
	v_fma_f64 v[74:75], v[6:7], v[74:75], -v[76:77]
	v_add_f64 v[6:7], v[78:79], -v[6:7]
	v_add_f64 v[6:7], v[76:77], -v[6:7]
	v_add_f64 v[8:9], v[8:9], v[74:75]
	v_add_f64 v[6:7], v[8:9], v[6:7]
	;; [unrolled: 1-line block ×3, first 2 shown]
	v_rcp_f64_e32 v[74:75], v[8:9]
	v_and_b32_e32 v14, 1, v72
	v_add_f64 v[72:73], v[8:9], -v[78:79]
	v_add_f64 v[6:7], v[6:7], -v[72:73]
	v_fma_f64 v[72:73], -v[8:9], v[74:75], 1.0
	v_fmac_f64_e32 v[74:75], v[72:73], v[74:75]
	v_fma_f64 v[72:73], -v[8:9], v[74:75], 1.0
	v_fmac_f64_e32 v[74:75], v[72:73], v[74:75]
	v_mul_f64 v[72:73], v[8:9], v[74:75]
	v_fma_f64 v[76:77], v[74:75], v[8:9], -v[72:73]
	v_fmac_f64_e32 v[76:77], v[74:75], v[6:7]
	v_add_f64 v[6:7], v[72:73], v[76:77]
	v_add_f64 v[78:79], -v[6:7], 1.0
	v_add_f64 v[72:73], v[6:7], -v[72:73]
	v_add_f64 v[80:81], -v[78:79], 1.0
	v_add_f64 v[6:7], v[80:81], -v[6:7]
	v_add_f64 v[72:73], v[72:73], -v[76:77]
	v_add_f64 v[6:7], v[72:73], v[6:7]
	v_add_f64 v[6:7], v[78:79], v[6:7]
	v_mul_f64 v[6:7], v[74:75], v[6:7]
	v_add_f64 v[6:7], v[74:75], v[6:7]
	v_xor_b32_e32 v7, 0x80000000, v7
	v_cmp_eq_u32_e32 vcc, 0, v14
	v_cndmask_b32_e32 v6, v6, v8, vcc
	v_cndmask_b32_e32 v7, v7, v9, vcc
	v_add_f64 v[8:9], |v[16:17]|, s[42:43]
	v_add_f64 v[72:73], v[8:9], -|v[16:17]|
	v_add_f64 v[74:75], v[72:73], -v[8:9]
	s_mov_b32 s44, s42
	v_add_f64 v[74:75], |v[16:17]|, v[74:75]
	v_add_f64 v[72:73], v[72:73], s[44:45]
	v_add_f64 v[72:73], v[74:75], -v[72:73]
	v_add_f64 v[72:73], v[72:73], s[46:47]
	v_add_f64 v[74:75], v[8:9], v[72:73]
	v_add_f64 v[8:9], v[8:9], -v[74:75]
	s_mov_b32 s48, s50
	v_add_f64 v[8:9], v[72:73], v[8:9]
	v_mul_f64 v[72:73], v[74:75], s[48:49]
	v_rndne_f64_e32 v[72:73], v[72:73]
	s_mov_b32 s53, s43
	v_fmac_f64_e32 v[74:75], s[52:53], v[72:73]
	v_add_f64 v[76:77], v[8:9], v[74:75]
	s_mov_b32 s0, 0xf278e000
	v_add_f64 v[74:75], v[74:75], -v[76:77]
	s_mov_b32 s1, 0xbd53de6a
	v_add_f64 v[8:9], v[8:9], v[74:75]
	v_mul_f64 v[74:75], v[72:73], s[0:1]
	v_add_f64 v[78:79], v[76:77], v[74:75]
	v_add_f64 v[76:77], v[76:77], -v[78:79]
	v_add_f64 v[74:75], v[76:77], v[74:75]
	v_add_f64 v[8:9], v[8:9], v[74:75]
	;; [unrolled: 1-line block ×3, first 2 shown]
	s_mov_b32 s0, 0xf97b57a0
	v_add_f64 v[76:77], v[78:79], -v[74:75]
	s_mov_b32 s1, 0xbac9cc01
	v_add_f64 v[8:9], v[8:9], v[76:77]
	v_mul_f64 v[76:77], v[72:73], s[0:1]
	v_add_f64 v[78:79], v[74:75], v[76:77]
	v_add_f64 v[74:75], v[74:75], -v[78:79]
	v_add_f64 v[74:75], v[74:75], v[76:77]
	v_add_f64 v[8:9], v[8:9], v[74:75]
	;; [unrolled: 1-line block ×3, first 2 shown]
	v_add_f64 v[76:77], v[78:79], -v[74:75]
	v_add_f64 v[8:9], v[8:9], v[76:77]
	v_pk_mov_b32 v[76:77], v[54:55], v[54:55] op_sel:[0,1]
	v_fmac_f64_e32 v[76:77], s[58:59], v[74:75]
	v_pk_mov_b32 v[78:79], v[56:57], v[56:57] op_sel:[0,1]
	v_fmac_f64_e32 v[78:79], v[74:75], v[76:77]
	;; [unrolled: 2-line block ×9, first 2 shown]
	v_mul_f64 v[78:79], v[74:75], v[74:75]
	v_fma_f64 v[80:81], v[74:75], v[74:75], -v[78:79]
	v_add_f64 v[82:83], v[8:9], v[8:9]
	v_fmac_f64_e32 v[80:81], v[74:75], v[82:83]
	v_add_f64 v[82:83], v[78:79], v[80:81]
	v_add_f64 v[78:79], v[82:83], -v[78:79]
	v_add_f64 v[78:79], v[80:81], -v[78:79]
	v_mul_f64 v[80:81], v[82:83], v[76:77]
	v_fma_f64 v[82:83], v[82:83], v[76:77], -v[80:81]
	v_fmac_f64_e32 v[82:83], v[78:79], v[76:77]
	v_add_f64 v[76:77], v[80:81], v[82:83]
	v_add_f64 v[78:79], v[76:77], -v[80:81]
	v_add_f64 v[80:81], v[74:75], v[76:77]
	v_add_f64 v[78:79], v[82:83], -v[78:79]
	v_add_f64 v[74:75], v[80:81], -v[74:75]
	;; [unrolled: 1-line block ×3, first 2 shown]
	v_add_f64 v[8:9], v[8:9], v[78:79]
	v_add_f64 v[8:9], v[8:9], v[74:75]
	;; [unrolled: 1-line block ×3, first 2 shown]
	v_add_f64 v[76:77], v[74:75], -v[80:81]
	v_add_f64 v[8:9], v[8:9], -v[76:77]
	v_add_f64 v[76:77], v[74:75], 1.0
	v_add_f64 v[78:79], v[76:77], -1.0
	v_add_f64 v[74:75], v[74:75], -v[78:79]
	v_add_f64 v[8:9], v[8:9], v[74:75]
	v_add_f64 v[74:75], v[76:77], v[8:9]
	v_cvt_i32_f64_e32 v23, v[72:73]
	v_ldexp_f64 v[72:73], v[74:75], v23
	v_rcp_f64_e32 v[78:79], v[72:73]
	v_add_f64 v[74:75], v[74:75], -v[76:77]
	v_add_f64 v[8:9], v[8:9], -v[74:75]
	v_ldexp_f64 v[8:9], v[8:9], v23
	v_fma_f64 v[74:75], -v[72:73], v[78:79], 1.0
	v_fmac_f64_e32 v[78:79], v[74:75], v[78:79]
	v_fma_f64 v[74:75], -v[72:73], v[78:79], 1.0
	v_fmac_f64_e32 v[78:79], v[74:75], v[78:79]
	v_mul_f64 v[74:75], v[72:73], v[78:79]
	v_fma_f64 v[76:77], v[78:79], v[72:73], -v[74:75]
	v_fmac_f64_e32 v[76:77], v[78:79], v[8:9]
	v_add_f64 v[80:81], v[74:75], v[76:77]
	v_add_f64 v[82:83], -v[80:81], 1.0
	v_add_f64 v[74:75], v[80:81], -v[74:75]
	v_add_f64 v[88:89], -v[82:83], 1.0
	v_add_f64 v[80:81], v[88:89], -v[80:81]
	v_add_f64 v[74:75], v[74:75], -v[76:77]
	v_add_f64 v[74:75], v[74:75], v[80:81]
	v_add_f64 v[76:77], v[82:83], v[74:75]
	v_add_f64 v[80:81], v[82:83], -v[76:77]
	v_add_f64 v[74:75], v[74:75], v[80:81]
	v_mul_f64 v[80:81], v[78:79], v[76:77]
	v_mul_f64 v[82:83], v[72:73], v[80:81]
	v_fma_f64 v[88:89], v[80:81], v[72:73], -v[82:83]
	v_fmac_f64_e32 v[88:89], v[80:81], v[8:9]
	v_add_f64 v[90:91], v[82:83], v[88:89]
	v_add_f64 v[92:93], v[76:77], -v[90:91]
	v_add_f64 v[76:77], v[76:77], -v[92:93]
	;; [unrolled: 1-line block ×4, first 2 shown]
	v_add_f64 v[74:75], v[74:75], v[76:77]
	v_add_f64 v[76:77], v[82:83], -v[88:89]
	v_add_f64 v[74:75], v[76:77], v[74:75]
	v_add_f64 v[74:75], v[92:93], v[74:75]
	;; [unrolled: 1-line block ×3, first 2 shown]
	v_mul_f64 v[74:75], v[78:79], v[74:75]
	v_add_f64 v[78:79], v[76:77], -v[78:79]
	v_add_f64 v[78:79], v[80:81], -v[78:79]
	v_add_f64 v[74:75], v[78:79], v[74:75]
	v_add_f64 v[78:79], v[76:77], v[74:75]
	v_add_f64 v[76:77], v[78:79], -v[76:77]
	v_add_f64 v[74:75], v[74:75], -v[76:77]
	v_ldexp_f64 v[76:77], v[78:79], -2
	v_add_f64 v[78:79], v[72:73], -v[76:77]
	v_add_f64 v[72:73], v[72:73], -v[78:79]
	;; [unrolled: 1-line block ×3, first 2 shown]
	s_mov_b32 s0, 0x8fb9f87e
	v_ldexp_f64 v[74:75], v[74:75], -2
	v_add_f64 v[8:9], v[8:9], v[72:73]
	s_mov_b32 s1, 0x408633ce
	v_add_f64 v[8:9], v[8:9], -v[74:75]
	v_cmp_nge_f64_e64 vcc, |v[16:17]|, s[0:1]
	s_mov_b32 s0, 0
	v_add_f64 v[8:9], v[78:79], v[8:9]
	s_mov_b32 s1, 0x3e400000
	v_and_b32_e32 v14, 0x7fffffff, v17
	v_cndmask_b32_e32 v9, v85, v9, vcc
	v_cndmask_b32_e32 v8, 0, v8, vcc
	v_cmp_lt_f64_e64 vcc, |v[16:17]|, s[0:1]
	v_cndmask_b32_e32 v9, v9, v14, vcc
	v_xor_b32_e32 v14, 0x80000000, v17
	v_cndmask_b32_e32 v8, v8, v16, vcc
	v_bfi_b32 v9, s68, v9, v14
	s_mov_b32 s0, 0
	v_fma_f64 v[16:17], v[8:9], v[8:9], 1.0
	s_brev_b32 s1, 8
	v_cmp_gt_f64_e32 vcc, s[0:1], v[16:17]
	v_cndmask_b32_e64 v14, 0, 1, vcc
	v_lshlrev_b32_e32 v14, 8, v14
	v_ldexp_f64 v[16:17], v[16:17], v14
	v_rsq_f64_e32 v[72:73], v[16:17]
	v_and_b32_e32 v14, 0x80000000, v15
	v_cndmask_b32_e32 v23, 0, v86, vcc
	v_xor_b32_e32 v7, v7, v14
	v_mul_f64 v[74:75], v[16:17], v[72:73]
	v_mul_f64 v[72:73], v[72:73], 0.5
	v_fma_f64 v[76:77], -v[72:73], v[74:75], 0.5
	v_fmac_f64_e32 v[74:75], v[74:75], v[76:77]
	v_fma_f64 v[78:79], -v[74:75], v[74:75], v[16:17]
	v_fmac_f64_e32 v[72:73], v[72:73], v[76:77]
	v_fmac_f64_e32 v[74:75], v[78:79], v[72:73]
	v_fma_f64 v[76:77], -v[74:75], v[74:75], v[16:17]
	v_fmac_f64_e32 v[74:75], v[76:77], v[72:73]
	v_ldexp_f64 v[72:73], v[74:75], v23
	v_cmp_class_f64_e32 vcc, v[16:17], v1
	v_fma_f64 v[14:15], v[6:7], v[6:7], 1.0
	v_cndmask_b32_e32 v17, v73, v17, vcc
	v_cndmask_b32_e32 v16, v72, v16, vcc
	v_mul_f64 v[72:73], v[8:9], v[14:15]
	v_mul_f64 v[14:15], v[16:17], v[14:15]
	v_fma_f64 v[72:73], v[8:9], v[72:73], 1.0
	v_mul_f64 v[8:9], v[8:9], v[14:15]
	v_div_scale_f64 v[14:15], s[0:1], v[72:73], v[72:73], v[8:9]
	v_rcp_f64_e32 v[16:17], v[14:15]
	v_fma_f64 v[74:75], -v[14:15], v[16:17], 1.0
	v_fmac_f64_e32 v[16:17], v[16:17], v[74:75]
	v_fma_f64 v[74:75], -v[14:15], v[16:17], 1.0
	v_fmac_f64_e32 v[16:17], v[16:17], v[74:75]
	v_div_scale_f64 v[74:75], vcc, v[8:9], v[72:73], v[8:9]
	v_mul_f64 v[76:77], v[74:75], v[16:17]
	v_fma_f64 v[14:15], -v[14:15], v[76:77], v[74:75]
	v_div_scale_f64 v[74:75], s[0:1], v[72:73], v[72:73], v[6:7]
	v_rcp_f64_e32 v[78:79], v[74:75]
	v_div_fmas_f64 v[14:15], v[14:15], v[16:17], v[76:77]
	v_div_fixup_f64 v[8:9], v[14:15], v[72:73], v[8:9]
	v_fma_f64 v[14:15], -v[74:75], v[78:79], 1.0
	v_fmac_f64_e32 v[78:79], v[78:79], v[14:15]
	v_fma_f64 v[14:15], -v[74:75], v[78:79], 1.0
	v_fmac_f64_e32 v[78:79], v[78:79], v[14:15]
	v_div_scale_f64 v[14:15], vcc, v[6:7], v[72:73], v[6:7]
	v_mul_f64 v[16:17], v[14:15], v[78:79]
	v_fma_f64 v[14:15], -v[74:75], v[16:17], v[14:15]
	s_nop 1
	v_div_fmas_f64 v[14:15], v[14:15], v[78:79], v[16:17]
	v_div_fixup_f64 v[6:7], v[14:15], v[72:73], v[6:7]
                                        ; implicit-def: $vgpr14_vgpr15
.LBB94_15:                              ;   in Loop: Header=BB94_7 Depth=1
	s_andn2_saveexec_b64 s[40:41], s[40:41]
	s_cbranch_execz .LBB94_18
; %bb.16:                               ;   in Loop: Header=BB94_7 Depth=1
	v_cmp_nlt_f64_e64 s[54:55], |v[14:15]|, s[18:19]
                                        ; implicit-def: $vgpr76
                                        ; implicit-def: $vgpr6_vgpr7
                                        ; implicit-def: $vgpr8_vgpr9
	s_and_saveexec_b64 s[0:1], s[54:55]
	s_xor_b64 s[56:57], exec, s[0:1]
	s_cbranch_execz .LBB94_19
; %bb.17:                               ;   in Loop: Header=BB94_7 Depth=1
	v_and_b32_e32 v23, 0x7fffffff, v15
	v_ldexp_f64 v[72:73], |v[14:15]|, s2
	v_cmp_ge_f64_e64 vcc, |v[14:15]|, s[20:21]
	v_trig_preop_f64 v[6:7], |v[14:15]|, 0
	v_cndmask_b32_e32 v73, v23, v73, vcc
	v_cndmask_b32_e32 v72, v14, v72, vcc
	v_trig_preop_f64 v[8:9], |v[14:15]|, 1
	v_mul_f64 v[76:77], v[6:7], v[72:73]
	v_mul_f64 v[74:75], v[8:9], v[72:73]
	v_fma_f64 v[6:7], v[6:7], v[72:73], -v[76:77]
	v_add_f64 v[78:79], v[74:75], v[6:7]
	v_add_f64 v[80:81], v[76:77], v[78:79]
	v_ldexp_f64 v[82:83], v[80:81], -2
	v_fract_f64_e32 v[88:89], v[82:83]
	v_cmp_neq_f64_e64 vcc, |v[82:83]|, s[22:23]
	v_cndmask_b32_e32 v83, 0, v89, vcc
	v_cndmask_b32_e32 v82, 0, v88, vcc
	v_add_f64 v[88:89], v[78:79], -v[74:75]
	v_add_f64 v[6:7], v[6:7], -v[88:89]
	;; [unrolled: 1-line block ×4, first 2 shown]
	v_fma_f64 v[8:9], v[8:9], v[72:73], -v[74:75]
	v_trig_preop_f64 v[74:75], |v[14:15]|, 2
	v_add_f64 v[6:7], v[6:7], v[88:89]
	v_mul_f64 v[88:89], v[74:75], v[72:73]
	v_add_f64 v[90:91], v[88:89], v[8:9]
	v_add_f64 v[92:93], v[90:91], v[6:7]
	v_add_f64 v[76:77], v[80:81], -v[76:77]
	v_add_f64 v[80:81], v[92:93], -v[90:91]
	;; [unrolled: 1-line block ×5, first 2 shown]
	v_add_f64 v[6:7], v[6:7], v[80:81]
	v_add_f64 v[80:81], v[90:91], -v[88:89]
	v_add_f64 v[8:9], v[8:9], -v[80:81]
	;; [unrolled: 1-line block ×4, first 2 shown]
	v_add_f64 v[8:9], v[8:9], v[80:81]
	v_add_f64 v[76:77], v[78:79], -v[76:77]
	v_add_f64 v[6:7], v[8:9], v[6:7]
	v_fma_f64 v[8:9], v[74:75], v[72:73], -v[88:89]
	v_add_f64 v[78:79], v[76:77], v[92:93]
	v_add_f64 v[6:7], v[8:9], v[6:7]
	v_ldexp_f64 v[8:9], v[82:83], 2
	v_add_f64 v[72:73], v[78:79], v[8:9]
	v_cmp_gt_f64_e32 vcc, 0, v[72:73]
	v_cndmask_b32_e32 v23, 0, v27, vcc
	v_add_f64 v[8:9], v[8:9], v[22:23]
	v_add_f64 v[72:73], v[78:79], v[8:9]
	v_cvt_i32_f64_e32 v23, v[72:73]
	v_cvt_f64_i32_e32 v[72:73], v23
	v_add_f64 v[8:9], v[8:9], -v[72:73]
	v_add_f64 v[76:77], v[78:79], -v[76:77]
	v_add_f64 v[72:73], v[78:79], v[8:9]
	v_add_f64 v[76:77], v[92:93], -v[76:77]
	v_add_f64 v[8:9], v[72:73], -v[8:9]
	v_cmp_le_f64_e32 vcc, 0.5, v[72:73]
	v_add_f64 v[6:7], v[76:77], v[6:7]
	v_add_f64 v[8:9], v[78:79], -v[8:9]
	v_addc_co_u32_e64 v76, s[0:1], 0, v23, vcc
	v_cndmask_b32_e32 v23, 0, v84, vcc
	v_add_f64 v[6:7], v[6:7], v[8:9]
	v_add_f64 v[8:9], v[72:73], -v[22:23]
	v_add_f64 v[72:73], v[8:9], v[6:7]
	v_add_f64 v[8:9], v[72:73], -v[8:9]
	s_mov_b32 s24, s26
	v_add_f64 v[6:7], v[6:7], -v[8:9]
	v_mul_f64 v[8:9], v[72:73], s[24:25]
	v_fma_f64 v[74:75], v[72:73], s[24:25], -v[8:9]
	s_mov_b32 s31, s29
	v_fmac_f64_e32 v[74:75], s[30:31], v[72:73]
	v_fmac_f64_e32 v[74:75], s[24:25], v[6:7]
	v_add_f64 v[6:7], v[8:9], v[74:75]
	v_add_f64 v[8:9], v[6:7], -v[8:9]
	v_add_f64 v[8:9], v[74:75], -v[8:9]
	s_andn2_saveexec_b64 s[0:1], s[56:57]
	s_cbranch_execz .LBB94_21
	s_branch .LBB94_20
.LBB94_18:                              ;   in Loop: Header=BB94_7 Depth=1
	s_or_b64 exec, exec, s[40:41]
                                        ; implicit-def: $vgpr14_vgpr15
	s_andn2_saveexec_b64 s[0:1], s[14:15]
	s_cbranch_execnz .LBB94_27
	s_branch .LBB94_28
.LBB94_19:                              ;   in Loop: Header=BB94_7 Depth=1
	s_andn2_saveexec_b64 s[0:1], s[56:57]
	s_cbranch_execz .LBB94_21
.LBB94_20:                              ;   in Loop: Header=BB94_7 Depth=1
	v_mul_f64 v[6:7], |v[14:15]|, s[34:35]
	v_rndne_f64_e32 v[72:73], v[6:7]
	v_fma_f64 v[6:7], v[72:73], s[26:27], |v[14:15]|
	v_mul_f64 v[74:75], v[72:73], s[36:37]
	v_add_f64 v[78:79], v[6:7], v[74:75]
	v_fma_f64 v[8:9], s[36:37], v[72:73], v[6:7]
	s_mov_b32 s28, s36
	v_add_f64 v[6:7], v[6:7], -v[78:79]
	v_fma_f64 v[76:77], s[28:29], v[72:73], v[74:75]
	v_add_f64 v[6:7], v[6:7], v[74:75]
	v_add_f64 v[74:75], v[78:79], -v[8:9]
	v_add_f64 v[6:7], v[74:75], v[6:7]
	v_add_f64 v[74:75], v[6:7], -v[76:77]
	v_fmac_f64_e32 v[74:75], s[38:39], v[72:73]
	v_add_f64 v[6:7], v[8:9], v[74:75]
	v_add_f64 v[8:9], v[6:7], -v[8:9]
	v_add_f64 v[8:9], v[74:75], -v[8:9]
	v_cvt_i32_f64_e32 v76, v[72:73]
.LBB94_21:                              ;   in Loop: Header=BB94_7 Depth=1
	s_or_b64 exec, exec, s[0:1]
                                        ; implicit-def: $vgpr77
                                        ; implicit-def: $vgpr72_vgpr73
                                        ; implicit-def: $vgpr74_vgpr75
	s_and_saveexec_b64 s[0:1], s[54:55]
	s_xor_b64 s[54:55], exec, s[0:1]
	s_cbranch_execz .LBB94_23
; %bb.22:                               ;   in Loop: Header=BB94_7 Depth=1
	v_and_b32_e32 v23, 0x7fffffff, v15
	v_ldexp_f64 v[78:79], |v[14:15]|, s2
	v_cmp_ge_f64_e64 vcc, |v[14:15]|, s[20:21]
	v_trig_preop_f64 v[72:73], |v[14:15]|, 0
	v_cndmask_b32_e32 v79, v23, v79, vcc
	v_cndmask_b32_e32 v78, v14, v78, vcc
	v_trig_preop_f64 v[74:75], |v[14:15]|, 1
	v_mul_f64 v[82:83], v[72:73], v[78:79]
	v_mul_f64 v[80:81], v[74:75], v[78:79]
	v_fma_f64 v[72:73], v[72:73], v[78:79], -v[82:83]
	v_add_f64 v[88:89], v[80:81], v[72:73]
	v_add_f64 v[90:91], v[82:83], v[88:89]
	v_ldexp_f64 v[92:93], v[90:91], -2
	v_fract_f64_e32 v[94:95], v[92:93]
	v_cmp_neq_f64_e64 vcc, |v[92:93]|, s[22:23]
	v_cndmask_b32_e32 v93, 0, v95, vcc
	v_cndmask_b32_e32 v92, 0, v94, vcc
	v_add_f64 v[94:95], v[88:89], -v[80:81]
	v_add_f64 v[72:73], v[72:73], -v[94:95]
	;; [unrolled: 1-line block ×4, first 2 shown]
	v_fma_f64 v[74:75], v[74:75], v[78:79], -v[80:81]
	v_trig_preop_f64 v[80:81], |v[14:15]|, 2
	v_add_f64 v[72:73], v[72:73], v[94:95]
	v_mul_f64 v[94:95], v[80:81], v[78:79]
	v_add_f64 v[96:97], v[94:95], v[74:75]
	v_add_f64 v[98:99], v[96:97], v[72:73]
	v_add_f64 v[82:83], v[90:91], -v[82:83]
	v_add_f64 v[90:91], v[98:99], -v[96:97]
	;; [unrolled: 1-line block ×5, first 2 shown]
	v_add_f64 v[72:73], v[72:73], v[90:91]
	v_add_f64 v[90:91], v[96:97], -v[94:95]
	v_add_f64 v[74:75], v[74:75], -v[90:91]
	;; [unrolled: 1-line block ×4, first 2 shown]
	v_add_f64 v[74:75], v[74:75], v[90:91]
	v_add_f64 v[82:83], v[88:89], -v[82:83]
	v_add_f64 v[72:73], v[74:75], v[72:73]
	v_fma_f64 v[74:75], v[80:81], v[78:79], -v[94:95]
	v_add_f64 v[88:89], v[82:83], v[98:99]
	v_add_f64 v[72:73], v[74:75], v[72:73]
	v_ldexp_f64 v[74:75], v[92:93], 2
	v_add_f64 v[78:79], v[88:89], v[74:75]
	v_cmp_gt_f64_e32 vcc, 0, v[78:79]
	v_cndmask_b32_e32 v23, 0, v27, vcc
	v_add_f64 v[74:75], v[74:75], v[22:23]
	v_add_f64 v[78:79], v[88:89], v[74:75]
	v_cvt_i32_f64_e32 v23, v[78:79]
	v_cvt_f64_i32_e32 v[78:79], v23
	v_add_f64 v[74:75], v[74:75], -v[78:79]
	v_add_f64 v[82:83], v[88:89], -v[82:83]
	v_add_f64 v[78:79], v[88:89], v[74:75]
	v_add_f64 v[82:83], v[98:99], -v[82:83]
	v_add_f64 v[74:75], v[78:79], -v[74:75]
	v_cmp_le_f64_e32 vcc, 0.5, v[78:79]
	v_add_f64 v[72:73], v[82:83], v[72:73]
	v_add_f64 v[74:75], v[88:89], -v[74:75]
	v_addc_co_u32_e64 v77, s[0:1], 0, v23, vcc
	v_cndmask_b32_e32 v23, 0, v84, vcc
	v_add_f64 v[72:73], v[72:73], v[74:75]
	v_add_f64 v[74:75], v[78:79], -v[22:23]
	v_add_f64 v[78:79], v[74:75], v[72:73]
	v_add_f64 v[74:75], v[78:79], -v[74:75]
	s_mov_b32 s24, s26
	v_add_f64 v[72:73], v[72:73], -v[74:75]
	v_mul_f64 v[74:75], v[78:79], s[24:25]
	v_fma_f64 v[80:81], v[78:79], s[24:25], -v[74:75]
	s_mov_b32 s31, s29
	v_fmac_f64_e32 v[80:81], s[30:31], v[78:79]
	v_fmac_f64_e32 v[80:81], s[24:25], v[72:73]
	v_add_f64 v[72:73], v[74:75], v[80:81]
	v_add_f64 v[74:75], v[72:73], -v[74:75]
	v_add_f64 v[74:75], v[80:81], -v[74:75]
	s_andn2_saveexec_b64 s[0:1], s[54:55]
	s_cbranch_execnz .LBB94_24
	s_branch .LBB94_25
.LBB94_23:                              ;   in Loop: Header=BB94_7 Depth=1
	s_andn2_saveexec_b64 s[0:1], s[54:55]
	s_cbranch_execz .LBB94_25
.LBB94_24:                              ;   in Loop: Header=BB94_7 Depth=1
	v_mul_f64 v[72:73], |v[14:15]|, s[34:35]
	v_rndne_f64_e32 v[78:79], v[72:73]
	v_fma_f64 v[72:73], v[78:79], s[26:27], |v[14:15]|
	v_mul_f64 v[80:81], v[78:79], s[36:37]
	v_add_f64 v[88:89], v[72:73], v[80:81]
	v_fma_f64 v[74:75], s[36:37], v[78:79], v[72:73]
	s_mov_b32 s28, s36
	v_add_f64 v[72:73], v[72:73], -v[88:89]
	v_fma_f64 v[82:83], s[28:29], v[78:79], v[80:81]
	v_add_f64 v[72:73], v[72:73], v[80:81]
	v_add_f64 v[80:81], v[88:89], -v[74:75]
	v_add_f64 v[72:73], v[80:81], v[72:73]
	v_add_f64 v[80:81], v[72:73], -v[82:83]
	v_fmac_f64_e32 v[80:81], s[38:39], v[78:79]
	v_add_f64 v[72:73], v[74:75], v[80:81]
	v_add_f64 v[74:75], v[72:73], -v[74:75]
	v_add_f64 v[74:75], v[80:81], -v[74:75]
	v_cvt_i32_f64_e32 v77, v[78:79]
.LBB94_25:                              ;   in Loop: Header=BB94_7 Depth=1
	s_or_b64 exec, exec, s[0:1]
	v_mul_f64 v[78:79], v[6:7], v[6:7]
	v_pk_mov_b32 v[90:91], s[70:71], s[70:71] op_sel:[0,1]
	v_mul_f64 v[80:81], v[78:79], 0.5
	v_fma_f64 v[92:93], s[72:73], v[78:79], v[90:91]
	v_add_f64 v[82:83], -v[80:81], 1.0
	v_fma_f64 v[92:93], v[78:79], v[92:93], s[74:75]
	v_add_f64 v[88:89], -v[82:83], 1.0
	v_fma_f64 v[92:93], v[78:79], v[92:93], s[76:77]
	v_add_f64 v[80:81], v[88:89], -v[80:81]
	v_fma_f64 v[92:93], v[78:79], v[92:93], s[78:79]
	v_mul_f64 v[88:89], v[78:79], v[78:79]
	v_fma_f64 v[92:93], v[78:79], v[92:93], s[62:63]
	v_fma_f64 v[80:81], v[6:7], -v[8:9], v[80:81]
	v_fmac_f64_e32 v[80:81], v[88:89], v[92:93]
	v_add_f64 v[80:81], v[82:83], v[80:81]
	v_pk_mov_b32 v[82:83], s[80:81], s[80:81] op_sel:[0,1]
	v_fma_f64 v[88:89], s[82:83], v[78:79], v[82:83]
	v_fma_f64 v[88:89], v[78:79], v[88:89], s[84:85]
	;; [unrolled: 1-line block ×4, first 2 shown]
	v_mul_f64 v[92:93], v[6:7], -v[78:79]
	v_mul_f64 v[94:95], v[8:9], 0.5
	v_fmac_f64_e32 v[94:95], v[92:93], v[88:89]
	v_fma_f64 v[8:9], v[78:79], v[94:95], -v[8:9]
	s_mov_b32 s88, s62
	v_fmac_f64_e32 v[8:9], s[88:89], v[92:93]
	v_add_f64 v[6:7], v[6:7], -v[8:9]
	v_and_b32_e32 v8, 1, v76
	v_cmp_eq_u32_e32 vcc, 0, v8
	v_lshlrev_b32_e32 v8, 30, v76
	v_xor_b32_e32 v8, v8, v15
	v_cndmask_b32_e32 v7, v81, v7, vcc
	v_and_b32_e32 v8, 0x80000000, v8
	v_xor_b32_e32 v7, v7, v8
	v_mul_f64 v[8:9], |v[16:17]|, s[50:51]
	v_rndne_f64_e32 v[8:9], v[8:9]
	v_fma_f64 v[14:15], v[8:9], s[42:43], -|v[16:17]|
	v_fmac_f64_e32 v[14:15], s[46:47], v[8:9]
	v_pk_mov_b32 v[78:79], v[54:55], v[54:55] op_sel:[0,1]
	v_cndmask_b32_e32 v6, v80, v6, vcc
	v_fmac_f64_e32 v[78:79], s[58:59], v[14:15]
	v_pk_mov_b32 v[80:81], v[56:57], v[56:57] op_sel:[0,1]
	v_fmac_f64_e32 v[80:81], v[14:15], v[78:79]
	v_pk_mov_b32 v[78:79], v[58:59], v[58:59] op_sel:[0,1]
	;; [unrolled: 2-line block ×8, first 2 shown]
	v_fmac_f64_e32 v[78:79], v[14:15], v[80:81]
	v_fma_f64 v[78:79], v[14:15], v[78:79], 1.0
	v_fma_f64 v[14:15], v[14:15], v[78:79], 1.0
	v_cvt_i32_f64_e32 v8, v[8:9]
	v_ldexp_f64 v[8:9], v[14:15], v8
	s_mov_b32 s0, 0
	v_xor_b32_e32 v14, 0x80000000, v17
	s_mov_b32 s1, 0x4090cc00
	v_bfi_b32 v23, s68, v84, v14
	v_mul_f64 v[14:15], v[72:73], v[72:73]
	v_cmp_ngt_f64_e64 vcc, |v[16:17]|, s[0:1]
	v_mul_f64 v[16:17], v[14:15], 0.5
	v_fmac_f64_e32 v[90:91], s[72:73], v[14:15]
	v_add_f64 v[78:79], -v[16:17], 1.0
	v_fma_f64 v[88:89], v[14:15], v[90:91], s[74:75]
	v_add_f64 v[80:81], -v[78:79], 1.0
	v_fma_f64 v[88:89], v[14:15], v[88:89], s[76:77]
	v_add_f64 v[16:17], v[80:81], -v[16:17]
	v_fma_f64 v[88:89], v[14:15], v[88:89], s[78:79]
	v_mul_f64 v[80:81], v[14:15], v[14:15]
	v_fma_f64 v[88:89], v[14:15], v[88:89], s[62:63]
	v_fma_f64 v[16:17], v[72:73], -v[74:75], v[16:17]
	v_fmac_f64_e32 v[16:17], v[80:81], v[88:89]
	v_fmac_f64_e32 v[82:83], s[82:83], v[14:15]
	v_add_f64 v[16:17], v[78:79], v[16:17]
	v_fma_f64 v[78:79], v[14:15], v[82:83], s[84:85]
	v_fma_f64 v[78:79], v[14:15], v[78:79], s[86:87]
	;; [unrolled: 1-line block ×3, first 2 shown]
	v_mul_f64 v[80:81], v[72:73], -v[14:15]
	v_mul_f64 v[82:83], v[74:75], 0.5
	v_fmac_f64_e32 v[82:83], v[80:81], v[78:79]
	v_fma_f64 v[14:15], v[14:15], v[82:83], -v[74:75]
	v_fmac_f64_e32 v[14:15], s[88:89], v[80:81]
	v_add_f64 v[14:15], v[72:73], -v[14:15]
	v_and_b32_e32 v72, 1, v77
	v_cndmask_b32_e32 v9, 0, v9, vcc
	v_cndmask_b32_e32 v8, 0, v8, vcc
	v_cmp_eq_u32_e32 vcc, 0, v72
	v_xor_b32_e32 v15, 0x80000000, v15
	v_cndmask_b32_e32 v14, v14, v16, vcc
	v_lshlrev_b32_e32 v16, 30, v77
	v_cndmask_b32_e32 v15, v15, v17, vcc
	v_and_b32_e32 v16, 0x80000000, v16
	v_mul_f64 v[6:7], v[6:7], 4.0
	v_xor_b32_e32 v15, v15, v16
	v_mul_f64 v[6:7], v[6:7], v[14:15]
	v_mul_f64 v[6:7], v[8:9], v[6:7]
	;; [unrolled: 1-line block ×3, first 2 shown]
	v_pk_mov_b32 v[8:9], v[22:23], v[22:23] op_sel:[0,1]
	s_or_b64 exec, exec, s[40:41]
                                        ; implicit-def: $vgpr14_vgpr15
.LBB94_26:                              ;   in Loop: Header=BB94_7 Depth=1
	s_andn2_saveexec_b64 s[0:1], s[14:15]
.LBB94_27:                              ;   in Loop: Header=BB94_7 Depth=1
	v_add_f64 v[6:7], v[14:15], -v[14:15]
	v_pk_mov_b32 v[8:9], v[6:7], v[6:7] op_sel:[0,1]
.LBB94_28:                              ;   in Loop: Header=BB94_7 Depth=1
	s_or_b64 exec, exec, s[0:1]
                                        ; implicit-def: $vgpr14_vgpr15
.LBB94_29:                              ;   in Loop: Header=BB94_7 Depth=1
	s_andn2_saveexec_b64 s[14:15], s[94:95]
	s_cbranch_execz .LBB94_45
; %bb.30:                               ;   in Loop: Header=BB94_7 Depth=1
	v_and_or_b32 v6, v9, s3, v8
	v_cmp_ne_u32_e32 vcc, 0, v6
	s_and_saveexec_b64 s[0:1], vcc
	s_xor_b64 s[0:1], exec, s[0:1]
; %bb.31:                               ;   in Loop: Header=BB94_7 Depth=1
	v_mul_f64 v[6:7], v[14:15], -v[16:17]
	v_cmp_eq_f64_e32 vcc, 0, v[14:15]
	v_cndmask_b32_e32 v7, v7, v15, vcc
	v_cndmask_b32_e32 v6, v6, v14, vcc
                                        ; implicit-def: $vgpr14_vgpr15
; %bb.32:                               ;   in Loop: Header=BB94_7 Depth=1
	s_andn2_saveexec_b64 s[40:41], s[0:1]
	s_cbranch_execz .LBB94_44
; %bb.33:                               ;   in Loop: Header=BB94_7 Depth=1
	v_cmp_neq_f64_e64 s[0:1], |v[14:15]|, s[22:23]
	s_and_saveexec_b64 s[94:95], s[0:1]
	s_cbranch_execz .LBB94_43
; %bb.34:                               ;   in Loop: Header=BB94_7 Depth=1
	v_cmp_nlt_f64_e64 s[54:55], |v[14:15]|, s[18:19]
	v_trig_preop_f64 v[76:77], |v[14:15]|, 0
	v_trig_preop_f64 v[74:75], |v[14:15]|, 1
	v_ldexp_f64 v[78:79], |v[14:15]|, s2
	v_trig_preop_f64 v[72:73], |v[14:15]|, 2
	v_and_b32_e32 v89, 0x7fffffff, v15
                                        ; implicit-def: $vgpr88
                                        ; implicit-def: $vgpr6_vgpr7
                                        ; implicit-def: $vgpr16_vgpr17
	s_and_saveexec_b64 s[0:1], s[54:55]
	s_xor_b64 s[56:57], exec, s[0:1]
	s_cbranch_execz .LBB94_36
; %bb.35:                               ;   in Loop: Header=BB94_7 Depth=1
	v_cmp_ge_f64_e64 vcc, |v[14:15]|, s[20:21]
	v_cndmask_b32_e32 v7, v89, v79, vcc
	v_cndmask_b32_e32 v6, v14, v78, vcc
	v_mul_f64 v[80:81], v[76:77], v[6:7]
	v_mul_f64 v[16:17], v[74:75], v[6:7]
	v_fma_f64 v[82:83], v[76:77], v[6:7], -v[80:81]
	v_add_f64 v[90:91], v[16:17], v[82:83]
	v_add_f64 v[92:93], v[80:81], v[90:91]
	v_ldexp_f64 v[94:95], v[92:93], -2
	v_fract_f64_e32 v[96:97], v[94:95]
	v_cmp_neq_f64_e64 vcc, |v[94:95]|, s[22:23]
	v_cndmask_b32_e32 v95, 0, v97, vcc
	v_cndmask_b32_e32 v94, 0, v96, vcc
	v_add_f64 v[96:97], v[90:91], -v[16:17]
	v_add_f64 v[82:83], v[82:83], -v[96:97]
	;; [unrolled: 1-line block ×4, first 2 shown]
	v_add_f64 v[82:83], v[82:83], v[96:97]
	v_fma_f64 v[16:17], v[74:75], v[6:7], -v[16:17]
	v_mul_f64 v[96:97], v[72:73], v[6:7]
	v_add_f64 v[98:99], v[96:97], v[16:17]
	v_add_f64 v[100:101], v[98:99], v[82:83]
	v_add_f64 v[80:81], v[92:93], -v[80:81]
	v_add_f64 v[92:93], v[100:101], -v[98:99]
	;; [unrolled: 1-line block ×5, first 2 shown]
	v_add_f64 v[82:83], v[82:83], v[92:93]
	v_add_f64 v[92:93], v[98:99], -v[96:97]
	v_add_f64 v[16:17], v[16:17], -v[92:93]
	;; [unrolled: 1-line block ×5, first 2 shown]
	v_add_f64 v[90:91], v[80:81], v[100:101]
	v_add_f64 v[16:17], v[16:17], v[92:93]
	v_add_f64 v[80:81], v[90:91], -v[80:81]
	v_add_f64 v[16:17], v[16:17], v[82:83]
	v_fma_f64 v[6:7], v[72:73], v[6:7], -v[96:97]
	v_add_f64 v[80:81], v[100:101], -v[80:81]
	v_add_f64 v[6:7], v[6:7], v[16:17]
	v_ldexp_f64 v[16:17], v[94:95], 2
	v_add_f64 v[6:7], v[80:81], v[6:7]
	v_add_f64 v[80:81], v[90:91], v[16:17]
	v_cmp_gt_f64_e32 vcc, 0, v[80:81]
	v_cndmask_b32_e32 v23, 0, v27, vcc
	v_add_f64 v[16:17], v[16:17], v[22:23]
	v_add_f64 v[80:81], v[90:91], v[16:17]
	v_cvt_i32_f64_e32 v23, v[80:81]
	v_cvt_f64_i32_e32 v[80:81], v23
	v_add_f64 v[16:17], v[16:17], -v[80:81]
	v_add_f64 v[80:81], v[90:91], v[16:17]
	v_add_f64 v[16:17], v[80:81], -v[16:17]
	v_cmp_le_f64_e32 vcc, 0.5, v[80:81]
	v_add_f64 v[16:17], v[90:91], -v[16:17]
	v_addc_co_u32_e64 v88, s[0:1], 0, v23, vcc
	v_cndmask_b32_e32 v23, 0, v84, vcc
	v_add_f64 v[6:7], v[6:7], v[16:17]
	v_add_f64 v[16:17], v[80:81], -v[22:23]
	v_add_f64 v[80:81], v[16:17], v[6:7]
	v_add_f64 v[16:17], v[80:81], -v[16:17]
	s_mov_b32 s24, s26
	v_add_f64 v[6:7], v[6:7], -v[16:17]
	v_mul_f64 v[16:17], v[80:81], s[24:25]
	v_fma_f64 v[82:83], v[80:81], s[24:25], -v[16:17]
	s_mov_b32 s31, s29
	v_fmac_f64_e32 v[82:83], s[30:31], v[80:81]
	v_fmac_f64_e32 v[82:83], s[24:25], v[6:7]
	v_add_f64 v[6:7], v[16:17], v[82:83]
	v_add_f64 v[16:17], v[6:7], -v[16:17]
	v_add_f64 v[16:17], v[82:83], -v[16:17]
	s_andn2_saveexec_b64 s[0:1], s[56:57]
	s_cbranch_execz .LBB94_38
	s_branch .LBB94_37
.LBB94_36:                              ;   in Loop: Header=BB94_7 Depth=1
	s_andn2_saveexec_b64 s[0:1], s[56:57]
	s_cbranch_execz .LBB94_38
.LBB94_37:                              ;   in Loop: Header=BB94_7 Depth=1
	v_mul_f64 v[6:7], |v[14:15]|, s[34:35]
	v_rndne_f64_e32 v[80:81], v[6:7]
	v_fma_f64 v[6:7], v[80:81], s[26:27], |v[14:15]|
	v_mul_f64 v[82:83], v[80:81], s[36:37]
	v_add_f64 v[92:93], v[6:7], v[82:83]
	v_fma_f64 v[16:17], s[36:37], v[80:81], v[6:7]
	s_mov_b32 s28, s36
	v_add_f64 v[6:7], v[6:7], -v[92:93]
	v_fma_f64 v[90:91], s[28:29], v[80:81], v[82:83]
	v_add_f64 v[6:7], v[6:7], v[82:83]
	v_add_f64 v[82:83], v[92:93], -v[16:17]
	v_add_f64 v[6:7], v[82:83], v[6:7]
	v_add_f64 v[82:83], v[6:7], -v[90:91]
	v_fmac_f64_e32 v[82:83], s[38:39], v[80:81]
	v_add_f64 v[6:7], v[16:17], v[82:83]
	v_add_f64 v[16:17], v[6:7], -v[16:17]
	v_add_f64 v[16:17], v[82:83], -v[16:17]
	v_cvt_i32_f64_e32 v88, v[80:81]
.LBB94_38:                              ;   in Loop: Header=BB94_7 Depth=1
	s_or_b64 exec, exec, s[0:1]
                                        ; implicit-def: $vgpr90
                                        ; implicit-def: $vgpr80_vgpr81
                                        ; implicit-def: $vgpr82_vgpr83
	s_and_saveexec_b64 s[0:1], s[54:55]
	s_xor_b64 s[54:55], exec, s[0:1]
	s_cbranch_execz .LBB94_40
; %bb.39:                               ;   in Loop: Header=BB94_7 Depth=1
	v_cmp_ge_f64_e64 vcc, |v[14:15]|, s[20:21]
	v_cndmask_b32_e32 v79, v89, v79, vcc
	v_cndmask_b32_e32 v78, v14, v78, vcc
	v_mul_f64 v[82:83], v[76:77], v[78:79]
	v_mul_f64 v[80:81], v[74:75], v[78:79]
	v_fma_f64 v[76:77], v[76:77], v[78:79], -v[82:83]
	v_add_f64 v[90:91], v[80:81], v[76:77]
	v_add_f64 v[92:93], v[82:83], v[90:91]
	v_ldexp_f64 v[94:95], v[92:93], -2
	v_fract_f64_e32 v[96:97], v[94:95]
	v_cmp_neq_f64_e64 vcc, |v[94:95]|, s[22:23]
	v_cndmask_b32_e32 v95, 0, v97, vcc
	v_cndmask_b32_e32 v94, 0, v96, vcc
	v_add_f64 v[96:97], v[90:91], -v[80:81]
	v_add_f64 v[76:77], v[76:77], -v[96:97]
	;; [unrolled: 1-line block ×4, first 2 shown]
	v_fma_f64 v[74:75], v[74:75], v[78:79], -v[80:81]
	v_mul_f64 v[80:81], v[72:73], v[78:79]
	v_add_f64 v[76:77], v[76:77], v[96:97]
	v_add_f64 v[96:97], v[80:81], v[74:75]
	v_add_f64 v[98:99], v[96:97], v[76:77]
	v_add_f64 v[82:83], v[92:93], -v[82:83]
	v_add_f64 v[92:93], v[98:99], -v[96:97]
	;; [unrolled: 1-line block ×5, first 2 shown]
	v_add_f64 v[76:77], v[76:77], v[92:93]
	v_add_f64 v[92:93], v[96:97], -v[80:81]
	v_add_f64 v[74:75], v[74:75], -v[92:93]
	;; [unrolled: 1-line block ×4, first 2 shown]
	v_add_f64 v[74:75], v[74:75], v[92:93]
	v_add_f64 v[82:83], v[90:91], -v[82:83]
	v_add_f64 v[74:75], v[74:75], v[76:77]
	v_fma_f64 v[72:73], v[72:73], v[78:79], -v[80:81]
	v_add_f64 v[90:91], v[82:83], v[98:99]
	v_add_f64 v[72:73], v[72:73], v[74:75]
	v_ldexp_f64 v[74:75], v[94:95], 2
	v_add_f64 v[76:77], v[90:91], v[74:75]
	v_cmp_gt_f64_e32 vcc, 0, v[76:77]
	v_cndmask_b32_e32 v23, 0, v27, vcc
	v_add_f64 v[74:75], v[74:75], v[22:23]
	v_add_f64 v[76:77], v[90:91], v[74:75]
	v_cvt_i32_f64_e32 v23, v[76:77]
	v_cvt_f64_i32_e32 v[76:77], v23
	v_add_f64 v[74:75], v[74:75], -v[76:77]
	v_add_f64 v[82:83], v[90:91], -v[82:83]
	v_add_f64 v[76:77], v[90:91], v[74:75]
	v_add_f64 v[82:83], v[98:99], -v[82:83]
	v_add_f64 v[74:75], v[76:77], -v[74:75]
	v_cmp_le_f64_e32 vcc, 0.5, v[76:77]
	v_add_f64 v[72:73], v[82:83], v[72:73]
	v_add_f64 v[74:75], v[90:91], -v[74:75]
	v_addc_co_u32_e64 v90, s[0:1], 0, v23, vcc
	v_cndmask_b32_e32 v23, 0, v84, vcc
	v_add_f64 v[72:73], v[72:73], v[74:75]
	v_add_f64 v[74:75], v[76:77], -v[22:23]
	v_add_f64 v[76:77], v[74:75], v[72:73]
	v_add_f64 v[74:75], v[76:77], -v[74:75]
	s_mov_b32 s24, s26
	v_add_f64 v[72:73], v[72:73], -v[74:75]
	v_mul_f64 v[74:75], v[76:77], s[24:25]
	v_fma_f64 v[78:79], v[76:77], s[24:25], -v[74:75]
	s_mov_b32 s31, s29
	v_fmac_f64_e32 v[78:79], s[30:31], v[76:77]
	v_fmac_f64_e32 v[78:79], s[24:25], v[72:73]
	v_add_f64 v[80:81], v[74:75], v[78:79]
	v_add_f64 v[72:73], v[80:81], -v[74:75]
	v_add_f64 v[82:83], v[78:79], -v[72:73]
	s_andn2_saveexec_b64 s[0:1], s[54:55]
	s_cbranch_execnz .LBB94_41
	s_branch .LBB94_42
.LBB94_40:                              ;   in Loop: Header=BB94_7 Depth=1
	s_andn2_saveexec_b64 s[0:1], s[54:55]
	s_cbranch_execz .LBB94_42
.LBB94_41:                              ;   in Loop: Header=BB94_7 Depth=1
	v_mul_f64 v[72:73], |v[14:15]|, s[34:35]
	v_rndne_f64_e32 v[72:73], v[72:73]
	v_fma_f64 v[74:75], v[72:73], s[26:27], |v[14:15]|
	v_mul_f64 v[78:79], v[72:73], s[36:37]
	v_add_f64 v[82:83], v[74:75], v[78:79]
	v_fma_f64 v[76:77], s[36:37], v[72:73], v[74:75]
	s_mov_b32 s28, s36
	v_add_f64 v[74:75], v[74:75], -v[82:83]
	v_fma_f64 v[80:81], s[28:29], v[72:73], v[78:79]
	v_add_f64 v[74:75], v[74:75], v[78:79]
	v_add_f64 v[78:79], v[82:83], -v[76:77]
	v_add_f64 v[74:75], v[78:79], v[74:75]
	v_add_f64 v[74:75], v[74:75], -v[80:81]
	v_fmac_f64_e32 v[74:75], s[38:39], v[72:73]
	v_add_f64 v[80:81], v[76:77], v[74:75]
	v_add_f64 v[76:77], v[80:81], -v[76:77]
	v_add_f64 v[82:83], v[74:75], -v[76:77]
	v_cvt_i32_f64_e32 v90, v[72:73]
.LBB94_42:                              ;   in Loop: Header=BB94_7 Depth=1
	s_or_b64 exec, exec, s[0:1]
	v_mul_f64 v[72:73], v[6:7], v[6:7]
	v_pk_mov_b32 v[92:93], s[70:71], s[70:71] op_sel:[0,1]
	v_mul_f64 v[74:75], v[72:73], 0.5
	v_fma_f64 v[94:95], s[72:73], v[72:73], v[92:93]
	v_add_f64 v[76:77], -v[74:75], 1.0
	v_fma_f64 v[94:95], v[72:73], v[94:95], s[74:75]
	v_add_f64 v[78:79], -v[76:77], 1.0
	v_fma_f64 v[94:95], v[72:73], v[94:95], s[76:77]
	v_add_f64 v[74:75], v[78:79], -v[74:75]
	v_fma_f64 v[94:95], v[72:73], v[94:95], s[78:79]
	v_mul_f64 v[78:79], v[72:73], v[72:73]
	v_fma_f64 v[94:95], v[72:73], v[94:95], s[62:63]
	v_fma_f64 v[74:75], v[6:7], -v[16:17], v[74:75]
	v_fmac_f64_e32 v[74:75], v[78:79], v[94:95]
	v_add_f64 v[74:75], v[76:77], v[74:75]
	v_pk_mov_b32 v[76:77], s[80:81], s[80:81] op_sel:[0,1]
	v_fma_f64 v[78:79], s[82:83], v[72:73], v[76:77]
	v_fma_f64 v[78:79], v[72:73], v[78:79], s[84:85]
	;; [unrolled: 1-line block ×4, first 2 shown]
	v_mul_f64 v[94:95], v[6:7], -v[72:73]
	v_mul_f64 v[96:97], v[16:17], 0.5
	v_fmac_f64_e32 v[96:97], v[94:95], v[78:79]
	v_fma_f64 v[16:17], v[72:73], v[96:97], -v[16:17]
	s_mov_b32 s88, s62
	v_fmac_f64_e32 v[16:17], s[88:89], v[94:95]
	v_add_f64 v[6:7], v[6:7], -v[16:17]
	v_and_b32_e32 v16, 1, v88
	v_cmp_eq_u32_e32 vcc, 0, v16
	v_lshlrev_b32_e32 v16, 30, v88
	v_xor_b32_e32 v16, v16, v15
	v_cndmask_b32_e32 v6, v74, v6, vcc
	v_cndmask_b32_e32 v7, v75, v7, vcc
	v_and_b32_e32 v16, 0x80000000, v16
	v_cmp_class_f64_e64 vcc, v[14:15], s90
	v_mul_f64 v[14:15], v[80:81], v[80:81]
	v_xor_b32_e32 v7, v7, v16
	v_mul_f64 v[16:17], v[14:15], 0.5
	v_fmac_f64_e32 v[92:93], s[72:73], v[14:15]
	v_add_f64 v[72:73], -v[16:17], 1.0
	v_fma_f64 v[78:79], v[14:15], v[92:93], s[74:75]
	v_add_f64 v[74:75], -v[72:73], 1.0
	v_fma_f64 v[78:79], v[14:15], v[78:79], s[76:77]
	v_add_f64 v[16:17], v[74:75], -v[16:17]
	v_fma_f64 v[78:79], v[14:15], v[78:79], s[78:79]
	v_mul_f64 v[74:75], v[14:15], v[14:15]
	v_fma_f64 v[78:79], v[14:15], v[78:79], s[62:63]
	v_fma_f64 v[16:17], v[80:81], -v[82:83], v[16:17]
	v_fmac_f64_e32 v[16:17], v[74:75], v[78:79]
	v_fmac_f64_e32 v[76:77], s[82:83], v[14:15]
	v_add_f64 v[16:17], v[72:73], v[16:17]
	v_fma_f64 v[72:73], v[14:15], v[76:77], s[84:85]
	v_fma_f64 v[72:73], v[14:15], v[72:73], s[86:87]
	;; [unrolled: 1-line block ×3, first 2 shown]
	v_mul_f64 v[74:75], v[80:81], -v[14:15]
	v_mul_f64 v[76:77], v[82:83], 0.5
	v_fmac_f64_e32 v[76:77], v[74:75], v[72:73]
	v_fma_f64 v[14:15], v[14:15], v[76:77], -v[82:83]
	v_fmac_f64_e32 v[14:15], s[88:89], v[74:75]
	v_and_b32_e32 v23, 1, v90
	v_add_f64 v[14:15], v[80:81], -v[14:15]
	v_cmp_eq_u32_e64 s[0:1], 0, v23
	v_xor_b32_e32 v15, 0x80000000, v15
	v_cndmask_b32_e64 v14, v14, v16, s[0:1]
	v_lshlrev_b32_e32 v16, 30, v90
	v_cndmask_b32_e64 v15, v15, v17, s[0:1]
	v_and_b32_e32 v16, 0x80000000, v16
	v_xor_b32_e32 v15, v15, v16
	v_cndmask_b32_e32 v6, 0, v6, vcc
	v_cndmask_b32_e32 v7, v87, v7, vcc
	v_cndmask_b32_e32 v14, 0, v14, vcc
	v_cndmask_b32_e32 v15, v87, v15, vcc
	v_mul_f64 v[14:15], v[6:7], v[14:15]
.LBB94_43:                              ;   in Loop: Header=BB94_7 Depth=1
	s_or_b64 exec, exec, s[94:95]
	v_add_co_u32_e32 v8, vcc, 0, v8
	v_bfi_b32 v23, s68, 0, v15
	v_addc_co_u32_e32 v9, vcc, -2.0, v9, vcc
	v_pk_mov_b32 v[6:7], v[22:23], v[22:23] op_sel:[0,1]
.LBB94_44:                              ;   in Loop: Header=BB94_7 Depth=1
	s_or_b64 exec, exec, s[40:41]
.LBB94_45:                              ;   in Loop: Header=BB94_7 Depth=1
	s_or_b64 exec, exec, s[14:15]
	s_waitcnt vmcnt(2)
	v_xor_b32_e32 v17, 0x80000000, v21
	v_and_b32_e32 v23, 0x7fffffff, v17
	v_mov_b32_e32 v16, v20
	v_cmp_gt_u32_e32 vcc, s69, v23
	s_and_saveexec_b64 s[0:1], vcc
	s_xor_b64 s[94:95], exec, s[0:1]
	s_cbranch_execz .LBB94_67
; %bb.46:                               ;   in Loop: Header=BB94_7 Depth=1
	v_cmp_class_f64_e64 s[0:1], v[18:19], s90
                                        ; implicit-def: $vgpr14_vgpr15
	s_and_saveexec_b64 s[14:15], s[0:1]
	s_xor_b64 s[14:15], exec, s[14:15]
	s_cbranch_execz .LBB94_64
; %bb.47:                               ;   in Loop: Header=BB94_7 Depth=1
	v_cmp_gt_u32_e32 vcc, s91, v23
                                        ; implicit-def: $vgpr14_vgpr15
	s_and_saveexec_b64 s[0:1], vcc
	s_xor_b64 s[40:41], exec, s[0:1]
	s_cbranch_execz .LBB94_53
; %bb.48:                               ;   in Loop: Header=BB94_7 Depth=1
	v_cmp_nlt_f64_e64 s[0:1], |v[18:19]|, s[18:19]
                                        ; implicit-def: $vgpr72
                                        ; implicit-def: $vgpr14_vgpr15
                                        ; implicit-def: $vgpr16_vgpr17
	s_and_saveexec_b64 s[54:55], s[0:1]
	s_xor_b64 s[54:55], exec, s[54:55]
	s_cbranch_execz .LBB94_50
; %bb.49:                               ;   in Loop: Header=BB94_7 Depth=1
	v_and_b32_e32 v23, 0x7fffffff, v19
	v_ldexp_f64 v[72:73], |v[18:19]|, s2
	v_cmp_ge_f64_e64 vcc, |v[18:19]|, s[20:21]
	v_trig_preop_f64 v[14:15], |v[18:19]|, 0
	v_cndmask_b32_e32 v73, v23, v73, vcc
	v_cndmask_b32_e32 v72, v18, v72, vcc
	v_trig_preop_f64 v[16:17], |v[18:19]|, 1
	v_mul_f64 v[76:77], v[14:15], v[72:73]
	v_mul_f64 v[74:75], v[16:17], v[72:73]
	v_fma_f64 v[14:15], v[14:15], v[72:73], -v[76:77]
	v_add_f64 v[78:79], v[74:75], v[14:15]
	v_add_f64 v[80:81], v[76:77], v[78:79]
	v_ldexp_f64 v[82:83], v[80:81], -2
	v_fract_f64_e32 v[88:89], v[82:83]
	v_cmp_neq_f64_e64 vcc, |v[82:83]|, s[22:23]
	v_cndmask_b32_e32 v83, 0, v89, vcc
	v_cndmask_b32_e32 v82, 0, v88, vcc
	v_add_f64 v[88:89], v[78:79], -v[74:75]
	v_add_f64 v[14:15], v[14:15], -v[88:89]
	;; [unrolled: 1-line block ×4, first 2 shown]
	v_fma_f64 v[16:17], v[16:17], v[72:73], -v[74:75]
	v_trig_preop_f64 v[74:75], |v[18:19]|, 2
	v_add_f64 v[14:15], v[14:15], v[88:89]
	v_mul_f64 v[88:89], v[74:75], v[72:73]
	v_add_f64 v[90:91], v[88:89], v[16:17]
	v_add_f64 v[92:93], v[90:91], v[14:15]
	v_add_f64 v[76:77], v[80:81], -v[76:77]
	v_add_f64 v[80:81], v[92:93], -v[90:91]
	;; [unrolled: 1-line block ×5, first 2 shown]
	v_add_f64 v[14:15], v[14:15], v[80:81]
	v_add_f64 v[80:81], v[90:91], -v[88:89]
	v_add_f64 v[16:17], v[16:17], -v[80:81]
	;; [unrolled: 1-line block ×4, first 2 shown]
	v_add_f64 v[16:17], v[16:17], v[80:81]
	v_add_f64 v[76:77], v[78:79], -v[76:77]
	v_add_f64 v[14:15], v[16:17], v[14:15]
	v_fma_f64 v[16:17], v[74:75], v[72:73], -v[88:89]
	v_add_f64 v[78:79], v[76:77], v[92:93]
	v_add_f64 v[14:15], v[16:17], v[14:15]
	v_ldexp_f64 v[16:17], v[82:83], 2
	v_add_f64 v[72:73], v[78:79], v[16:17]
	v_cmp_gt_f64_e32 vcc, 0, v[72:73]
	v_cndmask_b32_e32 v23, 0, v27, vcc
	v_add_f64 v[16:17], v[16:17], v[22:23]
	v_add_f64 v[72:73], v[78:79], v[16:17]
	v_cvt_i32_f64_e32 v23, v[72:73]
	v_cvt_f64_i32_e32 v[72:73], v23
	v_add_f64 v[16:17], v[16:17], -v[72:73]
	v_add_f64 v[76:77], v[78:79], -v[76:77]
	v_add_f64 v[74:75], v[78:79], v[16:17]
	v_add_f64 v[76:77], v[92:93], -v[76:77]
	v_add_f64 v[16:17], v[74:75], -v[16:17]
	v_cmp_le_f64_e32 vcc, 0.5, v[74:75]
	v_add_f64 v[14:15], v[76:77], v[14:15]
	v_add_f64 v[16:17], v[78:79], -v[16:17]
	v_addc_co_u32_e64 v72, s[0:1], 0, v23, vcc
	v_cndmask_b32_e32 v23, 0, v84, vcc
	v_add_f64 v[14:15], v[14:15], v[16:17]
	v_add_f64 v[16:17], v[74:75], -v[22:23]
	v_add_f64 v[74:75], v[16:17], v[14:15]
	v_add_f64 v[16:17], v[74:75], -v[16:17]
	s_mov_b32 s24, s26
	v_add_f64 v[14:15], v[14:15], -v[16:17]
	v_mul_f64 v[16:17], v[74:75], s[24:25]
	v_fma_f64 v[76:77], v[74:75], s[24:25], -v[16:17]
	s_mov_b32 s31, s29
	v_fmac_f64_e32 v[76:77], s[30:31], v[74:75]
	v_fmac_f64_e32 v[76:77], s[24:25], v[14:15]
	v_add_f64 v[14:15], v[16:17], v[76:77]
	v_add_f64 v[16:17], v[14:15], -v[16:17]
	v_add_f64 v[16:17], v[76:77], -v[16:17]
.LBB94_50:                              ;   in Loop: Header=BB94_7 Depth=1
	s_andn2_saveexec_b64 s[0:1], s[54:55]
	s_cbranch_execz .LBB94_52
; %bb.51:                               ;   in Loop: Header=BB94_7 Depth=1
	v_mul_f64 v[14:15], |v[18:19]|, s[34:35]
	v_rndne_f64_e32 v[72:73], v[14:15]
	v_fma_f64 v[14:15], v[72:73], s[26:27], |v[18:19]|
	v_mul_f64 v[74:75], v[72:73], s[36:37]
	v_add_f64 v[78:79], v[14:15], v[74:75]
	v_fma_f64 v[16:17], s[36:37], v[72:73], v[14:15]
	s_mov_b32 s28, s36
	v_add_f64 v[14:15], v[14:15], -v[78:79]
	v_fma_f64 v[76:77], s[28:29], v[72:73], v[74:75]
	v_add_f64 v[14:15], v[14:15], v[74:75]
	v_add_f64 v[74:75], v[78:79], -v[16:17]
	v_add_f64 v[14:15], v[74:75], v[14:15]
	v_add_f64 v[74:75], v[14:15], -v[76:77]
	v_fmac_f64_e32 v[74:75], s[38:39], v[72:73]
	v_add_f64 v[14:15], v[16:17], v[74:75]
	v_add_f64 v[16:17], v[14:15], -v[16:17]
	v_add_f64 v[16:17], v[74:75], -v[16:17]
	v_cvt_i32_f64_e32 v72, v[72:73]
.LBB94_52:                              ;   in Loop: Header=BB94_7 Depth=1
	s_or_b64 exec, exec, s[0:1]
	v_mul_f64 v[74:75], v[14:15], v[14:15]
	v_fma_f64 v[76:77], v[14:15], v[14:15], -v[74:75]
	v_add_f64 v[78:79], v[16:17], v[16:17]
	v_fmac_f64_e32 v[76:77], v[14:15], v[78:79]
	s_mov_b32 s0, 0xc751c08c
	v_add_f64 v[74:75], v[74:75], v[76:77]
	v_pk_mov_b32 v[76:77], v[28:29], v[28:29] op_sel:[0,1]
	s_mov_b32 s1, 0x3ef5e089
	v_fmac_f64_e32 v[76:77], s[0:1], v[74:75]
	v_pk_mov_b32 v[78:79], v[30:31], v[30:31] op_sel:[0,1]
	v_fmac_f64_e32 v[78:79], v[74:75], v[76:77]
	v_pk_mov_b32 v[76:77], v[32:33], v[32:33] op_sel:[0,1]
	;; [unrolled: 2-line block ×12, first 2 shown]
	v_fmac_f64_e32 v[76:77], v[74:75], v[78:79]
	v_mul_f64 v[74:75], v[74:75], v[76:77]
	v_mul_f64 v[76:77], v[14:15], v[74:75]
	v_add_f64 v[78:79], v[14:15], v[76:77]
	v_fma_f64 v[74:75], v[14:15], v[74:75], -v[76:77]
	v_add_f64 v[14:15], v[78:79], -v[14:15]
	v_add_f64 v[14:15], v[76:77], -v[14:15]
	v_add_f64 v[16:17], v[16:17], v[74:75]
	v_add_f64 v[14:15], v[16:17], v[14:15]
	;; [unrolled: 1-line block ×3, first 2 shown]
	v_rcp_f64_e32 v[74:75], v[16:17]
	v_and_b32_e32 v18, 1, v72
	v_add_f64 v[72:73], v[16:17], -v[78:79]
	v_add_f64 v[14:15], v[14:15], -v[72:73]
	v_fma_f64 v[72:73], -v[16:17], v[74:75], 1.0
	v_fmac_f64_e32 v[74:75], v[72:73], v[74:75]
	v_fma_f64 v[72:73], -v[16:17], v[74:75], 1.0
	v_fmac_f64_e32 v[74:75], v[72:73], v[74:75]
	v_mul_f64 v[72:73], v[16:17], v[74:75]
	v_fma_f64 v[76:77], v[74:75], v[16:17], -v[72:73]
	v_fmac_f64_e32 v[76:77], v[74:75], v[14:15]
	v_add_f64 v[14:15], v[72:73], v[76:77]
	v_add_f64 v[78:79], -v[14:15], 1.0
	v_add_f64 v[72:73], v[14:15], -v[72:73]
	v_add_f64 v[80:81], -v[78:79], 1.0
	v_add_f64 v[14:15], v[80:81], -v[14:15]
	v_add_f64 v[72:73], v[72:73], -v[76:77]
	v_add_f64 v[14:15], v[72:73], v[14:15]
	v_add_f64 v[14:15], v[78:79], v[14:15]
	v_mul_f64 v[14:15], v[74:75], v[14:15]
	v_add_f64 v[14:15], v[74:75], v[14:15]
	v_xor_b32_e32 v15, 0x80000000, v15
	v_cmp_eq_u32_e32 vcc, 0, v18
	v_cndmask_b32_e32 v14, v14, v16, vcc
	v_cndmask_b32_e32 v15, v15, v17, vcc
	v_add_f64 v[16:17], |v[20:21]|, s[42:43]
	v_add_f64 v[72:73], v[16:17], -|v[20:21]|
	v_add_f64 v[74:75], v[72:73], -v[16:17]
	s_mov_b32 s44, s42
	v_add_f64 v[74:75], |v[20:21]|, v[74:75]
	v_add_f64 v[72:73], v[72:73], s[44:45]
	v_add_f64 v[72:73], v[74:75], -v[72:73]
	v_add_f64 v[72:73], v[72:73], s[46:47]
	v_add_f64 v[74:75], v[16:17], v[72:73]
	v_add_f64 v[16:17], v[16:17], -v[74:75]
	s_mov_b32 s48, s50
	v_add_f64 v[16:17], v[72:73], v[16:17]
	v_mul_f64 v[72:73], v[74:75], s[48:49]
	v_rndne_f64_e32 v[72:73], v[72:73]
	s_mov_b32 s53, s43
	v_fmac_f64_e32 v[74:75], s[52:53], v[72:73]
	v_add_f64 v[76:77], v[16:17], v[74:75]
	s_mov_b32 s0, 0xf278e000
	v_add_f64 v[74:75], v[74:75], -v[76:77]
	s_mov_b32 s1, 0xbd53de6a
	v_add_f64 v[16:17], v[16:17], v[74:75]
	v_mul_f64 v[74:75], v[72:73], s[0:1]
	v_add_f64 v[78:79], v[76:77], v[74:75]
	v_add_f64 v[76:77], v[76:77], -v[78:79]
	v_add_f64 v[74:75], v[76:77], v[74:75]
	v_add_f64 v[16:17], v[16:17], v[74:75]
	v_add_f64 v[74:75], v[78:79], v[16:17]
	s_mov_b32 s0, 0xf97b57a0
	v_add_f64 v[76:77], v[78:79], -v[74:75]
	s_mov_b32 s1, 0xbac9cc01
	v_add_f64 v[16:17], v[16:17], v[76:77]
	v_mul_f64 v[76:77], v[72:73], s[0:1]
	v_add_f64 v[78:79], v[74:75], v[76:77]
	v_add_f64 v[74:75], v[74:75], -v[78:79]
	v_add_f64 v[74:75], v[74:75], v[76:77]
	v_add_f64 v[16:17], v[16:17], v[74:75]
	;; [unrolled: 1-line block ×3, first 2 shown]
	v_add_f64 v[76:77], v[78:79], -v[74:75]
	v_add_f64 v[16:17], v[16:17], v[76:77]
	v_pk_mov_b32 v[76:77], v[54:55], v[54:55] op_sel:[0,1]
	v_fmac_f64_e32 v[76:77], s[58:59], v[74:75]
	v_pk_mov_b32 v[78:79], v[56:57], v[56:57] op_sel:[0,1]
	v_fmac_f64_e32 v[78:79], v[74:75], v[76:77]
	;; [unrolled: 2-line block ×9, first 2 shown]
	v_mul_f64 v[78:79], v[74:75], v[74:75]
	v_fma_f64 v[80:81], v[74:75], v[74:75], -v[78:79]
	v_add_f64 v[82:83], v[16:17], v[16:17]
	v_fmac_f64_e32 v[80:81], v[74:75], v[82:83]
	v_add_f64 v[82:83], v[78:79], v[80:81]
	v_add_f64 v[78:79], v[82:83], -v[78:79]
	v_add_f64 v[78:79], v[80:81], -v[78:79]
	v_mul_f64 v[80:81], v[82:83], v[76:77]
	v_fma_f64 v[82:83], v[82:83], v[76:77], -v[80:81]
	v_fmac_f64_e32 v[82:83], v[78:79], v[76:77]
	v_add_f64 v[76:77], v[80:81], v[82:83]
	v_add_f64 v[78:79], v[76:77], -v[80:81]
	v_add_f64 v[80:81], v[74:75], v[76:77]
	v_add_f64 v[78:79], v[82:83], -v[78:79]
	v_add_f64 v[74:75], v[80:81], -v[74:75]
	;; [unrolled: 1-line block ×3, first 2 shown]
	v_add_f64 v[16:17], v[16:17], v[78:79]
	v_add_f64 v[16:17], v[16:17], v[74:75]
	;; [unrolled: 1-line block ×3, first 2 shown]
	v_add_f64 v[76:77], v[74:75], -v[80:81]
	v_add_f64 v[16:17], v[16:17], -v[76:77]
	v_add_f64 v[76:77], v[74:75], 1.0
	v_add_f64 v[78:79], v[76:77], -1.0
	v_add_f64 v[74:75], v[74:75], -v[78:79]
	v_add_f64 v[16:17], v[16:17], v[74:75]
	v_add_f64 v[74:75], v[76:77], v[16:17]
	v_cvt_i32_f64_e32 v23, v[72:73]
	v_ldexp_f64 v[72:73], v[74:75], v23
	v_rcp_f64_e32 v[78:79], v[72:73]
	v_add_f64 v[74:75], v[74:75], -v[76:77]
	v_add_f64 v[16:17], v[16:17], -v[74:75]
	v_ldexp_f64 v[16:17], v[16:17], v23
	v_fma_f64 v[74:75], -v[72:73], v[78:79], 1.0
	v_fmac_f64_e32 v[78:79], v[74:75], v[78:79]
	v_fma_f64 v[74:75], -v[72:73], v[78:79], 1.0
	v_fmac_f64_e32 v[78:79], v[74:75], v[78:79]
	v_mul_f64 v[74:75], v[72:73], v[78:79]
	v_fma_f64 v[76:77], v[78:79], v[72:73], -v[74:75]
	v_fmac_f64_e32 v[76:77], v[78:79], v[16:17]
	v_add_f64 v[80:81], v[74:75], v[76:77]
	v_add_f64 v[82:83], -v[80:81], 1.0
	v_add_f64 v[74:75], v[80:81], -v[74:75]
	v_add_f64 v[88:89], -v[82:83], 1.0
	v_add_f64 v[80:81], v[88:89], -v[80:81]
	v_add_f64 v[74:75], v[74:75], -v[76:77]
	v_add_f64 v[74:75], v[74:75], v[80:81]
	v_add_f64 v[76:77], v[82:83], v[74:75]
	v_add_f64 v[80:81], v[82:83], -v[76:77]
	v_add_f64 v[74:75], v[74:75], v[80:81]
	v_mul_f64 v[80:81], v[78:79], v[76:77]
	v_mul_f64 v[82:83], v[72:73], v[80:81]
	v_fma_f64 v[88:89], v[80:81], v[72:73], -v[82:83]
	v_fmac_f64_e32 v[88:89], v[80:81], v[16:17]
	v_add_f64 v[90:91], v[82:83], v[88:89]
	v_add_f64 v[92:93], v[76:77], -v[90:91]
	v_add_f64 v[76:77], v[76:77], -v[92:93]
	v_add_f64 v[82:83], v[90:91], -v[82:83]
	v_add_f64 v[76:77], v[76:77], -v[90:91]
	v_add_f64 v[74:75], v[74:75], v[76:77]
	v_add_f64 v[76:77], v[82:83], -v[88:89]
	v_add_f64 v[74:75], v[76:77], v[74:75]
	v_add_f64 v[74:75], v[92:93], v[74:75]
	;; [unrolled: 1-line block ×3, first 2 shown]
	v_mul_f64 v[74:75], v[78:79], v[74:75]
	v_add_f64 v[78:79], v[76:77], -v[78:79]
	v_add_f64 v[78:79], v[80:81], -v[78:79]
	v_add_f64 v[74:75], v[78:79], v[74:75]
	v_add_f64 v[78:79], v[76:77], v[74:75]
	v_add_f64 v[76:77], v[78:79], -v[76:77]
	v_add_f64 v[74:75], v[74:75], -v[76:77]
	v_ldexp_f64 v[76:77], v[78:79], -2
	v_add_f64 v[78:79], v[72:73], -v[76:77]
	v_add_f64 v[72:73], v[72:73], -v[78:79]
	;; [unrolled: 1-line block ×3, first 2 shown]
	s_mov_b32 s0, 0x8fb9f87e
	v_ldexp_f64 v[74:75], v[74:75], -2
	v_add_f64 v[16:17], v[16:17], v[72:73]
	s_mov_b32 s1, 0x408633ce
	v_add_f64 v[16:17], v[16:17], -v[74:75]
	v_cmp_nge_f64_e64 vcc, |v[20:21]|, s[0:1]
	s_mov_b32 s0, 0
	v_add_f64 v[16:17], v[78:79], v[16:17]
	s_mov_b32 s1, 0x3e400000
	v_and_b32_e32 v18, 0x7fffffff, v21
	v_cndmask_b32_e32 v17, v85, v17, vcc
	v_cndmask_b32_e32 v16, 0, v16, vcc
	v_cmp_lt_f64_e64 vcc, |v[20:21]|, s[0:1]
	v_cndmask_b32_e32 v17, v17, v18, vcc
	v_xor_b32_e32 v18, 0x80000000, v21
	v_cndmask_b32_e32 v16, v16, v20, vcc
	v_bfi_b32 v17, s68, v17, v18
	s_mov_b32 s0, 0
	v_fma_f64 v[20:21], v[16:17], v[16:17], 1.0
	s_brev_b32 s1, 8
	v_cmp_gt_f64_e32 vcc, s[0:1], v[20:21]
	v_cndmask_b32_e64 v18, 0, 1, vcc
	v_lshlrev_b32_e32 v18, 8, v18
	v_ldexp_f64 v[20:21], v[20:21], v18
	v_rsq_f64_e32 v[72:73], v[20:21]
	v_and_b32_e32 v18, 0x80000000, v19
	v_cndmask_b32_e32 v23, 0, v86, vcc
	v_xor_b32_e32 v15, v15, v18
	v_mul_f64 v[74:75], v[20:21], v[72:73]
	v_mul_f64 v[72:73], v[72:73], 0.5
	v_fma_f64 v[76:77], -v[72:73], v[74:75], 0.5
	v_fmac_f64_e32 v[74:75], v[74:75], v[76:77]
	v_fma_f64 v[78:79], -v[74:75], v[74:75], v[20:21]
	v_fmac_f64_e32 v[72:73], v[72:73], v[76:77]
	v_fmac_f64_e32 v[74:75], v[78:79], v[72:73]
	v_fma_f64 v[76:77], -v[74:75], v[74:75], v[20:21]
	v_fmac_f64_e32 v[74:75], v[76:77], v[72:73]
	v_ldexp_f64 v[72:73], v[74:75], v23
	v_cmp_class_f64_e32 vcc, v[20:21], v1
	v_fma_f64 v[18:19], v[14:15], v[14:15], 1.0
	v_cndmask_b32_e32 v21, v73, v21, vcc
	v_cndmask_b32_e32 v20, v72, v20, vcc
	v_mul_f64 v[72:73], v[16:17], v[18:19]
	v_mul_f64 v[18:19], v[20:21], v[18:19]
	v_fma_f64 v[72:73], v[16:17], v[72:73], 1.0
	v_mul_f64 v[16:17], v[16:17], v[18:19]
	v_div_scale_f64 v[18:19], s[0:1], v[72:73], v[72:73], v[16:17]
	v_rcp_f64_e32 v[20:21], v[18:19]
	v_fma_f64 v[74:75], -v[18:19], v[20:21], 1.0
	v_fmac_f64_e32 v[20:21], v[20:21], v[74:75]
	v_fma_f64 v[74:75], -v[18:19], v[20:21], 1.0
	v_fmac_f64_e32 v[20:21], v[20:21], v[74:75]
	v_div_scale_f64 v[74:75], vcc, v[16:17], v[72:73], v[16:17]
	v_mul_f64 v[76:77], v[74:75], v[20:21]
	v_fma_f64 v[18:19], -v[18:19], v[76:77], v[74:75]
	v_div_scale_f64 v[74:75], s[0:1], v[72:73], v[72:73], v[14:15]
	v_rcp_f64_e32 v[78:79], v[74:75]
	v_div_fmas_f64 v[18:19], v[18:19], v[20:21], v[76:77]
	v_div_fixup_f64 v[16:17], v[18:19], v[72:73], v[16:17]
	v_fma_f64 v[18:19], -v[74:75], v[78:79], 1.0
	v_fmac_f64_e32 v[78:79], v[78:79], v[18:19]
	v_fma_f64 v[18:19], -v[74:75], v[78:79], 1.0
	v_fmac_f64_e32 v[78:79], v[78:79], v[18:19]
	v_div_scale_f64 v[18:19], vcc, v[14:15], v[72:73], v[14:15]
	v_mul_f64 v[20:21], v[18:19], v[78:79]
	v_fma_f64 v[18:19], -v[74:75], v[20:21], v[18:19]
	s_nop 1
	v_div_fmas_f64 v[18:19], v[18:19], v[78:79], v[20:21]
	v_div_fixup_f64 v[14:15], v[18:19], v[72:73], v[14:15]
                                        ; implicit-def: $vgpr18_vgpr19
.LBB94_53:                              ;   in Loop: Header=BB94_7 Depth=1
	s_andn2_saveexec_b64 s[40:41], s[40:41]
	s_cbranch_execz .LBB94_63
; %bb.54:                               ;   in Loop: Header=BB94_7 Depth=1
	v_cmp_nlt_f64_e64 s[54:55], |v[18:19]|, s[18:19]
                                        ; implicit-def: $vgpr76
                                        ; implicit-def: $vgpr14_vgpr15
                                        ; implicit-def: $vgpr16_vgpr17
	s_and_saveexec_b64 s[0:1], s[54:55]
	s_xor_b64 s[56:57], exec, s[0:1]
	s_cbranch_execz .LBB94_56
; %bb.55:                               ;   in Loop: Header=BB94_7 Depth=1
	v_and_b32_e32 v23, 0x7fffffff, v19
	v_ldexp_f64 v[72:73], |v[18:19]|, s2
	v_cmp_ge_f64_e64 vcc, |v[18:19]|, s[20:21]
	v_trig_preop_f64 v[14:15], |v[18:19]|, 0
	v_cndmask_b32_e32 v73, v23, v73, vcc
	v_cndmask_b32_e32 v72, v18, v72, vcc
	v_trig_preop_f64 v[16:17], |v[18:19]|, 1
	v_mul_f64 v[76:77], v[14:15], v[72:73]
	v_mul_f64 v[74:75], v[16:17], v[72:73]
	v_fma_f64 v[14:15], v[14:15], v[72:73], -v[76:77]
	v_add_f64 v[78:79], v[74:75], v[14:15]
	v_add_f64 v[80:81], v[76:77], v[78:79]
	v_ldexp_f64 v[82:83], v[80:81], -2
	v_fract_f64_e32 v[88:89], v[82:83]
	v_cmp_neq_f64_e64 vcc, |v[82:83]|, s[22:23]
	v_cndmask_b32_e32 v83, 0, v89, vcc
	v_cndmask_b32_e32 v82, 0, v88, vcc
	v_add_f64 v[88:89], v[78:79], -v[74:75]
	v_add_f64 v[14:15], v[14:15], -v[88:89]
	;; [unrolled: 1-line block ×4, first 2 shown]
	v_fma_f64 v[16:17], v[16:17], v[72:73], -v[74:75]
	v_trig_preop_f64 v[74:75], |v[18:19]|, 2
	v_add_f64 v[14:15], v[14:15], v[88:89]
	v_mul_f64 v[88:89], v[74:75], v[72:73]
	v_add_f64 v[90:91], v[88:89], v[16:17]
	v_add_f64 v[92:93], v[90:91], v[14:15]
	v_add_f64 v[76:77], v[80:81], -v[76:77]
	v_add_f64 v[80:81], v[92:93], -v[90:91]
	;; [unrolled: 1-line block ×5, first 2 shown]
	v_add_f64 v[14:15], v[14:15], v[80:81]
	v_add_f64 v[80:81], v[90:91], -v[88:89]
	v_add_f64 v[16:17], v[16:17], -v[80:81]
	;; [unrolled: 1-line block ×4, first 2 shown]
	v_add_f64 v[16:17], v[16:17], v[80:81]
	v_add_f64 v[76:77], v[78:79], -v[76:77]
	v_add_f64 v[14:15], v[16:17], v[14:15]
	v_fma_f64 v[16:17], v[74:75], v[72:73], -v[88:89]
	v_add_f64 v[78:79], v[76:77], v[92:93]
	v_add_f64 v[14:15], v[16:17], v[14:15]
	v_ldexp_f64 v[16:17], v[82:83], 2
	v_add_f64 v[72:73], v[78:79], v[16:17]
	v_cmp_gt_f64_e32 vcc, 0, v[72:73]
	v_cndmask_b32_e32 v23, 0, v27, vcc
	v_add_f64 v[16:17], v[16:17], v[22:23]
	v_add_f64 v[72:73], v[78:79], v[16:17]
	v_cvt_i32_f64_e32 v23, v[72:73]
	v_cvt_f64_i32_e32 v[72:73], v23
	v_add_f64 v[16:17], v[16:17], -v[72:73]
	v_add_f64 v[76:77], v[78:79], -v[76:77]
	v_add_f64 v[72:73], v[78:79], v[16:17]
	v_add_f64 v[76:77], v[92:93], -v[76:77]
	v_add_f64 v[16:17], v[72:73], -v[16:17]
	v_cmp_le_f64_e32 vcc, 0.5, v[72:73]
	v_add_f64 v[14:15], v[76:77], v[14:15]
	v_add_f64 v[16:17], v[78:79], -v[16:17]
	v_addc_co_u32_e64 v76, s[0:1], 0, v23, vcc
	v_cndmask_b32_e32 v23, 0, v84, vcc
	v_add_f64 v[14:15], v[14:15], v[16:17]
	v_add_f64 v[16:17], v[72:73], -v[22:23]
	v_add_f64 v[72:73], v[16:17], v[14:15]
	v_add_f64 v[16:17], v[72:73], -v[16:17]
	s_mov_b32 s24, s26
	v_add_f64 v[14:15], v[14:15], -v[16:17]
	v_mul_f64 v[16:17], v[72:73], s[24:25]
	v_fma_f64 v[74:75], v[72:73], s[24:25], -v[16:17]
	s_mov_b32 s31, s29
	v_fmac_f64_e32 v[74:75], s[30:31], v[72:73]
	v_fmac_f64_e32 v[74:75], s[24:25], v[14:15]
	v_add_f64 v[14:15], v[16:17], v[74:75]
	v_add_f64 v[16:17], v[14:15], -v[16:17]
	v_add_f64 v[16:17], v[74:75], -v[16:17]
	s_andn2_saveexec_b64 s[0:1], s[56:57]
	s_cbranch_execz .LBB94_58
	s_branch .LBB94_57
.LBB94_56:                              ;   in Loop: Header=BB94_7 Depth=1
	s_andn2_saveexec_b64 s[0:1], s[56:57]
	s_cbranch_execz .LBB94_58
.LBB94_57:                              ;   in Loop: Header=BB94_7 Depth=1
	v_mul_f64 v[14:15], |v[18:19]|, s[34:35]
	v_rndne_f64_e32 v[72:73], v[14:15]
	v_fma_f64 v[14:15], v[72:73], s[26:27], |v[18:19]|
	v_mul_f64 v[74:75], v[72:73], s[36:37]
	v_add_f64 v[78:79], v[14:15], v[74:75]
	v_fma_f64 v[16:17], s[36:37], v[72:73], v[14:15]
	s_mov_b32 s28, s36
	v_add_f64 v[14:15], v[14:15], -v[78:79]
	v_fma_f64 v[76:77], s[28:29], v[72:73], v[74:75]
	v_add_f64 v[14:15], v[14:15], v[74:75]
	v_add_f64 v[74:75], v[78:79], -v[16:17]
	v_add_f64 v[14:15], v[74:75], v[14:15]
	v_add_f64 v[74:75], v[14:15], -v[76:77]
	v_fmac_f64_e32 v[74:75], s[38:39], v[72:73]
	v_add_f64 v[14:15], v[16:17], v[74:75]
	v_add_f64 v[16:17], v[14:15], -v[16:17]
	v_add_f64 v[16:17], v[74:75], -v[16:17]
	v_cvt_i32_f64_e32 v76, v[72:73]
.LBB94_58:                              ;   in Loop: Header=BB94_7 Depth=1
	s_or_b64 exec, exec, s[0:1]
                                        ; implicit-def: $vgpr77
                                        ; implicit-def: $vgpr72_vgpr73
                                        ; implicit-def: $vgpr74_vgpr75
	s_and_saveexec_b64 s[0:1], s[54:55]
	s_xor_b64 s[54:55], exec, s[0:1]
	s_cbranch_execz .LBB94_60
; %bb.59:                               ;   in Loop: Header=BB94_7 Depth=1
	v_and_b32_e32 v23, 0x7fffffff, v19
	v_ldexp_f64 v[78:79], |v[18:19]|, s2
	v_cmp_ge_f64_e64 vcc, |v[18:19]|, s[20:21]
	v_trig_preop_f64 v[72:73], |v[18:19]|, 0
	v_cndmask_b32_e32 v79, v23, v79, vcc
	v_cndmask_b32_e32 v78, v18, v78, vcc
	v_trig_preop_f64 v[74:75], |v[18:19]|, 1
	v_mul_f64 v[82:83], v[72:73], v[78:79]
	v_mul_f64 v[80:81], v[74:75], v[78:79]
	v_fma_f64 v[72:73], v[72:73], v[78:79], -v[82:83]
	v_add_f64 v[88:89], v[80:81], v[72:73]
	v_add_f64 v[90:91], v[82:83], v[88:89]
	v_ldexp_f64 v[92:93], v[90:91], -2
	v_fract_f64_e32 v[94:95], v[92:93]
	v_cmp_neq_f64_e64 vcc, |v[92:93]|, s[22:23]
	v_cndmask_b32_e32 v93, 0, v95, vcc
	v_cndmask_b32_e32 v92, 0, v94, vcc
	v_add_f64 v[94:95], v[88:89], -v[80:81]
	v_add_f64 v[72:73], v[72:73], -v[94:95]
	;; [unrolled: 1-line block ×4, first 2 shown]
	v_fma_f64 v[74:75], v[74:75], v[78:79], -v[80:81]
	v_trig_preop_f64 v[80:81], |v[18:19]|, 2
	v_add_f64 v[72:73], v[72:73], v[94:95]
	v_mul_f64 v[94:95], v[80:81], v[78:79]
	v_add_f64 v[96:97], v[94:95], v[74:75]
	v_add_f64 v[98:99], v[96:97], v[72:73]
	v_add_f64 v[82:83], v[90:91], -v[82:83]
	v_add_f64 v[90:91], v[98:99], -v[96:97]
	;; [unrolled: 1-line block ×5, first 2 shown]
	v_add_f64 v[72:73], v[72:73], v[90:91]
	v_add_f64 v[90:91], v[96:97], -v[94:95]
	v_add_f64 v[74:75], v[74:75], -v[90:91]
	;; [unrolled: 1-line block ×4, first 2 shown]
	v_add_f64 v[74:75], v[74:75], v[90:91]
	v_add_f64 v[82:83], v[88:89], -v[82:83]
	v_add_f64 v[72:73], v[74:75], v[72:73]
	v_fma_f64 v[74:75], v[80:81], v[78:79], -v[94:95]
	v_add_f64 v[88:89], v[82:83], v[98:99]
	v_add_f64 v[72:73], v[74:75], v[72:73]
	v_ldexp_f64 v[74:75], v[92:93], 2
	v_add_f64 v[78:79], v[88:89], v[74:75]
	v_cmp_gt_f64_e32 vcc, 0, v[78:79]
	v_cndmask_b32_e32 v23, 0, v27, vcc
	v_add_f64 v[74:75], v[74:75], v[22:23]
	v_add_f64 v[78:79], v[88:89], v[74:75]
	v_cvt_i32_f64_e32 v23, v[78:79]
	v_cvt_f64_i32_e32 v[78:79], v23
	v_add_f64 v[74:75], v[74:75], -v[78:79]
	v_add_f64 v[82:83], v[88:89], -v[82:83]
	v_add_f64 v[78:79], v[88:89], v[74:75]
	v_add_f64 v[82:83], v[98:99], -v[82:83]
	v_add_f64 v[74:75], v[78:79], -v[74:75]
	v_cmp_le_f64_e32 vcc, 0.5, v[78:79]
	v_add_f64 v[72:73], v[82:83], v[72:73]
	v_add_f64 v[74:75], v[88:89], -v[74:75]
	v_addc_co_u32_e64 v77, s[0:1], 0, v23, vcc
	v_cndmask_b32_e32 v23, 0, v84, vcc
	v_add_f64 v[72:73], v[72:73], v[74:75]
	v_add_f64 v[74:75], v[78:79], -v[22:23]
	v_add_f64 v[78:79], v[74:75], v[72:73]
	v_add_f64 v[74:75], v[78:79], -v[74:75]
	s_mov_b32 s24, s26
	v_add_f64 v[72:73], v[72:73], -v[74:75]
	v_mul_f64 v[74:75], v[78:79], s[24:25]
	v_fma_f64 v[80:81], v[78:79], s[24:25], -v[74:75]
	s_mov_b32 s31, s29
	v_fmac_f64_e32 v[80:81], s[30:31], v[78:79]
	v_fmac_f64_e32 v[80:81], s[24:25], v[72:73]
	v_add_f64 v[72:73], v[74:75], v[80:81]
	v_add_f64 v[74:75], v[72:73], -v[74:75]
	v_add_f64 v[74:75], v[80:81], -v[74:75]
	s_andn2_saveexec_b64 s[0:1], s[54:55]
	s_cbranch_execnz .LBB94_61
	s_branch .LBB94_62
.LBB94_60:                              ;   in Loop: Header=BB94_7 Depth=1
	s_andn2_saveexec_b64 s[0:1], s[54:55]
	s_cbranch_execz .LBB94_62
.LBB94_61:                              ;   in Loop: Header=BB94_7 Depth=1
	v_mul_f64 v[72:73], |v[18:19]|, s[34:35]
	v_rndne_f64_e32 v[78:79], v[72:73]
	v_fma_f64 v[72:73], v[78:79], s[26:27], |v[18:19]|
	v_mul_f64 v[80:81], v[78:79], s[36:37]
	v_add_f64 v[88:89], v[72:73], v[80:81]
	v_fma_f64 v[74:75], s[36:37], v[78:79], v[72:73]
	s_mov_b32 s28, s36
	v_add_f64 v[72:73], v[72:73], -v[88:89]
	v_fma_f64 v[82:83], s[28:29], v[78:79], v[80:81]
	v_add_f64 v[72:73], v[72:73], v[80:81]
	v_add_f64 v[80:81], v[88:89], -v[74:75]
	v_add_f64 v[72:73], v[80:81], v[72:73]
	v_add_f64 v[80:81], v[72:73], -v[82:83]
	v_fmac_f64_e32 v[80:81], s[38:39], v[78:79]
	v_add_f64 v[72:73], v[74:75], v[80:81]
	v_add_f64 v[74:75], v[72:73], -v[74:75]
	v_add_f64 v[74:75], v[80:81], -v[74:75]
	v_cvt_i32_f64_e32 v77, v[78:79]
.LBB94_62:                              ;   in Loop: Header=BB94_7 Depth=1
	s_or_b64 exec, exec, s[0:1]
	v_mul_f64 v[78:79], v[14:15], v[14:15]
	v_pk_mov_b32 v[90:91], s[70:71], s[70:71] op_sel:[0,1]
	v_mul_f64 v[80:81], v[78:79], 0.5
	v_fma_f64 v[92:93], s[72:73], v[78:79], v[90:91]
	v_add_f64 v[82:83], -v[80:81], 1.0
	v_fma_f64 v[92:93], v[78:79], v[92:93], s[74:75]
	v_add_f64 v[88:89], -v[82:83], 1.0
	v_fma_f64 v[92:93], v[78:79], v[92:93], s[76:77]
	v_add_f64 v[80:81], v[88:89], -v[80:81]
	v_fma_f64 v[92:93], v[78:79], v[92:93], s[78:79]
	v_mul_f64 v[88:89], v[78:79], v[78:79]
	v_fma_f64 v[92:93], v[78:79], v[92:93], s[62:63]
	v_fma_f64 v[80:81], v[14:15], -v[16:17], v[80:81]
	v_fmac_f64_e32 v[80:81], v[88:89], v[92:93]
	v_add_f64 v[80:81], v[82:83], v[80:81]
	v_pk_mov_b32 v[82:83], s[80:81], s[80:81] op_sel:[0,1]
	v_fma_f64 v[88:89], s[82:83], v[78:79], v[82:83]
	v_fma_f64 v[88:89], v[78:79], v[88:89], s[84:85]
	v_fma_f64 v[88:89], v[78:79], v[88:89], s[86:87]
	v_fma_f64 v[88:89], v[78:79], v[88:89], s[60:61]
	v_mul_f64 v[92:93], v[14:15], -v[78:79]
	v_mul_f64 v[94:95], v[16:17], 0.5
	v_fmac_f64_e32 v[94:95], v[92:93], v[88:89]
	v_fma_f64 v[16:17], v[78:79], v[94:95], -v[16:17]
	s_mov_b32 s88, s62
	v_fmac_f64_e32 v[16:17], s[88:89], v[92:93]
	v_add_f64 v[14:15], v[14:15], -v[16:17]
	v_and_b32_e32 v16, 1, v76
	v_cmp_eq_u32_e32 vcc, 0, v16
	v_lshlrev_b32_e32 v16, 30, v76
	v_xor_b32_e32 v16, v16, v19
	v_cndmask_b32_e32 v15, v81, v15, vcc
	v_and_b32_e32 v16, 0x80000000, v16
	v_xor_b32_e32 v15, v15, v16
	v_mul_f64 v[16:17], |v[20:21]|, s[50:51]
	v_rndne_f64_e32 v[16:17], v[16:17]
	v_fma_f64 v[18:19], v[16:17], s[42:43], -|v[20:21]|
	v_fmac_f64_e32 v[18:19], s[46:47], v[16:17]
	v_pk_mov_b32 v[78:79], v[54:55], v[54:55] op_sel:[0,1]
	v_cndmask_b32_e32 v14, v80, v14, vcc
	v_fmac_f64_e32 v[78:79], s[58:59], v[18:19]
	v_pk_mov_b32 v[80:81], v[56:57], v[56:57] op_sel:[0,1]
	v_fmac_f64_e32 v[80:81], v[18:19], v[78:79]
	v_pk_mov_b32 v[78:79], v[58:59], v[58:59] op_sel:[0,1]
	;; [unrolled: 2-line block ×8, first 2 shown]
	v_fmac_f64_e32 v[78:79], v[18:19], v[80:81]
	v_fma_f64 v[78:79], v[18:19], v[78:79], 1.0
	v_fma_f64 v[18:19], v[18:19], v[78:79], 1.0
	v_cvt_i32_f64_e32 v16, v[16:17]
	v_ldexp_f64 v[16:17], v[18:19], v16
	s_mov_b32 s0, 0
	v_xor_b32_e32 v18, 0x80000000, v21
	s_mov_b32 s1, 0x4090cc00
	v_bfi_b32 v23, s68, v84, v18
	v_mul_f64 v[18:19], v[72:73], v[72:73]
	v_cmp_ngt_f64_e64 vcc, |v[20:21]|, s[0:1]
	v_mul_f64 v[20:21], v[18:19], 0.5
	v_fmac_f64_e32 v[90:91], s[72:73], v[18:19]
	v_add_f64 v[78:79], -v[20:21], 1.0
	v_fma_f64 v[88:89], v[18:19], v[90:91], s[74:75]
	v_add_f64 v[80:81], -v[78:79], 1.0
	v_fma_f64 v[88:89], v[18:19], v[88:89], s[76:77]
	v_add_f64 v[20:21], v[80:81], -v[20:21]
	v_fma_f64 v[88:89], v[18:19], v[88:89], s[78:79]
	v_mul_f64 v[80:81], v[18:19], v[18:19]
	v_fma_f64 v[88:89], v[18:19], v[88:89], s[62:63]
	v_fma_f64 v[20:21], v[72:73], -v[74:75], v[20:21]
	v_fmac_f64_e32 v[20:21], v[80:81], v[88:89]
	v_fmac_f64_e32 v[82:83], s[82:83], v[18:19]
	v_add_f64 v[20:21], v[78:79], v[20:21]
	v_fma_f64 v[78:79], v[18:19], v[82:83], s[84:85]
	v_fma_f64 v[78:79], v[18:19], v[78:79], s[86:87]
	;; [unrolled: 1-line block ×3, first 2 shown]
	v_mul_f64 v[80:81], v[72:73], -v[18:19]
	v_mul_f64 v[82:83], v[74:75], 0.5
	v_fmac_f64_e32 v[82:83], v[80:81], v[78:79]
	v_fma_f64 v[18:19], v[18:19], v[82:83], -v[74:75]
	v_fmac_f64_e32 v[18:19], s[88:89], v[80:81]
	v_add_f64 v[18:19], v[72:73], -v[18:19]
	v_and_b32_e32 v72, 1, v77
	v_cndmask_b32_e32 v17, 0, v17, vcc
	v_cndmask_b32_e32 v16, 0, v16, vcc
	v_cmp_eq_u32_e32 vcc, 0, v72
	v_xor_b32_e32 v19, 0x80000000, v19
	v_cndmask_b32_e32 v18, v18, v20, vcc
	v_lshlrev_b32_e32 v20, 30, v77
	v_cndmask_b32_e32 v19, v19, v21, vcc
	v_and_b32_e32 v20, 0x80000000, v20
	v_mul_f64 v[14:15], v[14:15], 4.0
	v_xor_b32_e32 v19, v19, v20
	v_mul_f64 v[14:15], v[14:15], v[18:19]
	v_mul_f64 v[14:15], v[16:17], v[14:15]
	;; [unrolled: 1-line block ×3, first 2 shown]
	v_pk_mov_b32 v[16:17], v[22:23], v[22:23] op_sel:[0,1]
.LBB94_63:                              ;   in Loop: Header=BB94_7 Depth=1
	s_or_b64 exec, exec, s[40:41]
                                        ; implicit-def: $vgpr18_vgpr19
.LBB94_64:                              ;   in Loop: Header=BB94_7 Depth=1
	s_andn2_saveexec_b64 s[0:1], s[14:15]
; %bb.65:                               ;   in Loop: Header=BB94_7 Depth=1
	v_add_f64 v[14:15], v[18:19], -v[18:19]
	v_pk_mov_b32 v[16:17], v[14:15], v[14:15] op_sel:[0,1]
; %bb.66:                               ;   in Loop: Header=BB94_7 Depth=1
	s_or_b64 exec, exec, s[0:1]
                                        ; implicit-def: $vgpr18_vgpr19
.LBB94_67:                              ;   in Loop: Header=BB94_7 Depth=1
	s_andn2_saveexec_b64 s[14:15], s[94:95]
	s_cbranch_execz .LBB94_83
; %bb.68:                               ;   in Loop: Header=BB94_7 Depth=1
	v_and_or_b32 v14, v17, s3, v16
	v_cmp_ne_u32_e32 vcc, 0, v14
	s_and_saveexec_b64 s[0:1], vcc
	s_xor_b64 s[0:1], exec, s[0:1]
; %bb.69:                               ;   in Loop: Header=BB94_7 Depth=1
	v_mul_f64 v[14:15], v[18:19], -v[20:21]
	v_cmp_eq_f64_e32 vcc, 0, v[18:19]
	v_cndmask_b32_e32 v15, v15, v19, vcc
	v_cndmask_b32_e32 v14, v14, v18, vcc
                                        ; implicit-def: $vgpr18_vgpr19
; %bb.70:                               ;   in Loop: Header=BB94_7 Depth=1
	s_andn2_saveexec_b64 s[40:41], s[0:1]
	s_cbranch_execz .LBB94_82
; %bb.71:                               ;   in Loop: Header=BB94_7 Depth=1
	v_cmp_neq_f64_e64 s[0:1], |v[18:19]|, s[22:23]
	s_and_saveexec_b64 s[94:95], s[0:1]
	s_cbranch_execz .LBB94_81
; %bb.72:                               ;   in Loop: Header=BB94_7 Depth=1
	v_cmp_nlt_f64_e64 s[54:55], |v[18:19]|, s[18:19]
	v_trig_preop_f64 v[76:77], |v[18:19]|, 0
	v_trig_preop_f64 v[74:75], |v[18:19]|, 1
	v_ldexp_f64 v[78:79], |v[18:19]|, s2
	v_trig_preop_f64 v[72:73], |v[18:19]|, 2
	v_and_b32_e32 v89, 0x7fffffff, v19
                                        ; implicit-def: $vgpr88
                                        ; implicit-def: $vgpr14_vgpr15
                                        ; implicit-def: $vgpr20_vgpr21
	s_and_saveexec_b64 s[0:1], s[54:55]
	s_xor_b64 s[56:57], exec, s[0:1]
	s_cbranch_execz .LBB94_74
; %bb.73:                               ;   in Loop: Header=BB94_7 Depth=1
	v_cmp_ge_f64_e64 vcc, |v[18:19]|, s[20:21]
	v_cndmask_b32_e32 v15, v89, v79, vcc
	v_cndmask_b32_e32 v14, v18, v78, vcc
	v_mul_f64 v[80:81], v[76:77], v[14:15]
	v_mul_f64 v[20:21], v[74:75], v[14:15]
	v_fma_f64 v[82:83], v[76:77], v[14:15], -v[80:81]
	v_add_f64 v[90:91], v[20:21], v[82:83]
	v_add_f64 v[92:93], v[80:81], v[90:91]
	v_ldexp_f64 v[94:95], v[92:93], -2
	v_fract_f64_e32 v[96:97], v[94:95]
	v_cmp_neq_f64_e64 vcc, |v[94:95]|, s[22:23]
	v_cndmask_b32_e32 v95, 0, v97, vcc
	v_cndmask_b32_e32 v94, 0, v96, vcc
	v_add_f64 v[96:97], v[90:91], -v[20:21]
	v_add_f64 v[82:83], v[82:83], -v[96:97]
	;; [unrolled: 1-line block ×4, first 2 shown]
	v_add_f64 v[82:83], v[82:83], v[96:97]
	v_fma_f64 v[20:21], v[74:75], v[14:15], -v[20:21]
	v_mul_f64 v[96:97], v[72:73], v[14:15]
	v_add_f64 v[98:99], v[96:97], v[20:21]
	v_add_f64 v[100:101], v[98:99], v[82:83]
	v_add_f64 v[80:81], v[92:93], -v[80:81]
	v_add_f64 v[92:93], v[100:101], -v[98:99]
	;; [unrolled: 1-line block ×5, first 2 shown]
	v_add_f64 v[82:83], v[82:83], v[92:93]
	v_add_f64 v[92:93], v[98:99], -v[96:97]
	v_add_f64 v[20:21], v[20:21], -v[92:93]
	;; [unrolled: 1-line block ×5, first 2 shown]
	v_add_f64 v[90:91], v[80:81], v[100:101]
	v_add_f64 v[20:21], v[20:21], v[92:93]
	v_add_f64 v[80:81], v[90:91], -v[80:81]
	v_add_f64 v[20:21], v[20:21], v[82:83]
	v_fma_f64 v[14:15], v[72:73], v[14:15], -v[96:97]
	v_add_f64 v[80:81], v[100:101], -v[80:81]
	v_add_f64 v[14:15], v[14:15], v[20:21]
	v_ldexp_f64 v[20:21], v[94:95], 2
	v_add_f64 v[14:15], v[80:81], v[14:15]
	v_add_f64 v[80:81], v[90:91], v[20:21]
	v_cmp_gt_f64_e32 vcc, 0, v[80:81]
	v_cndmask_b32_e32 v23, 0, v27, vcc
	v_add_f64 v[20:21], v[20:21], v[22:23]
	v_add_f64 v[80:81], v[90:91], v[20:21]
	v_cvt_i32_f64_e32 v23, v[80:81]
	v_cvt_f64_i32_e32 v[80:81], v23
	v_add_f64 v[20:21], v[20:21], -v[80:81]
	v_add_f64 v[80:81], v[90:91], v[20:21]
	v_add_f64 v[20:21], v[80:81], -v[20:21]
	v_cmp_le_f64_e32 vcc, 0.5, v[80:81]
	v_add_f64 v[20:21], v[90:91], -v[20:21]
	v_addc_co_u32_e64 v88, s[0:1], 0, v23, vcc
	v_cndmask_b32_e32 v23, 0, v84, vcc
	v_add_f64 v[14:15], v[14:15], v[20:21]
	v_add_f64 v[20:21], v[80:81], -v[22:23]
	v_add_f64 v[80:81], v[20:21], v[14:15]
	v_add_f64 v[20:21], v[80:81], -v[20:21]
	s_mov_b32 s24, s26
	v_add_f64 v[14:15], v[14:15], -v[20:21]
	v_mul_f64 v[20:21], v[80:81], s[24:25]
	v_fma_f64 v[82:83], v[80:81], s[24:25], -v[20:21]
	s_mov_b32 s31, s29
	v_fmac_f64_e32 v[82:83], s[30:31], v[80:81]
	v_fmac_f64_e32 v[82:83], s[24:25], v[14:15]
	v_add_f64 v[14:15], v[20:21], v[82:83]
	v_add_f64 v[20:21], v[14:15], -v[20:21]
	v_add_f64 v[20:21], v[82:83], -v[20:21]
	s_andn2_saveexec_b64 s[0:1], s[56:57]
	s_cbranch_execz .LBB94_76
	s_branch .LBB94_75
.LBB94_74:                              ;   in Loop: Header=BB94_7 Depth=1
	s_andn2_saveexec_b64 s[0:1], s[56:57]
	s_cbranch_execz .LBB94_76
.LBB94_75:                              ;   in Loop: Header=BB94_7 Depth=1
	v_mul_f64 v[14:15], |v[18:19]|, s[34:35]
	v_rndne_f64_e32 v[80:81], v[14:15]
	v_fma_f64 v[14:15], v[80:81], s[26:27], |v[18:19]|
	v_mul_f64 v[82:83], v[80:81], s[36:37]
	v_add_f64 v[92:93], v[14:15], v[82:83]
	v_fma_f64 v[20:21], s[36:37], v[80:81], v[14:15]
	s_mov_b32 s28, s36
	v_add_f64 v[14:15], v[14:15], -v[92:93]
	v_fma_f64 v[90:91], s[28:29], v[80:81], v[82:83]
	v_add_f64 v[14:15], v[14:15], v[82:83]
	v_add_f64 v[82:83], v[92:93], -v[20:21]
	v_add_f64 v[14:15], v[82:83], v[14:15]
	v_add_f64 v[82:83], v[14:15], -v[90:91]
	v_fmac_f64_e32 v[82:83], s[38:39], v[80:81]
	v_add_f64 v[14:15], v[20:21], v[82:83]
	v_add_f64 v[20:21], v[14:15], -v[20:21]
	v_add_f64 v[20:21], v[82:83], -v[20:21]
	v_cvt_i32_f64_e32 v88, v[80:81]
.LBB94_76:                              ;   in Loop: Header=BB94_7 Depth=1
	s_or_b64 exec, exec, s[0:1]
                                        ; implicit-def: $vgpr90
                                        ; implicit-def: $vgpr80_vgpr81
                                        ; implicit-def: $vgpr82_vgpr83
	s_and_saveexec_b64 s[0:1], s[54:55]
	s_xor_b64 s[54:55], exec, s[0:1]
	s_cbranch_execz .LBB94_78
; %bb.77:                               ;   in Loop: Header=BB94_7 Depth=1
	v_cmp_ge_f64_e64 vcc, |v[18:19]|, s[20:21]
	v_cndmask_b32_e32 v79, v89, v79, vcc
	v_cndmask_b32_e32 v78, v18, v78, vcc
	v_mul_f64 v[82:83], v[76:77], v[78:79]
	v_mul_f64 v[80:81], v[74:75], v[78:79]
	v_fma_f64 v[76:77], v[76:77], v[78:79], -v[82:83]
	v_add_f64 v[90:91], v[80:81], v[76:77]
	v_add_f64 v[92:93], v[82:83], v[90:91]
	v_ldexp_f64 v[94:95], v[92:93], -2
	v_fract_f64_e32 v[96:97], v[94:95]
	v_cmp_neq_f64_e64 vcc, |v[94:95]|, s[22:23]
	v_cndmask_b32_e32 v95, 0, v97, vcc
	v_cndmask_b32_e32 v94, 0, v96, vcc
	v_add_f64 v[96:97], v[90:91], -v[80:81]
	v_add_f64 v[76:77], v[76:77], -v[96:97]
	v_add_f64 v[96:97], v[90:91], -v[96:97]
	v_add_f64 v[96:97], v[80:81], -v[96:97]
	v_fma_f64 v[74:75], v[74:75], v[78:79], -v[80:81]
	v_mul_f64 v[80:81], v[72:73], v[78:79]
	v_add_f64 v[76:77], v[76:77], v[96:97]
	v_add_f64 v[96:97], v[80:81], v[74:75]
	;; [unrolled: 1-line block ×3, first 2 shown]
	v_add_f64 v[82:83], v[92:93], -v[82:83]
	v_add_f64 v[92:93], v[98:99], -v[96:97]
	;; [unrolled: 1-line block ×5, first 2 shown]
	v_add_f64 v[76:77], v[76:77], v[92:93]
	v_add_f64 v[92:93], v[96:97], -v[80:81]
	v_add_f64 v[74:75], v[74:75], -v[92:93]
	;; [unrolled: 1-line block ×4, first 2 shown]
	v_add_f64 v[74:75], v[74:75], v[92:93]
	v_add_f64 v[82:83], v[90:91], -v[82:83]
	v_add_f64 v[74:75], v[74:75], v[76:77]
	v_fma_f64 v[72:73], v[72:73], v[78:79], -v[80:81]
	v_add_f64 v[90:91], v[82:83], v[98:99]
	v_add_f64 v[72:73], v[72:73], v[74:75]
	v_ldexp_f64 v[74:75], v[94:95], 2
	v_add_f64 v[76:77], v[90:91], v[74:75]
	v_cmp_gt_f64_e32 vcc, 0, v[76:77]
	v_cndmask_b32_e32 v23, 0, v27, vcc
	v_add_f64 v[74:75], v[74:75], v[22:23]
	v_add_f64 v[76:77], v[90:91], v[74:75]
	v_cvt_i32_f64_e32 v23, v[76:77]
	v_cvt_f64_i32_e32 v[76:77], v23
	v_add_f64 v[74:75], v[74:75], -v[76:77]
	v_add_f64 v[82:83], v[90:91], -v[82:83]
	v_add_f64 v[76:77], v[90:91], v[74:75]
	v_add_f64 v[82:83], v[98:99], -v[82:83]
	v_add_f64 v[74:75], v[76:77], -v[74:75]
	v_cmp_le_f64_e32 vcc, 0.5, v[76:77]
	v_add_f64 v[72:73], v[82:83], v[72:73]
	v_add_f64 v[74:75], v[90:91], -v[74:75]
	v_addc_co_u32_e64 v90, s[0:1], 0, v23, vcc
	v_cndmask_b32_e32 v23, 0, v84, vcc
	v_add_f64 v[72:73], v[72:73], v[74:75]
	v_add_f64 v[74:75], v[76:77], -v[22:23]
	v_add_f64 v[76:77], v[74:75], v[72:73]
	v_add_f64 v[74:75], v[76:77], -v[74:75]
	s_mov_b32 s24, s26
	v_add_f64 v[72:73], v[72:73], -v[74:75]
	v_mul_f64 v[74:75], v[76:77], s[24:25]
	v_fma_f64 v[78:79], v[76:77], s[24:25], -v[74:75]
	s_mov_b32 s31, s29
	v_fmac_f64_e32 v[78:79], s[30:31], v[76:77]
	v_fmac_f64_e32 v[78:79], s[24:25], v[72:73]
	v_add_f64 v[80:81], v[74:75], v[78:79]
	v_add_f64 v[72:73], v[80:81], -v[74:75]
	v_add_f64 v[82:83], v[78:79], -v[72:73]
	s_andn2_saveexec_b64 s[0:1], s[54:55]
	s_cbranch_execnz .LBB94_79
	s_branch .LBB94_80
.LBB94_78:                              ;   in Loop: Header=BB94_7 Depth=1
	s_andn2_saveexec_b64 s[0:1], s[54:55]
	s_cbranch_execz .LBB94_80
.LBB94_79:                              ;   in Loop: Header=BB94_7 Depth=1
	v_mul_f64 v[72:73], |v[18:19]|, s[34:35]
	v_rndne_f64_e32 v[72:73], v[72:73]
	v_fma_f64 v[74:75], v[72:73], s[26:27], |v[18:19]|
	v_mul_f64 v[78:79], v[72:73], s[36:37]
	v_add_f64 v[82:83], v[74:75], v[78:79]
	v_fma_f64 v[76:77], s[36:37], v[72:73], v[74:75]
	s_mov_b32 s28, s36
	v_add_f64 v[74:75], v[74:75], -v[82:83]
	v_fma_f64 v[80:81], s[28:29], v[72:73], v[78:79]
	v_add_f64 v[74:75], v[74:75], v[78:79]
	v_add_f64 v[78:79], v[82:83], -v[76:77]
	v_add_f64 v[74:75], v[78:79], v[74:75]
	v_add_f64 v[74:75], v[74:75], -v[80:81]
	v_fmac_f64_e32 v[74:75], s[38:39], v[72:73]
	v_add_f64 v[80:81], v[76:77], v[74:75]
	v_add_f64 v[76:77], v[80:81], -v[76:77]
	v_add_f64 v[82:83], v[74:75], -v[76:77]
	v_cvt_i32_f64_e32 v90, v[72:73]
.LBB94_80:                              ;   in Loop: Header=BB94_7 Depth=1
	s_or_b64 exec, exec, s[0:1]
	v_mul_f64 v[72:73], v[14:15], v[14:15]
	v_pk_mov_b32 v[92:93], s[70:71], s[70:71] op_sel:[0,1]
	v_mul_f64 v[74:75], v[72:73], 0.5
	v_fma_f64 v[94:95], s[72:73], v[72:73], v[92:93]
	v_add_f64 v[76:77], -v[74:75], 1.0
	v_fma_f64 v[94:95], v[72:73], v[94:95], s[74:75]
	v_add_f64 v[78:79], -v[76:77], 1.0
	v_fma_f64 v[94:95], v[72:73], v[94:95], s[76:77]
	v_add_f64 v[74:75], v[78:79], -v[74:75]
	v_fma_f64 v[94:95], v[72:73], v[94:95], s[78:79]
	v_mul_f64 v[78:79], v[72:73], v[72:73]
	v_fma_f64 v[94:95], v[72:73], v[94:95], s[62:63]
	v_fma_f64 v[74:75], v[14:15], -v[20:21], v[74:75]
	v_fmac_f64_e32 v[74:75], v[78:79], v[94:95]
	v_add_f64 v[74:75], v[76:77], v[74:75]
	v_pk_mov_b32 v[76:77], s[80:81], s[80:81] op_sel:[0,1]
	v_fma_f64 v[78:79], s[82:83], v[72:73], v[76:77]
	v_fma_f64 v[78:79], v[72:73], v[78:79], s[84:85]
	;; [unrolled: 1-line block ×4, first 2 shown]
	v_mul_f64 v[94:95], v[14:15], -v[72:73]
	v_mul_f64 v[96:97], v[20:21], 0.5
	v_fmac_f64_e32 v[96:97], v[94:95], v[78:79]
	v_fma_f64 v[20:21], v[72:73], v[96:97], -v[20:21]
	s_mov_b32 s88, s62
	v_fmac_f64_e32 v[20:21], s[88:89], v[94:95]
	v_add_f64 v[14:15], v[14:15], -v[20:21]
	v_and_b32_e32 v20, 1, v88
	v_cmp_eq_u32_e32 vcc, 0, v20
	v_lshlrev_b32_e32 v20, 30, v88
	v_xor_b32_e32 v20, v20, v19
	v_cndmask_b32_e32 v14, v74, v14, vcc
	v_cndmask_b32_e32 v15, v75, v15, vcc
	v_and_b32_e32 v20, 0x80000000, v20
	v_cmp_class_f64_e64 vcc, v[18:19], s90
	v_mul_f64 v[18:19], v[80:81], v[80:81]
	v_xor_b32_e32 v15, v15, v20
	v_mul_f64 v[20:21], v[18:19], 0.5
	v_fmac_f64_e32 v[92:93], s[72:73], v[18:19]
	v_add_f64 v[72:73], -v[20:21], 1.0
	v_fma_f64 v[78:79], v[18:19], v[92:93], s[74:75]
	v_add_f64 v[74:75], -v[72:73], 1.0
	v_fma_f64 v[78:79], v[18:19], v[78:79], s[76:77]
	v_add_f64 v[20:21], v[74:75], -v[20:21]
	v_fma_f64 v[78:79], v[18:19], v[78:79], s[78:79]
	v_mul_f64 v[74:75], v[18:19], v[18:19]
	v_fma_f64 v[78:79], v[18:19], v[78:79], s[62:63]
	v_fma_f64 v[20:21], v[80:81], -v[82:83], v[20:21]
	v_fmac_f64_e32 v[20:21], v[74:75], v[78:79]
	v_fmac_f64_e32 v[76:77], s[82:83], v[18:19]
	v_add_f64 v[20:21], v[72:73], v[20:21]
	v_fma_f64 v[72:73], v[18:19], v[76:77], s[84:85]
	v_fma_f64 v[72:73], v[18:19], v[72:73], s[86:87]
	;; [unrolled: 1-line block ×3, first 2 shown]
	v_mul_f64 v[74:75], v[80:81], -v[18:19]
	v_mul_f64 v[76:77], v[82:83], 0.5
	v_fmac_f64_e32 v[76:77], v[74:75], v[72:73]
	v_fma_f64 v[18:19], v[18:19], v[76:77], -v[82:83]
	v_fmac_f64_e32 v[18:19], s[88:89], v[74:75]
	v_and_b32_e32 v23, 1, v90
	v_add_f64 v[18:19], v[80:81], -v[18:19]
	v_cmp_eq_u32_e64 s[0:1], 0, v23
	v_xor_b32_e32 v19, 0x80000000, v19
	v_cndmask_b32_e64 v18, v18, v20, s[0:1]
	v_lshlrev_b32_e32 v20, 30, v90
	v_cndmask_b32_e64 v19, v19, v21, s[0:1]
	v_and_b32_e32 v20, 0x80000000, v20
	v_xor_b32_e32 v19, v19, v20
	v_cndmask_b32_e32 v14, 0, v14, vcc
	v_cndmask_b32_e32 v15, v87, v15, vcc
	;; [unrolled: 1-line block ×4, first 2 shown]
	v_mul_f64 v[18:19], v[14:15], v[18:19]
.LBB94_81:                              ;   in Loop: Header=BB94_7 Depth=1
	s_or_b64 exec, exec, s[94:95]
	v_add_co_u32_e32 v16, vcc, 0, v16
	v_bfi_b32 v23, s68, 0, v19
	v_addc_co_u32_e32 v17, vcc, -2.0, v17, vcc
	v_pk_mov_b32 v[14:15], v[22:23], v[22:23] op_sel:[0,1]
.LBB94_82:                              ;   in Loop: Header=BB94_7 Depth=1
	s_or_b64 exec, exec, s[40:41]
.LBB94_83:                              ;   in Loop: Header=BB94_7 Depth=1
	s_or_b64 exec, exec, s[14:15]
	s_waitcnt vmcnt(0)
	v_xor_b32_e32 v21, 0x80000000, v13
	v_and_b32_e32 v23, 0x7fffffff, v21
	v_mov_b32_e32 v20, v12
	v_cmp_gt_u32_e32 vcc, s69, v23
	s_and_saveexec_b64 s[0:1], vcc
	s_xor_b64 s[94:95], exec, s[0:1]
	s_cbranch_execz .LBB94_105
; %bb.84:                               ;   in Loop: Header=BB94_7 Depth=1
	v_cmp_class_f64_e64 s[0:1], v[10:11], s90
                                        ; implicit-def: $vgpr18_vgpr19
	s_and_saveexec_b64 s[14:15], s[0:1]
	s_xor_b64 s[14:15], exec, s[14:15]
	s_cbranch_execz .LBB94_102
; %bb.85:                               ;   in Loop: Header=BB94_7 Depth=1
	v_cmp_gt_u32_e32 vcc, s91, v23
                                        ; implicit-def: $vgpr18_vgpr19
	s_and_saveexec_b64 s[0:1], vcc
	s_xor_b64 s[40:41], exec, s[0:1]
	s_cbranch_execz .LBB94_91
; %bb.86:                               ;   in Loop: Header=BB94_7 Depth=1
	v_cmp_nlt_f64_e64 s[0:1], |v[10:11]|, s[18:19]
                                        ; implicit-def: $vgpr72
                                        ; implicit-def: $vgpr18_vgpr19
                                        ; implicit-def: $vgpr20_vgpr21
	s_and_saveexec_b64 s[54:55], s[0:1]
	s_xor_b64 s[54:55], exec, s[54:55]
	s_cbranch_execz .LBB94_88
; %bb.87:                               ;   in Loop: Header=BB94_7 Depth=1
	v_and_b32_e32 v23, 0x7fffffff, v11
	v_ldexp_f64 v[72:73], |v[10:11]|, s2
	v_cmp_ge_f64_e64 vcc, |v[10:11]|, s[20:21]
	v_trig_preop_f64 v[18:19], |v[10:11]|, 0
	v_cndmask_b32_e32 v73, v23, v73, vcc
	v_cndmask_b32_e32 v72, v10, v72, vcc
	v_trig_preop_f64 v[20:21], |v[10:11]|, 1
	v_mul_f64 v[76:77], v[18:19], v[72:73]
	v_mul_f64 v[74:75], v[20:21], v[72:73]
	v_fma_f64 v[18:19], v[18:19], v[72:73], -v[76:77]
	v_add_f64 v[78:79], v[74:75], v[18:19]
	v_add_f64 v[80:81], v[76:77], v[78:79]
	v_ldexp_f64 v[82:83], v[80:81], -2
	v_fract_f64_e32 v[88:89], v[82:83]
	v_cmp_neq_f64_e64 vcc, |v[82:83]|, s[22:23]
	v_cndmask_b32_e32 v83, 0, v89, vcc
	v_cndmask_b32_e32 v82, 0, v88, vcc
	v_add_f64 v[88:89], v[78:79], -v[74:75]
	v_add_f64 v[18:19], v[18:19], -v[88:89]
	;; [unrolled: 1-line block ×4, first 2 shown]
	v_fma_f64 v[20:21], v[20:21], v[72:73], -v[74:75]
	v_trig_preop_f64 v[74:75], |v[10:11]|, 2
	v_add_f64 v[18:19], v[18:19], v[88:89]
	v_mul_f64 v[88:89], v[74:75], v[72:73]
	v_add_f64 v[90:91], v[88:89], v[20:21]
	v_add_f64 v[92:93], v[90:91], v[18:19]
	v_add_f64 v[76:77], v[80:81], -v[76:77]
	v_add_f64 v[80:81], v[92:93], -v[90:91]
	;; [unrolled: 1-line block ×5, first 2 shown]
	v_add_f64 v[18:19], v[18:19], v[80:81]
	v_add_f64 v[80:81], v[90:91], -v[88:89]
	v_add_f64 v[20:21], v[20:21], -v[80:81]
	;; [unrolled: 1-line block ×4, first 2 shown]
	v_add_f64 v[20:21], v[20:21], v[80:81]
	v_add_f64 v[76:77], v[78:79], -v[76:77]
	v_add_f64 v[18:19], v[20:21], v[18:19]
	v_fma_f64 v[20:21], v[74:75], v[72:73], -v[88:89]
	v_add_f64 v[78:79], v[76:77], v[92:93]
	v_add_f64 v[18:19], v[20:21], v[18:19]
	v_ldexp_f64 v[20:21], v[82:83], 2
	v_add_f64 v[72:73], v[78:79], v[20:21]
	v_cmp_gt_f64_e32 vcc, 0, v[72:73]
	v_cndmask_b32_e32 v23, 0, v27, vcc
	v_add_f64 v[20:21], v[20:21], v[22:23]
	v_add_f64 v[72:73], v[78:79], v[20:21]
	v_cvt_i32_f64_e32 v23, v[72:73]
	v_cvt_f64_i32_e32 v[72:73], v23
	v_add_f64 v[20:21], v[20:21], -v[72:73]
	v_add_f64 v[76:77], v[78:79], -v[76:77]
	v_add_f64 v[74:75], v[78:79], v[20:21]
	v_add_f64 v[76:77], v[92:93], -v[76:77]
	v_add_f64 v[20:21], v[74:75], -v[20:21]
	v_cmp_le_f64_e32 vcc, 0.5, v[74:75]
	v_add_f64 v[18:19], v[76:77], v[18:19]
	v_add_f64 v[20:21], v[78:79], -v[20:21]
	v_addc_co_u32_e64 v72, s[0:1], 0, v23, vcc
	v_cndmask_b32_e32 v23, 0, v84, vcc
	v_add_f64 v[18:19], v[18:19], v[20:21]
	v_add_f64 v[20:21], v[74:75], -v[22:23]
	v_add_f64 v[74:75], v[20:21], v[18:19]
	v_add_f64 v[20:21], v[74:75], -v[20:21]
	s_mov_b32 s24, s26
	v_add_f64 v[18:19], v[18:19], -v[20:21]
	v_mul_f64 v[20:21], v[74:75], s[24:25]
	v_fma_f64 v[76:77], v[74:75], s[24:25], -v[20:21]
	s_mov_b32 s31, s29
	v_fmac_f64_e32 v[76:77], s[30:31], v[74:75]
	v_fmac_f64_e32 v[76:77], s[24:25], v[18:19]
	v_add_f64 v[18:19], v[20:21], v[76:77]
	v_add_f64 v[20:21], v[18:19], -v[20:21]
	v_add_f64 v[20:21], v[76:77], -v[20:21]
.LBB94_88:                              ;   in Loop: Header=BB94_7 Depth=1
	s_andn2_saveexec_b64 s[0:1], s[54:55]
	s_cbranch_execz .LBB94_90
; %bb.89:                               ;   in Loop: Header=BB94_7 Depth=1
	v_mul_f64 v[18:19], |v[10:11]|, s[34:35]
	v_rndne_f64_e32 v[72:73], v[18:19]
	v_fma_f64 v[18:19], v[72:73], s[26:27], |v[10:11]|
	v_mul_f64 v[74:75], v[72:73], s[36:37]
	v_add_f64 v[78:79], v[18:19], v[74:75]
	v_fma_f64 v[20:21], s[36:37], v[72:73], v[18:19]
	s_mov_b32 s28, s36
	v_add_f64 v[18:19], v[18:19], -v[78:79]
	v_fma_f64 v[76:77], s[28:29], v[72:73], v[74:75]
	v_add_f64 v[18:19], v[18:19], v[74:75]
	v_add_f64 v[74:75], v[78:79], -v[20:21]
	v_add_f64 v[18:19], v[74:75], v[18:19]
	v_add_f64 v[74:75], v[18:19], -v[76:77]
	v_fmac_f64_e32 v[74:75], s[38:39], v[72:73]
	v_add_f64 v[18:19], v[20:21], v[74:75]
	v_add_f64 v[20:21], v[18:19], -v[20:21]
	v_add_f64 v[20:21], v[74:75], -v[20:21]
	v_cvt_i32_f64_e32 v72, v[72:73]
.LBB94_90:                              ;   in Loop: Header=BB94_7 Depth=1
	s_or_b64 exec, exec, s[0:1]
	v_mul_f64 v[74:75], v[18:19], v[18:19]
	v_fma_f64 v[76:77], v[18:19], v[18:19], -v[74:75]
	v_add_f64 v[78:79], v[20:21], v[20:21]
	v_fmac_f64_e32 v[76:77], v[18:19], v[78:79]
	s_mov_b32 s0, 0xc751c08c
	v_add_f64 v[74:75], v[74:75], v[76:77]
	v_pk_mov_b32 v[76:77], v[28:29], v[28:29] op_sel:[0,1]
	s_mov_b32 s1, 0x3ef5e089
	v_fmac_f64_e32 v[76:77], s[0:1], v[74:75]
	v_pk_mov_b32 v[78:79], v[30:31], v[30:31] op_sel:[0,1]
	v_fmac_f64_e32 v[78:79], v[74:75], v[76:77]
	v_pk_mov_b32 v[76:77], v[32:33], v[32:33] op_sel:[0,1]
	;; [unrolled: 2-line block ×12, first 2 shown]
	v_fmac_f64_e32 v[76:77], v[74:75], v[78:79]
	v_mul_f64 v[74:75], v[74:75], v[76:77]
	v_mul_f64 v[76:77], v[18:19], v[74:75]
	v_add_f64 v[78:79], v[18:19], v[76:77]
	v_fma_f64 v[74:75], v[18:19], v[74:75], -v[76:77]
	v_add_f64 v[18:19], v[78:79], -v[18:19]
	v_add_f64 v[18:19], v[76:77], -v[18:19]
	v_add_f64 v[20:21], v[20:21], v[74:75]
	v_add_f64 v[18:19], v[20:21], v[18:19]
	;; [unrolled: 1-line block ×3, first 2 shown]
	v_rcp_f64_e32 v[74:75], v[20:21]
	v_and_b32_e32 v10, 1, v72
	v_add_f64 v[72:73], v[20:21], -v[78:79]
	v_add_f64 v[18:19], v[18:19], -v[72:73]
	v_fma_f64 v[72:73], -v[20:21], v[74:75], 1.0
	v_fmac_f64_e32 v[74:75], v[72:73], v[74:75]
	v_fma_f64 v[72:73], -v[20:21], v[74:75], 1.0
	v_fmac_f64_e32 v[74:75], v[72:73], v[74:75]
	v_mul_f64 v[72:73], v[20:21], v[74:75]
	v_fma_f64 v[76:77], v[74:75], v[20:21], -v[72:73]
	v_fmac_f64_e32 v[76:77], v[74:75], v[18:19]
	v_add_f64 v[18:19], v[72:73], v[76:77]
	v_add_f64 v[78:79], -v[18:19], 1.0
	v_add_f64 v[72:73], v[18:19], -v[72:73]
	v_add_f64 v[80:81], -v[78:79], 1.0
	v_add_f64 v[18:19], v[80:81], -v[18:19]
	v_add_f64 v[72:73], v[72:73], -v[76:77]
	v_add_f64 v[18:19], v[72:73], v[18:19]
	v_add_f64 v[18:19], v[78:79], v[18:19]
	v_mul_f64 v[18:19], v[74:75], v[18:19]
	v_add_f64 v[18:19], v[74:75], v[18:19]
	v_xor_b32_e32 v19, 0x80000000, v19
	v_cmp_eq_u32_e32 vcc, 0, v10
	v_cndmask_b32_e32 v10, v18, v20, vcc
	v_cndmask_b32_e32 v23, v19, v21, vcc
	v_add_f64 v[18:19], |v[12:13]|, s[42:43]
	v_add_f64 v[20:21], v[18:19], -|v[12:13]|
	v_add_f64 v[72:73], v[20:21], -v[18:19]
	s_mov_b32 s44, s42
	v_add_f64 v[72:73], |v[12:13]|, v[72:73]
	v_add_f64 v[20:21], v[20:21], s[44:45]
	v_add_f64 v[20:21], v[72:73], -v[20:21]
	v_add_f64 v[20:21], v[20:21], s[46:47]
	v_add_f64 v[72:73], v[18:19], v[20:21]
	v_add_f64 v[18:19], v[18:19], -v[72:73]
	s_mov_b32 s48, s50
	v_add_f64 v[18:19], v[20:21], v[18:19]
	v_mul_f64 v[20:21], v[72:73], s[48:49]
	v_rndne_f64_e32 v[20:21], v[20:21]
	s_mov_b32 s53, s43
	v_fmac_f64_e32 v[72:73], s[52:53], v[20:21]
	v_add_f64 v[74:75], v[18:19], v[72:73]
	s_mov_b32 s0, 0xf278e000
	v_add_f64 v[72:73], v[72:73], -v[74:75]
	s_mov_b32 s1, 0xbd53de6a
	v_add_f64 v[18:19], v[18:19], v[72:73]
	v_mul_f64 v[72:73], v[20:21], s[0:1]
	v_add_f64 v[76:77], v[74:75], v[72:73]
	v_add_f64 v[74:75], v[74:75], -v[76:77]
	v_add_f64 v[72:73], v[74:75], v[72:73]
	v_add_f64 v[18:19], v[18:19], v[72:73]
	;; [unrolled: 1-line block ×3, first 2 shown]
	s_mov_b32 s0, 0xf97b57a0
	v_add_f64 v[74:75], v[76:77], -v[72:73]
	s_mov_b32 s1, 0xbac9cc01
	v_add_f64 v[18:19], v[18:19], v[74:75]
	v_mul_f64 v[74:75], v[20:21], s[0:1]
	v_add_f64 v[76:77], v[72:73], v[74:75]
	v_add_f64 v[72:73], v[72:73], -v[76:77]
	v_add_f64 v[72:73], v[72:73], v[74:75]
	v_add_f64 v[18:19], v[18:19], v[72:73]
	;; [unrolled: 1-line block ×3, first 2 shown]
	v_add_f64 v[74:75], v[76:77], -v[72:73]
	v_add_f64 v[18:19], v[18:19], v[74:75]
	v_pk_mov_b32 v[74:75], v[54:55], v[54:55] op_sel:[0,1]
	v_fmac_f64_e32 v[74:75], s[58:59], v[72:73]
	v_pk_mov_b32 v[76:77], v[56:57], v[56:57] op_sel:[0,1]
	v_fmac_f64_e32 v[76:77], v[72:73], v[74:75]
	;; [unrolled: 2-line block ×9, first 2 shown]
	v_mul_f64 v[76:77], v[72:73], v[72:73]
	v_fma_f64 v[78:79], v[72:73], v[72:73], -v[76:77]
	v_add_f64 v[80:81], v[18:19], v[18:19]
	v_fmac_f64_e32 v[78:79], v[72:73], v[80:81]
	v_add_f64 v[80:81], v[76:77], v[78:79]
	v_add_f64 v[76:77], v[80:81], -v[76:77]
	v_add_f64 v[76:77], v[78:79], -v[76:77]
	v_mul_f64 v[78:79], v[80:81], v[74:75]
	v_fma_f64 v[80:81], v[80:81], v[74:75], -v[78:79]
	v_fmac_f64_e32 v[80:81], v[76:77], v[74:75]
	v_add_f64 v[74:75], v[78:79], v[80:81]
	v_add_f64 v[76:77], v[74:75], -v[78:79]
	v_add_f64 v[78:79], v[72:73], v[74:75]
	v_add_f64 v[76:77], v[80:81], -v[76:77]
	v_add_f64 v[72:73], v[78:79], -v[72:73]
	;; [unrolled: 1-line block ×3, first 2 shown]
	v_add_f64 v[18:19], v[18:19], v[76:77]
	v_add_f64 v[18:19], v[18:19], v[72:73]
	;; [unrolled: 1-line block ×3, first 2 shown]
	v_add_f64 v[74:75], v[72:73], -v[78:79]
	v_add_f64 v[18:19], v[18:19], -v[74:75]
	v_add_f64 v[74:75], v[72:73], 1.0
	v_add_f64 v[76:77], v[74:75], -1.0
	v_add_f64 v[72:73], v[72:73], -v[76:77]
	v_add_f64 v[18:19], v[18:19], v[72:73]
	v_add_f64 v[72:73], v[74:75], v[18:19]
	v_cvt_i32_f64_e32 v78, v[20:21]
	v_ldexp_f64 v[20:21], v[72:73], v78
	v_rcp_f64_e32 v[76:77], v[20:21]
	v_add_f64 v[72:73], v[72:73], -v[74:75]
	v_add_f64 v[18:19], v[18:19], -v[72:73]
	v_ldexp_f64 v[18:19], v[18:19], v78
	v_fma_f64 v[72:73], -v[20:21], v[76:77], 1.0
	v_fmac_f64_e32 v[76:77], v[72:73], v[76:77]
	v_fma_f64 v[72:73], -v[20:21], v[76:77], 1.0
	v_fmac_f64_e32 v[76:77], v[72:73], v[76:77]
	v_mul_f64 v[72:73], v[20:21], v[76:77]
	v_fma_f64 v[74:75], v[76:77], v[20:21], -v[72:73]
	v_fmac_f64_e32 v[74:75], v[76:77], v[18:19]
	v_add_f64 v[78:79], v[72:73], v[74:75]
	v_add_f64 v[80:81], -v[78:79], 1.0
	v_add_f64 v[72:73], v[78:79], -v[72:73]
	v_add_f64 v[82:83], -v[80:81], 1.0
	v_add_f64 v[78:79], v[82:83], -v[78:79]
	v_add_f64 v[72:73], v[72:73], -v[74:75]
	v_add_f64 v[72:73], v[72:73], v[78:79]
	v_add_f64 v[74:75], v[80:81], v[72:73]
	v_add_f64 v[78:79], v[80:81], -v[74:75]
	v_add_f64 v[72:73], v[72:73], v[78:79]
	v_mul_f64 v[78:79], v[76:77], v[74:75]
	v_mul_f64 v[80:81], v[20:21], v[78:79]
	v_fma_f64 v[82:83], v[78:79], v[20:21], -v[80:81]
	v_fmac_f64_e32 v[82:83], v[78:79], v[18:19]
	v_add_f64 v[88:89], v[80:81], v[82:83]
	v_add_f64 v[90:91], v[74:75], -v[88:89]
	v_add_f64 v[74:75], v[74:75], -v[90:91]
	;; [unrolled: 1-line block ×4, first 2 shown]
	v_add_f64 v[72:73], v[72:73], v[74:75]
	v_add_f64 v[74:75], v[80:81], -v[82:83]
	v_add_f64 v[72:73], v[74:75], v[72:73]
	v_add_f64 v[72:73], v[90:91], v[72:73]
	;; [unrolled: 1-line block ×3, first 2 shown]
	v_mul_f64 v[72:73], v[76:77], v[72:73]
	v_add_f64 v[76:77], v[74:75], -v[76:77]
	v_add_f64 v[76:77], v[78:79], -v[76:77]
	v_add_f64 v[72:73], v[76:77], v[72:73]
	v_add_f64 v[76:77], v[74:75], v[72:73]
	v_add_f64 v[74:75], v[76:77], -v[74:75]
	v_add_f64 v[72:73], v[72:73], -v[74:75]
	v_ldexp_f64 v[74:75], v[76:77], -2
	v_add_f64 v[76:77], v[20:21], -v[74:75]
	v_add_f64 v[20:21], v[20:21], -v[76:77]
	;; [unrolled: 1-line block ×3, first 2 shown]
	s_mov_b32 s0, 0x8fb9f87e
	v_ldexp_f64 v[72:73], v[72:73], -2
	v_add_f64 v[18:19], v[18:19], v[20:21]
	s_mov_b32 s1, 0x408633ce
	v_add_f64 v[18:19], v[18:19], -v[72:73]
	v_cmp_nge_f64_e64 vcc, |v[12:13]|, s[0:1]
	s_mov_b32 s0, 0
	v_add_f64 v[18:19], v[76:77], v[18:19]
	s_mov_b32 s1, 0x3e400000
	v_and_b32_e32 v92, 0x7fffffff, v13
	v_cndmask_b32_e32 v19, v85, v19, vcc
	v_cndmask_b32_e32 v18, 0, v18, vcc
	v_cmp_lt_f64_e64 vcc, |v[12:13]|, s[0:1]
	v_cndmask_b32_e32 v12, v18, v12, vcc
	v_cndmask_b32_e32 v18, v19, v92, vcc
	v_xor_b32_e32 v13, 0x80000000, v13
	v_bfi_b32 v13, s68, v18, v13
	s_mov_b32 s0, 0
	v_fma_f64 v[18:19], v[12:13], v[12:13], 1.0
	s_brev_b32 s1, 8
	v_cmp_gt_f64_e32 vcc, s[0:1], v[18:19]
	v_cndmask_b32_e64 v20, 0, 1, vcc
	v_lshlrev_b32_e32 v20, 8, v20
	v_ldexp_f64 v[18:19], v[18:19], v20
	v_rsq_f64_e32 v[20:21], v[18:19]
	v_and_b32_e32 v11, 0x80000000, v11
	v_xor_b32_e32 v11, v23, v11
	v_fma_f64 v[72:73], v[10:11], v[10:11], 1.0
	v_mul_f64 v[74:75], v[18:19], v[20:21]
	v_mul_f64 v[20:21], v[20:21], 0.5
	v_fma_f64 v[76:77], -v[20:21], v[74:75], 0.5
	v_fmac_f64_e32 v[74:75], v[74:75], v[76:77]
	v_fma_f64 v[78:79], -v[74:75], v[74:75], v[18:19]
	v_fmac_f64_e32 v[20:21], v[20:21], v[76:77]
	v_fmac_f64_e32 v[74:75], v[78:79], v[20:21]
	v_fma_f64 v[76:77], -v[74:75], v[74:75], v[18:19]
	v_fmac_f64_e32 v[74:75], v[76:77], v[20:21]
	v_cndmask_b32_e32 v20, 0, v86, vcc
	v_ldexp_f64 v[20:21], v[74:75], v20
	v_cmp_class_f64_e32 vcc, v[18:19], v1
	v_cndmask_b32_e32 v19, v21, v19, vcc
	v_cndmask_b32_e32 v18, v20, v18, vcc
	v_mul_f64 v[20:21], v[12:13], v[72:73]
	v_mul_f64 v[18:19], v[18:19], v[72:73]
	v_fma_f64 v[74:75], v[12:13], v[20:21], 1.0
	v_mul_f64 v[12:13], v[12:13], v[18:19]
	v_div_scale_f64 v[18:19], s[0:1], v[74:75], v[74:75], v[12:13]
	v_rcp_f64_e32 v[20:21], v[18:19]
	v_fma_f64 v[72:73], -v[18:19], v[20:21], 1.0
	v_fmac_f64_e32 v[20:21], v[20:21], v[72:73]
	v_fma_f64 v[72:73], -v[18:19], v[20:21], 1.0
	v_fmac_f64_e32 v[20:21], v[20:21], v[72:73]
	v_div_scale_f64 v[72:73], vcc, v[12:13], v[74:75], v[12:13]
	v_mul_f64 v[76:77], v[72:73], v[20:21]
	v_fma_f64 v[18:19], -v[18:19], v[76:77], v[72:73]
	v_div_scale_f64 v[72:73], s[0:1], v[74:75], v[74:75], v[10:11]
	v_rcp_f64_e32 v[78:79], v[72:73]
	v_div_fmas_f64 v[18:19], v[18:19], v[20:21], v[76:77]
	v_div_fixup_f64 v[20:21], v[18:19], v[74:75], v[12:13]
	v_fma_f64 v[12:13], -v[72:73], v[78:79], 1.0
	v_fmac_f64_e32 v[78:79], v[78:79], v[12:13]
	v_fma_f64 v[12:13], -v[72:73], v[78:79], 1.0
	v_fmac_f64_e32 v[78:79], v[78:79], v[12:13]
	v_div_scale_f64 v[12:13], vcc, v[10:11], v[74:75], v[10:11]
	v_mul_f64 v[18:19], v[12:13], v[78:79]
	v_fma_f64 v[12:13], -v[72:73], v[18:19], v[12:13]
	s_nop 1
	v_div_fmas_f64 v[12:13], v[12:13], v[78:79], v[18:19]
	v_div_fixup_f64 v[18:19], v[12:13], v[74:75], v[10:11]
                                        ; implicit-def: $vgpr10_vgpr11
.LBB94_91:                              ;   in Loop: Header=BB94_7 Depth=1
	s_andn2_saveexec_b64 s[40:41], s[40:41]
	s_cbranch_execz .LBB94_101
; %bb.92:                               ;   in Loop: Header=BB94_7 Depth=1
	v_cmp_nlt_f64_e64 s[54:55], |v[10:11]|, s[18:19]
                                        ; implicit-def: $vgpr76
                                        ; implicit-def: $vgpr18_vgpr19
                                        ; implicit-def: $vgpr20_vgpr21
	s_and_saveexec_b64 s[0:1], s[54:55]
	s_xor_b64 s[56:57], exec, s[0:1]
	s_cbranch_execz .LBB94_94
; %bb.93:                               ;   in Loop: Header=BB94_7 Depth=1
	v_and_b32_e32 v23, 0x7fffffff, v11
	v_ldexp_f64 v[72:73], |v[10:11]|, s2
	v_cmp_ge_f64_e64 vcc, |v[10:11]|, s[20:21]
	v_trig_preop_f64 v[18:19], |v[10:11]|, 0
	v_cndmask_b32_e32 v73, v23, v73, vcc
	v_cndmask_b32_e32 v72, v10, v72, vcc
	v_trig_preop_f64 v[20:21], |v[10:11]|, 1
	v_mul_f64 v[76:77], v[18:19], v[72:73]
	v_mul_f64 v[74:75], v[20:21], v[72:73]
	v_fma_f64 v[18:19], v[18:19], v[72:73], -v[76:77]
	v_add_f64 v[78:79], v[74:75], v[18:19]
	v_add_f64 v[80:81], v[76:77], v[78:79]
	v_ldexp_f64 v[82:83], v[80:81], -2
	v_fract_f64_e32 v[88:89], v[82:83]
	v_cmp_neq_f64_e64 vcc, |v[82:83]|, s[22:23]
	v_cndmask_b32_e32 v83, 0, v89, vcc
	v_cndmask_b32_e32 v82, 0, v88, vcc
	v_add_f64 v[88:89], v[78:79], -v[74:75]
	v_add_f64 v[18:19], v[18:19], -v[88:89]
	;; [unrolled: 1-line block ×4, first 2 shown]
	v_fma_f64 v[20:21], v[20:21], v[72:73], -v[74:75]
	v_trig_preop_f64 v[74:75], |v[10:11]|, 2
	v_add_f64 v[18:19], v[18:19], v[88:89]
	v_mul_f64 v[88:89], v[74:75], v[72:73]
	v_add_f64 v[90:91], v[88:89], v[20:21]
	v_add_f64 v[92:93], v[90:91], v[18:19]
	v_add_f64 v[76:77], v[80:81], -v[76:77]
	v_add_f64 v[80:81], v[92:93], -v[90:91]
	;; [unrolled: 1-line block ×5, first 2 shown]
	v_add_f64 v[18:19], v[18:19], v[80:81]
	v_add_f64 v[80:81], v[90:91], -v[88:89]
	v_add_f64 v[20:21], v[20:21], -v[80:81]
	v_add_f64 v[80:81], v[90:91], -v[80:81]
	v_add_f64 v[80:81], v[88:89], -v[80:81]
	v_add_f64 v[20:21], v[20:21], v[80:81]
	v_add_f64 v[76:77], v[78:79], -v[76:77]
	v_add_f64 v[18:19], v[20:21], v[18:19]
	v_fma_f64 v[20:21], v[74:75], v[72:73], -v[88:89]
	v_add_f64 v[78:79], v[76:77], v[92:93]
	v_add_f64 v[18:19], v[20:21], v[18:19]
	v_ldexp_f64 v[20:21], v[82:83], 2
	v_add_f64 v[72:73], v[78:79], v[20:21]
	v_cmp_gt_f64_e32 vcc, 0, v[72:73]
	v_cndmask_b32_e32 v23, 0, v27, vcc
	v_add_f64 v[20:21], v[20:21], v[22:23]
	v_add_f64 v[72:73], v[78:79], v[20:21]
	v_cvt_i32_f64_e32 v23, v[72:73]
	v_cvt_f64_i32_e32 v[72:73], v23
	v_add_f64 v[20:21], v[20:21], -v[72:73]
	v_add_f64 v[76:77], v[78:79], -v[76:77]
	v_add_f64 v[72:73], v[78:79], v[20:21]
	v_add_f64 v[76:77], v[92:93], -v[76:77]
	v_add_f64 v[20:21], v[72:73], -v[20:21]
	v_cmp_le_f64_e32 vcc, 0.5, v[72:73]
	v_add_f64 v[18:19], v[76:77], v[18:19]
	v_add_f64 v[20:21], v[78:79], -v[20:21]
	v_addc_co_u32_e64 v76, s[0:1], 0, v23, vcc
	v_cndmask_b32_e32 v23, 0, v84, vcc
	v_add_f64 v[18:19], v[18:19], v[20:21]
	v_add_f64 v[20:21], v[72:73], -v[22:23]
	v_add_f64 v[72:73], v[20:21], v[18:19]
	v_add_f64 v[20:21], v[72:73], -v[20:21]
	s_mov_b32 s24, s26
	v_add_f64 v[18:19], v[18:19], -v[20:21]
	v_mul_f64 v[20:21], v[72:73], s[24:25]
	v_fma_f64 v[74:75], v[72:73], s[24:25], -v[20:21]
	s_mov_b32 s31, s29
	v_fmac_f64_e32 v[74:75], s[30:31], v[72:73]
	v_fmac_f64_e32 v[74:75], s[24:25], v[18:19]
	v_add_f64 v[18:19], v[20:21], v[74:75]
	v_add_f64 v[20:21], v[18:19], -v[20:21]
	v_add_f64 v[20:21], v[74:75], -v[20:21]
	s_andn2_saveexec_b64 s[0:1], s[56:57]
	s_cbranch_execz .LBB94_96
	s_branch .LBB94_95
.LBB94_94:                              ;   in Loop: Header=BB94_7 Depth=1
	s_andn2_saveexec_b64 s[0:1], s[56:57]
	s_cbranch_execz .LBB94_96
.LBB94_95:                              ;   in Loop: Header=BB94_7 Depth=1
	v_mul_f64 v[18:19], |v[10:11]|, s[34:35]
	v_rndne_f64_e32 v[72:73], v[18:19]
	v_fma_f64 v[18:19], v[72:73], s[26:27], |v[10:11]|
	v_mul_f64 v[74:75], v[72:73], s[36:37]
	v_add_f64 v[78:79], v[18:19], v[74:75]
	v_fma_f64 v[20:21], s[36:37], v[72:73], v[18:19]
	s_mov_b32 s28, s36
	v_add_f64 v[18:19], v[18:19], -v[78:79]
	v_fma_f64 v[76:77], s[28:29], v[72:73], v[74:75]
	v_add_f64 v[18:19], v[18:19], v[74:75]
	v_add_f64 v[74:75], v[78:79], -v[20:21]
	v_add_f64 v[18:19], v[74:75], v[18:19]
	v_add_f64 v[74:75], v[18:19], -v[76:77]
	v_fmac_f64_e32 v[74:75], s[38:39], v[72:73]
	v_add_f64 v[18:19], v[20:21], v[74:75]
	v_add_f64 v[20:21], v[18:19], -v[20:21]
	v_add_f64 v[20:21], v[74:75], -v[20:21]
	v_cvt_i32_f64_e32 v76, v[72:73]
.LBB94_96:                              ;   in Loop: Header=BB94_7 Depth=1
	s_or_b64 exec, exec, s[0:1]
                                        ; implicit-def: $vgpr77
                                        ; implicit-def: $vgpr72_vgpr73
                                        ; implicit-def: $vgpr74_vgpr75
	s_and_saveexec_b64 s[0:1], s[54:55]
	s_xor_b64 s[54:55], exec, s[0:1]
	s_cbranch_execz .LBB94_98
; %bb.97:                               ;   in Loop: Header=BB94_7 Depth=1
	v_and_b32_e32 v23, 0x7fffffff, v11
	v_ldexp_f64 v[78:79], |v[10:11]|, s2
	v_cmp_ge_f64_e64 vcc, |v[10:11]|, s[20:21]
	v_trig_preop_f64 v[72:73], |v[10:11]|, 0
	v_cndmask_b32_e32 v79, v23, v79, vcc
	v_cndmask_b32_e32 v78, v10, v78, vcc
	v_trig_preop_f64 v[74:75], |v[10:11]|, 1
	v_mul_f64 v[82:83], v[72:73], v[78:79]
	v_mul_f64 v[80:81], v[74:75], v[78:79]
	v_fma_f64 v[72:73], v[72:73], v[78:79], -v[82:83]
	v_add_f64 v[88:89], v[80:81], v[72:73]
	v_add_f64 v[90:91], v[82:83], v[88:89]
	v_ldexp_f64 v[92:93], v[90:91], -2
	v_fract_f64_e32 v[94:95], v[92:93]
	v_cmp_neq_f64_e64 vcc, |v[92:93]|, s[22:23]
	v_cndmask_b32_e32 v93, 0, v95, vcc
	v_cndmask_b32_e32 v92, 0, v94, vcc
	v_add_f64 v[94:95], v[88:89], -v[80:81]
	v_add_f64 v[72:73], v[72:73], -v[94:95]
	;; [unrolled: 1-line block ×4, first 2 shown]
	v_fma_f64 v[74:75], v[74:75], v[78:79], -v[80:81]
	v_trig_preop_f64 v[80:81], |v[10:11]|, 2
	v_add_f64 v[72:73], v[72:73], v[94:95]
	v_mul_f64 v[94:95], v[80:81], v[78:79]
	v_add_f64 v[96:97], v[94:95], v[74:75]
	v_add_f64 v[98:99], v[96:97], v[72:73]
	v_add_f64 v[82:83], v[90:91], -v[82:83]
	v_add_f64 v[90:91], v[98:99], -v[96:97]
	v_add_f64 v[72:73], v[72:73], -v[90:91]
	v_add_f64 v[90:91], v[98:99], -v[90:91]
	v_add_f64 v[90:91], v[96:97], -v[90:91]
	v_add_f64 v[72:73], v[72:73], v[90:91]
	v_add_f64 v[90:91], v[96:97], -v[94:95]
	v_add_f64 v[74:75], v[74:75], -v[90:91]
	;; [unrolled: 1-line block ×4, first 2 shown]
	v_add_f64 v[74:75], v[74:75], v[90:91]
	v_add_f64 v[82:83], v[88:89], -v[82:83]
	v_add_f64 v[72:73], v[74:75], v[72:73]
	v_fma_f64 v[74:75], v[80:81], v[78:79], -v[94:95]
	v_add_f64 v[88:89], v[82:83], v[98:99]
	v_add_f64 v[72:73], v[74:75], v[72:73]
	v_ldexp_f64 v[74:75], v[92:93], 2
	v_add_f64 v[78:79], v[88:89], v[74:75]
	v_cmp_gt_f64_e32 vcc, 0, v[78:79]
	v_cndmask_b32_e32 v23, 0, v27, vcc
	v_add_f64 v[74:75], v[74:75], v[22:23]
	v_add_f64 v[78:79], v[88:89], v[74:75]
	v_cvt_i32_f64_e32 v23, v[78:79]
	v_cvt_f64_i32_e32 v[78:79], v23
	v_add_f64 v[74:75], v[74:75], -v[78:79]
	v_add_f64 v[82:83], v[88:89], -v[82:83]
	v_add_f64 v[78:79], v[88:89], v[74:75]
	v_add_f64 v[82:83], v[98:99], -v[82:83]
	v_add_f64 v[74:75], v[78:79], -v[74:75]
	v_cmp_le_f64_e32 vcc, 0.5, v[78:79]
	v_add_f64 v[72:73], v[82:83], v[72:73]
	v_add_f64 v[74:75], v[88:89], -v[74:75]
	v_addc_co_u32_e64 v77, s[0:1], 0, v23, vcc
	v_cndmask_b32_e32 v23, 0, v84, vcc
	v_add_f64 v[72:73], v[72:73], v[74:75]
	v_add_f64 v[74:75], v[78:79], -v[22:23]
	v_add_f64 v[78:79], v[74:75], v[72:73]
	v_add_f64 v[74:75], v[78:79], -v[74:75]
	s_mov_b32 s24, s26
	v_add_f64 v[72:73], v[72:73], -v[74:75]
	v_mul_f64 v[74:75], v[78:79], s[24:25]
	v_fma_f64 v[80:81], v[78:79], s[24:25], -v[74:75]
	s_mov_b32 s31, s29
	v_fmac_f64_e32 v[80:81], s[30:31], v[78:79]
	v_fmac_f64_e32 v[80:81], s[24:25], v[72:73]
	v_add_f64 v[72:73], v[74:75], v[80:81]
	v_add_f64 v[74:75], v[72:73], -v[74:75]
	v_add_f64 v[74:75], v[80:81], -v[74:75]
	s_andn2_saveexec_b64 s[0:1], s[54:55]
	s_cbranch_execnz .LBB94_99
	s_branch .LBB94_100
.LBB94_98:                              ;   in Loop: Header=BB94_7 Depth=1
	s_andn2_saveexec_b64 s[0:1], s[54:55]
	s_cbranch_execz .LBB94_100
.LBB94_99:                              ;   in Loop: Header=BB94_7 Depth=1
	v_mul_f64 v[72:73], |v[10:11]|, s[34:35]
	v_rndne_f64_e32 v[78:79], v[72:73]
	v_fma_f64 v[72:73], v[78:79], s[26:27], |v[10:11]|
	v_mul_f64 v[80:81], v[78:79], s[36:37]
	v_add_f64 v[88:89], v[72:73], v[80:81]
	v_fma_f64 v[74:75], s[36:37], v[78:79], v[72:73]
	s_mov_b32 s28, s36
	v_add_f64 v[72:73], v[72:73], -v[88:89]
	v_fma_f64 v[82:83], s[28:29], v[78:79], v[80:81]
	v_add_f64 v[72:73], v[72:73], v[80:81]
	v_add_f64 v[80:81], v[88:89], -v[74:75]
	v_add_f64 v[72:73], v[80:81], v[72:73]
	v_add_f64 v[80:81], v[72:73], -v[82:83]
	v_fmac_f64_e32 v[80:81], s[38:39], v[78:79]
	v_add_f64 v[72:73], v[74:75], v[80:81]
	v_add_f64 v[74:75], v[72:73], -v[74:75]
	v_add_f64 v[74:75], v[80:81], -v[74:75]
	v_cvt_i32_f64_e32 v77, v[78:79]
.LBB94_100:                             ;   in Loop: Header=BB94_7 Depth=1
	s_or_b64 exec, exec, s[0:1]
	v_mul_f64 v[78:79], v[18:19], v[18:19]
	v_pk_mov_b32 v[90:91], s[70:71], s[70:71] op_sel:[0,1]
	v_mul_f64 v[80:81], v[78:79], 0.5
	v_fma_f64 v[92:93], s[72:73], v[78:79], v[90:91]
	v_add_f64 v[82:83], -v[80:81], 1.0
	v_fma_f64 v[92:93], v[78:79], v[92:93], s[74:75]
	v_add_f64 v[88:89], -v[82:83], 1.0
	v_fma_f64 v[92:93], v[78:79], v[92:93], s[76:77]
	v_add_f64 v[80:81], v[88:89], -v[80:81]
	v_fma_f64 v[92:93], v[78:79], v[92:93], s[78:79]
	v_mul_f64 v[88:89], v[78:79], v[78:79]
	v_fma_f64 v[92:93], v[78:79], v[92:93], s[62:63]
	v_fma_f64 v[80:81], v[18:19], -v[20:21], v[80:81]
	v_fmac_f64_e32 v[80:81], v[88:89], v[92:93]
	v_add_f64 v[80:81], v[82:83], v[80:81]
	v_pk_mov_b32 v[82:83], s[80:81], s[80:81] op_sel:[0,1]
	v_fma_f64 v[88:89], s[82:83], v[78:79], v[82:83]
	v_fma_f64 v[88:89], v[78:79], v[88:89], s[84:85]
	;; [unrolled: 1-line block ×4, first 2 shown]
	v_mul_f64 v[92:93], v[18:19], -v[78:79]
	v_mul_f64 v[94:95], v[20:21], 0.5
	v_fmac_f64_e32 v[94:95], v[92:93], v[88:89]
	v_fma_f64 v[20:21], v[78:79], v[94:95], -v[20:21]
	s_mov_b32 s88, s62
	v_fmac_f64_e32 v[20:21], s[88:89], v[92:93]
	v_and_b32_e32 v10, 1, v76
	v_add_f64 v[18:19], v[18:19], -v[20:21]
	v_cmp_eq_u32_e32 vcc, 0, v10
	v_cndmask_b32_e32 v10, v80, v18, vcc
	v_cndmask_b32_e32 v18, v81, v19, vcc
	v_lshlrev_b32_e32 v19, 30, v76
	v_xor_b32_e32 v11, v19, v11
	v_and_b32_e32 v11, 0x80000000, v11
	v_xor_b32_e32 v11, v18, v11
	v_mul_f64 v[18:19], |v[12:13]|, s[50:51]
	v_rndne_f64_e32 v[18:19], v[18:19]
	v_fma_f64 v[20:21], v[18:19], s[42:43], -|v[12:13]|
	v_fmac_f64_e32 v[20:21], s[46:47], v[18:19]
	v_pk_mov_b32 v[78:79], v[54:55], v[54:55] op_sel:[0,1]
	v_fmac_f64_e32 v[78:79], s[58:59], v[20:21]
	v_pk_mov_b32 v[80:81], v[56:57], v[56:57] op_sel:[0,1]
	;; [unrolled: 2-line block ×9, first 2 shown]
	s_mov_b32 s0, 0
	v_fmac_f64_e32 v[78:79], v[20:21], v[80:81]
	s_mov_b32 s1, 0x4090cc00
	v_fma_f64 v[78:79], v[20:21], v[78:79], 1.0
	v_cmp_ngt_f64_e64 vcc, |v[12:13]|, s[0:1]
	v_xor_b32_e32 v12, 0x80000000, v13
	v_fma_f64 v[20:21], v[20:21], v[78:79], 1.0
	v_cvt_i32_f64_e32 v18, v[18:19]
	v_bfi_b32 v23, s68, v84, v12
	v_mul_f64 v[12:13], v[72:73], v[72:73]
	v_ldexp_f64 v[18:19], v[20:21], v18
	v_mul_f64 v[20:21], v[12:13], 0.5
	v_fmac_f64_e32 v[90:91], s[72:73], v[12:13]
	v_add_f64 v[78:79], -v[20:21], 1.0
	v_fma_f64 v[88:89], v[12:13], v[90:91], s[74:75]
	v_add_f64 v[80:81], -v[78:79], 1.0
	v_fma_f64 v[88:89], v[12:13], v[88:89], s[76:77]
	v_add_f64 v[20:21], v[80:81], -v[20:21]
	v_fma_f64 v[88:89], v[12:13], v[88:89], s[78:79]
	v_mul_f64 v[80:81], v[12:13], v[12:13]
	v_fma_f64 v[88:89], v[12:13], v[88:89], s[62:63]
	v_fma_f64 v[20:21], v[72:73], -v[74:75], v[20:21]
	v_fmac_f64_e32 v[20:21], v[80:81], v[88:89]
	v_fmac_f64_e32 v[82:83], s[82:83], v[12:13]
	v_add_f64 v[20:21], v[78:79], v[20:21]
	v_fma_f64 v[78:79], v[12:13], v[82:83], s[84:85]
	v_fma_f64 v[78:79], v[12:13], v[78:79], s[86:87]
	;; [unrolled: 1-line block ×3, first 2 shown]
	v_mul_f64 v[80:81], v[72:73], -v[12:13]
	v_mul_f64 v[82:83], v[74:75], 0.5
	v_fmac_f64_e32 v[82:83], v[80:81], v[78:79]
	v_fma_f64 v[12:13], v[12:13], v[82:83], -v[74:75]
	v_fmac_f64_e32 v[12:13], s[88:89], v[80:81]
	v_add_f64 v[12:13], v[72:73], -v[12:13]
	v_and_b32_e32 v72, 1, v77
	v_cndmask_b32_e32 v19, 0, v19, vcc
	v_cndmask_b32_e32 v18, 0, v18, vcc
	v_cmp_eq_u32_e32 vcc, 0, v72
	v_xor_b32_e32 v13, 0x80000000, v13
	v_cndmask_b32_e32 v12, v12, v20, vcc
	v_lshlrev_b32_e32 v20, 30, v77
	v_cndmask_b32_e32 v13, v13, v21, vcc
	v_and_b32_e32 v20, 0x80000000, v20
	v_mul_f64 v[10:11], v[10:11], 4.0
	v_xor_b32_e32 v13, v13, v20
	v_mul_f64 v[10:11], v[10:11], v[12:13]
	v_mul_f64 v[10:11], v[18:19], v[10:11]
	;; [unrolled: 1-line block ×3, first 2 shown]
	v_pk_mov_b32 v[20:21], v[22:23], v[22:23] op_sel:[0,1]
.LBB94_101:                             ;   in Loop: Header=BB94_7 Depth=1
	s_or_b64 exec, exec, s[40:41]
                                        ; implicit-def: $vgpr10_vgpr11
.LBB94_102:                             ;   in Loop: Header=BB94_7 Depth=1
	s_andn2_saveexec_b64 s[0:1], s[14:15]
; %bb.103:                              ;   in Loop: Header=BB94_7 Depth=1
	v_add_f64 v[18:19], v[10:11], -v[10:11]
	v_pk_mov_b32 v[20:21], v[18:19], v[18:19] op_sel:[0,1]
; %bb.104:                              ;   in Loop: Header=BB94_7 Depth=1
	s_or_b64 exec, exec, s[0:1]
                                        ; implicit-def: $vgpr10_vgpr11
.LBB94_105:                             ;   in Loop: Header=BB94_7 Depth=1
	s_andn2_saveexec_b64 s[14:15], s[94:95]
	s_cbranch_execz .LBB94_121
; %bb.106:                              ;   in Loop: Header=BB94_7 Depth=1
	v_and_or_b32 v18, v21, s3, v20
	v_cmp_ne_u32_e32 vcc, 0, v18
	s_and_saveexec_b64 s[0:1], vcc
	s_xor_b64 s[0:1], exec, s[0:1]
; %bb.107:                              ;   in Loop: Header=BB94_7 Depth=1
	v_mul_f64 v[12:13], v[10:11], -v[12:13]
	v_cmp_eq_f64_e32 vcc, 0, v[10:11]
	v_cndmask_b32_e32 v19, v13, v11, vcc
	v_cndmask_b32_e32 v18, v12, v10, vcc
                                        ; implicit-def: $vgpr10_vgpr11
; %bb.108:                              ;   in Loop: Header=BB94_7 Depth=1
	s_andn2_saveexec_b64 s[40:41], s[0:1]
	s_cbranch_execz .LBB94_120
; %bb.109:                              ;   in Loop: Header=BB94_7 Depth=1
	v_cmp_neq_f64_e64 s[0:1], |v[10:11]|, s[22:23]
	s_and_saveexec_b64 s[94:95], s[0:1]
	s_cbranch_execz .LBB94_119
; %bb.110:                              ;   in Loop: Header=BB94_7 Depth=1
	v_cmp_nlt_f64_e64 s[54:55], |v[10:11]|, s[18:19]
	v_trig_preop_f64 v[76:77], |v[10:11]|, 0
	v_trig_preop_f64 v[74:75], |v[10:11]|, 1
	v_ldexp_f64 v[78:79], |v[10:11]|, s2
	v_trig_preop_f64 v[72:73], |v[10:11]|, 2
	v_and_b32_e32 v89, 0x7fffffff, v11
                                        ; implicit-def: $vgpr88
                                        ; implicit-def: $vgpr12_vgpr13
                                        ; implicit-def: $vgpr18_vgpr19
	s_and_saveexec_b64 s[0:1], s[54:55]
	s_xor_b64 s[56:57], exec, s[0:1]
	s_cbranch_execz .LBB94_112
; %bb.111:                              ;   in Loop: Header=BB94_7 Depth=1
	v_cmp_ge_f64_e64 vcc, |v[10:11]|, s[20:21]
	v_cndmask_b32_e32 v13, v89, v79, vcc
	v_cndmask_b32_e32 v12, v10, v78, vcc
	v_mul_f64 v[80:81], v[76:77], v[12:13]
	v_mul_f64 v[18:19], v[74:75], v[12:13]
	v_fma_f64 v[82:83], v[76:77], v[12:13], -v[80:81]
	v_add_f64 v[90:91], v[18:19], v[82:83]
	v_add_f64 v[92:93], v[80:81], v[90:91]
	v_ldexp_f64 v[94:95], v[92:93], -2
	v_fract_f64_e32 v[96:97], v[94:95]
	v_cmp_neq_f64_e64 vcc, |v[94:95]|, s[22:23]
	v_cndmask_b32_e32 v95, 0, v97, vcc
	v_cndmask_b32_e32 v94, 0, v96, vcc
	v_add_f64 v[96:97], v[90:91], -v[18:19]
	v_add_f64 v[82:83], v[82:83], -v[96:97]
	;; [unrolled: 1-line block ×4, first 2 shown]
	v_add_f64 v[82:83], v[82:83], v[96:97]
	v_fma_f64 v[18:19], v[74:75], v[12:13], -v[18:19]
	v_mul_f64 v[96:97], v[72:73], v[12:13]
	v_add_f64 v[98:99], v[96:97], v[18:19]
	v_add_f64 v[100:101], v[98:99], v[82:83]
	v_add_f64 v[80:81], v[92:93], -v[80:81]
	v_add_f64 v[92:93], v[100:101], -v[98:99]
	;; [unrolled: 1-line block ×5, first 2 shown]
	v_add_f64 v[82:83], v[82:83], v[92:93]
	v_add_f64 v[92:93], v[98:99], -v[96:97]
	v_add_f64 v[18:19], v[18:19], -v[92:93]
	;; [unrolled: 1-line block ×5, first 2 shown]
	v_add_f64 v[90:91], v[80:81], v[100:101]
	v_add_f64 v[18:19], v[18:19], v[92:93]
	v_add_f64 v[80:81], v[90:91], -v[80:81]
	v_add_f64 v[18:19], v[18:19], v[82:83]
	v_fma_f64 v[12:13], v[72:73], v[12:13], -v[96:97]
	v_add_f64 v[80:81], v[100:101], -v[80:81]
	v_add_f64 v[12:13], v[12:13], v[18:19]
	v_ldexp_f64 v[18:19], v[94:95], 2
	v_add_f64 v[12:13], v[80:81], v[12:13]
	v_add_f64 v[80:81], v[90:91], v[18:19]
	v_cmp_gt_f64_e32 vcc, 0, v[80:81]
	v_cndmask_b32_e32 v23, 0, v27, vcc
	v_add_f64 v[18:19], v[18:19], v[22:23]
	v_add_f64 v[80:81], v[90:91], v[18:19]
	v_cvt_i32_f64_e32 v23, v[80:81]
	v_cvt_f64_i32_e32 v[80:81], v23
	v_add_f64 v[18:19], v[18:19], -v[80:81]
	v_add_f64 v[80:81], v[90:91], v[18:19]
	v_add_f64 v[18:19], v[80:81], -v[18:19]
	v_cmp_le_f64_e32 vcc, 0.5, v[80:81]
	v_add_f64 v[18:19], v[90:91], -v[18:19]
	v_addc_co_u32_e64 v88, s[0:1], 0, v23, vcc
	v_cndmask_b32_e32 v23, 0, v84, vcc
	v_add_f64 v[12:13], v[12:13], v[18:19]
	v_add_f64 v[18:19], v[80:81], -v[22:23]
	v_add_f64 v[80:81], v[18:19], v[12:13]
	v_add_f64 v[18:19], v[80:81], -v[18:19]
	s_mov_b32 s24, s26
	v_add_f64 v[12:13], v[12:13], -v[18:19]
	v_mul_f64 v[18:19], v[80:81], s[24:25]
	v_fma_f64 v[82:83], v[80:81], s[24:25], -v[18:19]
	s_mov_b32 s31, s29
	v_fmac_f64_e32 v[82:83], s[30:31], v[80:81]
	v_fmac_f64_e32 v[82:83], s[24:25], v[12:13]
	v_add_f64 v[12:13], v[18:19], v[82:83]
	v_add_f64 v[18:19], v[12:13], -v[18:19]
	v_add_f64 v[18:19], v[82:83], -v[18:19]
	s_andn2_saveexec_b64 s[0:1], s[56:57]
	s_cbranch_execz .LBB94_114
	s_branch .LBB94_113
.LBB94_112:                             ;   in Loop: Header=BB94_7 Depth=1
	s_andn2_saveexec_b64 s[0:1], s[56:57]
	s_cbranch_execz .LBB94_114
.LBB94_113:                             ;   in Loop: Header=BB94_7 Depth=1
	v_mul_f64 v[12:13], |v[10:11]|, s[34:35]
	v_rndne_f64_e32 v[80:81], v[12:13]
	v_fma_f64 v[12:13], v[80:81], s[26:27], |v[10:11]|
	v_mul_f64 v[82:83], v[80:81], s[36:37]
	v_add_f64 v[92:93], v[12:13], v[82:83]
	v_fma_f64 v[18:19], s[36:37], v[80:81], v[12:13]
	s_mov_b32 s28, s36
	v_add_f64 v[12:13], v[12:13], -v[92:93]
	v_fma_f64 v[90:91], s[28:29], v[80:81], v[82:83]
	v_add_f64 v[12:13], v[12:13], v[82:83]
	v_add_f64 v[82:83], v[92:93], -v[18:19]
	v_add_f64 v[12:13], v[82:83], v[12:13]
	v_add_f64 v[82:83], v[12:13], -v[90:91]
	v_fmac_f64_e32 v[82:83], s[38:39], v[80:81]
	v_add_f64 v[12:13], v[18:19], v[82:83]
	v_add_f64 v[18:19], v[12:13], -v[18:19]
	v_add_f64 v[18:19], v[82:83], -v[18:19]
	v_cvt_i32_f64_e32 v88, v[80:81]
.LBB94_114:                             ;   in Loop: Header=BB94_7 Depth=1
	s_or_b64 exec, exec, s[0:1]
                                        ; implicit-def: $vgpr90
                                        ; implicit-def: $vgpr80_vgpr81
                                        ; implicit-def: $vgpr82_vgpr83
	s_and_saveexec_b64 s[0:1], s[54:55]
	s_xor_b64 s[54:55], exec, s[0:1]
	s_cbranch_execz .LBB94_116
; %bb.115:                              ;   in Loop: Header=BB94_7 Depth=1
	v_cmp_ge_f64_e64 vcc, |v[10:11]|, s[20:21]
	v_cndmask_b32_e32 v79, v89, v79, vcc
	v_cndmask_b32_e32 v78, v10, v78, vcc
	v_mul_f64 v[82:83], v[76:77], v[78:79]
	v_mul_f64 v[80:81], v[74:75], v[78:79]
	v_fma_f64 v[76:77], v[76:77], v[78:79], -v[82:83]
	v_add_f64 v[90:91], v[80:81], v[76:77]
	v_add_f64 v[92:93], v[82:83], v[90:91]
	v_ldexp_f64 v[94:95], v[92:93], -2
	v_fract_f64_e32 v[96:97], v[94:95]
	v_cmp_neq_f64_e64 vcc, |v[94:95]|, s[22:23]
	v_cndmask_b32_e32 v95, 0, v97, vcc
	v_cndmask_b32_e32 v94, 0, v96, vcc
	v_add_f64 v[96:97], v[90:91], -v[80:81]
	v_add_f64 v[76:77], v[76:77], -v[96:97]
	;; [unrolled: 1-line block ×4, first 2 shown]
	v_fma_f64 v[74:75], v[74:75], v[78:79], -v[80:81]
	v_mul_f64 v[80:81], v[72:73], v[78:79]
	v_add_f64 v[76:77], v[76:77], v[96:97]
	v_add_f64 v[96:97], v[80:81], v[74:75]
	;; [unrolled: 1-line block ×3, first 2 shown]
	v_add_f64 v[82:83], v[92:93], -v[82:83]
	v_add_f64 v[92:93], v[98:99], -v[96:97]
	;; [unrolled: 1-line block ×5, first 2 shown]
	v_add_f64 v[76:77], v[76:77], v[92:93]
	v_add_f64 v[92:93], v[96:97], -v[80:81]
	v_add_f64 v[74:75], v[74:75], -v[92:93]
	;; [unrolled: 1-line block ×4, first 2 shown]
	v_add_f64 v[74:75], v[74:75], v[92:93]
	v_add_f64 v[82:83], v[90:91], -v[82:83]
	v_add_f64 v[74:75], v[74:75], v[76:77]
	v_fma_f64 v[72:73], v[72:73], v[78:79], -v[80:81]
	v_add_f64 v[90:91], v[82:83], v[98:99]
	v_add_f64 v[72:73], v[72:73], v[74:75]
	v_ldexp_f64 v[74:75], v[94:95], 2
	v_add_f64 v[76:77], v[90:91], v[74:75]
	v_cmp_gt_f64_e32 vcc, 0, v[76:77]
	v_cndmask_b32_e32 v23, 0, v27, vcc
	v_add_f64 v[74:75], v[74:75], v[22:23]
	v_add_f64 v[76:77], v[90:91], v[74:75]
	v_cvt_i32_f64_e32 v23, v[76:77]
	v_cvt_f64_i32_e32 v[76:77], v23
	v_add_f64 v[74:75], v[74:75], -v[76:77]
	v_add_f64 v[82:83], v[90:91], -v[82:83]
	v_add_f64 v[76:77], v[90:91], v[74:75]
	v_add_f64 v[82:83], v[98:99], -v[82:83]
	v_add_f64 v[74:75], v[76:77], -v[74:75]
	v_cmp_le_f64_e32 vcc, 0.5, v[76:77]
	v_add_f64 v[72:73], v[82:83], v[72:73]
	v_add_f64 v[74:75], v[90:91], -v[74:75]
	v_addc_co_u32_e64 v90, s[0:1], 0, v23, vcc
	v_cndmask_b32_e32 v23, 0, v84, vcc
	v_add_f64 v[72:73], v[72:73], v[74:75]
	v_add_f64 v[74:75], v[76:77], -v[22:23]
	v_add_f64 v[76:77], v[74:75], v[72:73]
	v_add_f64 v[74:75], v[76:77], -v[74:75]
	s_mov_b32 s24, s26
	v_add_f64 v[72:73], v[72:73], -v[74:75]
	v_mul_f64 v[74:75], v[76:77], s[24:25]
	v_fma_f64 v[78:79], v[76:77], s[24:25], -v[74:75]
	s_mov_b32 s31, s29
	v_fmac_f64_e32 v[78:79], s[30:31], v[76:77]
	v_fmac_f64_e32 v[78:79], s[24:25], v[72:73]
	v_add_f64 v[80:81], v[74:75], v[78:79]
	v_add_f64 v[72:73], v[80:81], -v[74:75]
	v_add_f64 v[82:83], v[78:79], -v[72:73]
	s_andn2_saveexec_b64 s[0:1], s[54:55]
	s_cbranch_execnz .LBB94_117
	s_branch .LBB94_118
.LBB94_116:                             ;   in Loop: Header=BB94_7 Depth=1
	s_andn2_saveexec_b64 s[0:1], s[54:55]
	s_cbranch_execz .LBB94_118
.LBB94_117:                             ;   in Loop: Header=BB94_7 Depth=1
	v_mul_f64 v[72:73], |v[10:11]|, s[34:35]
	v_rndne_f64_e32 v[72:73], v[72:73]
	v_fma_f64 v[74:75], v[72:73], s[26:27], |v[10:11]|
	v_mul_f64 v[78:79], v[72:73], s[36:37]
	v_add_f64 v[82:83], v[74:75], v[78:79]
	v_fma_f64 v[76:77], s[36:37], v[72:73], v[74:75]
	s_mov_b32 s28, s36
	v_add_f64 v[74:75], v[74:75], -v[82:83]
	v_fma_f64 v[80:81], s[28:29], v[72:73], v[78:79]
	v_add_f64 v[74:75], v[74:75], v[78:79]
	v_add_f64 v[78:79], v[82:83], -v[76:77]
	v_add_f64 v[74:75], v[78:79], v[74:75]
	v_add_f64 v[74:75], v[74:75], -v[80:81]
	v_fmac_f64_e32 v[74:75], s[38:39], v[72:73]
	v_add_f64 v[80:81], v[76:77], v[74:75]
	v_add_f64 v[76:77], v[80:81], -v[76:77]
	v_add_f64 v[82:83], v[74:75], -v[76:77]
	v_cvt_i32_f64_e32 v90, v[72:73]
.LBB94_118:                             ;   in Loop: Header=BB94_7 Depth=1
	s_or_b64 exec, exec, s[0:1]
	v_mul_f64 v[72:73], v[12:13], v[12:13]
	v_pk_mov_b32 v[92:93], s[70:71], s[70:71] op_sel:[0,1]
	v_mul_f64 v[74:75], v[72:73], 0.5
	v_fma_f64 v[94:95], s[72:73], v[72:73], v[92:93]
	v_add_f64 v[76:77], -v[74:75], 1.0
	v_fma_f64 v[94:95], v[72:73], v[94:95], s[74:75]
	v_add_f64 v[78:79], -v[76:77], 1.0
	v_fma_f64 v[94:95], v[72:73], v[94:95], s[76:77]
	v_add_f64 v[74:75], v[78:79], -v[74:75]
	v_fma_f64 v[94:95], v[72:73], v[94:95], s[78:79]
	v_mul_f64 v[78:79], v[72:73], v[72:73]
	v_fma_f64 v[94:95], v[72:73], v[94:95], s[62:63]
	v_fma_f64 v[74:75], v[12:13], -v[18:19], v[74:75]
	v_fmac_f64_e32 v[74:75], v[78:79], v[94:95]
	v_add_f64 v[74:75], v[76:77], v[74:75]
	v_pk_mov_b32 v[76:77], s[80:81], s[80:81] op_sel:[0,1]
	v_fma_f64 v[78:79], s[82:83], v[72:73], v[76:77]
	v_fma_f64 v[78:79], v[72:73], v[78:79], s[84:85]
	;; [unrolled: 1-line block ×4, first 2 shown]
	v_mul_f64 v[94:95], v[12:13], -v[72:73]
	v_mul_f64 v[96:97], v[18:19], 0.5
	v_fmac_f64_e32 v[96:97], v[94:95], v[78:79]
	v_fma_f64 v[18:19], v[72:73], v[96:97], -v[18:19]
	s_mov_b32 s88, s62
	v_fmac_f64_e32 v[18:19], s[88:89], v[94:95]
	v_add_f64 v[12:13], v[12:13], -v[18:19]
	v_and_b32_e32 v18, 1, v88
	v_cmp_eq_u32_e32 vcc, 0, v18
	v_lshlrev_b32_e32 v18, 30, v88
	v_xor_b32_e32 v18, v18, v11
	v_cndmask_b32_e32 v13, v75, v13, vcc
	v_and_b32_e32 v18, 0x80000000, v18
	v_cndmask_b32_e32 v12, v74, v12, vcc
	v_xor_b32_e32 v13, v13, v18
	v_cmp_class_f64_e64 vcc, v[10:11], s90
	v_cndmask_b32_e32 v10, 0, v12, vcc
	v_cndmask_b32_e32 v11, v87, v13, vcc
	v_mul_f64 v[12:13], v[80:81], v[80:81]
	v_mul_f64 v[18:19], v[12:13], 0.5
	v_fmac_f64_e32 v[92:93], s[72:73], v[12:13]
	v_add_f64 v[72:73], -v[18:19], 1.0
	v_fma_f64 v[78:79], v[12:13], v[92:93], s[74:75]
	v_add_f64 v[74:75], -v[72:73], 1.0
	v_fma_f64 v[78:79], v[12:13], v[78:79], s[76:77]
	v_add_f64 v[18:19], v[74:75], -v[18:19]
	v_fma_f64 v[78:79], v[12:13], v[78:79], s[78:79]
	v_mul_f64 v[74:75], v[12:13], v[12:13]
	v_fma_f64 v[78:79], v[12:13], v[78:79], s[62:63]
	v_fma_f64 v[18:19], v[80:81], -v[82:83], v[18:19]
	v_fmac_f64_e32 v[18:19], v[74:75], v[78:79]
	v_fmac_f64_e32 v[76:77], s[82:83], v[12:13]
	v_add_f64 v[18:19], v[72:73], v[18:19]
	v_fma_f64 v[72:73], v[12:13], v[76:77], s[84:85]
	v_fma_f64 v[72:73], v[12:13], v[72:73], s[86:87]
	;; [unrolled: 1-line block ×3, first 2 shown]
	v_mul_f64 v[74:75], v[80:81], -v[12:13]
	v_mul_f64 v[76:77], v[82:83], 0.5
	v_fmac_f64_e32 v[76:77], v[74:75], v[72:73]
	v_fma_f64 v[12:13], v[12:13], v[76:77], -v[82:83]
	v_fmac_f64_e32 v[12:13], s[88:89], v[74:75]
	v_and_b32_e32 v23, 1, v90
	v_add_f64 v[12:13], v[80:81], -v[12:13]
	v_cmp_eq_u32_e64 s[0:1], 0, v23
	v_xor_b32_e32 v13, 0x80000000, v13
	v_cndmask_b32_e64 v12, v12, v18, s[0:1]
	v_lshlrev_b32_e32 v18, 30, v90
	v_cndmask_b32_e64 v13, v13, v19, s[0:1]
	v_and_b32_e32 v18, 0x80000000, v18
	v_xor_b32_e32 v13, v13, v18
	v_cndmask_b32_e32 v12, 0, v12, vcc
	v_cndmask_b32_e32 v13, v87, v13, vcc
	v_mul_f64 v[10:11], v[10:11], v[12:13]
.LBB94_119:                             ;   in Loop: Header=BB94_7 Depth=1
	s_or_b64 exec, exec, s[94:95]
	v_add_co_u32_e32 v20, vcc, 0, v20
	v_bfi_b32 v23, s68, 0, v11
	v_addc_co_u32_e32 v21, vcc, -2.0, v21, vcc
	v_pk_mov_b32 v[18:19], v[22:23], v[22:23] op_sel:[0,1]
.LBB94_120:                             ;   in Loop: Header=BB94_7 Depth=1
	s_or_b64 exec, exec, s[40:41]
.LBB94_121:                             ;   in Loop: Header=BB94_7 Depth=1
	s_or_b64 exec, exec, s[14:15]
	v_xor_b32_e32 v13, 0x80000000, v5
	v_and_b32_e32 v23, 0x7fffffff, v13
	v_mov_b32_e32 v12, v4
	v_cmp_gt_u32_e32 vcc, s69, v23
	s_and_saveexec_b64 s[0:1], vcc
	s_xor_b64 s[94:95], exec, s[0:1]
	s_cbranch_execz .LBB94_143
; %bb.122:                              ;   in Loop: Header=BB94_7 Depth=1
	v_cmp_class_f64_e64 s[0:1], v[2:3], s90
                                        ; implicit-def: $vgpr10_vgpr11
	s_and_saveexec_b64 s[14:15], s[0:1]
	s_xor_b64 s[14:15], exec, s[14:15]
	s_cbranch_execz .LBB94_140
; %bb.123:                              ;   in Loop: Header=BB94_7 Depth=1
	v_cmp_gt_u32_e32 vcc, s91, v23
                                        ; implicit-def: $vgpr10_vgpr11
	s_and_saveexec_b64 s[0:1], vcc
	s_xor_b64 s[40:41], exec, s[0:1]
	s_cbranch_execz .LBB94_129
; %bb.124:                              ;   in Loop: Header=BB94_7 Depth=1
	v_cmp_nlt_f64_e64 s[0:1], |v[2:3]|, s[18:19]
                                        ; implicit-def: $vgpr72
                                        ; implicit-def: $vgpr10_vgpr11
                                        ; implicit-def: $vgpr12_vgpr13
	s_and_saveexec_b64 s[54:55], s[0:1]
	s_xor_b64 s[54:55], exec, s[54:55]
	s_cbranch_execz .LBB94_126
; %bb.125:                              ;   in Loop: Header=BB94_7 Depth=1
	v_and_b32_e32 v23, 0x7fffffff, v3
	v_ldexp_f64 v[72:73], |v[2:3]|, s2
	v_cmp_ge_f64_e64 vcc, |v[2:3]|, s[20:21]
	v_trig_preop_f64 v[10:11], |v[2:3]|, 0
	v_cndmask_b32_e32 v73, v23, v73, vcc
	v_cndmask_b32_e32 v72, v2, v72, vcc
	v_trig_preop_f64 v[12:13], |v[2:3]|, 1
	v_mul_f64 v[76:77], v[10:11], v[72:73]
	v_mul_f64 v[74:75], v[12:13], v[72:73]
	v_fma_f64 v[10:11], v[10:11], v[72:73], -v[76:77]
	v_add_f64 v[78:79], v[74:75], v[10:11]
	v_add_f64 v[80:81], v[76:77], v[78:79]
	v_ldexp_f64 v[82:83], v[80:81], -2
	v_fract_f64_e32 v[88:89], v[82:83]
	v_cmp_neq_f64_e64 vcc, |v[82:83]|, s[22:23]
	v_cndmask_b32_e32 v83, 0, v89, vcc
	v_cndmask_b32_e32 v82, 0, v88, vcc
	v_add_f64 v[88:89], v[78:79], -v[74:75]
	v_add_f64 v[10:11], v[10:11], -v[88:89]
	;; [unrolled: 1-line block ×4, first 2 shown]
	v_fma_f64 v[12:13], v[12:13], v[72:73], -v[74:75]
	v_trig_preop_f64 v[74:75], |v[2:3]|, 2
	v_add_f64 v[10:11], v[10:11], v[88:89]
	v_mul_f64 v[88:89], v[74:75], v[72:73]
	v_add_f64 v[90:91], v[88:89], v[12:13]
	v_add_f64 v[92:93], v[90:91], v[10:11]
	v_add_f64 v[76:77], v[80:81], -v[76:77]
	v_add_f64 v[80:81], v[92:93], -v[90:91]
	;; [unrolled: 1-line block ×5, first 2 shown]
	v_add_f64 v[10:11], v[10:11], v[80:81]
	v_add_f64 v[80:81], v[90:91], -v[88:89]
	v_add_f64 v[12:13], v[12:13], -v[80:81]
	v_add_f64 v[80:81], v[90:91], -v[80:81]
	v_add_f64 v[80:81], v[88:89], -v[80:81]
	v_add_f64 v[12:13], v[12:13], v[80:81]
	v_add_f64 v[76:77], v[78:79], -v[76:77]
	v_add_f64 v[10:11], v[12:13], v[10:11]
	v_fma_f64 v[12:13], v[74:75], v[72:73], -v[88:89]
	v_add_f64 v[78:79], v[76:77], v[92:93]
	v_add_f64 v[10:11], v[12:13], v[10:11]
	v_ldexp_f64 v[12:13], v[82:83], 2
	v_add_f64 v[72:73], v[78:79], v[12:13]
	v_cmp_gt_f64_e32 vcc, 0, v[72:73]
	v_cndmask_b32_e32 v23, 0, v27, vcc
	v_add_f64 v[12:13], v[12:13], v[22:23]
	v_add_f64 v[72:73], v[78:79], v[12:13]
	v_cvt_i32_f64_e32 v23, v[72:73]
	v_cvt_f64_i32_e32 v[72:73], v23
	v_add_f64 v[12:13], v[12:13], -v[72:73]
	v_add_f64 v[76:77], v[78:79], -v[76:77]
	v_add_f64 v[74:75], v[78:79], v[12:13]
	v_add_f64 v[76:77], v[92:93], -v[76:77]
	v_add_f64 v[12:13], v[74:75], -v[12:13]
	v_cmp_le_f64_e32 vcc, 0.5, v[74:75]
	v_add_f64 v[10:11], v[76:77], v[10:11]
	v_add_f64 v[12:13], v[78:79], -v[12:13]
	v_addc_co_u32_e64 v72, s[0:1], 0, v23, vcc
	v_cndmask_b32_e32 v23, 0, v84, vcc
	v_add_f64 v[10:11], v[10:11], v[12:13]
	v_add_f64 v[12:13], v[74:75], -v[22:23]
	v_add_f64 v[74:75], v[12:13], v[10:11]
	v_add_f64 v[12:13], v[74:75], -v[12:13]
	s_mov_b32 s24, s26
	v_add_f64 v[10:11], v[10:11], -v[12:13]
	v_mul_f64 v[12:13], v[74:75], s[24:25]
	v_fma_f64 v[76:77], v[74:75], s[24:25], -v[12:13]
	s_mov_b32 s31, s29
	v_fmac_f64_e32 v[76:77], s[30:31], v[74:75]
	v_fmac_f64_e32 v[76:77], s[24:25], v[10:11]
	v_add_f64 v[10:11], v[12:13], v[76:77]
	v_add_f64 v[12:13], v[10:11], -v[12:13]
	v_add_f64 v[12:13], v[76:77], -v[12:13]
.LBB94_126:                             ;   in Loop: Header=BB94_7 Depth=1
	s_andn2_saveexec_b64 s[0:1], s[54:55]
	s_cbranch_execz .LBB94_128
; %bb.127:                              ;   in Loop: Header=BB94_7 Depth=1
	v_mul_f64 v[10:11], |v[2:3]|, s[34:35]
	v_rndne_f64_e32 v[72:73], v[10:11]
	v_fma_f64 v[10:11], v[72:73], s[26:27], |v[2:3]|
	v_mul_f64 v[74:75], v[72:73], s[36:37]
	v_add_f64 v[78:79], v[10:11], v[74:75]
	v_fma_f64 v[12:13], s[36:37], v[72:73], v[10:11]
	s_mov_b32 s28, s36
	v_add_f64 v[10:11], v[10:11], -v[78:79]
	v_fma_f64 v[76:77], s[28:29], v[72:73], v[74:75]
	v_add_f64 v[10:11], v[10:11], v[74:75]
	v_add_f64 v[74:75], v[78:79], -v[12:13]
	v_add_f64 v[10:11], v[74:75], v[10:11]
	v_add_f64 v[74:75], v[10:11], -v[76:77]
	v_fmac_f64_e32 v[74:75], s[38:39], v[72:73]
	v_add_f64 v[10:11], v[12:13], v[74:75]
	v_add_f64 v[12:13], v[10:11], -v[12:13]
	v_add_f64 v[12:13], v[74:75], -v[12:13]
	v_cvt_i32_f64_e32 v72, v[72:73]
.LBB94_128:                             ;   in Loop: Header=BB94_7 Depth=1
	s_or_b64 exec, exec, s[0:1]
	v_mul_f64 v[74:75], v[10:11], v[10:11]
	v_fma_f64 v[76:77], v[10:11], v[10:11], -v[74:75]
	v_add_f64 v[78:79], v[12:13], v[12:13]
	v_fmac_f64_e32 v[76:77], v[10:11], v[78:79]
	s_mov_b32 s0, 0xc751c08c
	v_add_f64 v[74:75], v[74:75], v[76:77]
	v_pk_mov_b32 v[76:77], v[28:29], v[28:29] op_sel:[0,1]
	s_mov_b32 s1, 0x3ef5e089
	v_fmac_f64_e32 v[76:77], s[0:1], v[74:75]
	v_pk_mov_b32 v[78:79], v[30:31], v[30:31] op_sel:[0,1]
	v_fmac_f64_e32 v[78:79], v[74:75], v[76:77]
	v_pk_mov_b32 v[76:77], v[32:33], v[32:33] op_sel:[0,1]
	;; [unrolled: 2-line block ×12, first 2 shown]
	v_fmac_f64_e32 v[76:77], v[74:75], v[78:79]
	v_mul_f64 v[74:75], v[74:75], v[76:77]
	v_mul_f64 v[76:77], v[10:11], v[74:75]
	v_add_f64 v[78:79], v[10:11], v[76:77]
	v_fma_f64 v[74:75], v[10:11], v[74:75], -v[76:77]
	v_add_f64 v[10:11], v[78:79], -v[10:11]
	v_add_f64 v[10:11], v[76:77], -v[10:11]
	v_add_f64 v[12:13], v[12:13], v[74:75]
	v_add_f64 v[10:11], v[12:13], v[10:11]
	;; [unrolled: 1-line block ×3, first 2 shown]
	v_rcp_f64_e32 v[74:75], v[12:13]
	v_and_b32_e32 v2, 1, v72
	v_add_f64 v[72:73], v[12:13], -v[78:79]
	v_add_f64 v[10:11], v[10:11], -v[72:73]
	v_fma_f64 v[72:73], -v[12:13], v[74:75], 1.0
	v_fmac_f64_e32 v[74:75], v[72:73], v[74:75]
	v_fma_f64 v[72:73], -v[12:13], v[74:75], 1.0
	v_fmac_f64_e32 v[74:75], v[72:73], v[74:75]
	v_mul_f64 v[72:73], v[12:13], v[74:75]
	v_fma_f64 v[76:77], v[74:75], v[12:13], -v[72:73]
	v_fmac_f64_e32 v[76:77], v[74:75], v[10:11]
	v_add_f64 v[10:11], v[72:73], v[76:77]
	v_add_f64 v[78:79], -v[10:11], 1.0
	v_add_f64 v[72:73], v[10:11], -v[72:73]
	v_add_f64 v[80:81], -v[78:79], 1.0
	v_add_f64 v[10:11], v[80:81], -v[10:11]
	v_add_f64 v[72:73], v[72:73], -v[76:77]
	v_add_f64 v[10:11], v[72:73], v[10:11]
	v_add_f64 v[10:11], v[78:79], v[10:11]
	v_mul_f64 v[10:11], v[74:75], v[10:11]
	v_add_f64 v[10:11], v[74:75], v[10:11]
	v_xor_b32_e32 v11, 0x80000000, v11
	v_cmp_eq_u32_e32 vcc, 0, v2
	v_cndmask_b32_e32 v2, v10, v12, vcc
	v_cndmask_b32_e32 v23, v11, v13, vcc
	v_add_f64 v[10:11], |v[4:5]|, s[42:43]
	v_add_f64 v[12:13], v[10:11], -|v[4:5]|
	v_add_f64 v[72:73], v[12:13], -v[10:11]
	s_mov_b32 s44, s42
	v_add_f64 v[72:73], |v[4:5]|, v[72:73]
	v_add_f64 v[12:13], v[12:13], s[44:45]
	v_add_f64 v[12:13], v[72:73], -v[12:13]
	v_add_f64 v[12:13], v[12:13], s[46:47]
	v_add_f64 v[72:73], v[10:11], v[12:13]
	v_add_f64 v[10:11], v[10:11], -v[72:73]
	s_mov_b32 s48, s50
	v_add_f64 v[10:11], v[12:13], v[10:11]
	v_mul_f64 v[12:13], v[72:73], s[48:49]
	v_rndne_f64_e32 v[12:13], v[12:13]
	s_mov_b32 s53, s43
	v_fmac_f64_e32 v[72:73], s[52:53], v[12:13]
	v_add_f64 v[74:75], v[10:11], v[72:73]
	s_mov_b32 s0, 0xf278e000
	v_add_f64 v[72:73], v[72:73], -v[74:75]
	s_mov_b32 s1, 0xbd53de6a
	v_add_f64 v[10:11], v[10:11], v[72:73]
	v_mul_f64 v[72:73], v[12:13], s[0:1]
	v_add_f64 v[76:77], v[74:75], v[72:73]
	v_add_f64 v[74:75], v[74:75], -v[76:77]
	v_add_f64 v[72:73], v[74:75], v[72:73]
	v_add_f64 v[10:11], v[10:11], v[72:73]
	;; [unrolled: 1-line block ×3, first 2 shown]
	s_mov_b32 s0, 0xf97b57a0
	v_add_f64 v[74:75], v[76:77], -v[72:73]
	s_mov_b32 s1, 0xbac9cc01
	v_add_f64 v[10:11], v[10:11], v[74:75]
	v_mul_f64 v[74:75], v[12:13], s[0:1]
	v_add_f64 v[76:77], v[72:73], v[74:75]
	v_add_f64 v[72:73], v[72:73], -v[76:77]
	v_add_f64 v[72:73], v[72:73], v[74:75]
	v_add_f64 v[10:11], v[10:11], v[72:73]
	;; [unrolled: 1-line block ×3, first 2 shown]
	v_add_f64 v[74:75], v[76:77], -v[72:73]
	v_add_f64 v[10:11], v[10:11], v[74:75]
	v_pk_mov_b32 v[74:75], v[54:55], v[54:55] op_sel:[0,1]
	v_fmac_f64_e32 v[74:75], s[58:59], v[72:73]
	v_pk_mov_b32 v[76:77], v[56:57], v[56:57] op_sel:[0,1]
	v_fmac_f64_e32 v[76:77], v[72:73], v[74:75]
	;; [unrolled: 2-line block ×9, first 2 shown]
	v_mul_f64 v[76:77], v[72:73], v[72:73]
	v_fma_f64 v[78:79], v[72:73], v[72:73], -v[76:77]
	v_add_f64 v[80:81], v[10:11], v[10:11]
	v_fmac_f64_e32 v[78:79], v[72:73], v[80:81]
	v_add_f64 v[80:81], v[76:77], v[78:79]
	v_add_f64 v[76:77], v[80:81], -v[76:77]
	v_add_f64 v[76:77], v[78:79], -v[76:77]
	v_mul_f64 v[78:79], v[80:81], v[74:75]
	v_fma_f64 v[80:81], v[80:81], v[74:75], -v[78:79]
	v_fmac_f64_e32 v[80:81], v[76:77], v[74:75]
	v_add_f64 v[74:75], v[78:79], v[80:81]
	v_add_f64 v[76:77], v[74:75], -v[78:79]
	v_add_f64 v[78:79], v[72:73], v[74:75]
	v_add_f64 v[76:77], v[80:81], -v[76:77]
	v_add_f64 v[72:73], v[78:79], -v[72:73]
	;; [unrolled: 1-line block ×3, first 2 shown]
	v_add_f64 v[10:11], v[10:11], v[76:77]
	v_add_f64 v[10:11], v[10:11], v[72:73]
	;; [unrolled: 1-line block ×3, first 2 shown]
	v_add_f64 v[74:75], v[72:73], -v[78:79]
	v_add_f64 v[10:11], v[10:11], -v[74:75]
	v_add_f64 v[74:75], v[72:73], 1.0
	v_add_f64 v[76:77], v[74:75], -1.0
	v_add_f64 v[72:73], v[72:73], -v[76:77]
	v_add_f64 v[10:11], v[10:11], v[72:73]
	v_add_f64 v[72:73], v[74:75], v[10:11]
	v_cvt_i32_f64_e32 v78, v[12:13]
	v_ldexp_f64 v[12:13], v[72:73], v78
	v_rcp_f64_e32 v[76:77], v[12:13]
	v_add_f64 v[72:73], v[72:73], -v[74:75]
	v_add_f64 v[10:11], v[10:11], -v[72:73]
	v_ldexp_f64 v[10:11], v[10:11], v78
	v_fma_f64 v[72:73], -v[12:13], v[76:77], 1.0
	v_fmac_f64_e32 v[76:77], v[72:73], v[76:77]
	v_fma_f64 v[72:73], -v[12:13], v[76:77], 1.0
	v_fmac_f64_e32 v[76:77], v[72:73], v[76:77]
	v_mul_f64 v[72:73], v[12:13], v[76:77]
	v_fma_f64 v[74:75], v[76:77], v[12:13], -v[72:73]
	v_fmac_f64_e32 v[74:75], v[76:77], v[10:11]
	v_add_f64 v[78:79], v[72:73], v[74:75]
	v_add_f64 v[80:81], -v[78:79], 1.0
	v_add_f64 v[72:73], v[78:79], -v[72:73]
	v_add_f64 v[82:83], -v[80:81], 1.0
	v_add_f64 v[78:79], v[82:83], -v[78:79]
	v_add_f64 v[72:73], v[72:73], -v[74:75]
	v_add_f64 v[72:73], v[72:73], v[78:79]
	v_add_f64 v[74:75], v[80:81], v[72:73]
	v_add_f64 v[78:79], v[80:81], -v[74:75]
	v_add_f64 v[72:73], v[72:73], v[78:79]
	v_mul_f64 v[78:79], v[76:77], v[74:75]
	v_mul_f64 v[80:81], v[12:13], v[78:79]
	v_fma_f64 v[82:83], v[78:79], v[12:13], -v[80:81]
	v_fmac_f64_e32 v[82:83], v[78:79], v[10:11]
	v_add_f64 v[88:89], v[80:81], v[82:83]
	v_add_f64 v[90:91], v[74:75], -v[88:89]
	v_add_f64 v[74:75], v[74:75], -v[90:91]
	;; [unrolled: 1-line block ×4, first 2 shown]
	v_add_f64 v[72:73], v[72:73], v[74:75]
	v_add_f64 v[74:75], v[80:81], -v[82:83]
	v_add_f64 v[72:73], v[74:75], v[72:73]
	v_add_f64 v[72:73], v[90:91], v[72:73]
	;; [unrolled: 1-line block ×3, first 2 shown]
	v_mul_f64 v[72:73], v[76:77], v[72:73]
	v_add_f64 v[76:77], v[74:75], -v[76:77]
	v_add_f64 v[76:77], v[78:79], -v[76:77]
	v_add_f64 v[72:73], v[76:77], v[72:73]
	v_add_f64 v[76:77], v[74:75], v[72:73]
	v_add_f64 v[74:75], v[76:77], -v[74:75]
	v_add_f64 v[72:73], v[72:73], -v[74:75]
	v_ldexp_f64 v[74:75], v[76:77], -2
	v_add_f64 v[76:77], v[12:13], -v[74:75]
	v_add_f64 v[12:13], v[12:13], -v[76:77]
	v_add_f64 v[12:13], v[12:13], -v[74:75]
	s_mov_b32 s0, 0x8fb9f87e
	v_ldexp_f64 v[72:73], v[72:73], -2
	v_add_f64 v[10:11], v[10:11], v[12:13]
	s_mov_b32 s1, 0x408633ce
	v_add_f64 v[10:11], v[10:11], -v[72:73]
	v_cmp_nge_f64_e64 vcc, |v[4:5]|, s[0:1]
	s_mov_b32 s0, 0
	v_add_f64 v[10:11], v[76:77], v[10:11]
	s_mov_b32 s1, 0x3e400000
	v_and_b32_e32 v92, 0x7fffffff, v5
	v_cndmask_b32_e32 v11, v85, v11, vcc
	v_cndmask_b32_e32 v10, 0, v10, vcc
	v_cmp_lt_f64_e64 vcc, |v[4:5]|, s[0:1]
	v_cndmask_b32_e32 v4, v10, v4, vcc
	v_cndmask_b32_e32 v10, v11, v92, vcc
	v_xor_b32_e32 v5, 0x80000000, v5
	v_bfi_b32 v5, s68, v10, v5
	s_mov_b32 s0, 0
	v_fma_f64 v[10:11], v[4:5], v[4:5], 1.0
	s_brev_b32 s1, 8
	v_cmp_gt_f64_e32 vcc, s[0:1], v[10:11]
	v_cndmask_b32_e64 v12, 0, 1, vcc
	v_lshlrev_b32_e32 v12, 8, v12
	v_ldexp_f64 v[10:11], v[10:11], v12
	v_rsq_f64_e32 v[12:13], v[10:11]
	v_and_b32_e32 v3, 0x80000000, v3
	v_xor_b32_e32 v3, v23, v3
	v_fma_f64 v[72:73], v[2:3], v[2:3], 1.0
	v_mul_f64 v[74:75], v[10:11], v[12:13]
	v_mul_f64 v[12:13], v[12:13], 0.5
	v_fma_f64 v[76:77], -v[12:13], v[74:75], 0.5
	v_fmac_f64_e32 v[74:75], v[74:75], v[76:77]
	v_fma_f64 v[78:79], -v[74:75], v[74:75], v[10:11]
	v_fmac_f64_e32 v[12:13], v[12:13], v[76:77]
	v_fmac_f64_e32 v[74:75], v[78:79], v[12:13]
	v_fma_f64 v[76:77], -v[74:75], v[74:75], v[10:11]
	v_fmac_f64_e32 v[74:75], v[76:77], v[12:13]
	v_cndmask_b32_e32 v12, 0, v86, vcc
	v_ldexp_f64 v[12:13], v[74:75], v12
	v_cmp_class_f64_e32 vcc, v[10:11], v1
	v_cndmask_b32_e32 v11, v13, v11, vcc
	v_cndmask_b32_e32 v10, v12, v10, vcc
	v_mul_f64 v[12:13], v[4:5], v[72:73]
	v_mul_f64 v[10:11], v[10:11], v[72:73]
	v_fma_f64 v[74:75], v[4:5], v[12:13], 1.0
	v_mul_f64 v[4:5], v[4:5], v[10:11]
	v_div_scale_f64 v[10:11], s[0:1], v[74:75], v[74:75], v[4:5]
	v_rcp_f64_e32 v[12:13], v[10:11]
	v_fma_f64 v[72:73], -v[10:11], v[12:13], 1.0
	v_fmac_f64_e32 v[12:13], v[12:13], v[72:73]
	v_fma_f64 v[72:73], -v[10:11], v[12:13], 1.0
	v_fmac_f64_e32 v[12:13], v[12:13], v[72:73]
	v_div_scale_f64 v[72:73], vcc, v[4:5], v[74:75], v[4:5]
	v_mul_f64 v[76:77], v[72:73], v[12:13]
	v_fma_f64 v[10:11], -v[10:11], v[76:77], v[72:73]
	v_div_scale_f64 v[72:73], s[0:1], v[74:75], v[74:75], v[2:3]
	v_rcp_f64_e32 v[78:79], v[72:73]
	v_div_fmas_f64 v[10:11], v[10:11], v[12:13], v[76:77]
	v_div_fixup_f64 v[12:13], v[10:11], v[74:75], v[4:5]
	v_fma_f64 v[4:5], -v[72:73], v[78:79], 1.0
	v_fmac_f64_e32 v[78:79], v[78:79], v[4:5]
	v_fma_f64 v[4:5], -v[72:73], v[78:79], 1.0
	v_fmac_f64_e32 v[78:79], v[78:79], v[4:5]
	v_div_scale_f64 v[4:5], vcc, v[2:3], v[74:75], v[2:3]
	v_mul_f64 v[10:11], v[4:5], v[78:79]
	v_fma_f64 v[4:5], -v[72:73], v[10:11], v[4:5]
	s_nop 1
	v_div_fmas_f64 v[4:5], v[4:5], v[78:79], v[10:11]
	v_div_fixup_f64 v[10:11], v[4:5], v[74:75], v[2:3]
                                        ; implicit-def: $vgpr2_vgpr3
.LBB94_129:                             ;   in Loop: Header=BB94_7 Depth=1
	s_andn2_saveexec_b64 s[40:41], s[40:41]
	s_cbranch_execz .LBB94_139
; %bb.130:                              ;   in Loop: Header=BB94_7 Depth=1
	v_cmp_nlt_f64_e64 s[54:55], |v[2:3]|, s[18:19]
                                        ; implicit-def: $vgpr76
                                        ; implicit-def: $vgpr10_vgpr11
                                        ; implicit-def: $vgpr12_vgpr13
	s_and_saveexec_b64 s[0:1], s[54:55]
	s_xor_b64 s[56:57], exec, s[0:1]
	s_cbranch_execz .LBB94_132
; %bb.131:                              ;   in Loop: Header=BB94_7 Depth=1
	v_and_b32_e32 v23, 0x7fffffff, v3
	v_ldexp_f64 v[72:73], |v[2:3]|, s2
	v_cmp_ge_f64_e64 vcc, |v[2:3]|, s[20:21]
	v_trig_preop_f64 v[10:11], |v[2:3]|, 0
	v_cndmask_b32_e32 v73, v23, v73, vcc
	v_cndmask_b32_e32 v72, v2, v72, vcc
	v_trig_preop_f64 v[12:13], |v[2:3]|, 1
	v_mul_f64 v[76:77], v[10:11], v[72:73]
	v_mul_f64 v[74:75], v[12:13], v[72:73]
	v_fma_f64 v[10:11], v[10:11], v[72:73], -v[76:77]
	v_add_f64 v[78:79], v[74:75], v[10:11]
	v_add_f64 v[80:81], v[76:77], v[78:79]
	v_ldexp_f64 v[82:83], v[80:81], -2
	v_fract_f64_e32 v[88:89], v[82:83]
	v_cmp_neq_f64_e64 vcc, |v[82:83]|, s[22:23]
	v_cndmask_b32_e32 v83, 0, v89, vcc
	v_cndmask_b32_e32 v82, 0, v88, vcc
	v_add_f64 v[88:89], v[78:79], -v[74:75]
	v_add_f64 v[10:11], v[10:11], -v[88:89]
	;; [unrolled: 1-line block ×4, first 2 shown]
	v_fma_f64 v[12:13], v[12:13], v[72:73], -v[74:75]
	v_trig_preop_f64 v[74:75], |v[2:3]|, 2
	v_add_f64 v[10:11], v[10:11], v[88:89]
	v_mul_f64 v[88:89], v[74:75], v[72:73]
	v_add_f64 v[90:91], v[88:89], v[12:13]
	v_add_f64 v[92:93], v[90:91], v[10:11]
	v_add_f64 v[76:77], v[80:81], -v[76:77]
	v_add_f64 v[80:81], v[92:93], -v[90:91]
	;; [unrolled: 1-line block ×5, first 2 shown]
	v_add_f64 v[10:11], v[10:11], v[80:81]
	v_add_f64 v[80:81], v[90:91], -v[88:89]
	v_add_f64 v[12:13], v[12:13], -v[80:81]
	;; [unrolled: 1-line block ×4, first 2 shown]
	v_add_f64 v[12:13], v[12:13], v[80:81]
	v_add_f64 v[76:77], v[78:79], -v[76:77]
	v_add_f64 v[10:11], v[12:13], v[10:11]
	v_fma_f64 v[12:13], v[74:75], v[72:73], -v[88:89]
	v_add_f64 v[78:79], v[76:77], v[92:93]
	v_add_f64 v[10:11], v[12:13], v[10:11]
	v_ldexp_f64 v[12:13], v[82:83], 2
	v_add_f64 v[72:73], v[78:79], v[12:13]
	v_cmp_gt_f64_e32 vcc, 0, v[72:73]
	v_cndmask_b32_e32 v23, 0, v27, vcc
	v_add_f64 v[12:13], v[12:13], v[22:23]
	v_add_f64 v[72:73], v[78:79], v[12:13]
	v_cvt_i32_f64_e32 v23, v[72:73]
	v_cvt_f64_i32_e32 v[72:73], v23
	v_add_f64 v[12:13], v[12:13], -v[72:73]
	v_add_f64 v[76:77], v[78:79], -v[76:77]
	v_add_f64 v[72:73], v[78:79], v[12:13]
	v_add_f64 v[76:77], v[92:93], -v[76:77]
	v_add_f64 v[12:13], v[72:73], -v[12:13]
	v_cmp_le_f64_e32 vcc, 0.5, v[72:73]
	v_add_f64 v[10:11], v[76:77], v[10:11]
	v_add_f64 v[12:13], v[78:79], -v[12:13]
	v_addc_co_u32_e64 v76, s[0:1], 0, v23, vcc
	v_cndmask_b32_e32 v23, 0, v84, vcc
	v_add_f64 v[10:11], v[10:11], v[12:13]
	v_add_f64 v[12:13], v[72:73], -v[22:23]
	v_add_f64 v[72:73], v[12:13], v[10:11]
	v_add_f64 v[12:13], v[72:73], -v[12:13]
	s_mov_b32 s24, s26
	v_add_f64 v[10:11], v[10:11], -v[12:13]
	v_mul_f64 v[12:13], v[72:73], s[24:25]
	v_fma_f64 v[74:75], v[72:73], s[24:25], -v[12:13]
	s_mov_b32 s31, s29
	v_fmac_f64_e32 v[74:75], s[30:31], v[72:73]
	v_fmac_f64_e32 v[74:75], s[24:25], v[10:11]
	v_add_f64 v[10:11], v[12:13], v[74:75]
	v_add_f64 v[12:13], v[10:11], -v[12:13]
	v_add_f64 v[12:13], v[74:75], -v[12:13]
	s_andn2_saveexec_b64 s[0:1], s[56:57]
	s_cbranch_execz .LBB94_134
	s_branch .LBB94_133
.LBB94_132:                             ;   in Loop: Header=BB94_7 Depth=1
	s_andn2_saveexec_b64 s[0:1], s[56:57]
	s_cbranch_execz .LBB94_134
.LBB94_133:                             ;   in Loop: Header=BB94_7 Depth=1
	v_mul_f64 v[10:11], |v[2:3]|, s[34:35]
	v_rndne_f64_e32 v[72:73], v[10:11]
	v_fma_f64 v[10:11], v[72:73], s[26:27], |v[2:3]|
	v_mul_f64 v[74:75], v[72:73], s[36:37]
	v_add_f64 v[78:79], v[10:11], v[74:75]
	v_fma_f64 v[12:13], s[36:37], v[72:73], v[10:11]
	s_mov_b32 s28, s36
	v_add_f64 v[10:11], v[10:11], -v[78:79]
	v_fma_f64 v[76:77], s[28:29], v[72:73], v[74:75]
	v_add_f64 v[10:11], v[10:11], v[74:75]
	v_add_f64 v[74:75], v[78:79], -v[12:13]
	v_add_f64 v[10:11], v[74:75], v[10:11]
	v_add_f64 v[74:75], v[10:11], -v[76:77]
	v_fmac_f64_e32 v[74:75], s[38:39], v[72:73]
	v_add_f64 v[10:11], v[12:13], v[74:75]
	v_add_f64 v[12:13], v[10:11], -v[12:13]
	v_add_f64 v[12:13], v[74:75], -v[12:13]
	v_cvt_i32_f64_e32 v76, v[72:73]
.LBB94_134:                             ;   in Loop: Header=BB94_7 Depth=1
	s_or_b64 exec, exec, s[0:1]
                                        ; implicit-def: $vgpr77
                                        ; implicit-def: $vgpr72_vgpr73
                                        ; implicit-def: $vgpr74_vgpr75
	s_and_saveexec_b64 s[0:1], s[54:55]
	s_xor_b64 s[54:55], exec, s[0:1]
	s_cbranch_execz .LBB94_136
; %bb.135:                              ;   in Loop: Header=BB94_7 Depth=1
	v_and_b32_e32 v23, 0x7fffffff, v3
	v_ldexp_f64 v[78:79], |v[2:3]|, s2
	v_cmp_ge_f64_e64 vcc, |v[2:3]|, s[20:21]
	v_trig_preop_f64 v[72:73], |v[2:3]|, 0
	v_cndmask_b32_e32 v79, v23, v79, vcc
	v_cndmask_b32_e32 v78, v2, v78, vcc
	v_trig_preop_f64 v[74:75], |v[2:3]|, 1
	v_mul_f64 v[82:83], v[72:73], v[78:79]
	v_mul_f64 v[80:81], v[74:75], v[78:79]
	v_fma_f64 v[72:73], v[72:73], v[78:79], -v[82:83]
	v_add_f64 v[88:89], v[80:81], v[72:73]
	v_add_f64 v[90:91], v[82:83], v[88:89]
	v_ldexp_f64 v[92:93], v[90:91], -2
	v_fract_f64_e32 v[94:95], v[92:93]
	v_cmp_neq_f64_e64 vcc, |v[92:93]|, s[22:23]
	v_cndmask_b32_e32 v93, 0, v95, vcc
	v_cndmask_b32_e32 v92, 0, v94, vcc
	v_add_f64 v[94:95], v[88:89], -v[80:81]
	v_add_f64 v[72:73], v[72:73], -v[94:95]
	;; [unrolled: 1-line block ×4, first 2 shown]
	v_fma_f64 v[74:75], v[74:75], v[78:79], -v[80:81]
	v_trig_preop_f64 v[80:81], |v[2:3]|, 2
	v_add_f64 v[72:73], v[72:73], v[94:95]
	v_mul_f64 v[94:95], v[80:81], v[78:79]
	v_add_f64 v[96:97], v[94:95], v[74:75]
	v_add_f64 v[98:99], v[96:97], v[72:73]
	v_add_f64 v[82:83], v[90:91], -v[82:83]
	v_add_f64 v[90:91], v[98:99], -v[96:97]
	;; [unrolled: 1-line block ×5, first 2 shown]
	v_add_f64 v[72:73], v[72:73], v[90:91]
	v_add_f64 v[90:91], v[96:97], -v[94:95]
	v_add_f64 v[74:75], v[74:75], -v[90:91]
	;; [unrolled: 1-line block ×4, first 2 shown]
	v_add_f64 v[74:75], v[74:75], v[90:91]
	v_add_f64 v[82:83], v[88:89], -v[82:83]
	v_add_f64 v[72:73], v[74:75], v[72:73]
	v_fma_f64 v[74:75], v[80:81], v[78:79], -v[94:95]
	v_add_f64 v[88:89], v[82:83], v[98:99]
	v_add_f64 v[72:73], v[74:75], v[72:73]
	v_ldexp_f64 v[74:75], v[92:93], 2
	v_add_f64 v[78:79], v[88:89], v[74:75]
	v_cmp_gt_f64_e32 vcc, 0, v[78:79]
	v_cndmask_b32_e32 v23, 0, v27, vcc
	v_add_f64 v[74:75], v[74:75], v[22:23]
	v_add_f64 v[78:79], v[88:89], v[74:75]
	v_cvt_i32_f64_e32 v23, v[78:79]
	v_cvt_f64_i32_e32 v[78:79], v23
	v_add_f64 v[74:75], v[74:75], -v[78:79]
	v_add_f64 v[82:83], v[88:89], -v[82:83]
	v_add_f64 v[78:79], v[88:89], v[74:75]
	v_add_f64 v[82:83], v[98:99], -v[82:83]
	v_add_f64 v[74:75], v[78:79], -v[74:75]
	v_cmp_le_f64_e32 vcc, 0.5, v[78:79]
	v_add_f64 v[72:73], v[82:83], v[72:73]
	v_add_f64 v[74:75], v[88:89], -v[74:75]
	v_addc_co_u32_e64 v77, s[0:1], 0, v23, vcc
	v_cndmask_b32_e32 v23, 0, v84, vcc
	v_add_f64 v[72:73], v[72:73], v[74:75]
	v_add_f64 v[74:75], v[78:79], -v[22:23]
	v_add_f64 v[78:79], v[74:75], v[72:73]
	v_add_f64 v[74:75], v[78:79], -v[74:75]
	s_mov_b32 s24, s26
	v_add_f64 v[72:73], v[72:73], -v[74:75]
	v_mul_f64 v[74:75], v[78:79], s[24:25]
	v_fma_f64 v[80:81], v[78:79], s[24:25], -v[74:75]
	s_mov_b32 s31, s29
	v_fmac_f64_e32 v[80:81], s[30:31], v[78:79]
	v_fmac_f64_e32 v[80:81], s[24:25], v[72:73]
	v_add_f64 v[72:73], v[74:75], v[80:81]
	v_add_f64 v[74:75], v[72:73], -v[74:75]
	v_add_f64 v[74:75], v[80:81], -v[74:75]
	s_andn2_saveexec_b64 s[0:1], s[54:55]
	s_cbranch_execnz .LBB94_137
	s_branch .LBB94_138
.LBB94_136:                             ;   in Loop: Header=BB94_7 Depth=1
	s_andn2_saveexec_b64 s[0:1], s[54:55]
	s_cbranch_execz .LBB94_138
.LBB94_137:                             ;   in Loop: Header=BB94_7 Depth=1
	v_mul_f64 v[72:73], |v[2:3]|, s[34:35]
	v_rndne_f64_e32 v[78:79], v[72:73]
	v_fma_f64 v[72:73], v[78:79], s[26:27], |v[2:3]|
	v_mul_f64 v[80:81], v[78:79], s[36:37]
	v_add_f64 v[88:89], v[72:73], v[80:81]
	v_fma_f64 v[74:75], s[36:37], v[78:79], v[72:73]
	s_mov_b32 s28, s36
	v_add_f64 v[72:73], v[72:73], -v[88:89]
	v_fma_f64 v[82:83], s[28:29], v[78:79], v[80:81]
	v_add_f64 v[72:73], v[72:73], v[80:81]
	v_add_f64 v[80:81], v[88:89], -v[74:75]
	v_add_f64 v[72:73], v[80:81], v[72:73]
	v_add_f64 v[80:81], v[72:73], -v[82:83]
	v_fmac_f64_e32 v[80:81], s[38:39], v[78:79]
	v_add_f64 v[72:73], v[74:75], v[80:81]
	v_add_f64 v[74:75], v[72:73], -v[74:75]
	v_add_f64 v[74:75], v[80:81], -v[74:75]
	v_cvt_i32_f64_e32 v77, v[78:79]
.LBB94_138:                             ;   in Loop: Header=BB94_7 Depth=1
	s_or_b64 exec, exec, s[0:1]
	v_mul_f64 v[78:79], v[10:11], v[10:11]
	v_pk_mov_b32 v[90:91], s[70:71], s[70:71] op_sel:[0,1]
	v_mul_f64 v[80:81], v[78:79], 0.5
	v_fma_f64 v[92:93], s[72:73], v[78:79], v[90:91]
	v_add_f64 v[82:83], -v[80:81], 1.0
	v_fma_f64 v[92:93], v[78:79], v[92:93], s[74:75]
	v_add_f64 v[88:89], -v[82:83], 1.0
	v_fma_f64 v[92:93], v[78:79], v[92:93], s[76:77]
	v_add_f64 v[80:81], v[88:89], -v[80:81]
	v_fma_f64 v[92:93], v[78:79], v[92:93], s[78:79]
	v_mul_f64 v[88:89], v[78:79], v[78:79]
	v_fma_f64 v[92:93], v[78:79], v[92:93], s[62:63]
	v_fma_f64 v[80:81], v[10:11], -v[12:13], v[80:81]
	v_fmac_f64_e32 v[80:81], v[88:89], v[92:93]
	v_add_f64 v[80:81], v[82:83], v[80:81]
	v_pk_mov_b32 v[82:83], s[80:81], s[80:81] op_sel:[0,1]
	v_fma_f64 v[88:89], s[82:83], v[78:79], v[82:83]
	v_fma_f64 v[88:89], v[78:79], v[88:89], s[84:85]
	;; [unrolled: 1-line block ×4, first 2 shown]
	v_mul_f64 v[92:93], v[10:11], -v[78:79]
	v_mul_f64 v[94:95], v[12:13], 0.5
	v_fmac_f64_e32 v[94:95], v[92:93], v[88:89]
	v_fma_f64 v[12:13], v[78:79], v[94:95], -v[12:13]
	s_mov_b32 s88, s62
	v_fmac_f64_e32 v[12:13], s[88:89], v[92:93]
	v_and_b32_e32 v2, 1, v76
	v_add_f64 v[10:11], v[10:11], -v[12:13]
	v_cmp_eq_u32_e32 vcc, 0, v2
	v_cndmask_b32_e32 v2, v80, v10, vcc
	v_cndmask_b32_e32 v10, v81, v11, vcc
	v_lshlrev_b32_e32 v11, 30, v76
	v_xor_b32_e32 v3, v11, v3
	v_and_b32_e32 v3, 0x80000000, v3
	v_xor_b32_e32 v3, v10, v3
	v_mul_f64 v[10:11], |v[4:5]|, s[50:51]
	v_rndne_f64_e32 v[10:11], v[10:11]
	v_fma_f64 v[12:13], v[10:11], s[42:43], -|v[4:5]|
	v_fmac_f64_e32 v[12:13], s[46:47], v[10:11]
	v_pk_mov_b32 v[78:79], v[54:55], v[54:55] op_sel:[0,1]
	v_fmac_f64_e32 v[78:79], s[58:59], v[12:13]
	v_pk_mov_b32 v[80:81], v[56:57], v[56:57] op_sel:[0,1]
	;; [unrolled: 2-line block ×9, first 2 shown]
	s_mov_b32 s0, 0
	v_fmac_f64_e32 v[78:79], v[12:13], v[80:81]
	s_mov_b32 s1, 0x4090cc00
	v_fma_f64 v[78:79], v[12:13], v[78:79], 1.0
	v_cmp_ngt_f64_e64 vcc, |v[4:5]|, s[0:1]
	v_xor_b32_e32 v4, 0x80000000, v5
	v_fma_f64 v[12:13], v[12:13], v[78:79], 1.0
	v_cvt_i32_f64_e32 v10, v[10:11]
	v_bfi_b32 v23, s68, v84, v4
	v_mul_f64 v[4:5], v[72:73], v[72:73]
	v_ldexp_f64 v[10:11], v[12:13], v10
	v_mul_f64 v[12:13], v[4:5], 0.5
	v_fmac_f64_e32 v[90:91], s[72:73], v[4:5]
	v_add_f64 v[78:79], -v[12:13], 1.0
	v_fma_f64 v[88:89], v[4:5], v[90:91], s[74:75]
	v_add_f64 v[80:81], -v[78:79], 1.0
	v_fma_f64 v[88:89], v[4:5], v[88:89], s[76:77]
	v_add_f64 v[12:13], v[80:81], -v[12:13]
	v_fma_f64 v[88:89], v[4:5], v[88:89], s[78:79]
	v_mul_f64 v[80:81], v[4:5], v[4:5]
	v_fma_f64 v[88:89], v[4:5], v[88:89], s[62:63]
	v_fma_f64 v[12:13], v[72:73], -v[74:75], v[12:13]
	v_fmac_f64_e32 v[12:13], v[80:81], v[88:89]
	v_fmac_f64_e32 v[82:83], s[82:83], v[4:5]
	v_add_f64 v[12:13], v[78:79], v[12:13]
	v_fma_f64 v[78:79], v[4:5], v[82:83], s[84:85]
	v_fma_f64 v[78:79], v[4:5], v[78:79], s[86:87]
	v_fma_f64 v[78:79], v[4:5], v[78:79], s[60:61]
	v_mul_f64 v[80:81], v[72:73], -v[4:5]
	v_mul_f64 v[82:83], v[74:75], 0.5
	v_fmac_f64_e32 v[82:83], v[80:81], v[78:79]
	v_fma_f64 v[4:5], v[4:5], v[82:83], -v[74:75]
	v_fmac_f64_e32 v[4:5], s[88:89], v[80:81]
	v_add_f64 v[4:5], v[72:73], -v[4:5]
	v_and_b32_e32 v72, 1, v77
	v_cndmask_b32_e32 v11, 0, v11, vcc
	v_cndmask_b32_e32 v10, 0, v10, vcc
	v_cmp_eq_u32_e32 vcc, 0, v72
	v_xor_b32_e32 v5, 0x80000000, v5
	v_cndmask_b32_e32 v4, v4, v12, vcc
	v_lshlrev_b32_e32 v12, 30, v77
	v_cndmask_b32_e32 v5, v5, v13, vcc
	v_and_b32_e32 v12, 0x80000000, v12
	v_mul_f64 v[2:3], v[2:3], 4.0
	v_xor_b32_e32 v5, v5, v12
	v_mul_f64 v[2:3], v[2:3], v[4:5]
	v_mul_f64 v[2:3], v[10:11], v[2:3]
	;; [unrolled: 1-line block ×3, first 2 shown]
	v_pk_mov_b32 v[12:13], v[22:23], v[22:23] op_sel:[0,1]
.LBB94_139:                             ;   in Loop: Header=BB94_7 Depth=1
	s_or_b64 exec, exec, s[40:41]
                                        ; implicit-def: $vgpr2_vgpr3
.LBB94_140:                             ;   in Loop: Header=BB94_7 Depth=1
	s_andn2_saveexec_b64 s[0:1], s[14:15]
; %bb.141:                              ;   in Loop: Header=BB94_7 Depth=1
	v_add_f64 v[10:11], v[2:3], -v[2:3]
	v_pk_mov_b32 v[12:13], v[10:11], v[10:11] op_sel:[0,1]
; %bb.142:                              ;   in Loop: Header=BB94_7 Depth=1
	s_or_b64 exec, exec, s[0:1]
                                        ; implicit-def: $vgpr2_vgpr3
.LBB94_143:                             ;   in Loop: Header=BB94_7 Depth=1
	s_andn2_saveexec_b64 s[14:15], s[94:95]
	s_cbranch_execz .LBB94_6
; %bb.144:                              ;   in Loop: Header=BB94_7 Depth=1
	v_and_or_b32 v10, v13, s3, v12
	v_cmp_ne_u32_e32 vcc, 0, v10
	s_and_saveexec_b64 s[0:1], vcc
	s_xor_b64 s[0:1], exec, s[0:1]
; %bb.145:                              ;   in Loop: Header=BB94_7 Depth=1
	v_mul_f64 v[4:5], v[2:3], -v[4:5]
	v_cmp_eq_f64_e32 vcc, 0, v[2:3]
	v_cndmask_b32_e32 v11, v5, v3, vcc
	v_cndmask_b32_e32 v10, v4, v2, vcc
                                        ; implicit-def: $vgpr2_vgpr3
; %bb.146:                              ;   in Loop: Header=BB94_7 Depth=1
	s_andn2_saveexec_b64 s[40:41], s[0:1]
	s_cbranch_execz .LBB94_5
; %bb.147:                              ;   in Loop: Header=BB94_7 Depth=1
	v_cmp_neq_f64_e64 s[0:1], |v[2:3]|, s[22:23]
	s_and_saveexec_b64 s[94:95], s[0:1]
	s_cbranch_execz .LBB94_4
; %bb.148:                              ;   in Loop: Header=BB94_7 Depth=1
	v_cmp_nlt_f64_e64 s[54:55], |v[2:3]|, s[18:19]
	v_trig_preop_f64 v[76:77], |v[2:3]|, 0
	v_trig_preop_f64 v[74:75], |v[2:3]|, 1
	v_ldexp_f64 v[78:79], |v[2:3]|, s2
	v_trig_preop_f64 v[72:73], |v[2:3]|, 2
	v_and_b32_e32 v89, 0x7fffffff, v3
                                        ; implicit-def: $vgpr88
                                        ; implicit-def: $vgpr4_vgpr5
                                        ; implicit-def: $vgpr10_vgpr11
	s_and_saveexec_b64 s[0:1], s[54:55]
	s_xor_b64 s[56:57], exec, s[0:1]
	s_cbranch_execz .LBB94_150
; %bb.149:                              ;   in Loop: Header=BB94_7 Depth=1
	v_cmp_ge_f64_e64 vcc, |v[2:3]|, s[20:21]
	v_cndmask_b32_e32 v5, v89, v79, vcc
	v_cndmask_b32_e32 v4, v2, v78, vcc
	v_mul_f64 v[80:81], v[76:77], v[4:5]
	v_mul_f64 v[10:11], v[74:75], v[4:5]
	v_fma_f64 v[82:83], v[76:77], v[4:5], -v[80:81]
	v_add_f64 v[90:91], v[10:11], v[82:83]
	v_add_f64 v[92:93], v[80:81], v[90:91]
	v_ldexp_f64 v[94:95], v[92:93], -2
	v_fract_f64_e32 v[96:97], v[94:95]
	v_cmp_neq_f64_e64 vcc, |v[94:95]|, s[22:23]
	v_cndmask_b32_e32 v95, 0, v97, vcc
	v_cndmask_b32_e32 v94, 0, v96, vcc
	v_add_f64 v[96:97], v[90:91], -v[10:11]
	v_add_f64 v[82:83], v[82:83], -v[96:97]
	;; [unrolled: 1-line block ×4, first 2 shown]
	v_add_f64 v[82:83], v[82:83], v[96:97]
	v_fma_f64 v[10:11], v[74:75], v[4:5], -v[10:11]
	v_mul_f64 v[96:97], v[72:73], v[4:5]
	v_add_f64 v[98:99], v[96:97], v[10:11]
	v_add_f64 v[100:101], v[98:99], v[82:83]
	v_add_f64 v[80:81], v[92:93], -v[80:81]
	v_add_f64 v[92:93], v[100:101], -v[98:99]
	;; [unrolled: 1-line block ×5, first 2 shown]
	v_add_f64 v[82:83], v[82:83], v[92:93]
	v_add_f64 v[92:93], v[98:99], -v[96:97]
	v_add_f64 v[10:11], v[10:11], -v[92:93]
	;; [unrolled: 1-line block ×5, first 2 shown]
	v_add_f64 v[90:91], v[80:81], v[100:101]
	v_add_f64 v[10:11], v[10:11], v[92:93]
	v_add_f64 v[80:81], v[90:91], -v[80:81]
	v_add_f64 v[10:11], v[10:11], v[82:83]
	v_fma_f64 v[4:5], v[72:73], v[4:5], -v[96:97]
	v_add_f64 v[80:81], v[100:101], -v[80:81]
	v_add_f64 v[4:5], v[4:5], v[10:11]
	v_ldexp_f64 v[10:11], v[94:95], 2
	v_add_f64 v[4:5], v[80:81], v[4:5]
	v_add_f64 v[80:81], v[90:91], v[10:11]
	v_cmp_gt_f64_e32 vcc, 0, v[80:81]
	v_cndmask_b32_e32 v23, 0, v27, vcc
	v_add_f64 v[10:11], v[10:11], v[22:23]
	v_add_f64 v[80:81], v[90:91], v[10:11]
	v_cvt_i32_f64_e32 v23, v[80:81]
	v_cvt_f64_i32_e32 v[80:81], v23
	v_add_f64 v[10:11], v[10:11], -v[80:81]
	v_add_f64 v[80:81], v[90:91], v[10:11]
	v_add_f64 v[10:11], v[80:81], -v[10:11]
	v_cmp_le_f64_e32 vcc, 0.5, v[80:81]
	v_add_f64 v[10:11], v[90:91], -v[10:11]
	v_addc_co_u32_e64 v88, s[0:1], 0, v23, vcc
	v_cndmask_b32_e32 v23, 0, v84, vcc
	v_add_f64 v[4:5], v[4:5], v[10:11]
	v_add_f64 v[10:11], v[80:81], -v[22:23]
	v_add_f64 v[80:81], v[10:11], v[4:5]
	v_add_f64 v[10:11], v[80:81], -v[10:11]
	s_mov_b32 s24, s26
	v_add_f64 v[4:5], v[4:5], -v[10:11]
	v_mul_f64 v[10:11], v[80:81], s[24:25]
	v_fma_f64 v[82:83], v[80:81], s[24:25], -v[10:11]
	s_mov_b32 s31, s29
	v_fmac_f64_e32 v[82:83], s[30:31], v[80:81]
	v_fmac_f64_e32 v[82:83], s[24:25], v[4:5]
	v_add_f64 v[4:5], v[10:11], v[82:83]
	v_add_f64 v[10:11], v[4:5], -v[10:11]
	v_add_f64 v[10:11], v[82:83], -v[10:11]
	s_andn2_saveexec_b64 s[0:1], s[56:57]
	s_cbranch_execz .LBB94_152
	s_branch .LBB94_151
.LBB94_150:                             ;   in Loop: Header=BB94_7 Depth=1
	s_andn2_saveexec_b64 s[0:1], s[56:57]
	s_cbranch_execz .LBB94_152
.LBB94_151:                             ;   in Loop: Header=BB94_7 Depth=1
	v_mul_f64 v[4:5], |v[2:3]|, s[34:35]
	v_rndne_f64_e32 v[80:81], v[4:5]
	v_fma_f64 v[4:5], v[80:81], s[26:27], |v[2:3]|
	v_mul_f64 v[82:83], v[80:81], s[36:37]
	v_add_f64 v[92:93], v[4:5], v[82:83]
	v_fma_f64 v[10:11], s[36:37], v[80:81], v[4:5]
	s_mov_b32 s28, s36
	v_add_f64 v[4:5], v[4:5], -v[92:93]
	v_fma_f64 v[90:91], s[28:29], v[80:81], v[82:83]
	v_add_f64 v[4:5], v[4:5], v[82:83]
	v_add_f64 v[82:83], v[92:93], -v[10:11]
	v_add_f64 v[4:5], v[82:83], v[4:5]
	v_add_f64 v[82:83], v[4:5], -v[90:91]
	v_fmac_f64_e32 v[82:83], s[38:39], v[80:81]
	v_add_f64 v[4:5], v[10:11], v[82:83]
	v_add_f64 v[10:11], v[4:5], -v[10:11]
	v_add_f64 v[10:11], v[82:83], -v[10:11]
	v_cvt_i32_f64_e32 v88, v[80:81]
.LBB94_152:                             ;   in Loop: Header=BB94_7 Depth=1
	s_or_b64 exec, exec, s[0:1]
                                        ; implicit-def: $vgpr90
                                        ; implicit-def: $vgpr80_vgpr81
                                        ; implicit-def: $vgpr82_vgpr83
	s_and_saveexec_b64 s[0:1], s[54:55]
	s_xor_b64 s[54:55], exec, s[0:1]
	s_cbranch_execz .LBB94_154
; %bb.153:                              ;   in Loop: Header=BB94_7 Depth=1
	v_cmp_ge_f64_e64 vcc, |v[2:3]|, s[20:21]
	v_cndmask_b32_e32 v79, v89, v79, vcc
	v_cndmask_b32_e32 v78, v2, v78, vcc
	v_mul_f64 v[82:83], v[76:77], v[78:79]
	v_mul_f64 v[80:81], v[74:75], v[78:79]
	v_fma_f64 v[76:77], v[76:77], v[78:79], -v[82:83]
	v_add_f64 v[90:91], v[80:81], v[76:77]
	v_add_f64 v[92:93], v[82:83], v[90:91]
	v_ldexp_f64 v[94:95], v[92:93], -2
	v_fract_f64_e32 v[96:97], v[94:95]
	v_cmp_neq_f64_e64 vcc, |v[94:95]|, s[22:23]
	v_cndmask_b32_e32 v95, 0, v97, vcc
	v_cndmask_b32_e32 v94, 0, v96, vcc
	v_add_f64 v[96:97], v[90:91], -v[80:81]
	v_add_f64 v[76:77], v[76:77], -v[96:97]
	;; [unrolled: 1-line block ×4, first 2 shown]
	v_fma_f64 v[74:75], v[74:75], v[78:79], -v[80:81]
	v_mul_f64 v[80:81], v[72:73], v[78:79]
	v_add_f64 v[76:77], v[76:77], v[96:97]
	v_add_f64 v[96:97], v[80:81], v[74:75]
	;; [unrolled: 1-line block ×3, first 2 shown]
	v_add_f64 v[82:83], v[92:93], -v[82:83]
	v_add_f64 v[92:93], v[98:99], -v[96:97]
	;; [unrolled: 1-line block ×5, first 2 shown]
	v_add_f64 v[76:77], v[76:77], v[92:93]
	v_add_f64 v[92:93], v[96:97], -v[80:81]
	v_add_f64 v[74:75], v[74:75], -v[92:93]
	;; [unrolled: 1-line block ×4, first 2 shown]
	v_add_f64 v[74:75], v[74:75], v[92:93]
	v_add_f64 v[82:83], v[90:91], -v[82:83]
	v_add_f64 v[74:75], v[74:75], v[76:77]
	v_fma_f64 v[72:73], v[72:73], v[78:79], -v[80:81]
	v_add_f64 v[90:91], v[82:83], v[98:99]
	v_add_f64 v[72:73], v[72:73], v[74:75]
	v_ldexp_f64 v[74:75], v[94:95], 2
	v_add_f64 v[76:77], v[90:91], v[74:75]
	v_cmp_gt_f64_e32 vcc, 0, v[76:77]
	v_cndmask_b32_e32 v23, 0, v27, vcc
	v_add_f64 v[74:75], v[74:75], v[22:23]
	v_add_f64 v[76:77], v[90:91], v[74:75]
	v_cvt_i32_f64_e32 v23, v[76:77]
	v_cvt_f64_i32_e32 v[76:77], v23
	v_add_f64 v[74:75], v[74:75], -v[76:77]
	v_add_f64 v[82:83], v[90:91], -v[82:83]
	v_add_f64 v[76:77], v[90:91], v[74:75]
	v_add_f64 v[82:83], v[98:99], -v[82:83]
	v_add_f64 v[74:75], v[76:77], -v[74:75]
	v_cmp_le_f64_e32 vcc, 0.5, v[76:77]
	v_add_f64 v[72:73], v[82:83], v[72:73]
	v_add_f64 v[74:75], v[90:91], -v[74:75]
	v_addc_co_u32_e64 v90, s[0:1], 0, v23, vcc
	v_cndmask_b32_e32 v23, 0, v84, vcc
	v_add_f64 v[72:73], v[72:73], v[74:75]
	v_add_f64 v[74:75], v[76:77], -v[22:23]
	v_add_f64 v[76:77], v[74:75], v[72:73]
	v_add_f64 v[74:75], v[76:77], -v[74:75]
	s_mov_b32 s24, s26
	v_add_f64 v[72:73], v[72:73], -v[74:75]
	v_mul_f64 v[74:75], v[76:77], s[24:25]
	v_fma_f64 v[78:79], v[76:77], s[24:25], -v[74:75]
	s_mov_b32 s31, s29
	v_fmac_f64_e32 v[78:79], s[30:31], v[76:77]
	v_fmac_f64_e32 v[78:79], s[24:25], v[72:73]
	v_add_f64 v[80:81], v[74:75], v[78:79]
	v_add_f64 v[72:73], v[80:81], -v[74:75]
	v_add_f64 v[82:83], v[78:79], -v[72:73]
	s_andn2_saveexec_b64 s[0:1], s[54:55]
	s_cbranch_execz .LBB94_3
	s_branch .LBB94_155
.LBB94_154:                             ;   in Loop: Header=BB94_7 Depth=1
	s_andn2_saveexec_b64 s[0:1], s[54:55]
	s_cbranch_execz .LBB94_3
.LBB94_155:                             ;   in Loop: Header=BB94_7 Depth=1
	v_mul_f64 v[72:73], |v[2:3]|, s[34:35]
	v_rndne_f64_e32 v[72:73], v[72:73]
	v_fma_f64 v[74:75], v[72:73], s[26:27], |v[2:3]|
	v_mul_f64 v[78:79], v[72:73], s[36:37]
	v_add_f64 v[82:83], v[74:75], v[78:79]
	v_fma_f64 v[76:77], s[36:37], v[72:73], v[74:75]
	s_mov_b32 s28, s36
	v_add_f64 v[74:75], v[74:75], -v[82:83]
	v_fma_f64 v[80:81], s[28:29], v[72:73], v[78:79]
	v_add_f64 v[74:75], v[74:75], v[78:79]
	v_add_f64 v[78:79], v[82:83], -v[76:77]
	v_add_f64 v[74:75], v[78:79], v[74:75]
	v_add_f64 v[74:75], v[74:75], -v[80:81]
	v_fmac_f64_e32 v[74:75], s[38:39], v[72:73]
	v_add_f64 v[80:81], v[76:77], v[74:75]
	v_add_f64 v[76:77], v[80:81], -v[76:77]
	v_add_f64 v[82:83], v[74:75], -v[76:77]
	v_cvt_i32_f64_e32 v90, v[72:73]
	s_branch .LBB94_3
.LBB94_156:
	v_readlane_b32 s0, v114, 2
	v_readlane_b32 s1, v114, 3
	s_or_b64 exec, exec, s[0:1]
	s_mov_b64 s[0:1], 0
.LBB94_157:
	s_andn2_b64 vcc, exec, s[0:1]
	s_cbranch_vccnz .LBB94_329
; %bb.158:
	v_cmp_lt_i64_e64 s[0:1], s[12:13], 1
	s_and_b64 vcc, exec, s[0:1]
	s_cbranch_vccnz .LBB94_329
; %bb.159:
	s_load_dword s0, s[4:5], 0xc5c
	v_mov_b32_e32 v2, 0x10000
	v_mov_b32_e32 v3, 0
	v_cmp_lt_u64_e32 vcc, s[12:13], v[2:3]
	v_lshl_or_b32 v2, v0, 4, 8
	s_waitcnt lgkmcnt(0)
	s_and_b32 s66, s0, 0xffff
	s_and_b64 s[0:1], vcc, exec
	v_mov_b32_e32 v7, s7
	v_add_co_u32_e32 v24, vcc, s6, v2
	v_mov_b32_e32 v22, 0
	v_addc_co_u32_e32 v25, vcc, 0, v7, vcc
	v_add_lshl_u32 v8, v0, s66, 4
	v_mov_b32_e32 v3, v22
	v_readlane_b32 s2, v114, 0
	v_add_co_u32_e32 v26, vcc, s6, v8
	v_readlane_b32 s3, v114, 1
	v_addc_co_u32_e32 v27, vcc, 0, v7, vcc
	v_mad_u64_u32 v[4:5], s[0:1], s66, 48, v[2:3]
	v_mov_b32_e32 v6, s3
	v_add_co_u32_e32 v28, vcc, s2, v4
	v_addc_co_u32_e32 v29, vcc, v6, v5, vcc
	v_add_co_u32_e32 v30, vcc, s6, v4
	s_cselect_b32 s15, s13, 0
	s_cselect_b32 s14, s12, 0x10000
	v_addc_co_u32_e32 v31, vcc, v7, v5, vcc
	s_lshl_b32 s0, s66, 5
	v_add_co_u32_e32 v3, vcc, s0, v2
	v_addc_co_u32_e64 v4, s[0:1], 0, 0, vcc
	v_add_co_u32_e32 v32, vcc, s6, v3
	v_addc_co_u32_e32 v33, vcc, v7, v4, vcc
	v_add_co_u32_e32 v78, vcc, s2, v3
	v_addc_co_u32_e32 v79, vcc, v6, v4, vcc
	v_add_co_u32_e32 v80, vcc, s2, v2
	s_mov_b32 s69, 0
	v_addc_co_u32_e32 v81, vcc, 0, v6, vcc
	s_lshl_b32 s16, s66, 2
	s_mov_b32 s17, s69
	s_mov_b32 s18, 0
	;; [unrolled: 1-line block ×20, first 2 shown]
	v_add_co_u32_e32 v82, vcc, s2, v8
	v_mov_b32_e32 v1, v22
	s_lshl_b32 s67, s66, 1
	s_mov_b32 s33, s69
	s_mul_i32 s51, s66, 3
	s_mov_b32 s68, s69
	s_lshl_b32 s91, s66, 6
	s_mov_b32 s90, s69
	s_brev_b32 s46, -2
	s_mov_b32 s47, 0x7ff00000
	s_movk_i32 s58, 0x1f8
	s_mov_b32 s19, 0x41d00000
	s_mov_b32 s21, 0x7b000000
	s_movk_i32 s59, 0xff80
	s_mov_b32 s23, 0x7ff00000
	s_mov_b32 s25, 0x3ff921fb
	;; [unrolled: 1-line block ×16, first 2 shown]
	v_mov_b32_e32 v34, 0xa9a29f71
	v_mov_b32_e32 v36, 0x90a8aae0
	;; [unrolled: 1-line block ×16, first 2 shown]
	s_mov_b32 s75, 0xbe927e4f
	v_mov_b32_e32 v66, 0x14761f6e
	s_mov_b32 s77, 0x3efa01a0
	v_mov_b32_e32 v68, 0x1852b7b0
	;; [unrolled: 2-line block ×7, first 2 shown]
	v_mov_b32_e32 v37, 0x3f17746f
	v_mov_b32_e32 v39, 0xbefbb44d
	;; [unrolled: 1-line block ×21, first 2 shown]
	s_mov_b32 s89, 0xbfc55555
	v_addc_co_u32_e32 v83, vcc, 0, v6, vcc
	v_mov_b32_e32 v90, 0x260
	v_mov_b32_e32 v91, 0x40100000
	;; [unrolled: 1-line block ×6, first 2 shown]
	s_mov_b32 s50, 0xfffff
	s_mov_b64 s[92:93], s[16:17]
	s_branch .LBB94_161
.LBB94_160:                             ;   in Loop: Header=BB94_161 Depth=1
	s_or_b64 exec, exec, s[0:1]
	v_pk_mov_b32 v[2:3], s[12:13], s[12:13] op_sel:[0,1]
	v_cmp_ge_i64_e32 vcc, s[92:93], v[2:3]
	v_mov_b32_e32 v2, 0xffff
	v_mov_b32_e32 v3, 0
	v_cmp_gt_u64_e64 s[0:1], s[92:93], v[2:3]
	s_or_b64 s[0:1], vcc, s[0:1]
	v_mov_b32_e32 v2, s17
	v_add_co_u32_e32 v0, vcc, s16, v0
	v_addc_co_u32_e32 v1, vcc, v1, v2, vcc
	v_mov_b32_e32 v2, s90
	v_add_co_u32_e32 v80, vcc, s91, v80
	v_addc_co_u32_e32 v81, vcc, v81, v2, vcc
	v_add_co_u32_e32 v24, vcc, s91, v24
	v_addc_co_u32_e32 v25, vcc, v25, v2, vcc
	;; [unrolled: 2-line block ×7, first 2 shown]
	v_add_co_u32_e32 v32, vcc, s91, v32
	s_add_u32 s92, s92, s16
	v_addc_co_u32_e32 v33, vcc, v33, v2, vcc
	s_addc_u32 s93, s93, 0
	s_and_b64 vcc, exec, s[0:1]
	s_cbranch_vccnz .LBB94_329
.LBB94_161:                             ; =>This Inner Loop Header: Depth=1
	v_pk_mov_b32 v[20:21], 0, 0
	v_cmp_gt_u64_e64 s[0:1], s[14:15], v[0:1]
	v_pk_mov_b32 v[12:13], v[20:21], v[20:21] op_sel:[0,1]
	v_pk_mov_b32 v[10:11], v[20:21], v[20:21] op_sel:[0,1]
	s_and_saveexec_b64 s[2:3], s[0:1]
	s_cbranch_execz .LBB94_163
; %bb.162:                              ;   in Loop: Header=BB94_161 Depth=1
	v_mov_b32_e32 v3, s11
	v_add_co_u32_e32 v2, vcc, s10, v80
	v_addc_co_u32_e32 v3, vcc, v81, v3, vcc
	global_load_dwordx4 v[10:13], v[2:3], off offset:-8
.LBB94_163:                             ;   in Loop: Header=BB94_161 Depth=1
	s_or_b64 exec, exec, s[2:3]
	v_mov_b32_e32 v3, s69
	v_add_co_u32_e32 v2, vcc, s66, v0
	v_addc_co_u32_e32 v3, vcc, v3, v1, vcc
	v_cmp_gt_u64_e64 s[2:3], s[14:15], v[2:3]
	v_pk_mov_b32 v[18:19], v[20:21], v[20:21] op_sel:[0,1]
	s_and_saveexec_b64 s[4:5], s[2:3]
	s_cbranch_execz .LBB94_165
; %bb.164:                              ;   in Loop: Header=BB94_161 Depth=1
	v_mov_b32_e32 v3, s11
	v_add_co_u32_e32 v2, vcc, s10, v82
	v_addc_co_u32_e32 v3, vcc, v83, v3, vcc
	global_load_dwordx4 v[18:21], v[2:3], off
.LBB94_165:                             ;   in Loop: Header=BB94_161 Depth=1
	s_or_b64 exec, exec, s[4:5]
	v_mov_b32_e32 v3, s33
	v_add_co_u32_e32 v2, vcc, s67, v0
	v_addc_co_u32_e32 v3, vcc, v3, v1, vcc
	v_pk_mov_b32 v[8:9], 0, 0
	v_cmp_gt_u64_e64 s[4:5], s[14:15], v[2:3]
	v_pk_mov_b32 v[16:17], v[8:9], v[8:9] op_sel:[0,1]
	v_pk_mov_b32 v[14:15], v[8:9], v[8:9] op_sel:[0,1]
	s_and_saveexec_b64 s[6:7], s[4:5]
	s_cbranch_execz .LBB94_167
; %bb.166:                              ;   in Loop: Header=BB94_161 Depth=1
	v_mov_b32_e32 v3, s11
	v_add_co_u32_e32 v2, vcc, s10, v78
	v_addc_co_u32_e32 v3, vcc, v79, v3, vcc
	global_load_dwordx4 v[14:17], v[2:3], off offset:-8
.LBB94_167:                             ;   in Loop: Header=BB94_161 Depth=1
	s_or_b64 exec, exec, s[6:7]
	v_mov_b32_e32 v3, s68
	v_add_co_u32_e32 v2, vcc, s51, v0
	v_addc_co_u32_e32 v3, vcc, v3, v1, vcc
	v_cmp_gt_u64_e64 s[6:7], s[14:15], v[2:3]
	v_pk_mov_b32 v[6:7], v[8:9], v[8:9] op_sel:[0,1]
	s_and_saveexec_b64 s[8:9], s[6:7]
	s_cbranch_execz .LBB94_169
; %bb.168:                              ;   in Loop: Header=BB94_161 Depth=1
	v_mov_b32_e32 v3, s11
	v_add_co_u32_e32 v2, vcc, s10, v28
	v_addc_co_u32_e32 v3, vcc, v29, v3, vcc
	global_load_dwordx4 v[6:9], v[2:3], off offset:-8
.LBB94_169:                             ;   in Loop: Header=BB94_161 Depth=1
	s_or_b64 exec, exec, s[8:9]
	s_waitcnt vmcnt(0)
	v_xor_b32_e32 v5, 0x80000000, v13
	v_and_b32_e32 v2, 0x7fffffff, v5
	v_mov_b32_e32 v4, v12
	v_cmp_gt_u32_e32 vcc, s47, v2
	s_and_saveexec_b64 s[8:9], vcc
	s_xor_b64 s[94:95], exec, s[8:9]
	s_cbranch_execz .LBB94_190
; %bb.170:                              ;   in Loop: Header=BB94_161 Depth=1
	v_cmp_class_f64_e64 s[8:9], v[10:11], s58
	s_and_saveexec_b64 s[40:41], s[8:9]
	s_xor_b64 s[40:41], exec, s[40:41]
	s_cbranch_execz .LBB94_187
; %bb.171:                              ;   in Loop: Header=BB94_161 Depth=1
	s_mov_b32 s8, 0x40360000
	v_cmp_gt_u32_e32 vcc, s8, v2
	s_and_saveexec_b64 s[8:9], vcc
	s_xor_b64 s[54:55], exec, s[8:9]
	s_cbranch_execz .LBB94_177
; %bb.172:                              ;   in Loop: Header=BB94_161 Depth=1
	v_cmp_nlt_f64_e64 s[8:9], |v[10:11]|, s[18:19]
                                        ; implicit-def: $vgpr4
                                        ; implicit-def: $vgpr2_vgpr3
                                        ; implicit-def: $vgpr84_vgpr85
	s_and_saveexec_b64 s[56:57], s[8:9]
	s_xor_b64 s[56:57], exec, s[56:57]
	s_cbranch_execz .LBB94_174
; %bb.173:                              ;   in Loop: Header=BB94_161 Depth=1
	v_and_b32_e32 v4, 0x7fffffff, v11
	v_ldexp_f64 v[86:87], |v[10:11]|, s59
	v_cmp_ge_f64_e64 vcc, |v[10:11]|, s[20:21]
	v_trig_preop_f64 v[2:3], |v[10:11]|, 0
	v_cndmask_b32_e32 v87, v4, v87, vcc
	v_cndmask_b32_e32 v86, v10, v86, vcc
	v_trig_preop_f64 v[84:85], |v[10:11]|, 1
	v_mul_f64 v[96:97], v[2:3], v[86:87]
	v_mul_f64 v[88:89], v[84:85], v[86:87]
	v_fma_f64 v[2:3], v[2:3], v[86:87], -v[96:97]
	v_add_f64 v[98:99], v[88:89], v[2:3]
	v_add_f64 v[100:101], v[96:97], v[98:99]
	v_ldexp_f64 v[102:103], v[100:101], -2
	v_fract_f64_e32 v[104:105], v[102:103]
	v_cmp_neq_f64_e64 vcc, |v[102:103]|, s[22:23]
	v_cndmask_b32_e32 v103, 0, v105, vcc
	v_cndmask_b32_e32 v102, 0, v104, vcc
	v_add_f64 v[104:105], v[98:99], -v[88:89]
	v_add_f64 v[2:3], v[2:3], -v[104:105]
	;; [unrolled: 1-line block ×4, first 2 shown]
	v_fma_f64 v[84:85], v[84:85], v[86:87], -v[88:89]
	v_trig_preop_f64 v[88:89], |v[10:11]|, 2
	v_add_f64 v[2:3], v[2:3], v[104:105]
	v_mul_f64 v[104:105], v[88:89], v[86:87]
	v_add_f64 v[106:107], v[104:105], v[84:85]
	v_add_f64 v[108:109], v[106:107], v[2:3]
	v_add_f64 v[96:97], v[100:101], -v[96:97]
	v_add_f64 v[100:101], v[108:109], -v[106:107]
	;; [unrolled: 1-line block ×5, first 2 shown]
	v_add_f64 v[2:3], v[2:3], v[100:101]
	v_add_f64 v[100:101], v[106:107], -v[104:105]
	v_add_f64 v[84:85], v[84:85], -v[100:101]
	;; [unrolled: 1-line block ×4, first 2 shown]
	v_add_f64 v[84:85], v[84:85], v[100:101]
	v_add_f64 v[96:97], v[98:99], -v[96:97]
	v_add_f64 v[2:3], v[84:85], v[2:3]
	v_fma_f64 v[84:85], v[88:89], v[86:87], -v[104:105]
	v_add_f64 v[98:99], v[96:97], v[108:109]
	v_add_f64 v[2:3], v[84:85], v[2:3]
	v_ldexp_f64 v[84:85], v[102:103], 2
	v_add_f64 v[86:87], v[98:99], v[84:85]
	v_cmp_gt_f64_e32 vcc, 0, v[86:87]
	v_cndmask_b32_e32 v23, 0, v91, vcc
	v_add_f64 v[84:85], v[84:85], v[22:23]
	v_add_f64 v[86:87], v[98:99], v[84:85]
	v_cvt_i32_f64_e32 v4, v[86:87]
	v_cvt_f64_i32_e32 v[86:87], v4
	v_add_f64 v[84:85], v[84:85], -v[86:87]
	v_add_f64 v[96:97], v[98:99], -v[96:97]
	v_add_f64 v[86:87], v[98:99], v[84:85]
	v_add_f64 v[96:97], v[108:109], -v[96:97]
	v_add_f64 v[84:85], v[86:87], -v[84:85]
	v_cmp_le_f64_e32 vcc, 0.5, v[86:87]
	v_add_f64 v[2:3], v[96:97], v[2:3]
	v_add_f64 v[84:85], v[98:99], -v[84:85]
	v_cndmask_b32_e32 v23, 0, v92, vcc
	v_add_f64 v[2:3], v[2:3], v[84:85]
	v_add_f64 v[84:85], v[86:87], -v[22:23]
	v_add_f64 v[86:87], v[84:85], v[2:3]
	v_add_f64 v[84:85], v[86:87], -v[84:85]
	s_mov_b32 s24, s26
	v_add_f64 v[2:3], v[2:3], -v[84:85]
	v_mul_f64 v[84:85], v[86:87], s[24:25]
	v_fma_f64 v[88:89], v[86:87], s[24:25], -v[84:85]
	s_mov_b32 s31, s29
	v_fmac_f64_e32 v[88:89], s[30:31], v[86:87]
	v_fmac_f64_e32 v[88:89], s[24:25], v[2:3]
	v_add_f64 v[2:3], v[84:85], v[88:89]
	v_add_f64 v[84:85], v[2:3], -v[84:85]
	v_addc_co_u32_e64 v4, s[8:9], 0, v4, vcc
	v_add_f64 v[84:85], v[88:89], -v[84:85]
.LBB94_174:                             ;   in Loop: Header=BB94_161 Depth=1
	s_andn2_saveexec_b64 s[8:9], s[56:57]
	s_cbranch_execz .LBB94_176
; %bb.175:                              ;   in Loop: Header=BB94_161 Depth=1
	v_mul_f64 v[2:3], |v[10:11]|, s[34:35]
	v_rndne_f64_e32 v[86:87], v[2:3]
	v_fma_f64 v[2:3], v[86:87], s[26:27], |v[10:11]|
	v_mul_f64 v[88:89], v[86:87], s[36:37]
	v_add_f64 v[98:99], v[2:3], v[88:89]
	v_fma_f64 v[84:85], s[36:37], v[86:87], v[2:3]
	s_mov_b32 s28, s36
	v_add_f64 v[2:3], v[2:3], -v[98:99]
	v_fma_f64 v[96:97], s[28:29], v[86:87], v[88:89]
	v_add_f64 v[2:3], v[2:3], v[88:89]
	v_add_f64 v[88:89], v[98:99], -v[84:85]
	v_add_f64 v[2:3], v[88:89], v[2:3]
	v_add_f64 v[88:89], v[2:3], -v[96:97]
	v_fmac_f64_e32 v[88:89], s[38:39], v[86:87]
	v_add_f64 v[2:3], v[84:85], v[88:89]
	v_add_f64 v[84:85], v[2:3], -v[84:85]
	v_add_f64 v[84:85], v[88:89], -v[84:85]
	v_cvt_i32_f64_e32 v4, v[86:87]
.LBB94_176:                             ;   in Loop: Header=BB94_161 Depth=1
	s_or_b64 exec, exec, s[8:9]
	v_mul_f64 v[86:87], v[2:3], v[2:3]
	v_fma_f64 v[88:89], v[2:3], v[2:3], -v[86:87]
	v_add_f64 v[96:97], v[84:85], v[84:85]
	v_fmac_f64_e32 v[88:89], v[2:3], v[96:97]
	s_mov_b32 s8, 0xc751c08c
	v_add_f64 v[86:87], v[86:87], v[88:89]
	v_pk_mov_b32 v[88:89], v[34:35], v[34:35] op_sel:[0,1]
	s_mov_b32 s9, 0x3ef5e089
	v_fmac_f64_e32 v[88:89], s[8:9], v[86:87]
	v_pk_mov_b32 v[96:97], v[36:37], v[36:37] op_sel:[0,1]
	v_fmac_f64_e32 v[96:97], v[86:87], v[88:89]
	v_pk_mov_b32 v[88:89], v[38:39], v[38:39] op_sel:[0,1]
	;; [unrolled: 2-line block ×12, first 2 shown]
	v_fmac_f64_e32 v[88:89], v[86:87], v[96:97]
	v_mul_f64 v[86:87], v[86:87], v[88:89]
	v_mul_f64 v[88:89], v[2:3], v[86:87]
	v_add_f64 v[96:97], v[2:3], v[88:89]
	v_fma_f64 v[86:87], v[2:3], v[86:87], -v[88:89]
	v_add_f64 v[2:3], v[96:97], -v[2:3]
	v_add_f64 v[2:3], v[88:89], -v[2:3]
	v_add_f64 v[84:85], v[84:85], v[86:87]
	v_add_f64 v[2:3], v[84:85], v[2:3]
	v_add_f64 v[84:85], v[96:97], v[2:3]
	v_rcp_f64_e32 v[86:87], v[84:85]
	v_add_f64 v[88:89], v[84:85], -v[96:97]
	v_add_f64 v[2:3], v[2:3], -v[88:89]
	v_and_b32_e32 v4, 1, v4
	v_fma_f64 v[88:89], -v[84:85], v[86:87], 1.0
	v_fmac_f64_e32 v[86:87], v[88:89], v[86:87]
	v_fma_f64 v[88:89], -v[84:85], v[86:87], 1.0
	v_fmac_f64_e32 v[86:87], v[88:89], v[86:87]
	v_mul_f64 v[88:89], v[84:85], v[86:87]
	v_fma_f64 v[96:97], v[86:87], v[84:85], -v[88:89]
	v_fmac_f64_e32 v[96:97], v[86:87], v[2:3]
	v_add_f64 v[2:3], v[88:89], v[96:97]
	v_add_f64 v[98:99], -v[2:3], 1.0
	v_add_f64 v[88:89], v[2:3], -v[88:89]
	v_add_f64 v[100:101], -v[98:99], 1.0
	v_add_f64 v[2:3], v[100:101], -v[2:3]
	v_add_f64 v[88:89], v[88:89], -v[96:97]
	v_add_f64 v[2:3], v[88:89], v[2:3]
	v_add_f64 v[2:3], v[98:99], v[2:3]
	v_mul_f64 v[2:3], v[86:87], v[2:3]
	v_add_f64 v[2:3], v[86:87], v[2:3]
	v_xor_b32_e32 v3, 0x80000000, v3
	v_cmp_eq_u32_e32 vcc, 0, v4
	v_cndmask_b32_e32 v2, v2, v84, vcc
	v_cndmask_b32_e32 v3, v3, v85, vcc
	v_add_f64 v[84:85], |v[12:13]|, s[42:43]
	v_add_f64 v[86:87], v[84:85], -|v[12:13]|
	v_add_f64 v[88:89], v[86:87], -v[84:85]
	s_mov_b32 s44, s42
	v_add_f64 v[88:89], |v[12:13]|, v[88:89]
	v_add_f64 v[86:87], v[86:87], s[44:45]
	s_mov_b32 s8, 0x3b39803f
	v_add_f64 v[86:87], v[88:89], -v[86:87]
	s_mov_b32 s9, 0xbc7abc9e
	v_add_f64 v[86:87], v[86:87], s[8:9]
	v_add_f64 v[88:89], v[84:85], v[86:87]
	s_mov_b32 s8, 0x652b82fe
	v_add_f64 v[84:85], v[84:85], -v[88:89]
	s_mov_b32 s9, 0xbff71547
	s_mov_b32 s48, s8
	v_add_f64 v[84:85], v[86:87], v[84:85]
	v_mul_f64 v[86:87], v[88:89], s[48:49]
	v_rndne_f64_e32 v[86:87], v[86:87]
	s_mov_b32 s53, s43
	v_fmac_f64_e32 v[88:89], s[52:53], v[86:87]
	v_add_f64 v[96:97], v[84:85], v[88:89]
	s_mov_b32 s8, 0xf278e000
	v_add_f64 v[88:89], v[88:89], -v[96:97]
	s_mov_b32 s9, 0xbd53de6a
	v_add_f64 v[84:85], v[84:85], v[88:89]
	v_mul_f64 v[88:89], v[86:87], s[8:9]
	v_add_f64 v[98:99], v[96:97], v[88:89]
	v_add_f64 v[96:97], v[96:97], -v[98:99]
	v_add_f64 v[88:89], v[96:97], v[88:89]
	v_add_f64 v[84:85], v[84:85], v[88:89]
	;; [unrolled: 1-line block ×3, first 2 shown]
	s_mov_b32 s8, 0xf97b57a0
	v_add_f64 v[96:97], v[98:99], -v[88:89]
	s_mov_b32 s9, 0xbac9cc01
	v_add_f64 v[84:85], v[84:85], v[96:97]
	v_mul_f64 v[96:97], v[86:87], s[8:9]
	v_add_f64 v[98:99], v[88:89], v[96:97]
	v_add_f64 v[88:89], v[88:89], -v[98:99]
	v_add_f64 v[88:89], v[88:89], v[96:97]
	v_add_f64 v[84:85], v[84:85], v[88:89]
	;; [unrolled: 1-line block ×3, first 2 shown]
	v_add_f64 v[96:97], v[98:99], -v[88:89]
	s_mov_b32 s8, 0x6a5dcb37
	v_add_f64 v[84:85], v[84:85], v[96:97]
	v_pk_mov_b32 v[96:97], v[60:61], v[60:61] op_sel:[0,1]
	s_mov_b32 s9, 0x3e5ade15
	v_fmac_f64_e32 v[96:97], s[8:9], v[88:89]
	v_pk_mov_b32 v[98:99], v[62:63], v[62:63] op_sel:[0,1]
	v_fmac_f64_e32 v[98:99], v[88:89], v[96:97]
	v_pk_mov_b32 v[96:97], v[64:65], v[64:65] op_sel:[0,1]
	;; [unrolled: 2-line block ×8, first 2 shown]
	v_fmac_f64_e32 v[96:97], v[88:89], v[98:99]
	v_mul_f64 v[98:99], v[88:89], v[88:89]
	v_fma_f64 v[100:101], v[88:89], v[88:89], -v[98:99]
	v_add_f64 v[102:103], v[84:85], v[84:85]
	v_fmac_f64_e32 v[100:101], v[88:89], v[102:103]
	v_add_f64 v[102:103], v[98:99], v[100:101]
	v_add_f64 v[98:99], v[102:103], -v[98:99]
	v_add_f64 v[98:99], v[100:101], -v[98:99]
	v_mul_f64 v[100:101], v[102:103], v[96:97]
	v_fma_f64 v[102:103], v[102:103], v[96:97], -v[100:101]
	v_fmac_f64_e32 v[102:103], v[98:99], v[96:97]
	v_add_f64 v[96:97], v[100:101], v[102:103]
	v_add_f64 v[98:99], v[96:97], -v[100:101]
	v_add_f64 v[100:101], v[88:89], v[96:97]
	v_add_f64 v[98:99], v[102:103], -v[98:99]
	v_add_f64 v[88:89], v[100:101], -v[88:89]
	;; [unrolled: 1-line block ×3, first 2 shown]
	v_add_f64 v[84:85], v[84:85], v[98:99]
	v_add_f64 v[84:85], v[84:85], v[88:89]
	;; [unrolled: 1-line block ×3, first 2 shown]
	v_add_f64 v[96:97], v[88:89], -v[100:101]
	v_add_f64 v[84:85], v[84:85], -v[96:97]
	v_add_f64 v[96:97], v[88:89], 1.0
	v_add_f64 v[98:99], v[96:97], -1.0
	v_add_f64 v[88:89], v[88:89], -v[98:99]
	v_add_f64 v[84:85], v[84:85], v[88:89]
	v_add_f64 v[88:89], v[96:97], v[84:85]
	v_cvt_i32_f64_e32 v4, v[86:87]
	v_ldexp_f64 v[86:87], v[88:89], v4
	v_rcp_f64_e32 v[98:99], v[86:87]
	v_add_f64 v[88:89], v[88:89], -v[96:97]
	v_add_f64 v[84:85], v[84:85], -v[88:89]
	v_ldexp_f64 v[84:85], v[84:85], v4
	v_fma_f64 v[88:89], -v[86:87], v[98:99], 1.0
	v_fmac_f64_e32 v[98:99], v[88:89], v[98:99]
	v_fma_f64 v[88:89], -v[86:87], v[98:99], 1.0
	v_fmac_f64_e32 v[98:99], v[88:89], v[98:99]
	v_mul_f64 v[88:89], v[86:87], v[98:99]
	v_fma_f64 v[96:97], v[98:99], v[86:87], -v[88:89]
	v_fmac_f64_e32 v[96:97], v[98:99], v[84:85]
	v_add_f64 v[100:101], v[88:89], v[96:97]
	v_add_f64 v[102:103], -v[100:101], 1.0
	v_add_f64 v[88:89], v[100:101], -v[88:89]
	v_add_f64 v[104:105], -v[102:103], 1.0
	v_add_f64 v[100:101], v[104:105], -v[100:101]
	v_add_f64 v[88:89], v[88:89], -v[96:97]
	v_add_f64 v[88:89], v[88:89], v[100:101]
	v_add_f64 v[96:97], v[102:103], v[88:89]
	v_add_f64 v[100:101], v[102:103], -v[96:97]
	v_add_f64 v[88:89], v[88:89], v[100:101]
	v_mul_f64 v[100:101], v[98:99], v[96:97]
	v_mul_f64 v[102:103], v[86:87], v[100:101]
	v_fma_f64 v[104:105], v[100:101], v[86:87], -v[102:103]
	v_fmac_f64_e32 v[104:105], v[100:101], v[84:85]
	v_add_f64 v[106:107], v[102:103], v[104:105]
	v_add_f64 v[108:109], v[96:97], -v[106:107]
	v_add_f64 v[96:97], v[96:97], -v[108:109]
	;; [unrolled: 1-line block ×4, first 2 shown]
	v_add_f64 v[88:89], v[88:89], v[96:97]
	v_add_f64 v[96:97], v[102:103], -v[104:105]
	v_add_f64 v[88:89], v[96:97], v[88:89]
	v_add_f64 v[88:89], v[108:109], v[88:89]
	;; [unrolled: 1-line block ×3, first 2 shown]
	v_mul_f64 v[88:89], v[98:99], v[88:89]
	v_add_f64 v[98:99], v[96:97], -v[98:99]
	v_add_f64 v[98:99], v[100:101], -v[98:99]
	v_add_f64 v[88:89], v[98:99], v[88:89]
	v_add_f64 v[98:99], v[96:97], v[88:89]
	v_add_f64 v[96:97], v[98:99], -v[96:97]
	v_add_f64 v[88:89], v[88:89], -v[96:97]
	v_ldexp_f64 v[96:97], v[98:99], -2
	v_add_f64 v[98:99], v[86:87], -v[96:97]
	v_add_f64 v[86:87], v[86:87], -v[98:99]
	;; [unrolled: 1-line block ×3, first 2 shown]
	s_mov_b32 s8, 0x8fb9f87e
	v_ldexp_f64 v[88:89], v[88:89], -2
	v_add_f64 v[84:85], v[84:85], v[86:87]
	s_mov_b32 s9, 0x408633ce
	v_add_f64 v[84:85], v[84:85], -v[88:89]
	v_cmp_nge_f64_e64 vcc, |v[12:13]|, s[8:9]
	s_mov_b32 s8, 0
	v_add_f64 v[84:85], v[98:99], v[84:85]
	s_mov_b32 s9, 0x3e400000
	v_and_b32_e32 v10, 0x7fffffff, v13
	v_cndmask_b32_e32 v23, v93, v85, vcc
	v_cndmask_b32_e32 v4, 0, v84, vcc
	v_cmp_lt_f64_e64 vcc, |v[12:13]|, s[8:9]
	v_cndmask_b32_e32 v10, v23, v10, vcc
	v_cndmask_b32_e32 v4, v4, v12, vcc
	v_bfi_b32 v5, s46, v10, v5
	s_mov_b32 s8, 0
	v_fma_f64 v[12:13], v[4:5], v[4:5], 1.0
	s_brev_b32 s9, 8
	v_cmp_gt_f64_e32 vcc, s[8:9], v[12:13]
	v_cndmask_b32_e64 v10, 0, 1, vcc
	v_lshlrev_b32_e32 v10, 8, v10
	v_ldexp_f64 v[12:13], v[12:13], v10
	v_rsq_f64_e32 v[84:85], v[12:13]
	v_and_b32_e32 v10, 0x80000000, v11
	v_cndmask_b32_e32 v23, 0, v94, vcc
	v_xor_b32_e32 v3, v3, v10
	v_mul_f64 v[86:87], v[12:13], v[84:85]
	v_mul_f64 v[84:85], v[84:85], 0.5
	v_fma_f64 v[88:89], -v[84:85], v[86:87], 0.5
	v_fmac_f64_e32 v[86:87], v[86:87], v[88:89]
	v_fma_f64 v[96:97], -v[86:87], v[86:87], v[12:13]
	v_fmac_f64_e32 v[84:85], v[84:85], v[88:89]
	v_fmac_f64_e32 v[86:87], v[96:97], v[84:85]
	v_fma_f64 v[88:89], -v[86:87], v[86:87], v[12:13]
	v_fmac_f64_e32 v[86:87], v[88:89], v[84:85]
	v_ldexp_f64 v[84:85], v[86:87], v23
	v_cmp_class_f64_e32 vcc, v[12:13], v90
	v_fma_f64 v[10:11], v[2:3], v[2:3], 1.0
	v_cndmask_b32_e32 v13, v85, v13, vcc
	v_cndmask_b32_e32 v12, v84, v12, vcc
	v_mul_f64 v[84:85], v[4:5], v[10:11]
	v_mul_f64 v[10:11], v[12:13], v[10:11]
	v_fma_f64 v[84:85], v[4:5], v[84:85], 1.0
	v_mul_f64 v[4:5], v[4:5], v[10:11]
	v_div_scale_f64 v[10:11], s[8:9], v[84:85], v[84:85], v[4:5]
	v_rcp_f64_e32 v[12:13], v[10:11]
	v_fma_f64 v[86:87], -v[10:11], v[12:13], 1.0
	v_fmac_f64_e32 v[12:13], v[12:13], v[86:87]
	v_fma_f64 v[86:87], -v[10:11], v[12:13], 1.0
	v_fmac_f64_e32 v[12:13], v[12:13], v[86:87]
	v_div_scale_f64 v[86:87], vcc, v[4:5], v[84:85], v[4:5]
	v_mul_f64 v[88:89], v[86:87], v[12:13]
	v_fma_f64 v[10:11], -v[10:11], v[88:89], v[86:87]
	v_div_scale_f64 v[86:87], s[8:9], v[84:85], v[84:85], v[2:3]
	v_rcp_f64_e32 v[96:97], v[86:87]
	v_div_fmas_f64 v[10:11], v[10:11], v[12:13], v[88:89]
	v_div_fixup_f64 v[4:5], v[10:11], v[84:85], v[4:5]
	v_fma_f64 v[10:11], -v[86:87], v[96:97], 1.0
	v_fmac_f64_e32 v[96:97], v[96:97], v[10:11]
	v_fma_f64 v[10:11], -v[86:87], v[96:97], 1.0
	v_fmac_f64_e32 v[96:97], v[96:97], v[10:11]
	v_div_scale_f64 v[10:11], vcc, v[2:3], v[84:85], v[2:3]
	v_mul_f64 v[12:13], v[10:11], v[96:97]
	v_fma_f64 v[10:11], -v[86:87], v[12:13], v[10:11]
	s_nop 1
	v_div_fmas_f64 v[10:11], v[10:11], v[96:97], v[12:13]
	v_div_fixup_f64 v[2:3], v[10:11], v[84:85], v[2:3]
                                        ; implicit-def: $vgpr10_vgpr11
.LBB94_177:                             ;   in Loop: Header=BB94_161 Depth=1
	s_andn2_saveexec_b64 s[54:55], s[54:55]
	s_cbranch_execz .LBB94_197
; %bb.178:                              ;   in Loop: Header=BB94_161 Depth=1
	v_cmp_nlt_f64_e64 s[56:57], |v[10:11]|, s[18:19]
                                        ; implicit-def: $vgpr4
                                        ; implicit-def: $vgpr2_vgpr3
                                        ; implicit-def: $vgpr84_vgpr85
	s_and_saveexec_b64 s[8:9], s[56:57]
	s_xor_b64 s[64:65], exec, s[8:9]
	s_cbranch_execz .LBB94_180
; %bb.179:                              ;   in Loop: Header=BB94_161 Depth=1
	v_and_b32_e32 v4, 0x7fffffff, v11
	v_ldexp_f64 v[86:87], |v[10:11]|, s59
	v_cmp_ge_f64_e64 vcc, |v[10:11]|, s[20:21]
	v_trig_preop_f64 v[2:3], |v[10:11]|, 0
	v_cndmask_b32_e32 v87, v4, v87, vcc
	v_cndmask_b32_e32 v86, v10, v86, vcc
	v_trig_preop_f64 v[84:85], |v[10:11]|, 1
	v_mul_f64 v[96:97], v[2:3], v[86:87]
	v_mul_f64 v[88:89], v[84:85], v[86:87]
	v_fma_f64 v[2:3], v[2:3], v[86:87], -v[96:97]
	v_add_f64 v[98:99], v[88:89], v[2:3]
	v_add_f64 v[100:101], v[96:97], v[98:99]
	v_ldexp_f64 v[102:103], v[100:101], -2
	v_fract_f64_e32 v[104:105], v[102:103]
	v_cmp_neq_f64_e64 vcc, |v[102:103]|, s[22:23]
	v_cndmask_b32_e32 v103, 0, v105, vcc
	v_cndmask_b32_e32 v102, 0, v104, vcc
	v_add_f64 v[104:105], v[98:99], -v[88:89]
	v_add_f64 v[2:3], v[2:3], -v[104:105]
	;; [unrolled: 1-line block ×4, first 2 shown]
	v_fma_f64 v[84:85], v[84:85], v[86:87], -v[88:89]
	v_trig_preop_f64 v[88:89], |v[10:11]|, 2
	v_add_f64 v[2:3], v[2:3], v[104:105]
	v_mul_f64 v[104:105], v[88:89], v[86:87]
	v_add_f64 v[106:107], v[104:105], v[84:85]
	v_add_f64 v[108:109], v[106:107], v[2:3]
	v_add_f64 v[96:97], v[100:101], -v[96:97]
	v_add_f64 v[100:101], v[108:109], -v[106:107]
	;; [unrolled: 1-line block ×5, first 2 shown]
	v_add_f64 v[2:3], v[2:3], v[100:101]
	v_add_f64 v[100:101], v[106:107], -v[104:105]
	v_add_f64 v[84:85], v[84:85], -v[100:101]
	;; [unrolled: 1-line block ×4, first 2 shown]
	v_add_f64 v[84:85], v[84:85], v[100:101]
	v_add_f64 v[96:97], v[98:99], -v[96:97]
	v_add_f64 v[2:3], v[84:85], v[2:3]
	v_fma_f64 v[84:85], v[88:89], v[86:87], -v[104:105]
	v_add_f64 v[98:99], v[96:97], v[108:109]
	v_add_f64 v[2:3], v[84:85], v[2:3]
	v_ldexp_f64 v[84:85], v[102:103], 2
	v_add_f64 v[86:87], v[98:99], v[84:85]
	v_cmp_gt_f64_e32 vcc, 0, v[86:87]
	v_cndmask_b32_e32 v23, 0, v91, vcc
	v_add_f64 v[84:85], v[84:85], v[22:23]
	v_add_f64 v[86:87], v[98:99], v[84:85]
	v_cvt_i32_f64_e32 v4, v[86:87]
	v_cvt_f64_i32_e32 v[86:87], v4
	v_add_f64 v[84:85], v[84:85], -v[86:87]
	v_add_f64 v[96:97], v[98:99], -v[96:97]
	v_add_f64 v[86:87], v[98:99], v[84:85]
	v_add_f64 v[96:97], v[108:109], -v[96:97]
	v_add_f64 v[84:85], v[86:87], -v[84:85]
	v_cmp_le_f64_e32 vcc, 0.5, v[86:87]
	v_add_f64 v[2:3], v[96:97], v[2:3]
	v_add_f64 v[84:85], v[98:99], -v[84:85]
	v_cndmask_b32_e32 v23, 0, v92, vcc
	v_add_f64 v[2:3], v[2:3], v[84:85]
	v_add_f64 v[84:85], v[86:87], -v[22:23]
	v_add_f64 v[86:87], v[84:85], v[2:3]
	v_add_f64 v[84:85], v[86:87], -v[84:85]
	s_mov_b32 s24, s26
	v_add_f64 v[2:3], v[2:3], -v[84:85]
	v_mul_f64 v[84:85], v[86:87], s[24:25]
	v_fma_f64 v[88:89], v[86:87], s[24:25], -v[84:85]
	s_mov_b32 s31, s29
	v_fmac_f64_e32 v[88:89], s[30:31], v[86:87]
	v_fmac_f64_e32 v[88:89], s[24:25], v[2:3]
	v_add_f64 v[2:3], v[84:85], v[88:89]
	v_add_f64 v[84:85], v[2:3], -v[84:85]
	v_addc_co_u32_e64 v4, s[8:9], 0, v4, vcc
	v_add_f64 v[84:85], v[88:89], -v[84:85]
	s_andn2_saveexec_b64 s[8:9], s[64:65]
	s_cbranch_execz .LBB94_182
	s_branch .LBB94_181
.LBB94_180:                             ;   in Loop: Header=BB94_161 Depth=1
	s_andn2_saveexec_b64 s[8:9], s[64:65]
	s_cbranch_execz .LBB94_182
.LBB94_181:                             ;   in Loop: Header=BB94_161 Depth=1
	v_mul_f64 v[2:3], |v[10:11]|, s[34:35]
	v_rndne_f64_e32 v[86:87], v[2:3]
	v_fma_f64 v[2:3], v[86:87], s[26:27], |v[10:11]|
	v_mul_f64 v[88:89], v[86:87], s[36:37]
	v_add_f64 v[98:99], v[2:3], v[88:89]
	v_fma_f64 v[84:85], s[36:37], v[86:87], v[2:3]
	s_mov_b32 s28, s36
	v_add_f64 v[2:3], v[2:3], -v[98:99]
	v_fma_f64 v[96:97], s[28:29], v[86:87], v[88:89]
	v_add_f64 v[2:3], v[2:3], v[88:89]
	v_add_f64 v[88:89], v[98:99], -v[84:85]
	v_add_f64 v[2:3], v[88:89], v[2:3]
	v_add_f64 v[88:89], v[2:3], -v[96:97]
	v_fmac_f64_e32 v[88:89], s[38:39], v[86:87]
	v_add_f64 v[2:3], v[84:85], v[88:89]
	v_add_f64 v[84:85], v[2:3], -v[84:85]
	v_add_f64 v[84:85], v[88:89], -v[84:85]
	v_cvt_i32_f64_e32 v4, v[86:87]
.LBB94_182:                             ;   in Loop: Header=BB94_161 Depth=1
	s_or_b64 exec, exec, s[8:9]
                                        ; implicit-def: $vgpr96
                                        ; implicit-def: $vgpr86_vgpr87
                                        ; implicit-def: $vgpr88_vgpr89
	s_and_saveexec_b64 s[8:9], s[56:57]
	s_xor_b64 s[56:57], exec, s[8:9]
	s_cbranch_execz .LBB94_184
; %bb.183:                              ;   in Loop: Header=BB94_161 Depth=1
	v_and_b32_e32 v23, 0x7fffffff, v11
	v_ldexp_f64 v[96:97], |v[10:11]|, s59
	v_cmp_ge_f64_e64 vcc, |v[10:11]|, s[20:21]
	v_trig_preop_f64 v[86:87], |v[10:11]|, 0
	v_cndmask_b32_e32 v97, v23, v97, vcc
	v_cndmask_b32_e32 v96, v10, v96, vcc
	v_trig_preop_f64 v[88:89], |v[10:11]|, 1
	v_mul_f64 v[100:101], v[86:87], v[96:97]
	v_mul_f64 v[98:99], v[88:89], v[96:97]
	v_fma_f64 v[86:87], v[86:87], v[96:97], -v[100:101]
	v_add_f64 v[102:103], v[98:99], v[86:87]
	v_add_f64 v[104:105], v[100:101], v[102:103]
	v_ldexp_f64 v[106:107], v[104:105], -2
	v_fract_f64_e32 v[108:109], v[106:107]
	v_cmp_neq_f64_e64 vcc, |v[106:107]|, s[22:23]
	v_cndmask_b32_e32 v107, 0, v109, vcc
	v_cndmask_b32_e32 v106, 0, v108, vcc
	v_add_f64 v[108:109], v[102:103], -v[98:99]
	v_add_f64 v[86:87], v[86:87], -v[108:109]
	;; [unrolled: 1-line block ×4, first 2 shown]
	v_fma_f64 v[88:89], v[88:89], v[96:97], -v[98:99]
	v_trig_preop_f64 v[98:99], |v[10:11]|, 2
	v_add_f64 v[86:87], v[86:87], v[108:109]
	v_mul_f64 v[108:109], v[98:99], v[96:97]
	v_add_f64 v[110:111], v[108:109], v[88:89]
	v_add_f64 v[112:113], v[110:111], v[86:87]
	v_add_f64 v[100:101], v[104:105], -v[100:101]
	v_add_f64 v[104:105], v[112:113], -v[110:111]
	;; [unrolled: 1-line block ×5, first 2 shown]
	v_add_f64 v[86:87], v[86:87], v[104:105]
	v_add_f64 v[104:105], v[110:111], -v[108:109]
	v_add_f64 v[88:89], v[88:89], -v[104:105]
	;; [unrolled: 1-line block ×4, first 2 shown]
	v_add_f64 v[88:89], v[88:89], v[104:105]
	v_add_f64 v[100:101], v[102:103], -v[100:101]
	v_add_f64 v[86:87], v[88:89], v[86:87]
	v_fma_f64 v[88:89], v[98:99], v[96:97], -v[108:109]
	v_add_f64 v[102:103], v[100:101], v[112:113]
	v_add_f64 v[86:87], v[88:89], v[86:87]
	v_ldexp_f64 v[88:89], v[106:107], 2
	v_add_f64 v[96:97], v[102:103], v[88:89]
	v_cmp_gt_f64_e32 vcc, 0, v[96:97]
	v_cndmask_b32_e32 v23, 0, v91, vcc
	v_add_f64 v[88:89], v[88:89], v[22:23]
	v_add_f64 v[96:97], v[102:103], v[88:89]
	v_cvt_i32_f64_e32 v23, v[96:97]
	v_cvt_f64_i32_e32 v[96:97], v23
	v_add_f64 v[88:89], v[88:89], -v[96:97]
	v_add_f64 v[100:101], v[102:103], -v[100:101]
	v_add_f64 v[98:99], v[102:103], v[88:89]
	v_add_f64 v[100:101], v[112:113], -v[100:101]
	v_add_f64 v[88:89], v[98:99], -v[88:89]
	v_cmp_le_f64_e32 vcc, 0.5, v[98:99]
	v_add_f64 v[86:87], v[100:101], v[86:87]
	v_add_f64 v[88:89], v[102:103], -v[88:89]
	v_addc_co_u32_e64 v96, s[8:9], 0, v23, vcc
	v_cndmask_b32_e32 v23, 0, v92, vcc
	v_add_f64 v[86:87], v[86:87], v[88:89]
	v_add_f64 v[88:89], v[98:99], -v[22:23]
	v_add_f64 v[98:99], v[88:89], v[86:87]
	v_add_f64 v[88:89], v[98:99], -v[88:89]
	s_mov_b32 s24, s26
	v_add_f64 v[86:87], v[86:87], -v[88:89]
	v_mul_f64 v[88:89], v[98:99], s[24:25]
	v_fma_f64 v[100:101], v[98:99], s[24:25], -v[88:89]
	s_mov_b32 s31, s29
	v_fmac_f64_e32 v[100:101], s[30:31], v[98:99]
	v_fmac_f64_e32 v[100:101], s[24:25], v[86:87]
	v_add_f64 v[86:87], v[88:89], v[100:101]
	v_add_f64 v[88:89], v[86:87], -v[88:89]
	v_add_f64 v[88:89], v[100:101], -v[88:89]
	s_andn2_saveexec_b64 s[8:9], s[56:57]
	s_cbranch_execnz .LBB94_185
	s_branch .LBB94_186
.LBB94_184:                             ;   in Loop: Header=BB94_161 Depth=1
	s_andn2_saveexec_b64 s[8:9], s[56:57]
	s_cbranch_execz .LBB94_186
.LBB94_185:                             ;   in Loop: Header=BB94_161 Depth=1
	v_mul_f64 v[86:87], |v[10:11]|, s[34:35]
	v_rndne_f64_e32 v[96:97], v[86:87]
	v_fma_f64 v[86:87], v[96:97], s[26:27], |v[10:11]|
	v_mul_f64 v[98:99], v[96:97], s[36:37]
	v_add_f64 v[102:103], v[86:87], v[98:99]
	v_fma_f64 v[88:89], s[36:37], v[96:97], v[86:87]
	s_mov_b32 s28, s36
	v_add_f64 v[86:87], v[86:87], -v[102:103]
	v_fma_f64 v[100:101], s[28:29], v[96:97], v[98:99]
	v_add_f64 v[86:87], v[86:87], v[98:99]
	v_add_f64 v[98:99], v[102:103], -v[88:89]
	v_add_f64 v[86:87], v[98:99], v[86:87]
	v_add_f64 v[98:99], v[86:87], -v[100:101]
	v_fmac_f64_e32 v[98:99], s[38:39], v[96:97]
	v_add_f64 v[86:87], v[88:89], v[98:99]
	v_add_f64 v[88:89], v[86:87], -v[88:89]
	v_add_f64 v[88:89], v[98:99], -v[88:89]
	v_cvt_i32_f64_e32 v96, v[96:97]
.LBB94_186:                             ;   in Loop: Header=BB94_161 Depth=1
	s_or_b64 exec, exec, s[8:9]
	v_mul_f64 v[98:99], v[2:3], v[2:3]
	v_pk_mov_b32 v[106:107], s[70:71], s[70:71] op_sel:[0,1]
	v_mul_f64 v[100:101], v[98:99], 0.5
	v_fma_f64 v[108:109], s[72:73], v[98:99], v[106:107]
	v_add_f64 v[102:103], -v[100:101], 1.0
	v_fma_f64 v[108:109], v[98:99], v[108:109], s[74:75]
	v_add_f64 v[104:105], -v[102:103], 1.0
	v_fma_f64 v[108:109], v[98:99], v[108:109], s[76:77]
	v_add_f64 v[100:101], v[104:105], -v[100:101]
	v_fma_f64 v[108:109], v[98:99], v[108:109], s[78:79]
	v_mul_f64 v[104:105], v[98:99], v[98:99]
	v_fma_f64 v[108:109], v[98:99], v[108:109], s[62:63]
	v_fma_f64 v[100:101], v[2:3], -v[84:85], v[100:101]
	v_fmac_f64_e32 v[100:101], v[104:105], v[108:109]
	v_add_f64 v[100:101], v[102:103], v[100:101]
	v_pk_mov_b32 v[102:103], s[80:81], s[80:81] op_sel:[0,1]
	v_fma_f64 v[104:105], s[82:83], v[98:99], v[102:103]
	v_fma_f64 v[104:105], v[98:99], v[104:105], s[84:85]
	;; [unrolled: 1-line block ×4, first 2 shown]
	v_mul_f64 v[108:109], v[2:3], -v[98:99]
	v_mul_f64 v[110:111], v[84:85], 0.5
	s_mov_b32 s8, 0x652b82fe
	v_fmac_f64_e32 v[110:111], v[108:109], v[104:105]
	v_and_b32_e32 v10, 1, v4
	v_lshlrev_b32_e32 v4, 30, v4
	s_mov_b32 s9, 0xbff71547
	v_fma_f64 v[84:85], v[98:99], v[110:111], -v[84:85]
	s_mov_b32 s88, s62
	v_cmp_eq_u32_e32 vcc, 0, v10
	v_xor_b32_e32 v4, v4, v11
	v_mul_f64 v[10:11], |v[12:13]|, s[8:9]
	v_fmac_f64_e32 v[84:85], s[88:89], v[108:109]
	v_rndne_f64_e32 v[10:11], v[10:11]
	s_mov_b32 s8, 0x3b39803f
	v_add_f64 v[2:3], v[2:3], -v[84:85]
	v_fma_f64 v[84:85], v[10:11], s[42:43], -|v[12:13]|
	s_mov_b32 s9, 0xbc7abc9e
	v_fmac_f64_e32 v[84:85], s[8:9], v[10:11]
	s_mov_b32 s8, 0x6a5dcb37
	v_pk_mov_b32 v[98:99], v[60:61], v[60:61] op_sel:[0,1]
	s_mov_b32 s9, 0x3e5ade15
	v_cndmask_b32_e32 v2, v100, v2, vcc
	v_cndmask_b32_e32 v3, v101, v3, vcc
	v_fmac_f64_e32 v[98:99], s[8:9], v[84:85]
	v_pk_mov_b32 v[100:101], v[62:63], v[62:63] op_sel:[0,1]
	v_fmac_f64_e32 v[100:101], v[84:85], v[98:99]
	v_pk_mov_b32 v[98:99], v[64:65], v[64:65] op_sel:[0,1]
	;; [unrolled: 2-line block ×8, first 2 shown]
	v_fmac_f64_e32 v[98:99], v[84:85], v[100:101]
	v_and_b32_e32 v4, 0x80000000, v4
	v_fma_f64 v[98:99], v[84:85], v[98:99], 1.0
	v_xor_b32_e32 v3, v3, v4
	v_fma_f64 v[84:85], v[84:85], v[98:99], 1.0
	v_cvt_i32_f64_e32 v4, v[10:11]
	s_mov_b32 s8, 0
	v_ldexp_f64 v[10:11], v[84:85], v4
	s_mov_b32 s9, 0x4090cc00
	v_bfi_b32 v23, s46, v92, v5
	v_mul_f64 v[4:5], v[86:87], v[86:87]
	v_cmp_ngt_f64_e64 vcc, |v[12:13]|, s[8:9]
	v_mul_f64 v[12:13], v[4:5], 0.5
	v_fmac_f64_e32 v[106:107], s[72:73], v[4:5]
	v_add_f64 v[84:85], -v[12:13], 1.0
	v_fma_f64 v[100:101], v[4:5], v[106:107], s[74:75]
	v_add_f64 v[98:99], -v[84:85], 1.0
	v_fma_f64 v[100:101], v[4:5], v[100:101], s[76:77]
	v_add_f64 v[12:13], v[98:99], -v[12:13]
	v_fma_f64 v[100:101], v[4:5], v[100:101], s[78:79]
	v_mul_f64 v[98:99], v[4:5], v[4:5]
	v_fma_f64 v[100:101], v[4:5], v[100:101], s[62:63]
	v_fma_f64 v[12:13], v[86:87], -v[88:89], v[12:13]
	v_fmac_f64_e32 v[12:13], v[98:99], v[100:101]
	v_fmac_f64_e32 v[102:103], s[82:83], v[4:5]
	v_add_f64 v[12:13], v[84:85], v[12:13]
	v_fma_f64 v[84:85], v[4:5], v[102:103], s[84:85]
	v_fma_f64 v[84:85], v[4:5], v[84:85], s[86:87]
	;; [unrolled: 1-line block ×3, first 2 shown]
	v_mul_f64 v[98:99], v[86:87], -v[4:5]
	v_mul_f64 v[100:101], v[88:89], 0.5
	v_fmac_f64_e32 v[100:101], v[98:99], v[84:85]
	v_fma_f64 v[4:5], v[4:5], v[100:101], -v[88:89]
	v_fmac_f64_e32 v[4:5], s[88:89], v[98:99]
	v_and_b32_e32 v84, 1, v96
	v_cndmask_b32_e32 v11, 0, v11, vcc
	v_cndmask_b32_e32 v10, 0, v10, vcc
	v_add_f64 v[4:5], v[86:87], -v[4:5]
	v_cmp_eq_u32_e32 vcc, 0, v84
	v_xor_b32_e32 v5, 0x80000000, v5
	v_cndmask_b32_e32 v4, v4, v12, vcc
	v_lshlrev_b32_e32 v12, 30, v96
	v_cndmask_b32_e32 v5, v5, v13, vcc
	v_and_b32_e32 v12, 0x80000000, v12
	v_mul_f64 v[2:3], v[2:3], 4.0
	v_xor_b32_e32 v5, v5, v12
	v_mul_f64 v[2:3], v[2:3], v[4:5]
	v_mul_f64 v[2:3], v[10:11], v[2:3]
	;; [unrolled: 1-line block ×3, first 2 shown]
	v_pk_mov_b32 v[4:5], v[22:23], v[22:23] op_sel:[0,1]
	s_or_b64 exec, exec, s[54:55]
                                        ; implicit-def: $vgpr10_vgpr11
.LBB94_187:                             ;   in Loop: Header=BB94_161 Depth=1
	s_andn2_saveexec_b64 s[8:9], s[40:41]
.LBB94_188:                             ;   in Loop: Header=BB94_161 Depth=1
	v_add_f64 v[2:3], v[10:11], -v[10:11]
	v_pk_mov_b32 v[4:5], v[2:3], v[2:3] op_sel:[0,1]
.LBB94_189:                             ;   in Loop: Header=BB94_161 Depth=1
	s_or_b64 exec, exec, s[8:9]
                                        ; implicit-def: $vgpr10_vgpr11
.LBB94_190:                             ;   in Loop: Header=BB94_161 Depth=1
	s_andn2_saveexec_b64 s[40:41], s[94:95]
	s_cbranch_execz .LBB94_207
; %bb.191:                              ;   in Loop: Header=BB94_161 Depth=1
	v_and_or_b32 v2, v5, s50, v4
	v_cmp_ne_u32_e32 vcc, 0, v2
	s_and_saveexec_b64 s[8:9], vcc
	s_xor_b64 s[8:9], exec, s[8:9]
; %bb.192:                              ;   in Loop: Header=BB94_161 Depth=1
	v_mul_f64 v[2:3], v[10:11], -v[12:13]
	v_cmp_eq_f64_e32 vcc, 0, v[10:11]
	v_cndmask_b32_e32 v3, v3, v11, vcc
	v_cndmask_b32_e32 v2, v2, v10, vcc
                                        ; implicit-def: $vgpr10_vgpr11
; %bb.193:                              ;   in Loop: Header=BB94_161 Depth=1
	s_andn2_saveexec_b64 s[54:55], s[8:9]
	s_cbranch_execz .LBB94_206
; %bb.194:                              ;   in Loop: Header=BB94_161 Depth=1
	v_cmp_neq_f64_e64 s[8:9], |v[10:11]|, s[22:23]
	s_and_saveexec_b64 s[94:95], s[8:9]
	s_cbranch_execz .LBB94_205
; %bb.195:                              ;   in Loop: Header=BB94_161 Depth=1
	v_cmp_nlt_f64_e64 s[56:57], |v[10:11]|, s[18:19]
                                        ; implicit-def: $vgpr88
                                        ; implicit-def: $vgpr2_vgpr3
                                        ; implicit-def: $vgpr12_vgpr13
	s_and_saveexec_b64 s[8:9], s[56:57]
	s_xor_b64 s[64:65], exec, s[8:9]
	s_cbranch_execz .LBB94_198
; %bb.196:                              ;   in Loop: Header=BB94_161 Depth=1
	v_and_b32_e32 v23, 0x7fffffff, v11
	v_ldexp_f64 v[84:85], |v[10:11]|, s59
	v_cmp_ge_f64_e64 vcc, |v[10:11]|, s[20:21]
	v_trig_preop_f64 v[2:3], |v[10:11]|, 0
	v_cndmask_b32_e32 v85, v23, v85, vcc
	v_cndmask_b32_e32 v84, v10, v84, vcc
	v_trig_preop_f64 v[12:13], |v[10:11]|, 1
	v_mul_f64 v[88:89], v[2:3], v[84:85]
	v_mul_f64 v[86:87], v[12:13], v[84:85]
	v_fma_f64 v[2:3], v[2:3], v[84:85], -v[88:89]
	v_add_f64 v[96:97], v[86:87], v[2:3]
	v_add_f64 v[98:99], v[88:89], v[96:97]
	v_ldexp_f64 v[100:101], v[98:99], -2
	v_fract_f64_e32 v[102:103], v[100:101]
	v_cmp_neq_f64_e64 vcc, |v[100:101]|, s[22:23]
	v_cndmask_b32_e32 v101, 0, v103, vcc
	v_cndmask_b32_e32 v100, 0, v102, vcc
	v_add_f64 v[102:103], v[96:97], -v[86:87]
	v_add_f64 v[2:3], v[2:3], -v[102:103]
	;; [unrolled: 1-line block ×4, first 2 shown]
	v_fma_f64 v[12:13], v[12:13], v[84:85], -v[86:87]
	v_trig_preop_f64 v[86:87], |v[10:11]|, 2
	v_add_f64 v[2:3], v[2:3], v[102:103]
	v_mul_f64 v[102:103], v[86:87], v[84:85]
	v_add_f64 v[104:105], v[102:103], v[12:13]
	v_add_f64 v[106:107], v[104:105], v[2:3]
	v_add_f64 v[88:89], v[98:99], -v[88:89]
	v_add_f64 v[98:99], v[106:107], -v[104:105]
	;; [unrolled: 1-line block ×5, first 2 shown]
	v_add_f64 v[2:3], v[2:3], v[98:99]
	v_add_f64 v[98:99], v[104:105], -v[102:103]
	v_add_f64 v[12:13], v[12:13], -v[98:99]
	;; [unrolled: 1-line block ×4, first 2 shown]
	v_add_f64 v[12:13], v[12:13], v[98:99]
	v_add_f64 v[88:89], v[96:97], -v[88:89]
	v_add_f64 v[2:3], v[12:13], v[2:3]
	v_fma_f64 v[12:13], v[86:87], v[84:85], -v[102:103]
	v_add_f64 v[96:97], v[88:89], v[106:107]
	v_add_f64 v[2:3], v[12:13], v[2:3]
	v_ldexp_f64 v[12:13], v[100:101], 2
	v_add_f64 v[84:85], v[96:97], v[12:13]
	v_cmp_gt_f64_e32 vcc, 0, v[84:85]
	v_cndmask_b32_e32 v23, 0, v91, vcc
	v_add_f64 v[12:13], v[12:13], v[22:23]
	v_add_f64 v[84:85], v[96:97], v[12:13]
	v_cvt_i32_f64_e32 v23, v[84:85]
	v_cvt_f64_i32_e32 v[84:85], v23
	v_add_f64 v[12:13], v[12:13], -v[84:85]
	v_add_f64 v[88:89], v[96:97], -v[88:89]
	v_add_f64 v[84:85], v[96:97], v[12:13]
	v_add_f64 v[88:89], v[106:107], -v[88:89]
	v_add_f64 v[12:13], v[84:85], -v[12:13]
	v_cmp_le_f64_e32 vcc, 0.5, v[84:85]
	v_add_f64 v[2:3], v[88:89], v[2:3]
	v_add_f64 v[12:13], v[96:97], -v[12:13]
	v_addc_co_u32_e64 v88, s[8:9], 0, v23, vcc
	v_cndmask_b32_e32 v23, 0, v92, vcc
	v_add_f64 v[2:3], v[2:3], v[12:13]
	v_add_f64 v[12:13], v[84:85], -v[22:23]
	v_add_f64 v[84:85], v[12:13], v[2:3]
	v_add_f64 v[12:13], v[84:85], -v[12:13]
	s_mov_b32 s24, s26
	v_add_f64 v[2:3], v[2:3], -v[12:13]
	v_mul_f64 v[12:13], v[84:85], s[24:25]
	v_fma_f64 v[86:87], v[84:85], s[24:25], -v[12:13]
	s_mov_b32 s31, s29
	v_fmac_f64_e32 v[86:87], s[30:31], v[84:85]
	v_fmac_f64_e32 v[86:87], s[24:25], v[2:3]
	v_add_f64 v[2:3], v[12:13], v[86:87]
	v_add_f64 v[12:13], v[2:3], -v[12:13]
	v_add_f64 v[12:13], v[86:87], -v[12:13]
	s_andn2_saveexec_b64 s[8:9], s[64:65]
	s_cbranch_execz .LBB94_200
	s_branch .LBB94_199
.LBB94_197:                             ;   in Loop: Header=BB94_161 Depth=1
	s_or_b64 exec, exec, s[54:55]
                                        ; implicit-def: $vgpr10_vgpr11
	s_andn2_saveexec_b64 s[8:9], s[40:41]
	s_cbranch_execnz .LBB94_188
	s_branch .LBB94_189
.LBB94_198:                             ;   in Loop: Header=BB94_161 Depth=1
	s_andn2_saveexec_b64 s[8:9], s[64:65]
	s_cbranch_execz .LBB94_200
.LBB94_199:                             ;   in Loop: Header=BB94_161 Depth=1
	v_mul_f64 v[2:3], |v[10:11]|, s[34:35]
	v_rndne_f64_e32 v[84:85], v[2:3]
	v_fma_f64 v[2:3], v[84:85], s[26:27], |v[10:11]|
	v_mul_f64 v[86:87], v[84:85], s[36:37]
	v_add_f64 v[96:97], v[2:3], v[86:87]
	v_fma_f64 v[12:13], s[36:37], v[84:85], v[2:3]
	s_mov_b32 s28, s36
	v_add_f64 v[2:3], v[2:3], -v[96:97]
	v_fma_f64 v[88:89], s[28:29], v[84:85], v[86:87]
	v_add_f64 v[2:3], v[2:3], v[86:87]
	v_add_f64 v[86:87], v[96:97], -v[12:13]
	v_add_f64 v[2:3], v[86:87], v[2:3]
	v_add_f64 v[86:87], v[2:3], -v[88:89]
	v_fmac_f64_e32 v[86:87], s[38:39], v[84:85]
	v_add_f64 v[2:3], v[12:13], v[86:87]
	v_add_f64 v[12:13], v[2:3], -v[12:13]
	v_add_f64 v[12:13], v[86:87], -v[12:13]
	v_cvt_i32_f64_e32 v88, v[84:85]
.LBB94_200:                             ;   in Loop: Header=BB94_161 Depth=1
	s_or_b64 exec, exec, s[8:9]
                                        ; implicit-def: $vgpr89
                                        ; implicit-def: $vgpr84_vgpr85
                                        ; implicit-def: $vgpr86_vgpr87
	s_and_saveexec_b64 s[8:9], s[56:57]
	s_xor_b64 s[56:57], exec, s[8:9]
	s_cbranch_execz .LBB94_202
; %bb.201:                              ;   in Loop: Header=BB94_161 Depth=1
	v_and_b32_e32 v23, 0x7fffffff, v11
	v_ldexp_f64 v[96:97], |v[10:11]|, s59
	v_cmp_ge_f64_e64 vcc, |v[10:11]|, s[20:21]
	v_trig_preop_f64 v[84:85], |v[10:11]|, 0
	v_cndmask_b32_e32 v97, v23, v97, vcc
	v_cndmask_b32_e32 v96, v10, v96, vcc
	v_trig_preop_f64 v[86:87], |v[10:11]|, 1
	v_mul_f64 v[100:101], v[84:85], v[96:97]
	v_mul_f64 v[98:99], v[86:87], v[96:97]
	v_fma_f64 v[84:85], v[84:85], v[96:97], -v[100:101]
	v_add_f64 v[102:103], v[98:99], v[84:85]
	v_add_f64 v[104:105], v[100:101], v[102:103]
	v_ldexp_f64 v[106:107], v[104:105], -2
	v_fract_f64_e32 v[108:109], v[106:107]
	v_cmp_neq_f64_e64 vcc, |v[106:107]|, s[22:23]
	v_cndmask_b32_e32 v107, 0, v109, vcc
	v_cndmask_b32_e32 v106, 0, v108, vcc
	v_add_f64 v[108:109], v[102:103], -v[98:99]
	v_add_f64 v[84:85], v[84:85], -v[108:109]
	;; [unrolled: 1-line block ×4, first 2 shown]
	v_fma_f64 v[86:87], v[86:87], v[96:97], -v[98:99]
	v_trig_preop_f64 v[98:99], |v[10:11]|, 2
	v_add_f64 v[84:85], v[84:85], v[108:109]
	v_mul_f64 v[108:109], v[98:99], v[96:97]
	v_add_f64 v[110:111], v[108:109], v[86:87]
	v_add_f64 v[112:113], v[110:111], v[84:85]
	v_add_f64 v[100:101], v[104:105], -v[100:101]
	v_add_f64 v[104:105], v[112:113], -v[110:111]
	;; [unrolled: 1-line block ×5, first 2 shown]
	v_add_f64 v[84:85], v[84:85], v[104:105]
	v_add_f64 v[104:105], v[110:111], -v[108:109]
	v_add_f64 v[86:87], v[86:87], -v[104:105]
	;; [unrolled: 1-line block ×4, first 2 shown]
	v_add_f64 v[86:87], v[86:87], v[104:105]
	v_add_f64 v[100:101], v[102:103], -v[100:101]
	v_add_f64 v[84:85], v[86:87], v[84:85]
	v_fma_f64 v[86:87], v[98:99], v[96:97], -v[108:109]
	v_add_f64 v[102:103], v[100:101], v[112:113]
	v_add_f64 v[84:85], v[86:87], v[84:85]
	v_ldexp_f64 v[86:87], v[106:107], 2
	v_add_f64 v[96:97], v[102:103], v[86:87]
	v_cmp_gt_f64_e32 vcc, 0, v[96:97]
	v_cndmask_b32_e32 v23, 0, v91, vcc
	v_add_f64 v[86:87], v[86:87], v[22:23]
	v_add_f64 v[96:97], v[102:103], v[86:87]
	v_cvt_i32_f64_e32 v23, v[96:97]
	v_cvt_f64_i32_e32 v[96:97], v23
	v_add_f64 v[86:87], v[86:87], -v[96:97]
	v_add_f64 v[100:101], v[102:103], -v[100:101]
	v_add_f64 v[96:97], v[102:103], v[86:87]
	v_add_f64 v[100:101], v[112:113], -v[100:101]
	v_add_f64 v[86:87], v[96:97], -v[86:87]
	v_cmp_le_f64_e32 vcc, 0.5, v[96:97]
	v_add_f64 v[84:85], v[100:101], v[84:85]
	v_add_f64 v[86:87], v[102:103], -v[86:87]
	v_addc_co_u32_e64 v89, s[8:9], 0, v23, vcc
	v_cndmask_b32_e32 v23, 0, v92, vcc
	v_add_f64 v[84:85], v[84:85], v[86:87]
	v_add_f64 v[86:87], v[96:97], -v[22:23]
	v_add_f64 v[96:97], v[86:87], v[84:85]
	v_add_f64 v[86:87], v[96:97], -v[86:87]
	s_mov_b32 s24, s26
	v_add_f64 v[84:85], v[84:85], -v[86:87]
	v_mul_f64 v[86:87], v[96:97], s[24:25]
	v_fma_f64 v[98:99], v[96:97], s[24:25], -v[86:87]
	s_mov_b32 s31, s29
	v_fmac_f64_e32 v[98:99], s[30:31], v[96:97]
	v_fmac_f64_e32 v[98:99], s[24:25], v[84:85]
	v_add_f64 v[84:85], v[86:87], v[98:99]
	v_add_f64 v[86:87], v[84:85], -v[86:87]
	v_add_f64 v[86:87], v[98:99], -v[86:87]
	s_andn2_saveexec_b64 s[8:9], s[56:57]
	s_cbranch_execnz .LBB94_203
	s_branch .LBB94_204
.LBB94_202:                             ;   in Loop: Header=BB94_161 Depth=1
	s_andn2_saveexec_b64 s[8:9], s[56:57]
	s_cbranch_execz .LBB94_204
.LBB94_203:                             ;   in Loop: Header=BB94_161 Depth=1
	v_mul_f64 v[84:85], |v[10:11]|, s[34:35]
	v_rndne_f64_e32 v[96:97], v[84:85]
	v_fma_f64 v[84:85], v[96:97], s[26:27], |v[10:11]|
	v_mul_f64 v[98:99], v[96:97], s[36:37]
	v_add_f64 v[102:103], v[84:85], v[98:99]
	v_fma_f64 v[86:87], s[36:37], v[96:97], v[84:85]
	s_mov_b32 s28, s36
	v_add_f64 v[84:85], v[84:85], -v[102:103]
	v_fma_f64 v[100:101], s[28:29], v[96:97], v[98:99]
	v_add_f64 v[84:85], v[84:85], v[98:99]
	v_add_f64 v[98:99], v[102:103], -v[86:87]
	v_add_f64 v[84:85], v[98:99], v[84:85]
	v_add_f64 v[98:99], v[84:85], -v[100:101]
	v_fmac_f64_e32 v[98:99], s[38:39], v[96:97]
	v_add_f64 v[84:85], v[86:87], v[98:99]
	v_add_f64 v[86:87], v[84:85], -v[86:87]
	v_add_f64 v[86:87], v[98:99], -v[86:87]
	v_cvt_i32_f64_e32 v89, v[96:97]
.LBB94_204:                             ;   in Loop: Header=BB94_161 Depth=1
	s_or_b64 exec, exec, s[8:9]
	v_mul_f64 v[96:97], v[2:3], v[2:3]
	v_pk_mov_b32 v[104:105], s[70:71], s[70:71] op_sel:[0,1]
	v_mul_f64 v[98:99], v[96:97], 0.5
	v_fma_f64 v[106:107], s[72:73], v[96:97], v[104:105]
	v_add_f64 v[100:101], -v[98:99], 1.0
	v_fma_f64 v[106:107], v[96:97], v[106:107], s[74:75]
	v_add_f64 v[102:103], -v[100:101], 1.0
	v_fma_f64 v[106:107], v[96:97], v[106:107], s[76:77]
	v_add_f64 v[98:99], v[102:103], -v[98:99]
	v_fma_f64 v[106:107], v[96:97], v[106:107], s[78:79]
	v_mul_f64 v[102:103], v[96:97], v[96:97]
	v_fma_f64 v[106:107], v[96:97], v[106:107], s[62:63]
	v_fma_f64 v[98:99], v[2:3], -v[12:13], v[98:99]
	v_fmac_f64_e32 v[98:99], v[102:103], v[106:107]
	v_add_f64 v[98:99], v[100:101], v[98:99]
	v_pk_mov_b32 v[100:101], s[80:81], s[80:81] op_sel:[0,1]
	v_fma_f64 v[102:103], s[82:83], v[96:97], v[100:101]
	v_fma_f64 v[102:103], v[96:97], v[102:103], s[84:85]
	;; [unrolled: 1-line block ×4, first 2 shown]
	v_mul_f64 v[106:107], v[2:3], -v[96:97]
	v_mul_f64 v[108:109], v[12:13], 0.5
	v_fmac_f64_e32 v[108:109], v[106:107], v[102:103]
	v_fma_f64 v[12:13], v[96:97], v[108:109], -v[12:13]
	s_mov_b32 s88, s62
	v_fmac_f64_e32 v[12:13], s[88:89], v[106:107]
	v_add_f64 v[2:3], v[2:3], -v[12:13]
	v_and_b32_e32 v12, 1, v88
	v_cmp_eq_u32_e32 vcc, 0, v12
	v_lshlrev_b32_e32 v12, 30, v88
	v_xor_b32_e32 v12, v12, v11
	v_cndmask_b32_e32 v2, v98, v2, vcc
	v_cndmask_b32_e32 v3, v99, v3, vcc
	v_and_b32_e32 v12, 0x80000000, v12
	v_cmp_class_f64_e64 vcc, v[10:11], s58
	v_mul_f64 v[10:11], v[84:85], v[84:85]
	v_xor_b32_e32 v3, v3, v12
	v_mul_f64 v[12:13], v[10:11], 0.5
	v_fmac_f64_e32 v[104:105], s[72:73], v[10:11]
	v_add_f64 v[96:97], -v[12:13], 1.0
	v_fma_f64 v[102:103], v[10:11], v[104:105], s[74:75]
	v_add_f64 v[98:99], -v[96:97], 1.0
	v_fma_f64 v[102:103], v[10:11], v[102:103], s[76:77]
	v_add_f64 v[12:13], v[98:99], -v[12:13]
	v_fma_f64 v[102:103], v[10:11], v[102:103], s[78:79]
	v_mul_f64 v[98:99], v[10:11], v[10:11]
	v_fma_f64 v[102:103], v[10:11], v[102:103], s[62:63]
	v_fma_f64 v[12:13], v[84:85], -v[86:87], v[12:13]
	v_fmac_f64_e32 v[12:13], v[98:99], v[102:103]
	v_fmac_f64_e32 v[100:101], s[82:83], v[10:11]
	v_add_f64 v[12:13], v[96:97], v[12:13]
	v_fma_f64 v[96:97], v[10:11], v[100:101], s[84:85]
	v_fma_f64 v[96:97], v[10:11], v[96:97], s[86:87]
	;; [unrolled: 1-line block ×3, first 2 shown]
	v_mul_f64 v[98:99], v[84:85], -v[10:11]
	v_mul_f64 v[100:101], v[86:87], 0.5
	v_fmac_f64_e32 v[100:101], v[98:99], v[96:97]
	v_fma_f64 v[10:11], v[10:11], v[100:101], -v[86:87]
	v_fmac_f64_e32 v[10:11], s[88:89], v[98:99]
	v_and_b32_e32 v23, 1, v89
	v_add_f64 v[10:11], v[84:85], -v[10:11]
	v_cmp_eq_u32_e64 s[8:9], 0, v23
	v_xor_b32_e32 v11, 0x80000000, v11
	v_cndmask_b32_e64 v10, v10, v12, s[8:9]
	v_lshlrev_b32_e32 v12, 30, v89
	v_cndmask_b32_e64 v11, v11, v13, s[8:9]
	v_and_b32_e32 v12, 0x80000000, v12
	v_xor_b32_e32 v11, v11, v12
	v_cndmask_b32_e32 v2, 0, v2, vcc
	v_cndmask_b32_e32 v3, v95, v3, vcc
	;; [unrolled: 1-line block ×4, first 2 shown]
	v_mul_f64 v[10:11], v[2:3], v[10:11]
.LBB94_205:                             ;   in Loop: Header=BB94_161 Depth=1
	s_or_b64 exec, exec, s[94:95]
	v_add_co_u32_e32 v4, vcc, 0, v4
	v_bfi_b32 v23, s46, 0, v11
	v_addc_co_u32_e32 v5, vcc, -2.0, v5, vcc
	v_pk_mov_b32 v[2:3], v[22:23], v[22:23] op_sel:[0,1]
.LBB94_206:                             ;   in Loop: Header=BB94_161 Depth=1
	s_or_b64 exec, exec, s[54:55]
.LBB94_207:                             ;   in Loop: Header=BB94_161 Depth=1
	s_or_b64 exec, exec, s[40:41]
	v_xor_b32_e32 v13, 0x80000000, v21
	v_and_b32_e32 v10, 0x7fffffff, v13
	v_mov_b32_e32 v12, v20
	v_cmp_gt_u32_e32 vcc, s47, v10
	s_and_saveexec_b64 s[8:9], vcc
	s_xor_b64 s[94:95], exec, s[8:9]
	s_cbranch_execz .LBB94_229
; %bb.208:                              ;   in Loop: Header=BB94_161 Depth=1
	v_cmp_class_f64_e64 s[8:9], v[18:19], s58
	s_and_saveexec_b64 s[40:41], s[8:9]
	s_xor_b64 s[40:41], exec, s[40:41]
	s_cbranch_execz .LBB94_226
; %bb.209:                              ;   in Loop: Header=BB94_161 Depth=1
	s_mov_b32 s8, 0x40360000
	v_cmp_gt_u32_e32 vcc, s8, v10
	s_and_saveexec_b64 s[8:9], vcc
	s_xor_b64 s[54:55], exec, s[8:9]
	s_cbranch_execz .LBB94_215
; %bb.210:                              ;   in Loop: Header=BB94_161 Depth=1
	v_cmp_nlt_f64_e64 s[8:9], |v[18:19]|, s[18:19]
                                        ; implicit-def: $vgpr12
                                        ; implicit-def: $vgpr10_vgpr11
                                        ; implicit-def: $vgpr84_vgpr85
	s_and_saveexec_b64 s[56:57], s[8:9]
	s_xor_b64 s[56:57], exec, s[56:57]
	s_cbranch_execz .LBB94_212
; %bb.211:                              ;   in Loop: Header=BB94_161 Depth=1
	v_and_b32_e32 v12, 0x7fffffff, v19
	v_ldexp_f64 v[86:87], |v[18:19]|, s59
	v_cmp_ge_f64_e64 vcc, |v[18:19]|, s[20:21]
	v_trig_preop_f64 v[10:11], |v[18:19]|, 0
	v_cndmask_b32_e32 v87, v12, v87, vcc
	v_cndmask_b32_e32 v86, v18, v86, vcc
	v_trig_preop_f64 v[84:85], |v[18:19]|, 1
	v_mul_f64 v[96:97], v[10:11], v[86:87]
	v_mul_f64 v[88:89], v[84:85], v[86:87]
	v_fma_f64 v[10:11], v[10:11], v[86:87], -v[96:97]
	v_add_f64 v[98:99], v[88:89], v[10:11]
	v_add_f64 v[100:101], v[96:97], v[98:99]
	v_ldexp_f64 v[102:103], v[100:101], -2
	v_fract_f64_e32 v[104:105], v[102:103]
	v_cmp_neq_f64_e64 vcc, |v[102:103]|, s[22:23]
	v_cndmask_b32_e32 v103, 0, v105, vcc
	v_cndmask_b32_e32 v102, 0, v104, vcc
	v_add_f64 v[104:105], v[98:99], -v[88:89]
	v_add_f64 v[10:11], v[10:11], -v[104:105]
	;; [unrolled: 1-line block ×4, first 2 shown]
	v_fma_f64 v[84:85], v[84:85], v[86:87], -v[88:89]
	v_trig_preop_f64 v[88:89], |v[18:19]|, 2
	v_add_f64 v[10:11], v[10:11], v[104:105]
	v_mul_f64 v[104:105], v[88:89], v[86:87]
	v_add_f64 v[106:107], v[104:105], v[84:85]
	v_add_f64 v[108:109], v[106:107], v[10:11]
	v_add_f64 v[96:97], v[100:101], -v[96:97]
	v_add_f64 v[100:101], v[108:109], -v[106:107]
	;; [unrolled: 1-line block ×5, first 2 shown]
	v_add_f64 v[10:11], v[10:11], v[100:101]
	v_add_f64 v[100:101], v[106:107], -v[104:105]
	v_add_f64 v[84:85], v[84:85], -v[100:101]
	;; [unrolled: 1-line block ×4, first 2 shown]
	v_add_f64 v[84:85], v[84:85], v[100:101]
	v_add_f64 v[96:97], v[98:99], -v[96:97]
	v_add_f64 v[10:11], v[84:85], v[10:11]
	v_fma_f64 v[84:85], v[88:89], v[86:87], -v[104:105]
	v_add_f64 v[98:99], v[96:97], v[108:109]
	v_add_f64 v[10:11], v[84:85], v[10:11]
	v_ldexp_f64 v[84:85], v[102:103], 2
	v_add_f64 v[86:87], v[98:99], v[84:85]
	v_cmp_gt_f64_e32 vcc, 0, v[86:87]
	v_cndmask_b32_e32 v23, 0, v91, vcc
	v_add_f64 v[84:85], v[84:85], v[22:23]
	v_add_f64 v[86:87], v[98:99], v[84:85]
	v_cvt_i32_f64_e32 v12, v[86:87]
	v_cvt_f64_i32_e32 v[86:87], v12
	v_add_f64 v[84:85], v[84:85], -v[86:87]
	v_add_f64 v[96:97], v[98:99], -v[96:97]
	v_add_f64 v[86:87], v[98:99], v[84:85]
	v_add_f64 v[96:97], v[108:109], -v[96:97]
	v_add_f64 v[84:85], v[86:87], -v[84:85]
	v_cmp_le_f64_e32 vcc, 0.5, v[86:87]
	v_add_f64 v[10:11], v[96:97], v[10:11]
	v_add_f64 v[84:85], v[98:99], -v[84:85]
	v_cndmask_b32_e32 v23, 0, v92, vcc
	v_add_f64 v[10:11], v[10:11], v[84:85]
	v_add_f64 v[84:85], v[86:87], -v[22:23]
	v_add_f64 v[86:87], v[84:85], v[10:11]
	v_add_f64 v[84:85], v[86:87], -v[84:85]
	s_mov_b32 s24, s26
	v_add_f64 v[10:11], v[10:11], -v[84:85]
	v_mul_f64 v[84:85], v[86:87], s[24:25]
	v_fma_f64 v[88:89], v[86:87], s[24:25], -v[84:85]
	s_mov_b32 s31, s29
	v_fmac_f64_e32 v[88:89], s[30:31], v[86:87]
	v_fmac_f64_e32 v[88:89], s[24:25], v[10:11]
	v_add_f64 v[10:11], v[84:85], v[88:89]
	v_add_f64 v[84:85], v[10:11], -v[84:85]
	v_addc_co_u32_e64 v12, s[8:9], 0, v12, vcc
	v_add_f64 v[84:85], v[88:89], -v[84:85]
.LBB94_212:                             ;   in Loop: Header=BB94_161 Depth=1
	s_andn2_saveexec_b64 s[8:9], s[56:57]
	s_cbranch_execz .LBB94_214
; %bb.213:                              ;   in Loop: Header=BB94_161 Depth=1
	v_mul_f64 v[10:11], |v[18:19]|, s[34:35]
	v_rndne_f64_e32 v[86:87], v[10:11]
	v_fma_f64 v[10:11], v[86:87], s[26:27], |v[18:19]|
	v_mul_f64 v[88:89], v[86:87], s[36:37]
	v_add_f64 v[98:99], v[10:11], v[88:89]
	v_fma_f64 v[84:85], s[36:37], v[86:87], v[10:11]
	s_mov_b32 s28, s36
	v_add_f64 v[10:11], v[10:11], -v[98:99]
	v_fma_f64 v[96:97], s[28:29], v[86:87], v[88:89]
	v_add_f64 v[10:11], v[10:11], v[88:89]
	v_add_f64 v[88:89], v[98:99], -v[84:85]
	v_add_f64 v[10:11], v[88:89], v[10:11]
	v_add_f64 v[88:89], v[10:11], -v[96:97]
	v_fmac_f64_e32 v[88:89], s[38:39], v[86:87]
	v_add_f64 v[10:11], v[84:85], v[88:89]
	v_add_f64 v[84:85], v[10:11], -v[84:85]
	v_add_f64 v[84:85], v[88:89], -v[84:85]
	v_cvt_i32_f64_e32 v12, v[86:87]
.LBB94_214:                             ;   in Loop: Header=BB94_161 Depth=1
	s_or_b64 exec, exec, s[8:9]
	v_mul_f64 v[86:87], v[10:11], v[10:11]
	v_fma_f64 v[88:89], v[10:11], v[10:11], -v[86:87]
	v_add_f64 v[96:97], v[84:85], v[84:85]
	v_fmac_f64_e32 v[88:89], v[10:11], v[96:97]
	s_mov_b32 s8, 0xc751c08c
	v_add_f64 v[86:87], v[86:87], v[88:89]
	v_pk_mov_b32 v[88:89], v[34:35], v[34:35] op_sel:[0,1]
	s_mov_b32 s9, 0x3ef5e089
	v_fmac_f64_e32 v[88:89], s[8:9], v[86:87]
	v_pk_mov_b32 v[96:97], v[36:37], v[36:37] op_sel:[0,1]
	v_fmac_f64_e32 v[96:97], v[86:87], v[88:89]
	v_pk_mov_b32 v[88:89], v[38:39], v[38:39] op_sel:[0,1]
	;; [unrolled: 2-line block ×12, first 2 shown]
	v_fmac_f64_e32 v[88:89], v[86:87], v[96:97]
	v_mul_f64 v[86:87], v[86:87], v[88:89]
	v_mul_f64 v[88:89], v[10:11], v[86:87]
	v_add_f64 v[96:97], v[10:11], v[88:89]
	v_fma_f64 v[86:87], v[10:11], v[86:87], -v[88:89]
	v_add_f64 v[10:11], v[96:97], -v[10:11]
	v_add_f64 v[10:11], v[88:89], -v[10:11]
	v_add_f64 v[84:85], v[84:85], v[86:87]
	v_add_f64 v[10:11], v[84:85], v[10:11]
	;; [unrolled: 1-line block ×3, first 2 shown]
	v_rcp_f64_e32 v[86:87], v[84:85]
	v_add_f64 v[88:89], v[84:85], -v[96:97]
	v_add_f64 v[10:11], v[10:11], -v[88:89]
	v_and_b32_e32 v12, 1, v12
	v_fma_f64 v[88:89], -v[84:85], v[86:87], 1.0
	v_fmac_f64_e32 v[86:87], v[88:89], v[86:87]
	v_fma_f64 v[88:89], -v[84:85], v[86:87], 1.0
	v_fmac_f64_e32 v[86:87], v[88:89], v[86:87]
	v_mul_f64 v[88:89], v[84:85], v[86:87]
	v_fma_f64 v[96:97], v[86:87], v[84:85], -v[88:89]
	v_fmac_f64_e32 v[96:97], v[86:87], v[10:11]
	v_add_f64 v[10:11], v[88:89], v[96:97]
	v_add_f64 v[98:99], -v[10:11], 1.0
	v_add_f64 v[88:89], v[10:11], -v[88:89]
	v_add_f64 v[100:101], -v[98:99], 1.0
	v_add_f64 v[10:11], v[100:101], -v[10:11]
	v_add_f64 v[88:89], v[88:89], -v[96:97]
	v_add_f64 v[10:11], v[88:89], v[10:11]
	v_add_f64 v[10:11], v[98:99], v[10:11]
	v_mul_f64 v[10:11], v[86:87], v[10:11]
	v_add_f64 v[10:11], v[86:87], v[10:11]
	v_xor_b32_e32 v11, 0x80000000, v11
	v_cmp_eq_u32_e32 vcc, 0, v12
	v_cndmask_b32_e32 v10, v10, v84, vcc
	v_cndmask_b32_e32 v11, v11, v85, vcc
	v_add_f64 v[84:85], |v[20:21]|, s[42:43]
	v_add_f64 v[86:87], v[84:85], -|v[20:21]|
	v_add_f64 v[88:89], v[86:87], -v[84:85]
	s_mov_b32 s44, s42
	v_add_f64 v[88:89], |v[20:21]|, v[88:89]
	v_add_f64 v[86:87], v[86:87], s[44:45]
	s_mov_b32 s8, 0x3b39803f
	v_add_f64 v[86:87], v[88:89], -v[86:87]
	s_mov_b32 s9, 0xbc7abc9e
	v_add_f64 v[86:87], v[86:87], s[8:9]
	v_add_f64 v[88:89], v[84:85], v[86:87]
	s_mov_b32 s8, 0x652b82fe
	v_add_f64 v[84:85], v[84:85], -v[88:89]
	s_mov_b32 s9, 0xbff71547
	s_mov_b32 s48, s8
	v_add_f64 v[84:85], v[86:87], v[84:85]
	v_mul_f64 v[86:87], v[88:89], s[48:49]
	v_rndne_f64_e32 v[86:87], v[86:87]
	s_mov_b32 s53, s43
	v_fmac_f64_e32 v[88:89], s[52:53], v[86:87]
	v_add_f64 v[96:97], v[84:85], v[88:89]
	s_mov_b32 s8, 0xf278e000
	v_add_f64 v[88:89], v[88:89], -v[96:97]
	s_mov_b32 s9, 0xbd53de6a
	v_add_f64 v[84:85], v[84:85], v[88:89]
	v_mul_f64 v[88:89], v[86:87], s[8:9]
	v_add_f64 v[98:99], v[96:97], v[88:89]
	v_add_f64 v[96:97], v[96:97], -v[98:99]
	v_add_f64 v[88:89], v[96:97], v[88:89]
	v_add_f64 v[84:85], v[84:85], v[88:89]
	;; [unrolled: 1-line block ×3, first 2 shown]
	s_mov_b32 s8, 0xf97b57a0
	v_add_f64 v[96:97], v[98:99], -v[88:89]
	s_mov_b32 s9, 0xbac9cc01
	v_add_f64 v[84:85], v[84:85], v[96:97]
	v_mul_f64 v[96:97], v[86:87], s[8:9]
	v_add_f64 v[98:99], v[88:89], v[96:97]
	v_add_f64 v[88:89], v[88:89], -v[98:99]
	v_add_f64 v[88:89], v[88:89], v[96:97]
	v_add_f64 v[84:85], v[84:85], v[88:89]
	;; [unrolled: 1-line block ×3, first 2 shown]
	v_add_f64 v[96:97], v[98:99], -v[88:89]
	s_mov_b32 s8, 0x6a5dcb37
	v_add_f64 v[84:85], v[84:85], v[96:97]
	v_pk_mov_b32 v[96:97], v[60:61], v[60:61] op_sel:[0,1]
	s_mov_b32 s9, 0x3e5ade15
	v_fmac_f64_e32 v[96:97], s[8:9], v[88:89]
	v_pk_mov_b32 v[98:99], v[62:63], v[62:63] op_sel:[0,1]
	v_fmac_f64_e32 v[98:99], v[88:89], v[96:97]
	v_pk_mov_b32 v[96:97], v[64:65], v[64:65] op_sel:[0,1]
	;; [unrolled: 2-line block ×8, first 2 shown]
	v_fmac_f64_e32 v[96:97], v[88:89], v[98:99]
	v_mul_f64 v[98:99], v[88:89], v[88:89]
	v_fma_f64 v[100:101], v[88:89], v[88:89], -v[98:99]
	v_add_f64 v[102:103], v[84:85], v[84:85]
	v_fmac_f64_e32 v[100:101], v[88:89], v[102:103]
	v_add_f64 v[102:103], v[98:99], v[100:101]
	v_add_f64 v[98:99], v[102:103], -v[98:99]
	v_add_f64 v[98:99], v[100:101], -v[98:99]
	v_mul_f64 v[100:101], v[102:103], v[96:97]
	v_fma_f64 v[102:103], v[102:103], v[96:97], -v[100:101]
	v_fmac_f64_e32 v[102:103], v[98:99], v[96:97]
	v_add_f64 v[96:97], v[100:101], v[102:103]
	v_add_f64 v[98:99], v[96:97], -v[100:101]
	v_add_f64 v[100:101], v[88:89], v[96:97]
	v_add_f64 v[98:99], v[102:103], -v[98:99]
	v_add_f64 v[88:89], v[100:101], -v[88:89]
	;; [unrolled: 1-line block ×3, first 2 shown]
	v_add_f64 v[84:85], v[84:85], v[98:99]
	v_add_f64 v[84:85], v[84:85], v[88:89]
	;; [unrolled: 1-line block ×3, first 2 shown]
	v_add_f64 v[96:97], v[88:89], -v[100:101]
	v_add_f64 v[84:85], v[84:85], -v[96:97]
	v_add_f64 v[96:97], v[88:89], 1.0
	v_add_f64 v[98:99], v[96:97], -1.0
	v_add_f64 v[88:89], v[88:89], -v[98:99]
	v_add_f64 v[84:85], v[84:85], v[88:89]
	v_add_f64 v[88:89], v[96:97], v[84:85]
	v_cvt_i32_f64_e32 v12, v[86:87]
	v_ldexp_f64 v[86:87], v[88:89], v12
	v_rcp_f64_e32 v[98:99], v[86:87]
	v_add_f64 v[88:89], v[88:89], -v[96:97]
	v_add_f64 v[84:85], v[84:85], -v[88:89]
	v_ldexp_f64 v[84:85], v[84:85], v12
	v_fma_f64 v[88:89], -v[86:87], v[98:99], 1.0
	v_fmac_f64_e32 v[98:99], v[88:89], v[98:99]
	v_fma_f64 v[88:89], -v[86:87], v[98:99], 1.0
	v_fmac_f64_e32 v[98:99], v[88:89], v[98:99]
	v_mul_f64 v[88:89], v[86:87], v[98:99]
	v_fma_f64 v[96:97], v[98:99], v[86:87], -v[88:89]
	v_fmac_f64_e32 v[96:97], v[98:99], v[84:85]
	v_add_f64 v[100:101], v[88:89], v[96:97]
	v_add_f64 v[102:103], -v[100:101], 1.0
	v_add_f64 v[88:89], v[100:101], -v[88:89]
	v_add_f64 v[104:105], -v[102:103], 1.0
	v_add_f64 v[100:101], v[104:105], -v[100:101]
	v_add_f64 v[88:89], v[88:89], -v[96:97]
	v_add_f64 v[88:89], v[88:89], v[100:101]
	v_add_f64 v[96:97], v[102:103], v[88:89]
	v_add_f64 v[100:101], v[102:103], -v[96:97]
	v_add_f64 v[88:89], v[88:89], v[100:101]
	v_mul_f64 v[100:101], v[98:99], v[96:97]
	v_mul_f64 v[102:103], v[86:87], v[100:101]
	v_fma_f64 v[104:105], v[100:101], v[86:87], -v[102:103]
	v_fmac_f64_e32 v[104:105], v[100:101], v[84:85]
	v_add_f64 v[106:107], v[102:103], v[104:105]
	v_add_f64 v[108:109], v[96:97], -v[106:107]
	v_add_f64 v[96:97], v[96:97], -v[108:109]
	;; [unrolled: 1-line block ×4, first 2 shown]
	v_add_f64 v[88:89], v[88:89], v[96:97]
	v_add_f64 v[96:97], v[102:103], -v[104:105]
	v_add_f64 v[88:89], v[96:97], v[88:89]
	v_add_f64 v[88:89], v[108:109], v[88:89]
	;; [unrolled: 1-line block ×3, first 2 shown]
	v_mul_f64 v[88:89], v[98:99], v[88:89]
	v_add_f64 v[98:99], v[96:97], -v[98:99]
	v_add_f64 v[98:99], v[100:101], -v[98:99]
	v_add_f64 v[88:89], v[98:99], v[88:89]
	v_add_f64 v[98:99], v[96:97], v[88:89]
	v_add_f64 v[96:97], v[98:99], -v[96:97]
	v_add_f64 v[88:89], v[88:89], -v[96:97]
	v_ldexp_f64 v[96:97], v[98:99], -2
	v_add_f64 v[98:99], v[86:87], -v[96:97]
	v_add_f64 v[86:87], v[86:87], -v[98:99]
	v_add_f64 v[86:87], v[86:87], -v[96:97]
	s_mov_b32 s8, 0x8fb9f87e
	v_ldexp_f64 v[88:89], v[88:89], -2
	v_add_f64 v[84:85], v[84:85], v[86:87]
	s_mov_b32 s9, 0x408633ce
	v_add_f64 v[84:85], v[84:85], -v[88:89]
	v_cmp_nge_f64_e64 vcc, |v[20:21]|, s[8:9]
	s_mov_b32 s8, 0
	v_add_f64 v[84:85], v[98:99], v[84:85]
	s_mov_b32 s9, 0x3e400000
	v_and_b32_e32 v18, 0x7fffffff, v21
	v_cndmask_b32_e32 v23, v93, v85, vcc
	v_cndmask_b32_e32 v12, 0, v84, vcc
	v_cmp_lt_f64_e64 vcc, |v[20:21]|, s[8:9]
	v_cndmask_b32_e32 v18, v23, v18, vcc
	v_cndmask_b32_e32 v12, v12, v20, vcc
	v_bfi_b32 v13, s46, v18, v13
	s_mov_b32 s8, 0
	v_fma_f64 v[20:21], v[12:13], v[12:13], 1.0
	s_brev_b32 s9, 8
	v_cmp_gt_f64_e32 vcc, s[8:9], v[20:21]
	v_cndmask_b32_e64 v18, 0, 1, vcc
	v_lshlrev_b32_e32 v18, 8, v18
	v_ldexp_f64 v[20:21], v[20:21], v18
	v_rsq_f64_e32 v[84:85], v[20:21]
	v_and_b32_e32 v18, 0x80000000, v19
	v_cndmask_b32_e32 v23, 0, v94, vcc
	v_xor_b32_e32 v11, v11, v18
	v_mul_f64 v[86:87], v[20:21], v[84:85]
	v_mul_f64 v[84:85], v[84:85], 0.5
	v_fma_f64 v[88:89], -v[84:85], v[86:87], 0.5
	v_fmac_f64_e32 v[86:87], v[86:87], v[88:89]
	v_fma_f64 v[96:97], -v[86:87], v[86:87], v[20:21]
	v_fmac_f64_e32 v[84:85], v[84:85], v[88:89]
	v_fmac_f64_e32 v[86:87], v[96:97], v[84:85]
	v_fma_f64 v[88:89], -v[86:87], v[86:87], v[20:21]
	v_fmac_f64_e32 v[86:87], v[88:89], v[84:85]
	v_ldexp_f64 v[84:85], v[86:87], v23
	v_cmp_class_f64_e32 vcc, v[20:21], v90
	v_fma_f64 v[18:19], v[10:11], v[10:11], 1.0
	v_cndmask_b32_e32 v21, v85, v21, vcc
	v_cndmask_b32_e32 v20, v84, v20, vcc
	v_mul_f64 v[84:85], v[12:13], v[18:19]
	v_mul_f64 v[18:19], v[20:21], v[18:19]
	v_fma_f64 v[84:85], v[12:13], v[84:85], 1.0
	v_mul_f64 v[12:13], v[12:13], v[18:19]
	v_div_scale_f64 v[18:19], s[8:9], v[84:85], v[84:85], v[12:13]
	v_rcp_f64_e32 v[20:21], v[18:19]
	v_fma_f64 v[86:87], -v[18:19], v[20:21], 1.0
	v_fmac_f64_e32 v[20:21], v[20:21], v[86:87]
	v_fma_f64 v[86:87], -v[18:19], v[20:21], 1.0
	v_fmac_f64_e32 v[20:21], v[20:21], v[86:87]
	v_div_scale_f64 v[86:87], vcc, v[12:13], v[84:85], v[12:13]
	v_mul_f64 v[88:89], v[86:87], v[20:21]
	v_fma_f64 v[18:19], -v[18:19], v[88:89], v[86:87]
	v_div_scale_f64 v[86:87], s[8:9], v[84:85], v[84:85], v[10:11]
	v_rcp_f64_e32 v[96:97], v[86:87]
	v_div_fmas_f64 v[18:19], v[18:19], v[20:21], v[88:89]
	v_div_fixup_f64 v[12:13], v[18:19], v[84:85], v[12:13]
	v_fma_f64 v[18:19], -v[86:87], v[96:97], 1.0
	v_fmac_f64_e32 v[96:97], v[96:97], v[18:19]
	v_fma_f64 v[18:19], -v[86:87], v[96:97], 1.0
	v_fmac_f64_e32 v[96:97], v[96:97], v[18:19]
	v_div_scale_f64 v[18:19], vcc, v[10:11], v[84:85], v[10:11]
	v_mul_f64 v[20:21], v[18:19], v[96:97]
	v_fma_f64 v[18:19], -v[86:87], v[20:21], v[18:19]
	s_nop 1
	v_div_fmas_f64 v[18:19], v[18:19], v[96:97], v[20:21]
	v_div_fixup_f64 v[10:11], v[18:19], v[84:85], v[10:11]
                                        ; implicit-def: $vgpr18_vgpr19
.LBB94_215:                             ;   in Loop: Header=BB94_161 Depth=1
	s_andn2_saveexec_b64 s[54:55], s[54:55]
	s_cbranch_execz .LBB94_225
; %bb.216:                              ;   in Loop: Header=BB94_161 Depth=1
	v_cmp_nlt_f64_e64 s[56:57], |v[18:19]|, s[18:19]
                                        ; implicit-def: $vgpr12
                                        ; implicit-def: $vgpr10_vgpr11
                                        ; implicit-def: $vgpr84_vgpr85
	s_and_saveexec_b64 s[8:9], s[56:57]
	s_xor_b64 s[64:65], exec, s[8:9]
	s_cbranch_execz .LBB94_218
; %bb.217:                              ;   in Loop: Header=BB94_161 Depth=1
	v_and_b32_e32 v12, 0x7fffffff, v19
	v_ldexp_f64 v[86:87], |v[18:19]|, s59
	v_cmp_ge_f64_e64 vcc, |v[18:19]|, s[20:21]
	v_trig_preop_f64 v[10:11], |v[18:19]|, 0
	v_cndmask_b32_e32 v87, v12, v87, vcc
	v_cndmask_b32_e32 v86, v18, v86, vcc
	v_trig_preop_f64 v[84:85], |v[18:19]|, 1
	v_mul_f64 v[96:97], v[10:11], v[86:87]
	v_mul_f64 v[88:89], v[84:85], v[86:87]
	v_fma_f64 v[10:11], v[10:11], v[86:87], -v[96:97]
	v_add_f64 v[98:99], v[88:89], v[10:11]
	v_add_f64 v[100:101], v[96:97], v[98:99]
	v_ldexp_f64 v[102:103], v[100:101], -2
	v_fract_f64_e32 v[104:105], v[102:103]
	v_cmp_neq_f64_e64 vcc, |v[102:103]|, s[22:23]
	v_cndmask_b32_e32 v103, 0, v105, vcc
	v_cndmask_b32_e32 v102, 0, v104, vcc
	v_add_f64 v[104:105], v[98:99], -v[88:89]
	v_add_f64 v[10:11], v[10:11], -v[104:105]
	;; [unrolled: 1-line block ×4, first 2 shown]
	v_fma_f64 v[84:85], v[84:85], v[86:87], -v[88:89]
	v_trig_preop_f64 v[88:89], |v[18:19]|, 2
	v_add_f64 v[10:11], v[10:11], v[104:105]
	v_mul_f64 v[104:105], v[88:89], v[86:87]
	v_add_f64 v[106:107], v[104:105], v[84:85]
	v_add_f64 v[108:109], v[106:107], v[10:11]
	v_add_f64 v[96:97], v[100:101], -v[96:97]
	v_add_f64 v[100:101], v[108:109], -v[106:107]
	;; [unrolled: 1-line block ×5, first 2 shown]
	v_add_f64 v[10:11], v[10:11], v[100:101]
	v_add_f64 v[100:101], v[106:107], -v[104:105]
	v_add_f64 v[84:85], v[84:85], -v[100:101]
	;; [unrolled: 1-line block ×4, first 2 shown]
	v_add_f64 v[84:85], v[84:85], v[100:101]
	v_add_f64 v[96:97], v[98:99], -v[96:97]
	v_add_f64 v[10:11], v[84:85], v[10:11]
	v_fma_f64 v[84:85], v[88:89], v[86:87], -v[104:105]
	v_add_f64 v[98:99], v[96:97], v[108:109]
	v_add_f64 v[10:11], v[84:85], v[10:11]
	v_ldexp_f64 v[84:85], v[102:103], 2
	v_add_f64 v[86:87], v[98:99], v[84:85]
	v_cmp_gt_f64_e32 vcc, 0, v[86:87]
	v_cndmask_b32_e32 v23, 0, v91, vcc
	v_add_f64 v[84:85], v[84:85], v[22:23]
	v_add_f64 v[86:87], v[98:99], v[84:85]
	v_cvt_i32_f64_e32 v12, v[86:87]
	v_cvt_f64_i32_e32 v[86:87], v12
	v_add_f64 v[84:85], v[84:85], -v[86:87]
	v_add_f64 v[96:97], v[98:99], -v[96:97]
	v_add_f64 v[86:87], v[98:99], v[84:85]
	v_add_f64 v[96:97], v[108:109], -v[96:97]
	v_add_f64 v[84:85], v[86:87], -v[84:85]
	v_cmp_le_f64_e32 vcc, 0.5, v[86:87]
	v_add_f64 v[10:11], v[96:97], v[10:11]
	v_add_f64 v[84:85], v[98:99], -v[84:85]
	v_cndmask_b32_e32 v23, 0, v92, vcc
	v_add_f64 v[10:11], v[10:11], v[84:85]
	v_add_f64 v[84:85], v[86:87], -v[22:23]
	v_add_f64 v[86:87], v[84:85], v[10:11]
	v_add_f64 v[84:85], v[86:87], -v[84:85]
	s_mov_b32 s24, s26
	v_add_f64 v[10:11], v[10:11], -v[84:85]
	v_mul_f64 v[84:85], v[86:87], s[24:25]
	v_fma_f64 v[88:89], v[86:87], s[24:25], -v[84:85]
	s_mov_b32 s31, s29
	v_fmac_f64_e32 v[88:89], s[30:31], v[86:87]
	v_fmac_f64_e32 v[88:89], s[24:25], v[10:11]
	v_add_f64 v[10:11], v[84:85], v[88:89]
	v_add_f64 v[84:85], v[10:11], -v[84:85]
	v_addc_co_u32_e64 v12, s[8:9], 0, v12, vcc
	v_add_f64 v[84:85], v[88:89], -v[84:85]
	s_andn2_saveexec_b64 s[8:9], s[64:65]
	s_cbranch_execz .LBB94_220
	s_branch .LBB94_219
.LBB94_218:                             ;   in Loop: Header=BB94_161 Depth=1
	s_andn2_saveexec_b64 s[8:9], s[64:65]
	s_cbranch_execz .LBB94_220
.LBB94_219:                             ;   in Loop: Header=BB94_161 Depth=1
	v_mul_f64 v[10:11], |v[18:19]|, s[34:35]
	v_rndne_f64_e32 v[86:87], v[10:11]
	v_fma_f64 v[10:11], v[86:87], s[26:27], |v[18:19]|
	v_mul_f64 v[88:89], v[86:87], s[36:37]
	v_add_f64 v[98:99], v[10:11], v[88:89]
	v_fma_f64 v[84:85], s[36:37], v[86:87], v[10:11]
	s_mov_b32 s28, s36
	v_add_f64 v[10:11], v[10:11], -v[98:99]
	v_fma_f64 v[96:97], s[28:29], v[86:87], v[88:89]
	v_add_f64 v[10:11], v[10:11], v[88:89]
	v_add_f64 v[88:89], v[98:99], -v[84:85]
	v_add_f64 v[10:11], v[88:89], v[10:11]
	v_add_f64 v[88:89], v[10:11], -v[96:97]
	v_fmac_f64_e32 v[88:89], s[38:39], v[86:87]
	v_add_f64 v[10:11], v[84:85], v[88:89]
	v_add_f64 v[84:85], v[10:11], -v[84:85]
	v_add_f64 v[84:85], v[88:89], -v[84:85]
	v_cvt_i32_f64_e32 v12, v[86:87]
.LBB94_220:                             ;   in Loop: Header=BB94_161 Depth=1
	s_or_b64 exec, exec, s[8:9]
                                        ; implicit-def: $vgpr96
                                        ; implicit-def: $vgpr86_vgpr87
                                        ; implicit-def: $vgpr88_vgpr89
	s_and_saveexec_b64 s[8:9], s[56:57]
	s_xor_b64 s[56:57], exec, s[8:9]
	s_cbranch_execz .LBB94_222
; %bb.221:                              ;   in Loop: Header=BB94_161 Depth=1
	v_and_b32_e32 v23, 0x7fffffff, v19
	v_ldexp_f64 v[96:97], |v[18:19]|, s59
	v_cmp_ge_f64_e64 vcc, |v[18:19]|, s[20:21]
	v_trig_preop_f64 v[86:87], |v[18:19]|, 0
	v_cndmask_b32_e32 v97, v23, v97, vcc
	v_cndmask_b32_e32 v96, v18, v96, vcc
	v_trig_preop_f64 v[88:89], |v[18:19]|, 1
	v_mul_f64 v[100:101], v[86:87], v[96:97]
	v_mul_f64 v[98:99], v[88:89], v[96:97]
	v_fma_f64 v[86:87], v[86:87], v[96:97], -v[100:101]
	v_add_f64 v[102:103], v[98:99], v[86:87]
	v_add_f64 v[104:105], v[100:101], v[102:103]
	v_ldexp_f64 v[106:107], v[104:105], -2
	v_fract_f64_e32 v[108:109], v[106:107]
	v_cmp_neq_f64_e64 vcc, |v[106:107]|, s[22:23]
	v_cndmask_b32_e32 v107, 0, v109, vcc
	v_cndmask_b32_e32 v106, 0, v108, vcc
	v_add_f64 v[108:109], v[102:103], -v[98:99]
	v_add_f64 v[86:87], v[86:87], -v[108:109]
	v_add_f64 v[108:109], v[102:103], -v[108:109]
	v_add_f64 v[108:109], v[98:99], -v[108:109]
	v_fma_f64 v[88:89], v[88:89], v[96:97], -v[98:99]
	v_trig_preop_f64 v[98:99], |v[18:19]|, 2
	v_add_f64 v[86:87], v[86:87], v[108:109]
	v_mul_f64 v[108:109], v[98:99], v[96:97]
	v_add_f64 v[110:111], v[108:109], v[88:89]
	v_add_f64 v[112:113], v[110:111], v[86:87]
	v_add_f64 v[100:101], v[104:105], -v[100:101]
	v_add_f64 v[104:105], v[112:113], -v[110:111]
	;; [unrolled: 1-line block ×5, first 2 shown]
	v_add_f64 v[86:87], v[86:87], v[104:105]
	v_add_f64 v[104:105], v[110:111], -v[108:109]
	v_add_f64 v[88:89], v[88:89], -v[104:105]
	;; [unrolled: 1-line block ×4, first 2 shown]
	v_add_f64 v[88:89], v[88:89], v[104:105]
	v_add_f64 v[100:101], v[102:103], -v[100:101]
	v_add_f64 v[86:87], v[88:89], v[86:87]
	v_fma_f64 v[88:89], v[98:99], v[96:97], -v[108:109]
	v_add_f64 v[102:103], v[100:101], v[112:113]
	v_add_f64 v[86:87], v[88:89], v[86:87]
	v_ldexp_f64 v[88:89], v[106:107], 2
	v_add_f64 v[96:97], v[102:103], v[88:89]
	v_cmp_gt_f64_e32 vcc, 0, v[96:97]
	v_cndmask_b32_e32 v23, 0, v91, vcc
	v_add_f64 v[88:89], v[88:89], v[22:23]
	v_add_f64 v[96:97], v[102:103], v[88:89]
	v_cvt_i32_f64_e32 v23, v[96:97]
	v_cvt_f64_i32_e32 v[96:97], v23
	v_add_f64 v[88:89], v[88:89], -v[96:97]
	v_add_f64 v[100:101], v[102:103], -v[100:101]
	v_add_f64 v[98:99], v[102:103], v[88:89]
	v_add_f64 v[100:101], v[112:113], -v[100:101]
	v_add_f64 v[88:89], v[98:99], -v[88:89]
	v_cmp_le_f64_e32 vcc, 0.5, v[98:99]
	v_add_f64 v[86:87], v[100:101], v[86:87]
	v_add_f64 v[88:89], v[102:103], -v[88:89]
	v_addc_co_u32_e64 v96, s[8:9], 0, v23, vcc
	v_cndmask_b32_e32 v23, 0, v92, vcc
	v_add_f64 v[86:87], v[86:87], v[88:89]
	v_add_f64 v[88:89], v[98:99], -v[22:23]
	v_add_f64 v[98:99], v[88:89], v[86:87]
	v_add_f64 v[88:89], v[98:99], -v[88:89]
	s_mov_b32 s24, s26
	v_add_f64 v[86:87], v[86:87], -v[88:89]
	v_mul_f64 v[88:89], v[98:99], s[24:25]
	v_fma_f64 v[100:101], v[98:99], s[24:25], -v[88:89]
	s_mov_b32 s31, s29
	v_fmac_f64_e32 v[100:101], s[30:31], v[98:99]
	v_fmac_f64_e32 v[100:101], s[24:25], v[86:87]
	v_add_f64 v[86:87], v[88:89], v[100:101]
	v_add_f64 v[88:89], v[86:87], -v[88:89]
	v_add_f64 v[88:89], v[100:101], -v[88:89]
	s_andn2_saveexec_b64 s[8:9], s[56:57]
	s_cbranch_execnz .LBB94_223
	s_branch .LBB94_224
.LBB94_222:                             ;   in Loop: Header=BB94_161 Depth=1
	s_andn2_saveexec_b64 s[8:9], s[56:57]
	s_cbranch_execz .LBB94_224
.LBB94_223:                             ;   in Loop: Header=BB94_161 Depth=1
	v_mul_f64 v[86:87], |v[18:19]|, s[34:35]
	v_rndne_f64_e32 v[96:97], v[86:87]
	v_fma_f64 v[86:87], v[96:97], s[26:27], |v[18:19]|
	v_mul_f64 v[98:99], v[96:97], s[36:37]
	v_add_f64 v[102:103], v[86:87], v[98:99]
	v_fma_f64 v[88:89], s[36:37], v[96:97], v[86:87]
	s_mov_b32 s28, s36
	v_add_f64 v[86:87], v[86:87], -v[102:103]
	v_fma_f64 v[100:101], s[28:29], v[96:97], v[98:99]
	v_add_f64 v[86:87], v[86:87], v[98:99]
	v_add_f64 v[98:99], v[102:103], -v[88:89]
	v_add_f64 v[86:87], v[98:99], v[86:87]
	v_add_f64 v[98:99], v[86:87], -v[100:101]
	v_fmac_f64_e32 v[98:99], s[38:39], v[96:97]
	v_add_f64 v[86:87], v[88:89], v[98:99]
	v_add_f64 v[88:89], v[86:87], -v[88:89]
	v_add_f64 v[88:89], v[98:99], -v[88:89]
	v_cvt_i32_f64_e32 v96, v[96:97]
.LBB94_224:                             ;   in Loop: Header=BB94_161 Depth=1
	s_or_b64 exec, exec, s[8:9]
	v_mul_f64 v[98:99], v[10:11], v[10:11]
	v_pk_mov_b32 v[106:107], s[70:71], s[70:71] op_sel:[0,1]
	v_mul_f64 v[100:101], v[98:99], 0.5
	v_fma_f64 v[108:109], s[72:73], v[98:99], v[106:107]
	v_add_f64 v[102:103], -v[100:101], 1.0
	v_fma_f64 v[108:109], v[98:99], v[108:109], s[74:75]
	v_add_f64 v[104:105], -v[102:103], 1.0
	v_fma_f64 v[108:109], v[98:99], v[108:109], s[76:77]
	v_add_f64 v[100:101], v[104:105], -v[100:101]
	v_fma_f64 v[108:109], v[98:99], v[108:109], s[78:79]
	v_mul_f64 v[104:105], v[98:99], v[98:99]
	v_fma_f64 v[108:109], v[98:99], v[108:109], s[62:63]
	v_fma_f64 v[100:101], v[10:11], -v[84:85], v[100:101]
	v_fmac_f64_e32 v[100:101], v[104:105], v[108:109]
	v_add_f64 v[100:101], v[102:103], v[100:101]
	v_pk_mov_b32 v[102:103], s[80:81], s[80:81] op_sel:[0,1]
	v_fma_f64 v[104:105], s[82:83], v[98:99], v[102:103]
	v_fma_f64 v[104:105], v[98:99], v[104:105], s[84:85]
	;; [unrolled: 1-line block ×4, first 2 shown]
	v_mul_f64 v[108:109], v[10:11], -v[98:99]
	v_mul_f64 v[110:111], v[84:85], 0.5
	s_mov_b32 s8, 0x652b82fe
	v_fmac_f64_e32 v[110:111], v[108:109], v[104:105]
	v_and_b32_e32 v18, 1, v12
	v_lshlrev_b32_e32 v12, 30, v12
	s_mov_b32 s9, 0xbff71547
	v_fma_f64 v[84:85], v[98:99], v[110:111], -v[84:85]
	s_mov_b32 s88, s62
	v_cmp_eq_u32_e32 vcc, 0, v18
	v_xor_b32_e32 v12, v12, v19
	v_mul_f64 v[18:19], |v[20:21]|, s[8:9]
	v_fmac_f64_e32 v[84:85], s[88:89], v[108:109]
	v_rndne_f64_e32 v[18:19], v[18:19]
	s_mov_b32 s8, 0x3b39803f
	v_add_f64 v[10:11], v[10:11], -v[84:85]
	v_fma_f64 v[84:85], v[18:19], s[42:43], -|v[20:21]|
	s_mov_b32 s9, 0xbc7abc9e
	v_fmac_f64_e32 v[84:85], s[8:9], v[18:19]
	s_mov_b32 s8, 0x6a5dcb37
	v_pk_mov_b32 v[98:99], v[60:61], v[60:61] op_sel:[0,1]
	s_mov_b32 s9, 0x3e5ade15
	v_cndmask_b32_e32 v10, v100, v10, vcc
	v_cndmask_b32_e32 v11, v101, v11, vcc
	v_fmac_f64_e32 v[98:99], s[8:9], v[84:85]
	v_pk_mov_b32 v[100:101], v[62:63], v[62:63] op_sel:[0,1]
	v_fmac_f64_e32 v[100:101], v[84:85], v[98:99]
	v_pk_mov_b32 v[98:99], v[64:65], v[64:65] op_sel:[0,1]
	;; [unrolled: 2-line block ×8, first 2 shown]
	v_fmac_f64_e32 v[98:99], v[84:85], v[100:101]
	v_and_b32_e32 v12, 0x80000000, v12
	v_fma_f64 v[98:99], v[84:85], v[98:99], 1.0
	v_xor_b32_e32 v11, v11, v12
	v_fma_f64 v[84:85], v[84:85], v[98:99], 1.0
	v_cvt_i32_f64_e32 v12, v[18:19]
	s_mov_b32 s8, 0
	v_ldexp_f64 v[18:19], v[84:85], v12
	s_mov_b32 s9, 0x4090cc00
	v_bfi_b32 v23, s46, v92, v13
	v_mul_f64 v[12:13], v[86:87], v[86:87]
	v_cmp_ngt_f64_e64 vcc, |v[20:21]|, s[8:9]
	v_mul_f64 v[20:21], v[12:13], 0.5
	v_fmac_f64_e32 v[106:107], s[72:73], v[12:13]
	v_add_f64 v[84:85], -v[20:21], 1.0
	v_fma_f64 v[100:101], v[12:13], v[106:107], s[74:75]
	v_add_f64 v[98:99], -v[84:85], 1.0
	v_fma_f64 v[100:101], v[12:13], v[100:101], s[76:77]
	v_add_f64 v[20:21], v[98:99], -v[20:21]
	v_fma_f64 v[100:101], v[12:13], v[100:101], s[78:79]
	v_mul_f64 v[98:99], v[12:13], v[12:13]
	v_fma_f64 v[100:101], v[12:13], v[100:101], s[62:63]
	v_fma_f64 v[20:21], v[86:87], -v[88:89], v[20:21]
	v_fmac_f64_e32 v[20:21], v[98:99], v[100:101]
	v_fmac_f64_e32 v[102:103], s[82:83], v[12:13]
	v_add_f64 v[20:21], v[84:85], v[20:21]
	v_fma_f64 v[84:85], v[12:13], v[102:103], s[84:85]
	v_fma_f64 v[84:85], v[12:13], v[84:85], s[86:87]
	;; [unrolled: 1-line block ×3, first 2 shown]
	v_mul_f64 v[98:99], v[86:87], -v[12:13]
	v_mul_f64 v[100:101], v[88:89], 0.5
	v_fmac_f64_e32 v[100:101], v[98:99], v[84:85]
	v_fma_f64 v[12:13], v[12:13], v[100:101], -v[88:89]
	v_fmac_f64_e32 v[12:13], s[88:89], v[98:99]
	v_and_b32_e32 v84, 1, v96
	v_cndmask_b32_e32 v19, 0, v19, vcc
	v_cndmask_b32_e32 v18, 0, v18, vcc
	v_add_f64 v[12:13], v[86:87], -v[12:13]
	v_cmp_eq_u32_e32 vcc, 0, v84
	v_xor_b32_e32 v13, 0x80000000, v13
	v_cndmask_b32_e32 v12, v12, v20, vcc
	v_lshlrev_b32_e32 v20, 30, v96
	v_cndmask_b32_e32 v13, v13, v21, vcc
	v_and_b32_e32 v20, 0x80000000, v20
	v_mul_f64 v[10:11], v[10:11], 4.0
	v_xor_b32_e32 v13, v13, v20
	v_mul_f64 v[10:11], v[10:11], v[12:13]
	v_mul_f64 v[10:11], v[18:19], v[10:11]
	;; [unrolled: 1-line block ×3, first 2 shown]
	v_pk_mov_b32 v[12:13], v[22:23], v[22:23] op_sel:[0,1]
.LBB94_225:                             ;   in Loop: Header=BB94_161 Depth=1
	s_or_b64 exec, exec, s[54:55]
                                        ; implicit-def: $vgpr18_vgpr19
.LBB94_226:                             ;   in Loop: Header=BB94_161 Depth=1
	s_andn2_saveexec_b64 s[8:9], s[40:41]
; %bb.227:                              ;   in Loop: Header=BB94_161 Depth=1
	v_add_f64 v[10:11], v[18:19], -v[18:19]
	v_pk_mov_b32 v[12:13], v[10:11], v[10:11] op_sel:[0,1]
; %bb.228:                              ;   in Loop: Header=BB94_161 Depth=1
	s_or_b64 exec, exec, s[8:9]
                                        ; implicit-def: $vgpr18_vgpr19
.LBB94_229:                             ;   in Loop: Header=BB94_161 Depth=1
	s_andn2_saveexec_b64 s[40:41], s[94:95]
	s_cbranch_execz .LBB94_245
; %bb.230:                              ;   in Loop: Header=BB94_161 Depth=1
	v_and_or_b32 v10, v13, s50, v12
	v_cmp_ne_u32_e32 vcc, 0, v10
	s_and_saveexec_b64 s[8:9], vcc
	s_xor_b64 s[8:9], exec, s[8:9]
; %bb.231:                              ;   in Loop: Header=BB94_161 Depth=1
	v_mul_f64 v[10:11], v[18:19], -v[20:21]
	v_cmp_eq_f64_e32 vcc, 0, v[18:19]
	v_cndmask_b32_e32 v11, v11, v19, vcc
	v_cndmask_b32_e32 v10, v10, v18, vcc
                                        ; implicit-def: $vgpr18_vgpr19
; %bb.232:                              ;   in Loop: Header=BB94_161 Depth=1
	s_andn2_saveexec_b64 s[54:55], s[8:9]
	s_cbranch_execz .LBB94_244
; %bb.233:                              ;   in Loop: Header=BB94_161 Depth=1
	v_cmp_neq_f64_e64 s[8:9], |v[18:19]|, s[22:23]
	s_and_saveexec_b64 s[94:95], s[8:9]
	s_cbranch_execz .LBB94_243
; %bb.234:                              ;   in Loop: Header=BB94_161 Depth=1
	v_cmp_nlt_f64_e64 s[56:57], |v[18:19]|, s[18:19]
                                        ; implicit-def: $vgpr88
                                        ; implicit-def: $vgpr10_vgpr11
                                        ; implicit-def: $vgpr20_vgpr21
	s_and_saveexec_b64 s[8:9], s[56:57]
	s_xor_b64 s[64:65], exec, s[8:9]
	s_cbranch_execz .LBB94_236
; %bb.235:                              ;   in Loop: Header=BB94_161 Depth=1
	v_and_b32_e32 v23, 0x7fffffff, v19
	v_ldexp_f64 v[84:85], |v[18:19]|, s59
	v_cmp_ge_f64_e64 vcc, |v[18:19]|, s[20:21]
	v_trig_preop_f64 v[10:11], |v[18:19]|, 0
	v_cndmask_b32_e32 v85, v23, v85, vcc
	v_cndmask_b32_e32 v84, v18, v84, vcc
	v_trig_preop_f64 v[20:21], |v[18:19]|, 1
	v_mul_f64 v[88:89], v[10:11], v[84:85]
	v_mul_f64 v[86:87], v[20:21], v[84:85]
	v_fma_f64 v[10:11], v[10:11], v[84:85], -v[88:89]
	v_add_f64 v[96:97], v[86:87], v[10:11]
	v_add_f64 v[98:99], v[88:89], v[96:97]
	v_ldexp_f64 v[100:101], v[98:99], -2
	v_fract_f64_e32 v[102:103], v[100:101]
	v_cmp_neq_f64_e64 vcc, |v[100:101]|, s[22:23]
	v_cndmask_b32_e32 v101, 0, v103, vcc
	v_cndmask_b32_e32 v100, 0, v102, vcc
	v_add_f64 v[102:103], v[96:97], -v[86:87]
	v_add_f64 v[10:11], v[10:11], -v[102:103]
	;; [unrolled: 1-line block ×4, first 2 shown]
	v_fma_f64 v[20:21], v[20:21], v[84:85], -v[86:87]
	v_trig_preop_f64 v[86:87], |v[18:19]|, 2
	v_add_f64 v[10:11], v[10:11], v[102:103]
	v_mul_f64 v[102:103], v[86:87], v[84:85]
	v_add_f64 v[104:105], v[102:103], v[20:21]
	v_add_f64 v[106:107], v[104:105], v[10:11]
	v_add_f64 v[88:89], v[98:99], -v[88:89]
	v_add_f64 v[98:99], v[106:107], -v[104:105]
	;; [unrolled: 1-line block ×5, first 2 shown]
	v_add_f64 v[10:11], v[10:11], v[98:99]
	v_add_f64 v[98:99], v[104:105], -v[102:103]
	v_add_f64 v[20:21], v[20:21], -v[98:99]
	v_add_f64 v[98:99], v[104:105], -v[98:99]
	v_add_f64 v[98:99], v[102:103], -v[98:99]
	v_add_f64 v[20:21], v[20:21], v[98:99]
	v_add_f64 v[88:89], v[96:97], -v[88:89]
	v_add_f64 v[10:11], v[20:21], v[10:11]
	v_fma_f64 v[20:21], v[86:87], v[84:85], -v[102:103]
	v_add_f64 v[96:97], v[88:89], v[106:107]
	v_add_f64 v[10:11], v[20:21], v[10:11]
	v_ldexp_f64 v[20:21], v[100:101], 2
	v_add_f64 v[84:85], v[96:97], v[20:21]
	v_cmp_gt_f64_e32 vcc, 0, v[84:85]
	v_cndmask_b32_e32 v23, 0, v91, vcc
	v_add_f64 v[20:21], v[20:21], v[22:23]
	v_add_f64 v[84:85], v[96:97], v[20:21]
	v_cvt_i32_f64_e32 v23, v[84:85]
	v_cvt_f64_i32_e32 v[84:85], v23
	v_add_f64 v[20:21], v[20:21], -v[84:85]
	v_add_f64 v[88:89], v[96:97], -v[88:89]
	v_add_f64 v[84:85], v[96:97], v[20:21]
	v_add_f64 v[88:89], v[106:107], -v[88:89]
	v_add_f64 v[20:21], v[84:85], -v[20:21]
	v_cmp_le_f64_e32 vcc, 0.5, v[84:85]
	v_add_f64 v[10:11], v[88:89], v[10:11]
	v_add_f64 v[20:21], v[96:97], -v[20:21]
	v_addc_co_u32_e64 v88, s[8:9], 0, v23, vcc
	v_cndmask_b32_e32 v23, 0, v92, vcc
	v_add_f64 v[10:11], v[10:11], v[20:21]
	v_add_f64 v[20:21], v[84:85], -v[22:23]
	v_add_f64 v[84:85], v[20:21], v[10:11]
	v_add_f64 v[20:21], v[84:85], -v[20:21]
	s_mov_b32 s24, s26
	v_add_f64 v[10:11], v[10:11], -v[20:21]
	v_mul_f64 v[20:21], v[84:85], s[24:25]
	v_fma_f64 v[86:87], v[84:85], s[24:25], -v[20:21]
	s_mov_b32 s31, s29
	v_fmac_f64_e32 v[86:87], s[30:31], v[84:85]
	v_fmac_f64_e32 v[86:87], s[24:25], v[10:11]
	v_add_f64 v[10:11], v[20:21], v[86:87]
	v_add_f64 v[20:21], v[10:11], -v[20:21]
	v_add_f64 v[20:21], v[86:87], -v[20:21]
	s_andn2_saveexec_b64 s[8:9], s[64:65]
	s_cbranch_execz .LBB94_238
	s_branch .LBB94_237
.LBB94_236:                             ;   in Loop: Header=BB94_161 Depth=1
	s_andn2_saveexec_b64 s[8:9], s[64:65]
	s_cbranch_execz .LBB94_238
.LBB94_237:                             ;   in Loop: Header=BB94_161 Depth=1
	v_mul_f64 v[10:11], |v[18:19]|, s[34:35]
	v_rndne_f64_e32 v[84:85], v[10:11]
	v_fma_f64 v[10:11], v[84:85], s[26:27], |v[18:19]|
	v_mul_f64 v[86:87], v[84:85], s[36:37]
	v_add_f64 v[96:97], v[10:11], v[86:87]
	v_fma_f64 v[20:21], s[36:37], v[84:85], v[10:11]
	s_mov_b32 s28, s36
	v_add_f64 v[10:11], v[10:11], -v[96:97]
	v_fma_f64 v[88:89], s[28:29], v[84:85], v[86:87]
	v_add_f64 v[10:11], v[10:11], v[86:87]
	v_add_f64 v[86:87], v[96:97], -v[20:21]
	v_add_f64 v[10:11], v[86:87], v[10:11]
	v_add_f64 v[86:87], v[10:11], -v[88:89]
	v_fmac_f64_e32 v[86:87], s[38:39], v[84:85]
	v_add_f64 v[10:11], v[20:21], v[86:87]
	v_add_f64 v[20:21], v[10:11], -v[20:21]
	v_add_f64 v[20:21], v[86:87], -v[20:21]
	v_cvt_i32_f64_e32 v88, v[84:85]
.LBB94_238:                             ;   in Loop: Header=BB94_161 Depth=1
	s_or_b64 exec, exec, s[8:9]
                                        ; implicit-def: $vgpr89
                                        ; implicit-def: $vgpr84_vgpr85
                                        ; implicit-def: $vgpr86_vgpr87
	s_and_saveexec_b64 s[8:9], s[56:57]
	s_xor_b64 s[56:57], exec, s[8:9]
	s_cbranch_execz .LBB94_240
; %bb.239:                              ;   in Loop: Header=BB94_161 Depth=1
	v_and_b32_e32 v23, 0x7fffffff, v19
	v_ldexp_f64 v[96:97], |v[18:19]|, s59
	v_cmp_ge_f64_e64 vcc, |v[18:19]|, s[20:21]
	v_trig_preop_f64 v[84:85], |v[18:19]|, 0
	v_cndmask_b32_e32 v97, v23, v97, vcc
	v_cndmask_b32_e32 v96, v18, v96, vcc
	v_trig_preop_f64 v[86:87], |v[18:19]|, 1
	v_mul_f64 v[100:101], v[84:85], v[96:97]
	v_mul_f64 v[98:99], v[86:87], v[96:97]
	v_fma_f64 v[84:85], v[84:85], v[96:97], -v[100:101]
	v_add_f64 v[102:103], v[98:99], v[84:85]
	v_add_f64 v[104:105], v[100:101], v[102:103]
	v_ldexp_f64 v[106:107], v[104:105], -2
	v_fract_f64_e32 v[108:109], v[106:107]
	v_cmp_neq_f64_e64 vcc, |v[106:107]|, s[22:23]
	v_cndmask_b32_e32 v107, 0, v109, vcc
	v_cndmask_b32_e32 v106, 0, v108, vcc
	v_add_f64 v[108:109], v[102:103], -v[98:99]
	v_add_f64 v[84:85], v[84:85], -v[108:109]
	;; [unrolled: 1-line block ×4, first 2 shown]
	v_fma_f64 v[86:87], v[86:87], v[96:97], -v[98:99]
	v_trig_preop_f64 v[98:99], |v[18:19]|, 2
	v_add_f64 v[84:85], v[84:85], v[108:109]
	v_mul_f64 v[108:109], v[98:99], v[96:97]
	v_add_f64 v[110:111], v[108:109], v[86:87]
	v_add_f64 v[112:113], v[110:111], v[84:85]
	v_add_f64 v[100:101], v[104:105], -v[100:101]
	v_add_f64 v[104:105], v[112:113], -v[110:111]
	;; [unrolled: 1-line block ×5, first 2 shown]
	v_add_f64 v[84:85], v[84:85], v[104:105]
	v_add_f64 v[104:105], v[110:111], -v[108:109]
	v_add_f64 v[86:87], v[86:87], -v[104:105]
	;; [unrolled: 1-line block ×4, first 2 shown]
	v_add_f64 v[86:87], v[86:87], v[104:105]
	v_add_f64 v[100:101], v[102:103], -v[100:101]
	v_add_f64 v[84:85], v[86:87], v[84:85]
	v_fma_f64 v[86:87], v[98:99], v[96:97], -v[108:109]
	v_add_f64 v[102:103], v[100:101], v[112:113]
	v_add_f64 v[84:85], v[86:87], v[84:85]
	v_ldexp_f64 v[86:87], v[106:107], 2
	v_add_f64 v[96:97], v[102:103], v[86:87]
	v_cmp_gt_f64_e32 vcc, 0, v[96:97]
	v_cndmask_b32_e32 v23, 0, v91, vcc
	v_add_f64 v[86:87], v[86:87], v[22:23]
	v_add_f64 v[96:97], v[102:103], v[86:87]
	v_cvt_i32_f64_e32 v23, v[96:97]
	v_cvt_f64_i32_e32 v[96:97], v23
	v_add_f64 v[86:87], v[86:87], -v[96:97]
	v_add_f64 v[100:101], v[102:103], -v[100:101]
	v_add_f64 v[96:97], v[102:103], v[86:87]
	v_add_f64 v[100:101], v[112:113], -v[100:101]
	v_add_f64 v[86:87], v[96:97], -v[86:87]
	v_cmp_le_f64_e32 vcc, 0.5, v[96:97]
	v_add_f64 v[84:85], v[100:101], v[84:85]
	v_add_f64 v[86:87], v[102:103], -v[86:87]
	v_addc_co_u32_e64 v89, s[8:9], 0, v23, vcc
	v_cndmask_b32_e32 v23, 0, v92, vcc
	v_add_f64 v[84:85], v[84:85], v[86:87]
	v_add_f64 v[86:87], v[96:97], -v[22:23]
	v_add_f64 v[96:97], v[86:87], v[84:85]
	v_add_f64 v[86:87], v[96:97], -v[86:87]
	s_mov_b32 s24, s26
	v_add_f64 v[84:85], v[84:85], -v[86:87]
	v_mul_f64 v[86:87], v[96:97], s[24:25]
	v_fma_f64 v[98:99], v[96:97], s[24:25], -v[86:87]
	s_mov_b32 s31, s29
	v_fmac_f64_e32 v[98:99], s[30:31], v[96:97]
	v_fmac_f64_e32 v[98:99], s[24:25], v[84:85]
	v_add_f64 v[84:85], v[86:87], v[98:99]
	v_add_f64 v[86:87], v[84:85], -v[86:87]
	v_add_f64 v[86:87], v[98:99], -v[86:87]
	s_andn2_saveexec_b64 s[8:9], s[56:57]
	s_cbranch_execnz .LBB94_241
	s_branch .LBB94_242
.LBB94_240:                             ;   in Loop: Header=BB94_161 Depth=1
	s_andn2_saveexec_b64 s[8:9], s[56:57]
	s_cbranch_execz .LBB94_242
.LBB94_241:                             ;   in Loop: Header=BB94_161 Depth=1
	v_mul_f64 v[84:85], |v[18:19]|, s[34:35]
	v_rndne_f64_e32 v[96:97], v[84:85]
	v_fma_f64 v[84:85], v[96:97], s[26:27], |v[18:19]|
	v_mul_f64 v[98:99], v[96:97], s[36:37]
	v_add_f64 v[102:103], v[84:85], v[98:99]
	v_fma_f64 v[86:87], s[36:37], v[96:97], v[84:85]
	s_mov_b32 s28, s36
	v_add_f64 v[84:85], v[84:85], -v[102:103]
	v_fma_f64 v[100:101], s[28:29], v[96:97], v[98:99]
	v_add_f64 v[84:85], v[84:85], v[98:99]
	v_add_f64 v[98:99], v[102:103], -v[86:87]
	v_add_f64 v[84:85], v[98:99], v[84:85]
	v_add_f64 v[98:99], v[84:85], -v[100:101]
	v_fmac_f64_e32 v[98:99], s[38:39], v[96:97]
	v_add_f64 v[84:85], v[86:87], v[98:99]
	v_add_f64 v[86:87], v[84:85], -v[86:87]
	v_add_f64 v[86:87], v[98:99], -v[86:87]
	v_cvt_i32_f64_e32 v89, v[96:97]
.LBB94_242:                             ;   in Loop: Header=BB94_161 Depth=1
	s_or_b64 exec, exec, s[8:9]
	v_mul_f64 v[96:97], v[10:11], v[10:11]
	v_pk_mov_b32 v[104:105], s[70:71], s[70:71] op_sel:[0,1]
	v_mul_f64 v[98:99], v[96:97], 0.5
	v_fma_f64 v[106:107], s[72:73], v[96:97], v[104:105]
	v_add_f64 v[100:101], -v[98:99], 1.0
	v_fma_f64 v[106:107], v[96:97], v[106:107], s[74:75]
	v_add_f64 v[102:103], -v[100:101], 1.0
	v_fma_f64 v[106:107], v[96:97], v[106:107], s[76:77]
	v_add_f64 v[98:99], v[102:103], -v[98:99]
	v_fma_f64 v[106:107], v[96:97], v[106:107], s[78:79]
	v_mul_f64 v[102:103], v[96:97], v[96:97]
	v_fma_f64 v[106:107], v[96:97], v[106:107], s[62:63]
	v_fma_f64 v[98:99], v[10:11], -v[20:21], v[98:99]
	v_fmac_f64_e32 v[98:99], v[102:103], v[106:107]
	v_add_f64 v[98:99], v[100:101], v[98:99]
	v_pk_mov_b32 v[100:101], s[80:81], s[80:81] op_sel:[0,1]
	v_fma_f64 v[102:103], s[82:83], v[96:97], v[100:101]
	v_fma_f64 v[102:103], v[96:97], v[102:103], s[84:85]
	;; [unrolled: 1-line block ×4, first 2 shown]
	v_mul_f64 v[106:107], v[10:11], -v[96:97]
	v_mul_f64 v[108:109], v[20:21], 0.5
	v_fmac_f64_e32 v[108:109], v[106:107], v[102:103]
	v_fma_f64 v[20:21], v[96:97], v[108:109], -v[20:21]
	s_mov_b32 s88, s62
	v_fmac_f64_e32 v[20:21], s[88:89], v[106:107]
	v_add_f64 v[10:11], v[10:11], -v[20:21]
	v_and_b32_e32 v20, 1, v88
	v_cmp_eq_u32_e32 vcc, 0, v20
	v_lshlrev_b32_e32 v20, 30, v88
	v_xor_b32_e32 v20, v20, v19
	v_cndmask_b32_e32 v10, v98, v10, vcc
	v_cndmask_b32_e32 v11, v99, v11, vcc
	v_and_b32_e32 v20, 0x80000000, v20
	v_cmp_class_f64_e64 vcc, v[18:19], s58
	v_mul_f64 v[18:19], v[84:85], v[84:85]
	v_xor_b32_e32 v11, v11, v20
	v_mul_f64 v[20:21], v[18:19], 0.5
	v_fmac_f64_e32 v[104:105], s[72:73], v[18:19]
	v_add_f64 v[96:97], -v[20:21], 1.0
	v_fma_f64 v[102:103], v[18:19], v[104:105], s[74:75]
	v_add_f64 v[98:99], -v[96:97], 1.0
	v_fma_f64 v[102:103], v[18:19], v[102:103], s[76:77]
	v_add_f64 v[20:21], v[98:99], -v[20:21]
	v_fma_f64 v[102:103], v[18:19], v[102:103], s[78:79]
	v_mul_f64 v[98:99], v[18:19], v[18:19]
	v_fma_f64 v[102:103], v[18:19], v[102:103], s[62:63]
	v_fma_f64 v[20:21], v[84:85], -v[86:87], v[20:21]
	v_fmac_f64_e32 v[20:21], v[98:99], v[102:103]
	v_fmac_f64_e32 v[100:101], s[82:83], v[18:19]
	v_add_f64 v[20:21], v[96:97], v[20:21]
	v_fma_f64 v[96:97], v[18:19], v[100:101], s[84:85]
	v_fma_f64 v[96:97], v[18:19], v[96:97], s[86:87]
	;; [unrolled: 1-line block ×3, first 2 shown]
	v_mul_f64 v[98:99], v[84:85], -v[18:19]
	v_mul_f64 v[100:101], v[86:87], 0.5
	v_fmac_f64_e32 v[100:101], v[98:99], v[96:97]
	v_fma_f64 v[18:19], v[18:19], v[100:101], -v[86:87]
	v_fmac_f64_e32 v[18:19], s[88:89], v[98:99]
	v_and_b32_e32 v23, 1, v89
	v_add_f64 v[18:19], v[84:85], -v[18:19]
	v_cmp_eq_u32_e64 s[8:9], 0, v23
	v_xor_b32_e32 v19, 0x80000000, v19
	v_cndmask_b32_e64 v18, v18, v20, s[8:9]
	v_lshlrev_b32_e32 v20, 30, v89
	v_cndmask_b32_e64 v19, v19, v21, s[8:9]
	v_and_b32_e32 v20, 0x80000000, v20
	v_xor_b32_e32 v19, v19, v20
	v_cndmask_b32_e32 v10, 0, v10, vcc
	v_cndmask_b32_e32 v11, v95, v11, vcc
	;; [unrolled: 1-line block ×4, first 2 shown]
	v_mul_f64 v[18:19], v[10:11], v[18:19]
.LBB94_243:                             ;   in Loop: Header=BB94_161 Depth=1
	s_or_b64 exec, exec, s[94:95]
	v_add_co_u32_e32 v12, vcc, 0, v12
	v_bfi_b32 v23, s46, 0, v19
	v_addc_co_u32_e32 v13, vcc, -2.0, v13, vcc
	v_pk_mov_b32 v[10:11], v[22:23], v[22:23] op_sel:[0,1]
.LBB94_244:                             ;   in Loop: Header=BB94_161 Depth=1
	s_or_b64 exec, exec, s[54:55]
.LBB94_245:                             ;   in Loop: Header=BB94_161 Depth=1
	s_or_b64 exec, exec, s[40:41]
	v_xor_b32_e32 v21, 0x80000000, v17
	v_and_b32_e32 v18, 0x7fffffff, v21
	v_mov_b32_e32 v20, v16
	v_cmp_gt_u32_e32 vcc, s47, v18
	s_and_saveexec_b64 s[8:9], vcc
	s_xor_b64 s[94:95], exec, s[8:9]
	s_cbranch_execz .LBB94_267
; %bb.246:                              ;   in Loop: Header=BB94_161 Depth=1
	v_cmp_class_f64_e64 s[8:9], v[14:15], s58
	s_and_saveexec_b64 s[40:41], s[8:9]
	s_xor_b64 s[40:41], exec, s[40:41]
	s_cbranch_execz .LBB94_264
; %bb.247:                              ;   in Loop: Header=BB94_161 Depth=1
	s_mov_b32 s8, 0x40360000
	v_cmp_gt_u32_e32 vcc, s8, v18
	s_and_saveexec_b64 s[8:9], vcc
	s_xor_b64 s[54:55], exec, s[8:9]
	s_cbranch_execz .LBB94_253
; %bb.248:                              ;   in Loop: Header=BB94_161 Depth=1
	v_cmp_nlt_f64_e64 s[8:9], |v[14:15]|, s[18:19]
                                        ; implicit-def: $vgpr20
                                        ; implicit-def: $vgpr18_vgpr19
                                        ; implicit-def: $vgpr84_vgpr85
	s_and_saveexec_b64 s[56:57], s[8:9]
	s_xor_b64 s[56:57], exec, s[56:57]
	s_cbranch_execz .LBB94_250
; %bb.249:                              ;   in Loop: Header=BB94_161 Depth=1
	v_and_b32_e32 v20, 0x7fffffff, v15
	v_ldexp_f64 v[86:87], |v[14:15]|, s59
	v_cmp_ge_f64_e64 vcc, |v[14:15]|, s[20:21]
	v_trig_preop_f64 v[18:19], |v[14:15]|, 0
	v_cndmask_b32_e32 v87, v20, v87, vcc
	v_cndmask_b32_e32 v86, v14, v86, vcc
	v_trig_preop_f64 v[84:85], |v[14:15]|, 1
	v_mul_f64 v[96:97], v[18:19], v[86:87]
	v_mul_f64 v[88:89], v[84:85], v[86:87]
	v_fma_f64 v[18:19], v[18:19], v[86:87], -v[96:97]
	v_add_f64 v[98:99], v[88:89], v[18:19]
	v_add_f64 v[100:101], v[96:97], v[98:99]
	v_ldexp_f64 v[102:103], v[100:101], -2
	v_fract_f64_e32 v[104:105], v[102:103]
	v_cmp_neq_f64_e64 vcc, |v[102:103]|, s[22:23]
	v_cndmask_b32_e32 v103, 0, v105, vcc
	v_cndmask_b32_e32 v102, 0, v104, vcc
	v_add_f64 v[104:105], v[98:99], -v[88:89]
	v_add_f64 v[18:19], v[18:19], -v[104:105]
	;; [unrolled: 1-line block ×4, first 2 shown]
	v_fma_f64 v[84:85], v[84:85], v[86:87], -v[88:89]
	v_trig_preop_f64 v[88:89], |v[14:15]|, 2
	v_add_f64 v[18:19], v[18:19], v[104:105]
	v_mul_f64 v[104:105], v[88:89], v[86:87]
	v_add_f64 v[106:107], v[104:105], v[84:85]
	v_add_f64 v[108:109], v[106:107], v[18:19]
	v_add_f64 v[96:97], v[100:101], -v[96:97]
	v_add_f64 v[100:101], v[108:109], -v[106:107]
	;; [unrolled: 1-line block ×5, first 2 shown]
	v_add_f64 v[18:19], v[18:19], v[100:101]
	v_add_f64 v[100:101], v[106:107], -v[104:105]
	v_add_f64 v[84:85], v[84:85], -v[100:101]
	;; [unrolled: 1-line block ×4, first 2 shown]
	v_add_f64 v[84:85], v[84:85], v[100:101]
	v_add_f64 v[96:97], v[98:99], -v[96:97]
	v_add_f64 v[18:19], v[84:85], v[18:19]
	v_fma_f64 v[84:85], v[88:89], v[86:87], -v[104:105]
	v_add_f64 v[98:99], v[96:97], v[108:109]
	v_add_f64 v[18:19], v[84:85], v[18:19]
	v_ldexp_f64 v[84:85], v[102:103], 2
	v_add_f64 v[86:87], v[98:99], v[84:85]
	v_cmp_gt_f64_e32 vcc, 0, v[86:87]
	v_cndmask_b32_e32 v23, 0, v91, vcc
	v_add_f64 v[84:85], v[84:85], v[22:23]
	v_add_f64 v[86:87], v[98:99], v[84:85]
	v_cvt_i32_f64_e32 v20, v[86:87]
	v_cvt_f64_i32_e32 v[86:87], v20
	v_add_f64 v[84:85], v[84:85], -v[86:87]
	v_add_f64 v[96:97], v[98:99], -v[96:97]
	v_add_f64 v[86:87], v[98:99], v[84:85]
	v_add_f64 v[96:97], v[108:109], -v[96:97]
	v_add_f64 v[84:85], v[86:87], -v[84:85]
	v_cmp_le_f64_e32 vcc, 0.5, v[86:87]
	v_add_f64 v[18:19], v[96:97], v[18:19]
	v_add_f64 v[84:85], v[98:99], -v[84:85]
	v_cndmask_b32_e32 v23, 0, v92, vcc
	v_add_f64 v[18:19], v[18:19], v[84:85]
	v_add_f64 v[84:85], v[86:87], -v[22:23]
	v_add_f64 v[86:87], v[84:85], v[18:19]
	v_add_f64 v[84:85], v[86:87], -v[84:85]
	s_mov_b32 s24, s26
	v_add_f64 v[18:19], v[18:19], -v[84:85]
	v_mul_f64 v[84:85], v[86:87], s[24:25]
	v_fma_f64 v[88:89], v[86:87], s[24:25], -v[84:85]
	s_mov_b32 s31, s29
	v_fmac_f64_e32 v[88:89], s[30:31], v[86:87]
	v_fmac_f64_e32 v[88:89], s[24:25], v[18:19]
	v_add_f64 v[18:19], v[84:85], v[88:89]
	v_add_f64 v[84:85], v[18:19], -v[84:85]
	v_addc_co_u32_e64 v20, s[8:9], 0, v20, vcc
	v_add_f64 v[84:85], v[88:89], -v[84:85]
.LBB94_250:                             ;   in Loop: Header=BB94_161 Depth=1
	s_andn2_saveexec_b64 s[8:9], s[56:57]
	s_cbranch_execz .LBB94_252
; %bb.251:                              ;   in Loop: Header=BB94_161 Depth=1
	v_mul_f64 v[18:19], |v[14:15]|, s[34:35]
	v_rndne_f64_e32 v[86:87], v[18:19]
	v_fma_f64 v[18:19], v[86:87], s[26:27], |v[14:15]|
	v_mul_f64 v[88:89], v[86:87], s[36:37]
	v_add_f64 v[98:99], v[18:19], v[88:89]
	v_fma_f64 v[84:85], s[36:37], v[86:87], v[18:19]
	s_mov_b32 s28, s36
	v_add_f64 v[18:19], v[18:19], -v[98:99]
	v_fma_f64 v[96:97], s[28:29], v[86:87], v[88:89]
	v_add_f64 v[18:19], v[18:19], v[88:89]
	v_add_f64 v[88:89], v[98:99], -v[84:85]
	v_add_f64 v[18:19], v[88:89], v[18:19]
	v_add_f64 v[88:89], v[18:19], -v[96:97]
	v_fmac_f64_e32 v[88:89], s[38:39], v[86:87]
	v_add_f64 v[18:19], v[84:85], v[88:89]
	v_add_f64 v[84:85], v[18:19], -v[84:85]
	v_add_f64 v[84:85], v[88:89], -v[84:85]
	v_cvt_i32_f64_e32 v20, v[86:87]
.LBB94_252:                             ;   in Loop: Header=BB94_161 Depth=1
	s_or_b64 exec, exec, s[8:9]
	v_mul_f64 v[86:87], v[18:19], v[18:19]
	v_fma_f64 v[88:89], v[18:19], v[18:19], -v[86:87]
	v_add_f64 v[96:97], v[84:85], v[84:85]
	v_fmac_f64_e32 v[88:89], v[18:19], v[96:97]
	s_mov_b32 s8, 0xc751c08c
	v_add_f64 v[86:87], v[86:87], v[88:89]
	v_pk_mov_b32 v[88:89], v[34:35], v[34:35] op_sel:[0,1]
	s_mov_b32 s9, 0x3ef5e089
	v_fmac_f64_e32 v[88:89], s[8:9], v[86:87]
	v_pk_mov_b32 v[96:97], v[36:37], v[36:37] op_sel:[0,1]
	v_fmac_f64_e32 v[96:97], v[86:87], v[88:89]
	v_pk_mov_b32 v[88:89], v[38:39], v[38:39] op_sel:[0,1]
	;; [unrolled: 2-line block ×12, first 2 shown]
	v_fmac_f64_e32 v[88:89], v[86:87], v[96:97]
	v_mul_f64 v[86:87], v[86:87], v[88:89]
	v_mul_f64 v[88:89], v[18:19], v[86:87]
	v_add_f64 v[96:97], v[18:19], v[88:89]
	v_fma_f64 v[86:87], v[18:19], v[86:87], -v[88:89]
	v_add_f64 v[18:19], v[96:97], -v[18:19]
	v_add_f64 v[18:19], v[88:89], -v[18:19]
	v_add_f64 v[84:85], v[84:85], v[86:87]
	v_add_f64 v[18:19], v[84:85], v[18:19]
	;; [unrolled: 1-line block ×3, first 2 shown]
	v_rcp_f64_e32 v[86:87], v[84:85]
	v_add_f64 v[88:89], v[84:85], -v[96:97]
	v_add_f64 v[18:19], v[18:19], -v[88:89]
	v_and_b32_e32 v14, 1, v20
	v_fma_f64 v[88:89], -v[84:85], v[86:87], 1.0
	v_fmac_f64_e32 v[86:87], v[88:89], v[86:87]
	v_fma_f64 v[88:89], -v[84:85], v[86:87], 1.0
	v_fmac_f64_e32 v[86:87], v[88:89], v[86:87]
	v_mul_f64 v[88:89], v[84:85], v[86:87]
	v_fma_f64 v[96:97], v[86:87], v[84:85], -v[88:89]
	v_fmac_f64_e32 v[96:97], v[86:87], v[18:19]
	v_add_f64 v[18:19], v[88:89], v[96:97]
	v_add_f64 v[98:99], -v[18:19], 1.0
	v_add_f64 v[88:89], v[18:19], -v[88:89]
	v_add_f64 v[100:101], -v[98:99], 1.0
	v_add_f64 v[18:19], v[100:101], -v[18:19]
	v_add_f64 v[88:89], v[88:89], -v[96:97]
	v_add_f64 v[18:19], v[88:89], v[18:19]
	v_add_f64 v[18:19], v[98:99], v[18:19]
	v_mul_f64 v[18:19], v[86:87], v[18:19]
	v_add_f64 v[18:19], v[86:87], v[18:19]
	v_xor_b32_e32 v19, 0x80000000, v19
	v_cmp_eq_u32_e32 vcc, 0, v14
	v_cndmask_b32_e32 v14, v18, v84, vcc
	v_cndmask_b32_e32 v23, v19, v85, vcc
	v_add_f64 v[18:19], |v[16:17]|, s[42:43]
	v_add_f64 v[84:85], v[18:19], -|v[16:17]|
	v_add_f64 v[86:87], v[84:85], -v[18:19]
	s_mov_b32 s44, s42
	v_add_f64 v[86:87], |v[16:17]|, v[86:87]
	v_add_f64 v[84:85], v[84:85], s[44:45]
	s_mov_b32 s8, 0x3b39803f
	v_add_f64 v[84:85], v[86:87], -v[84:85]
	s_mov_b32 s9, 0xbc7abc9e
	v_add_f64 v[84:85], v[84:85], s[8:9]
	v_add_f64 v[86:87], v[18:19], v[84:85]
	s_mov_b32 s8, 0x652b82fe
	v_add_f64 v[18:19], v[18:19], -v[86:87]
	s_mov_b32 s9, 0xbff71547
	s_mov_b32 s48, s8
	v_add_f64 v[18:19], v[84:85], v[18:19]
	v_mul_f64 v[84:85], v[86:87], s[48:49]
	v_rndne_f64_e32 v[84:85], v[84:85]
	s_mov_b32 s53, s43
	v_fmac_f64_e32 v[86:87], s[52:53], v[84:85]
	v_add_f64 v[88:89], v[18:19], v[86:87]
	s_mov_b32 s8, 0xf278e000
	v_add_f64 v[86:87], v[86:87], -v[88:89]
	s_mov_b32 s9, 0xbd53de6a
	v_add_f64 v[18:19], v[18:19], v[86:87]
	v_mul_f64 v[86:87], v[84:85], s[8:9]
	v_add_f64 v[96:97], v[88:89], v[86:87]
	v_add_f64 v[88:89], v[88:89], -v[96:97]
	v_add_f64 v[86:87], v[88:89], v[86:87]
	v_add_f64 v[18:19], v[18:19], v[86:87]
	;; [unrolled: 1-line block ×3, first 2 shown]
	s_mov_b32 s8, 0xf97b57a0
	v_add_f64 v[88:89], v[96:97], -v[86:87]
	s_mov_b32 s9, 0xbac9cc01
	v_add_f64 v[18:19], v[18:19], v[88:89]
	v_mul_f64 v[88:89], v[84:85], s[8:9]
	v_add_f64 v[96:97], v[86:87], v[88:89]
	v_add_f64 v[86:87], v[86:87], -v[96:97]
	v_add_f64 v[86:87], v[86:87], v[88:89]
	v_add_f64 v[18:19], v[18:19], v[86:87]
	;; [unrolled: 1-line block ×3, first 2 shown]
	v_add_f64 v[88:89], v[96:97], -v[86:87]
	s_mov_b32 s8, 0x6a5dcb37
	v_add_f64 v[18:19], v[18:19], v[88:89]
	v_pk_mov_b32 v[88:89], v[60:61], v[60:61] op_sel:[0,1]
	s_mov_b32 s9, 0x3e5ade15
	v_fmac_f64_e32 v[88:89], s[8:9], v[86:87]
	v_pk_mov_b32 v[96:97], v[62:63], v[62:63] op_sel:[0,1]
	v_fmac_f64_e32 v[96:97], v[86:87], v[88:89]
	v_pk_mov_b32 v[88:89], v[64:65], v[64:65] op_sel:[0,1]
	;; [unrolled: 2-line block ×8, first 2 shown]
	v_fmac_f64_e32 v[88:89], v[86:87], v[96:97]
	v_mul_f64 v[96:97], v[86:87], v[86:87]
	v_fma_f64 v[98:99], v[86:87], v[86:87], -v[96:97]
	v_add_f64 v[100:101], v[18:19], v[18:19]
	v_fmac_f64_e32 v[98:99], v[86:87], v[100:101]
	v_add_f64 v[100:101], v[96:97], v[98:99]
	v_add_f64 v[96:97], v[100:101], -v[96:97]
	v_add_f64 v[96:97], v[98:99], -v[96:97]
	v_mul_f64 v[98:99], v[100:101], v[88:89]
	v_fma_f64 v[100:101], v[100:101], v[88:89], -v[98:99]
	v_fmac_f64_e32 v[100:101], v[96:97], v[88:89]
	v_add_f64 v[88:89], v[98:99], v[100:101]
	v_add_f64 v[96:97], v[88:89], -v[98:99]
	v_add_f64 v[98:99], v[86:87], v[88:89]
	v_add_f64 v[96:97], v[100:101], -v[96:97]
	v_add_f64 v[86:87], v[98:99], -v[86:87]
	v_add_f64 v[86:87], v[88:89], -v[86:87]
	v_add_f64 v[18:19], v[18:19], v[96:97]
	v_add_f64 v[18:19], v[18:19], v[86:87]
	;; [unrolled: 1-line block ×3, first 2 shown]
	v_add_f64 v[88:89], v[86:87], -v[98:99]
	v_add_f64 v[18:19], v[18:19], -v[88:89]
	v_add_f64 v[88:89], v[86:87], 1.0
	v_add_f64 v[96:97], v[88:89], -1.0
	v_add_f64 v[86:87], v[86:87], -v[96:97]
	v_add_f64 v[18:19], v[18:19], v[86:87]
	v_add_f64 v[86:87], v[88:89], v[18:19]
	v_cvt_i32_f64_e32 v98, v[84:85]
	v_ldexp_f64 v[84:85], v[86:87], v98
	v_rcp_f64_e32 v[96:97], v[84:85]
	v_add_f64 v[86:87], v[86:87], -v[88:89]
	v_add_f64 v[18:19], v[18:19], -v[86:87]
	v_ldexp_f64 v[18:19], v[18:19], v98
	v_fma_f64 v[86:87], -v[84:85], v[96:97], 1.0
	v_fmac_f64_e32 v[96:97], v[86:87], v[96:97]
	v_fma_f64 v[86:87], -v[84:85], v[96:97], 1.0
	v_fmac_f64_e32 v[96:97], v[86:87], v[96:97]
	v_mul_f64 v[86:87], v[84:85], v[96:97]
	v_fma_f64 v[88:89], v[96:97], v[84:85], -v[86:87]
	v_fmac_f64_e32 v[88:89], v[96:97], v[18:19]
	v_add_f64 v[98:99], v[86:87], v[88:89]
	v_add_f64 v[100:101], -v[98:99], 1.0
	v_add_f64 v[86:87], v[98:99], -v[86:87]
	v_add_f64 v[102:103], -v[100:101], 1.0
	v_add_f64 v[98:99], v[102:103], -v[98:99]
	v_add_f64 v[86:87], v[86:87], -v[88:89]
	v_add_f64 v[86:87], v[86:87], v[98:99]
	v_add_f64 v[88:89], v[100:101], v[86:87]
	v_add_f64 v[98:99], v[100:101], -v[88:89]
	v_add_f64 v[86:87], v[86:87], v[98:99]
	v_mul_f64 v[98:99], v[96:97], v[88:89]
	v_mul_f64 v[100:101], v[84:85], v[98:99]
	v_fma_f64 v[102:103], v[98:99], v[84:85], -v[100:101]
	v_fmac_f64_e32 v[102:103], v[98:99], v[18:19]
	v_add_f64 v[104:105], v[100:101], v[102:103]
	v_add_f64 v[106:107], v[88:89], -v[104:105]
	v_add_f64 v[88:89], v[88:89], -v[106:107]
	;; [unrolled: 1-line block ×4, first 2 shown]
	v_add_f64 v[86:87], v[86:87], v[88:89]
	v_add_f64 v[88:89], v[100:101], -v[102:103]
	v_add_f64 v[86:87], v[88:89], v[86:87]
	v_add_f64 v[86:87], v[106:107], v[86:87]
	v_add_f64 v[88:89], v[96:97], v[98:99]
	v_mul_f64 v[86:87], v[96:97], v[86:87]
	v_add_f64 v[96:97], v[88:89], -v[96:97]
	v_add_f64 v[96:97], v[98:99], -v[96:97]
	v_add_f64 v[86:87], v[96:97], v[86:87]
	v_add_f64 v[96:97], v[88:89], v[86:87]
	v_add_f64 v[88:89], v[96:97], -v[88:89]
	v_add_f64 v[86:87], v[86:87], -v[88:89]
	v_ldexp_f64 v[88:89], v[96:97], -2
	v_add_f64 v[96:97], v[84:85], -v[88:89]
	v_add_f64 v[84:85], v[84:85], -v[96:97]
	;; [unrolled: 1-line block ×3, first 2 shown]
	s_mov_b32 s8, 0x8fb9f87e
	v_ldexp_f64 v[86:87], v[86:87], -2
	v_add_f64 v[18:19], v[18:19], v[84:85]
	s_mov_b32 s9, 0x408633ce
	v_add_f64 v[18:19], v[18:19], -v[86:87]
	v_cmp_nge_f64_e64 vcc, |v[16:17]|, s[8:9]
	s_mov_b32 s8, 0
	v_add_f64 v[18:19], v[96:97], v[18:19]
	s_mov_b32 s9, 0x3e400000
	v_and_b32_e32 v20, 0x7fffffff, v17
	v_cndmask_b32_e32 v19, v93, v19, vcc
	v_cndmask_b32_e32 v18, 0, v18, vcc
	v_cmp_lt_f64_e64 vcc, |v[16:17]|, s[8:9]
	v_cndmask_b32_e32 v17, v19, v20, vcc
	v_cndmask_b32_e32 v16, v18, v16, vcc
	v_bfi_b32 v17, s46, v17, v21
	s_mov_b32 s8, 0
	v_fma_f64 v[18:19], v[16:17], v[16:17], 1.0
	s_brev_b32 s9, 8
	v_cmp_gt_f64_e32 vcc, s[8:9], v[18:19]
	v_cndmask_b32_e64 v20, 0, 1, vcc
	v_lshlrev_b32_e32 v20, 8, v20
	v_ldexp_f64 v[18:19], v[18:19], v20
	v_rsq_f64_e32 v[20:21], v[18:19]
	v_and_b32_e32 v15, 0x80000000, v15
	v_xor_b32_e32 v15, v23, v15
	v_fma_f64 v[84:85], v[14:15], v[14:15], 1.0
	v_mul_f64 v[86:87], v[18:19], v[20:21]
	v_mul_f64 v[20:21], v[20:21], 0.5
	v_fma_f64 v[88:89], -v[20:21], v[86:87], 0.5
	v_fmac_f64_e32 v[86:87], v[86:87], v[88:89]
	v_fma_f64 v[96:97], -v[86:87], v[86:87], v[18:19]
	v_fmac_f64_e32 v[20:21], v[20:21], v[88:89]
	v_fmac_f64_e32 v[86:87], v[96:97], v[20:21]
	v_fma_f64 v[88:89], -v[86:87], v[86:87], v[18:19]
	v_fmac_f64_e32 v[86:87], v[88:89], v[20:21]
	v_cndmask_b32_e32 v20, 0, v94, vcc
	v_ldexp_f64 v[20:21], v[86:87], v20
	v_cmp_class_f64_e32 vcc, v[18:19], v90
	v_cndmask_b32_e32 v19, v21, v19, vcc
	v_cndmask_b32_e32 v18, v20, v18, vcc
	v_mul_f64 v[20:21], v[16:17], v[84:85]
	v_mul_f64 v[18:19], v[18:19], v[84:85]
	v_fma_f64 v[86:87], v[16:17], v[20:21], 1.0
	v_mul_f64 v[16:17], v[16:17], v[18:19]
	v_div_scale_f64 v[18:19], s[8:9], v[86:87], v[86:87], v[16:17]
	v_rcp_f64_e32 v[20:21], v[18:19]
	v_fma_f64 v[84:85], -v[18:19], v[20:21], 1.0
	v_fmac_f64_e32 v[20:21], v[20:21], v[84:85]
	v_fma_f64 v[84:85], -v[18:19], v[20:21], 1.0
	v_fmac_f64_e32 v[20:21], v[20:21], v[84:85]
	v_div_scale_f64 v[84:85], vcc, v[16:17], v[86:87], v[16:17]
	v_mul_f64 v[88:89], v[84:85], v[20:21]
	v_fma_f64 v[18:19], -v[18:19], v[88:89], v[84:85]
	v_div_scale_f64 v[84:85], s[8:9], v[86:87], v[86:87], v[14:15]
	v_rcp_f64_e32 v[96:97], v[84:85]
	v_div_fmas_f64 v[18:19], v[18:19], v[20:21], v[88:89]
	v_div_fixup_f64 v[20:21], v[18:19], v[86:87], v[16:17]
	v_fma_f64 v[16:17], -v[84:85], v[96:97], 1.0
	v_fmac_f64_e32 v[96:97], v[96:97], v[16:17]
	v_fma_f64 v[16:17], -v[84:85], v[96:97], 1.0
	v_fmac_f64_e32 v[96:97], v[96:97], v[16:17]
	v_div_scale_f64 v[16:17], vcc, v[14:15], v[86:87], v[14:15]
	v_mul_f64 v[18:19], v[16:17], v[96:97]
	v_fma_f64 v[16:17], -v[84:85], v[18:19], v[16:17]
	s_nop 1
	v_div_fmas_f64 v[16:17], v[16:17], v[96:97], v[18:19]
	v_div_fixup_f64 v[18:19], v[16:17], v[86:87], v[14:15]
                                        ; implicit-def: $vgpr14_vgpr15
.LBB94_253:                             ;   in Loop: Header=BB94_161 Depth=1
	s_andn2_saveexec_b64 s[54:55], s[54:55]
	s_cbranch_execz .LBB94_263
; %bb.254:                              ;   in Loop: Header=BB94_161 Depth=1
	v_cmp_nlt_f64_e64 s[56:57], |v[14:15]|, s[18:19]
                                        ; implicit-def: $vgpr20
                                        ; implicit-def: $vgpr18_vgpr19
                                        ; implicit-def: $vgpr84_vgpr85
	s_and_saveexec_b64 s[8:9], s[56:57]
	s_xor_b64 s[64:65], exec, s[8:9]
	s_cbranch_execz .LBB94_256
; %bb.255:                              ;   in Loop: Header=BB94_161 Depth=1
	v_and_b32_e32 v20, 0x7fffffff, v15
	v_ldexp_f64 v[86:87], |v[14:15]|, s59
	v_cmp_ge_f64_e64 vcc, |v[14:15]|, s[20:21]
	v_trig_preop_f64 v[18:19], |v[14:15]|, 0
	v_cndmask_b32_e32 v87, v20, v87, vcc
	v_cndmask_b32_e32 v86, v14, v86, vcc
	v_trig_preop_f64 v[84:85], |v[14:15]|, 1
	v_mul_f64 v[96:97], v[18:19], v[86:87]
	v_mul_f64 v[88:89], v[84:85], v[86:87]
	v_fma_f64 v[18:19], v[18:19], v[86:87], -v[96:97]
	v_add_f64 v[98:99], v[88:89], v[18:19]
	v_add_f64 v[100:101], v[96:97], v[98:99]
	v_ldexp_f64 v[102:103], v[100:101], -2
	v_fract_f64_e32 v[104:105], v[102:103]
	v_cmp_neq_f64_e64 vcc, |v[102:103]|, s[22:23]
	v_cndmask_b32_e32 v103, 0, v105, vcc
	v_cndmask_b32_e32 v102, 0, v104, vcc
	v_add_f64 v[104:105], v[98:99], -v[88:89]
	v_add_f64 v[18:19], v[18:19], -v[104:105]
	;; [unrolled: 1-line block ×4, first 2 shown]
	v_fma_f64 v[84:85], v[84:85], v[86:87], -v[88:89]
	v_trig_preop_f64 v[88:89], |v[14:15]|, 2
	v_add_f64 v[18:19], v[18:19], v[104:105]
	v_mul_f64 v[104:105], v[88:89], v[86:87]
	v_add_f64 v[106:107], v[104:105], v[84:85]
	v_add_f64 v[108:109], v[106:107], v[18:19]
	v_add_f64 v[96:97], v[100:101], -v[96:97]
	v_add_f64 v[100:101], v[108:109], -v[106:107]
	v_add_f64 v[18:19], v[18:19], -v[100:101]
	v_add_f64 v[100:101], v[108:109], -v[100:101]
	v_add_f64 v[100:101], v[106:107], -v[100:101]
	v_add_f64 v[18:19], v[18:19], v[100:101]
	v_add_f64 v[100:101], v[106:107], -v[104:105]
	v_add_f64 v[84:85], v[84:85], -v[100:101]
	;; [unrolled: 1-line block ×4, first 2 shown]
	v_add_f64 v[84:85], v[84:85], v[100:101]
	v_add_f64 v[96:97], v[98:99], -v[96:97]
	v_add_f64 v[18:19], v[84:85], v[18:19]
	v_fma_f64 v[84:85], v[88:89], v[86:87], -v[104:105]
	v_add_f64 v[98:99], v[96:97], v[108:109]
	v_add_f64 v[18:19], v[84:85], v[18:19]
	v_ldexp_f64 v[84:85], v[102:103], 2
	v_add_f64 v[86:87], v[98:99], v[84:85]
	v_cmp_gt_f64_e32 vcc, 0, v[86:87]
	v_cndmask_b32_e32 v23, 0, v91, vcc
	v_add_f64 v[84:85], v[84:85], v[22:23]
	v_add_f64 v[86:87], v[98:99], v[84:85]
	v_cvt_i32_f64_e32 v20, v[86:87]
	v_cvt_f64_i32_e32 v[86:87], v20
	v_add_f64 v[84:85], v[84:85], -v[86:87]
	v_add_f64 v[96:97], v[98:99], -v[96:97]
	v_add_f64 v[86:87], v[98:99], v[84:85]
	v_add_f64 v[96:97], v[108:109], -v[96:97]
	v_add_f64 v[84:85], v[86:87], -v[84:85]
	v_cmp_le_f64_e32 vcc, 0.5, v[86:87]
	v_add_f64 v[18:19], v[96:97], v[18:19]
	v_add_f64 v[84:85], v[98:99], -v[84:85]
	v_cndmask_b32_e32 v23, 0, v92, vcc
	v_add_f64 v[18:19], v[18:19], v[84:85]
	v_add_f64 v[84:85], v[86:87], -v[22:23]
	v_add_f64 v[86:87], v[84:85], v[18:19]
	v_add_f64 v[84:85], v[86:87], -v[84:85]
	s_mov_b32 s24, s26
	v_add_f64 v[18:19], v[18:19], -v[84:85]
	v_mul_f64 v[84:85], v[86:87], s[24:25]
	v_fma_f64 v[88:89], v[86:87], s[24:25], -v[84:85]
	s_mov_b32 s31, s29
	v_fmac_f64_e32 v[88:89], s[30:31], v[86:87]
	v_fmac_f64_e32 v[88:89], s[24:25], v[18:19]
	v_add_f64 v[18:19], v[84:85], v[88:89]
	v_add_f64 v[84:85], v[18:19], -v[84:85]
	v_addc_co_u32_e64 v20, s[8:9], 0, v20, vcc
	v_add_f64 v[84:85], v[88:89], -v[84:85]
	s_andn2_saveexec_b64 s[8:9], s[64:65]
	s_cbranch_execz .LBB94_258
	s_branch .LBB94_257
.LBB94_256:                             ;   in Loop: Header=BB94_161 Depth=1
	s_andn2_saveexec_b64 s[8:9], s[64:65]
	s_cbranch_execz .LBB94_258
.LBB94_257:                             ;   in Loop: Header=BB94_161 Depth=1
	v_mul_f64 v[18:19], |v[14:15]|, s[34:35]
	v_rndne_f64_e32 v[86:87], v[18:19]
	v_fma_f64 v[18:19], v[86:87], s[26:27], |v[14:15]|
	v_mul_f64 v[88:89], v[86:87], s[36:37]
	v_add_f64 v[98:99], v[18:19], v[88:89]
	v_fma_f64 v[84:85], s[36:37], v[86:87], v[18:19]
	s_mov_b32 s28, s36
	v_add_f64 v[18:19], v[18:19], -v[98:99]
	v_fma_f64 v[96:97], s[28:29], v[86:87], v[88:89]
	v_add_f64 v[18:19], v[18:19], v[88:89]
	v_add_f64 v[88:89], v[98:99], -v[84:85]
	v_add_f64 v[18:19], v[88:89], v[18:19]
	v_add_f64 v[88:89], v[18:19], -v[96:97]
	v_fmac_f64_e32 v[88:89], s[38:39], v[86:87]
	v_add_f64 v[18:19], v[84:85], v[88:89]
	v_add_f64 v[84:85], v[18:19], -v[84:85]
	v_add_f64 v[84:85], v[88:89], -v[84:85]
	v_cvt_i32_f64_e32 v20, v[86:87]
.LBB94_258:                             ;   in Loop: Header=BB94_161 Depth=1
	s_or_b64 exec, exec, s[8:9]
                                        ; implicit-def: $vgpr96
                                        ; implicit-def: $vgpr86_vgpr87
                                        ; implicit-def: $vgpr88_vgpr89
	s_and_saveexec_b64 s[8:9], s[56:57]
	s_xor_b64 s[56:57], exec, s[8:9]
	s_cbranch_execz .LBB94_260
; %bb.259:                              ;   in Loop: Header=BB94_161 Depth=1
	v_and_b32_e32 v23, 0x7fffffff, v15
	v_ldexp_f64 v[96:97], |v[14:15]|, s59
	v_cmp_ge_f64_e64 vcc, |v[14:15]|, s[20:21]
	v_trig_preop_f64 v[86:87], |v[14:15]|, 0
	v_cndmask_b32_e32 v97, v23, v97, vcc
	v_cndmask_b32_e32 v96, v14, v96, vcc
	v_trig_preop_f64 v[88:89], |v[14:15]|, 1
	v_mul_f64 v[100:101], v[86:87], v[96:97]
	v_mul_f64 v[98:99], v[88:89], v[96:97]
	v_fma_f64 v[86:87], v[86:87], v[96:97], -v[100:101]
	v_add_f64 v[102:103], v[98:99], v[86:87]
	v_add_f64 v[104:105], v[100:101], v[102:103]
	v_ldexp_f64 v[106:107], v[104:105], -2
	v_fract_f64_e32 v[108:109], v[106:107]
	v_cmp_neq_f64_e64 vcc, |v[106:107]|, s[22:23]
	v_cndmask_b32_e32 v107, 0, v109, vcc
	v_cndmask_b32_e32 v106, 0, v108, vcc
	v_add_f64 v[108:109], v[102:103], -v[98:99]
	v_add_f64 v[86:87], v[86:87], -v[108:109]
	;; [unrolled: 1-line block ×4, first 2 shown]
	v_fma_f64 v[88:89], v[88:89], v[96:97], -v[98:99]
	v_trig_preop_f64 v[98:99], |v[14:15]|, 2
	v_add_f64 v[86:87], v[86:87], v[108:109]
	v_mul_f64 v[108:109], v[98:99], v[96:97]
	v_add_f64 v[110:111], v[108:109], v[88:89]
	v_add_f64 v[112:113], v[110:111], v[86:87]
	v_add_f64 v[100:101], v[104:105], -v[100:101]
	v_add_f64 v[104:105], v[112:113], -v[110:111]
	;; [unrolled: 1-line block ×5, first 2 shown]
	v_add_f64 v[86:87], v[86:87], v[104:105]
	v_add_f64 v[104:105], v[110:111], -v[108:109]
	v_add_f64 v[88:89], v[88:89], -v[104:105]
	;; [unrolled: 1-line block ×4, first 2 shown]
	v_add_f64 v[88:89], v[88:89], v[104:105]
	v_add_f64 v[100:101], v[102:103], -v[100:101]
	v_add_f64 v[86:87], v[88:89], v[86:87]
	v_fma_f64 v[88:89], v[98:99], v[96:97], -v[108:109]
	v_add_f64 v[102:103], v[100:101], v[112:113]
	v_add_f64 v[86:87], v[88:89], v[86:87]
	v_ldexp_f64 v[88:89], v[106:107], 2
	v_add_f64 v[96:97], v[102:103], v[88:89]
	v_cmp_gt_f64_e32 vcc, 0, v[96:97]
	v_cndmask_b32_e32 v23, 0, v91, vcc
	v_add_f64 v[88:89], v[88:89], v[22:23]
	v_add_f64 v[96:97], v[102:103], v[88:89]
	v_cvt_i32_f64_e32 v23, v[96:97]
	v_cvt_f64_i32_e32 v[96:97], v23
	v_add_f64 v[88:89], v[88:89], -v[96:97]
	v_add_f64 v[100:101], v[102:103], -v[100:101]
	v_add_f64 v[98:99], v[102:103], v[88:89]
	v_add_f64 v[100:101], v[112:113], -v[100:101]
	v_add_f64 v[88:89], v[98:99], -v[88:89]
	v_cmp_le_f64_e32 vcc, 0.5, v[98:99]
	v_add_f64 v[86:87], v[100:101], v[86:87]
	v_add_f64 v[88:89], v[102:103], -v[88:89]
	v_addc_co_u32_e64 v96, s[8:9], 0, v23, vcc
	v_cndmask_b32_e32 v23, 0, v92, vcc
	v_add_f64 v[86:87], v[86:87], v[88:89]
	v_add_f64 v[88:89], v[98:99], -v[22:23]
	v_add_f64 v[98:99], v[88:89], v[86:87]
	v_add_f64 v[88:89], v[98:99], -v[88:89]
	s_mov_b32 s24, s26
	v_add_f64 v[86:87], v[86:87], -v[88:89]
	v_mul_f64 v[88:89], v[98:99], s[24:25]
	v_fma_f64 v[100:101], v[98:99], s[24:25], -v[88:89]
	s_mov_b32 s31, s29
	v_fmac_f64_e32 v[100:101], s[30:31], v[98:99]
	v_fmac_f64_e32 v[100:101], s[24:25], v[86:87]
	v_add_f64 v[86:87], v[88:89], v[100:101]
	v_add_f64 v[88:89], v[86:87], -v[88:89]
	v_add_f64 v[88:89], v[100:101], -v[88:89]
	s_andn2_saveexec_b64 s[8:9], s[56:57]
	s_cbranch_execnz .LBB94_261
	s_branch .LBB94_262
.LBB94_260:                             ;   in Loop: Header=BB94_161 Depth=1
	s_andn2_saveexec_b64 s[8:9], s[56:57]
	s_cbranch_execz .LBB94_262
.LBB94_261:                             ;   in Loop: Header=BB94_161 Depth=1
	v_mul_f64 v[86:87], |v[14:15]|, s[34:35]
	v_rndne_f64_e32 v[96:97], v[86:87]
	v_fma_f64 v[86:87], v[96:97], s[26:27], |v[14:15]|
	v_mul_f64 v[98:99], v[96:97], s[36:37]
	v_add_f64 v[102:103], v[86:87], v[98:99]
	v_fma_f64 v[88:89], s[36:37], v[96:97], v[86:87]
	s_mov_b32 s28, s36
	v_add_f64 v[86:87], v[86:87], -v[102:103]
	v_fma_f64 v[100:101], s[28:29], v[96:97], v[98:99]
	v_add_f64 v[86:87], v[86:87], v[98:99]
	v_add_f64 v[98:99], v[102:103], -v[88:89]
	v_add_f64 v[86:87], v[98:99], v[86:87]
	v_add_f64 v[98:99], v[86:87], -v[100:101]
	v_fmac_f64_e32 v[98:99], s[38:39], v[96:97]
	v_add_f64 v[86:87], v[88:89], v[98:99]
	v_add_f64 v[88:89], v[86:87], -v[88:89]
	v_add_f64 v[88:89], v[98:99], -v[88:89]
	v_cvt_i32_f64_e32 v96, v[96:97]
.LBB94_262:                             ;   in Loop: Header=BB94_161 Depth=1
	s_or_b64 exec, exec, s[8:9]
	v_mul_f64 v[98:99], v[18:19], v[18:19]
	v_pk_mov_b32 v[106:107], s[70:71], s[70:71] op_sel:[0,1]
	v_mul_f64 v[100:101], v[98:99], 0.5
	v_fma_f64 v[108:109], s[72:73], v[98:99], v[106:107]
	v_add_f64 v[102:103], -v[100:101], 1.0
	v_fma_f64 v[108:109], v[98:99], v[108:109], s[74:75]
	v_add_f64 v[104:105], -v[102:103], 1.0
	v_fma_f64 v[108:109], v[98:99], v[108:109], s[76:77]
	v_add_f64 v[100:101], v[104:105], -v[100:101]
	v_fma_f64 v[108:109], v[98:99], v[108:109], s[78:79]
	v_mul_f64 v[104:105], v[98:99], v[98:99]
	v_fma_f64 v[108:109], v[98:99], v[108:109], s[62:63]
	v_fma_f64 v[100:101], v[18:19], -v[84:85], v[100:101]
	v_fmac_f64_e32 v[100:101], v[104:105], v[108:109]
	v_add_f64 v[100:101], v[102:103], v[100:101]
	v_pk_mov_b32 v[102:103], s[80:81], s[80:81] op_sel:[0,1]
	v_fma_f64 v[104:105], s[82:83], v[98:99], v[102:103]
	v_fma_f64 v[104:105], v[98:99], v[104:105], s[84:85]
	;; [unrolled: 1-line block ×4, first 2 shown]
	v_mul_f64 v[108:109], v[18:19], -v[98:99]
	v_mul_f64 v[110:111], v[84:85], 0.5
	v_fmac_f64_e32 v[110:111], v[108:109], v[104:105]
	v_fma_f64 v[84:85], v[98:99], v[110:111], -v[84:85]
	s_mov_b32 s88, s62
	v_fmac_f64_e32 v[84:85], s[88:89], v[108:109]
	v_and_b32_e32 v14, 1, v20
	v_add_f64 v[18:19], v[18:19], -v[84:85]
	v_cmp_eq_u32_e32 vcc, 0, v14
	v_cndmask_b32_e32 v14, v100, v18, vcc
	v_cndmask_b32_e32 v18, v101, v19, vcc
	v_lshlrev_b32_e32 v19, 30, v20
	v_xor_b32_e32 v15, v19, v15
	s_mov_b32 s8, 0x652b82fe
	v_and_b32_e32 v15, 0x80000000, v15
	s_mov_b32 s9, 0xbff71547
	v_xor_b32_e32 v15, v18, v15
	v_mul_f64 v[18:19], |v[16:17]|, s[8:9]
	v_rndne_f64_e32 v[18:19], v[18:19]
	s_mov_b32 s8, 0x3b39803f
	v_fma_f64 v[84:85], v[18:19], s[42:43], -|v[16:17]|
	s_mov_b32 s9, 0xbc7abc9e
	v_fmac_f64_e32 v[84:85], s[8:9], v[18:19]
	s_mov_b32 s8, 0x6a5dcb37
	v_pk_mov_b32 v[98:99], v[60:61], v[60:61] op_sel:[0,1]
	s_mov_b32 s9, 0x3e5ade15
	v_fmac_f64_e32 v[98:99], s[8:9], v[84:85]
	v_pk_mov_b32 v[100:101], v[62:63], v[62:63] op_sel:[0,1]
	v_fmac_f64_e32 v[100:101], v[84:85], v[98:99]
	v_pk_mov_b32 v[98:99], v[64:65], v[64:65] op_sel:[0,1]
	;; [unrolled: 2-line block ×8, first 2 shown]
	v_fmac_f64_e32 v[98:99], v[84:85], v[100:101]
	v_fma_f64 v[98:99], v[84:85], v[98:99], 1.0
	s_mov_b32 s8, 0
	v_fma_f64 v[84:85], v[84:85], v[98:99], 1.0
	v_cvt_i32_f64_e32 v18, v[18:19]
	s_mov_b32 s9, 0x4090cc00
	v_ldexp_f64 v[18:19], v[84:85], v18
	v_cmp_ngt_f64_e64 vcc, |v[16:17]|, s[8:9]
	v_cndmask_b32_e32 v17, 0, v19, vcc
	v_cndmask_b32_e32 v16, 0, v18, vcc
	v_mul_f64 v[18:19], v[86:87], v[86:87]
	v_bfi_b32 v23, s46, v92, v21
	v_mul_f64 v[20:21], v[18:19], 0.5
	v_fmac_f64_e32 v[106:107], s[72:73], v[18:19]
	v_add_f64 v[84:85], -v[20:21], 1.0
	v_fma_f64 v[100:101], v[18:19], v[106:107], s[74:75]
	v_add_f64 v[98:99], -v[84:85], 1.0
	v_fma_f64 v[100:101], v[18:19], v[100:101], s[76:77]
	v_add_f64 v[20:21], v[98:99], -v[20:21]
	v_fma_f64 v[100:101], v[18:19], v[100:101], s[78:79]
	v_mul_f64 v[98:99], v[18:19], v[18:19]
	v_fma_f64 v[100:101], v[18:19], v[100:101], s[62:63]
	v_fma_f64 v[20:21], v[86:87], -v[88:89], v[20:21]
	v_fmac_f64_e32 v[20:21], v[98:99], v[100:101]
	v_fmac_f64_e32 v[102:103], s[82:83], v[18:19]
	v_add_f64 v[20:21], v[84:85], v[20:21]
	v_fma_f64 v[84:85], v[18:19], v[102:103], s[84:85]
	v_fma_f64 v[84:85], v[18:19], v[84:85], s[86:87]
	;; [unrolled: 1-line block ×3, first 2 shown]
	v_mul_f64 v[98:99], v[86:87], -v[18:19]
	v_mul_f64 v[100:101], v[88:89], 0.5
	v_fmac_f64_e32 v[100:101], v[98:99], v[84:85]
	v_fma_f64 v[18:19], v[18:19], v[100:101], -v[88:89]
	v_fmac_f64_e32 v[18:19], s[88:89], v[98:99]
	v_and_b32_e32 v84, 1, v96
	v_add_f64 v[18:19], v[86:87], -v[18:19]
	v_cmp_eq_u32_e32 vcc, 0, v84
	v_xor_b32_e32 v19, 0x80000000, v19
	v_cndmask_b32_e32 v18, v18, v20, vcc
	v_lshlrev_b32_e32 v20, 30, v96
	v_cndmask_b32_e32 v19, v19, v21, vcc
	v_and_b32_e32 v20, 0x80000000, v20
	v_mul_f64 v[14:15], v[14:15], 4.0
	v_xor_b32_e32 v19, v19, v20
	v_mul_f64 v[14:15], v[14:15], v[18:19]
	v_mul_f64 v[14:15], v[16:17], v[14:15]
	;; [unrolled: 1-line block ×3, first 2 shown]
	v_pk_mov_b32 v[20:21], v[22:23], v[22:23] op_sel:[0,1]
.LBB94_263:                             ;   in Loop: Header=BB94_161 Depth=1
	s_or_b64 exec, exec, s[54:55]
                                        ; implicit-def: $vgpr14_vgpr15
.LBB94_264:                             ;   in Loop: Header=BB94_161 Depth=1
	s_andn2_saveexec_b64 s[8:9], s[40:41]
; %bb.265:                              ;   in Loop: Header=BB94_161 Depth=1
	v_add_f64 v[18:19], v[14:15], -v[14:15]
	v_pk_mov_b32 v[20:21], v[18:19], v[18:19] op_sel:[0,1]
; %bb.266:                              ;   in Loop: Header=BB94_161 Depth=1
	s_or_b64 exec, exec, s[8:9]
                                        ; implicit-def: $vgpr14_vgpr15
.LBB94_267:                             ;   in Loop: Header=BB94_161 Depth=1
	s_andn2_saveexec_b64 s[40:41], s[94:95]
	s_cbranch_execz .LBB94_283
; %bb.268:                              ;   in Loop: Header=BB94_161 Depth=1
	v_and_or_b32 v18, v21, s50, v20
	v_cmp_ne_u32_e32 vcc, 0, v18
	s_and_saveexec_b64 s[8:9], vcc
	s_xor_b64 s[8:9], exec, s[8:9]
; %bb.269:                              ;   in Loop: Header=BB94_161 Depth=1
	v_mul_f64 v[16:17], v[14:15], -v[16:17]
	v_cmp_eq_f64_e32 vcc, 0, v[14:15]
	v_cndmask_b32_e32 v19, v17, v15, vcc
	v_cndmask_b32_e32 v18, v16, v14, vcc
                                        ; implicit-def: $vgpr14_vgpr15
; %bb.270:                              ;   in Loop: Header=BB94_161 Depth=1
	s_andn2_saveexec_b64 s[54:55], s[8:9]
	s_cbranch_execz .LBB94_282
; %bb.271:                              ;   in Loop: Header=BB94_161 Depth=1
	v_cmp_neq_f64_e64 s[8:9], |v[14:15]|, s[22:23]
	s_and_saveexec_b64 s[94:95], s[8:9]
	s_cbranch_execz .LBB94_281
; %bb.272:                              ;   in Loop: Header=BB94_161 Depth=1
	v_cmp_nlt_f64_e64 s[56:57], |v[14:15]|, s[18:19]
                                        ; implicit-def: $vgpr88
                                        ; implicit-def: $vgpr16_vgpr17
                                        ; implicit-def: $vgpr18_vgpr19
	s_and_saveexec_b64 s[8:9], s[56:57]
	s_xor_b64 s[64:65], exec, s[8:9]
	s_cbranch_execz .LBB94_274
; %bb.273:                              ;   in Loop: Header=BB94_161 Depth=1
	v_and_b32_e32 v23, 0x7fffffff, v15
	v_ldexp_f64 v[84:85], |v[14:15]|, s59
	v_cmp_ge_f64_e64 vcc, |v[14:15]|, s[20:21]
	v_trig_preop_f64 v[16:17], |v[14:15]|, 0
	v_cndmask_b32_e32 v85, v23, v85, vcc
	v_cndmask_b32_e32 v84, v14, v84, vcc
	v_trig_preop_f64 v[18:19], |v[14:15]|, 1
	v_mul_f64 v[88:89], v[16:17], v[84:85]
	v_mul_f64 v[86:87], v[18:19], v[84:85]
	v_fma_f64 v[16:17], v[16:17], v[84:85], -v[88:89]
	v_add_f64 v[96:97], v[86:87], v[16:17]
	v_add_f64 v[98:99], v[88:89], v[96:97]
	v_ldexp_f64 v[100:101], v[98:99], -2
	v_fract_f64_e32 v[102:103], v[100:101]
	v_cmp_neq_f64_e64 vcc, |v[100:101]|, s[22:23]
	v_cndmask_b32_e32 v101, 0, v103, vcc
	v_cndmask_b32_e32 v100, 0, v102, vcc
	v_add_f64 v[102:103], v[96:97], -v[86:87]
	v_add_f64 v[16:17], v[16:17], -v[102:103]
	;; [unrolled: 1-line block ×4, first 2 shown]
	v_fma_f64 v[18:19], v[18:19], v[84:85], -v[86:87]
	v_trig_preop_f64 v[86:87], |v[14:15]|, 2
	v_add_f64 v[16:17], v[16:17], v[102:103]
	v_mul_f64 v[102:103], v[86:87], v[84:85]
	v_add_f64 v[104:105], v[102:103], v[18:19]
	v_add_f64 v[106:107], v[104:105], v[16:17]
	v_add_f64 v[88:89], v[98:99], -v[88:89]
	v_add_f64 v[98:99], v[106:107], -v[104:105]
	v_add_f64 v[16:17], v[16:17], -v[98:99]
	v_add_f64 v[98:99], v[106:107], -v[98:99]
	v_add_f64 v[98:99], v[104:105], -v[98:99]
	v_add_f64 v[16:17], v[16:17], v[98:99]
	v_add_f64 v[98:99], v[104:105], -v[102:103]
	v_add_f64 v[18:19], v[18:19], -v[98:99]
	;; [unrolled: 1-line block ×4, first 2 shown]
	v_add_f64 v[18:19], v[18:19], v[98:99]
	v_add_f64 v[88:89], v[96:97], -v[88:89]
	v_add_f64 v[16:17], v[18:19], v[16:17]
	v_fma_f64 v[18:19], v[86:87], v[84:85], -v[102:103]
	v_add_f64 v[96:97], v[88:89], v[106:107]
	v_add_f64 v[16:17], v[18:19], v[16:17]
	v_ldexp_f64 v[18:19], v[100:101], 2
	v_add_f64 v[84:85], v[96:97], v[18:19]
	v_cmp_gt_f64_e32 vcc, 0, v[84:85]
	v_cndmask_b32_e32 v23, 0, v91, vcc
	v_add_f64 v[18:19], v[18:19], v[22:23]
	v_add_f64 v[84:85], v[96:97], v[18:19]
	v_cvt_i32_f64_e32 v23, v[84:85]
	v_cvt_f64_i32_e32 v[84:85], v23
	v_add_f64 v[18:19], v[18:19], -v[84:85]
	v_add_f64 v[88:89], v[96:97], -v[88:89]
	v_add_f64 v[84:85], v[96:97], v[18:19]
	v_add_f64 v[88:89], v[106:107], -v[88:89]
	v_add_f64 v[18:19], v[84:85], -v[18:19]
	v_cmp_le_f64_e32 vcc, 0.5, v[84:85]
	v_add_f64 v[16:17], v[88:89], v[16:17]
	v_add_f64 v[18:19], v[96:97], -v[18:19]
	v_addc_co_u32_e64 v88, s[8:9], 0, v23, vcc
	v_cndmask_b32_e32 v23, 0, v92, vcc
	v_add_f64 v[16:17], v[16:17], v[18:19]
	v_add_f64 v[18:19], v[84:85], -v[22:23]
	v_add_f64 v[84:85], v[18:19], v[16:17]
	v_add_f64 v[18:19], v[84:85], -v[18:19]
	s_mov_b32 s24, s26
	v_add_f64 v[16:17], v[16:17], -v[18:19]
	v_mul_f64 v[18:19], v[84:85], s[24:25]
	v_fma_f64 v[86:87], v[84:85], s[24:25], -v[18:19]
	s_mov_b32 s31, s29
	v_fmac_f64_e32 v[86:87], s[30:31], v[84:85]
	v_fmac_f64_e32 v[86:87], s[24:25], v[16:17]
	v_add_f64 v[16:17], v[18:19], v[86:87]
	v_add_f64 v[18:19], v[16:17], -v[18:19]
	v_add_f64 v[18:19], v[86:87], -v[18:19]
	s_andn2_saveexec_b64 s[8:9], s[64:65]
	s_cbranch_execz .LBB94_276
	s_branch .LBB94_275
.LBB94_274:                             ;   in Loop: Header=BB94_161 Depth=1
	s_andn2_saveexec_b64 s[8:9], s[64:65]
	s_cbranch_execz .LBB94_276
.LBB94_275:                             ;   in Loop: Header=BB94_161 Depth=1
	v_mul_f64 v[16:17], |v[14:15]|, s[34:35]
	v_rndne_f64_e32 v[84:85], v[16:17]
	v_fma_f64 v[16:17], v[84:85], s[26:27], |v[14:15]|
	v_mul_f64 v[86:87], v[84:85], s[36:37]
	v_add_f64 v[96:97], v[16:17], v[86:87]
	v_fma_f64 v[18:19], s[36:37], v[84:85], v[16:17]
	s_mov_b32 s28, s36
	v_add_f64 v[16:17], v[16:17], -v[96:97]
	v_fma_f64 v[88:89], s[28:29], v[84:85], v[86:87]
	v_add_f64 v[16:17], v[16:17], v[86:87]
	v_add_f64 v[86:87], v[96:97], -v[18:19]
	v_add_f64 v[16:17], v[86:87], v[16:17]
	v_add_f64 v[86:87], v[16:17], -v[88:89]
	v_fmac_f64_e32 v[86:87], s[38:39], v[84:85]
	v_add_f64 v[16:17], v[18:19], v[86:87]
	v_add_f64 v[18:19], v[16:17], -v[18:19]
	v_add_f64 v[18:19], v[86:87], -v[18:19]
	v_cvt_i32_f64_e32 v88, v[84:85]
.LBB94_276:                             ;   in Loop: Header=BB94_161 Depth=1
	s_or_b64 exec, exec, s[8:9]
                                        ; implicit-def: $vgpr89
                                        ; implicit-def: $vgpr84_vgpr85
                                        ; implicit-def: $vgpr86_vgpr87
	s_and_saveexec_b64 s[8:9], s[56:57]
	s_xor_b64 s[56:57], exec, s[8:9]
	s_cbranch_execz .LBB94_278
; %bb.277:                              ;   in Loop: Header=BB94_161 Depth=1
	v_and_b32_e32 v23, 0x7fffffff, v15
	v_ldexp_f64 v[96:97], |v[14:15]|, s59
	v_cmp_ge_f64_e64 vcc, |v[14:15]|, s[20:21]
	v_trig_preop_f64 v[84:85], |v[14:15]|, 0
	v_cndmask_b32_e32 v97, v23, v97, vcc
	v_cndmask_b32_e32 v96, v14, v96, vcc
	v_trig_preop_f64 v[86:87], |v[14:15]|, 1
	v_mul_f64 v[100:101], v[84:85], v[96:97]
	v_mul_f64 v[98:99], v[86:87], v[96:97]
	v_fma_f64 v[84:85], v[84:85], v[96:97], -v[100:101]
	v_add_f64 v[102:103], v[98:99], v[84:85]
	v_add_f64 v[104:105], v[100:101], v[102:103]
	v_ldexp_f64 v[106:107], v[104:105], -2
	v_fract_f64_e32 v[108:109], v[106:107]
	v_cmp_neq_f64_e64 vcc, |v[106:107]|, s[22:23]
	v_cndmask_b32_e32 v107, 0, v109, vcc
	v_cndmask_b32_e32 v106, 0, v108, vcc
	v_add_f64 v[108:109], v[102:103], -v[98:99]
	v_add_f64 v[84:85], v[84:85], -v[108:109]
	;; [unrolled: 1-line block ×4, first 2 shown]
	v_fma_f64 v[86:87], v[86:87], v[96:97], -v[98:99]
	v_trig_preop_f64 v[98:99], |v[14:15]|, 2
	v_add_f64 v[84:85], v[84:85], v[108:109]
	v_mul_f64 v[108:109], v[98:99], v[96:97]
	v_add_f64 v[110:111], v[108:109], v[86:87]
	v_add_f64 v[112:113], v[110:111], v[84:85]
	v_add_f64 v[100:101], v[104:105], -v[100:101]
	v_add_f64 v[104:105], v[112:113], -v[110:111]
	;; [unrolled: 1-line block ×5, first 2 shown]
	v_add_f64 v[84:85], v[84:85], v[104:105]
	v_add_f64 v[104:105], v[110:111], -v[108:109]
	v_add_f64 v[86:87], v[86:87], -v[104:105]
	;; [unrolled: 1-line block ×4, first 2 shown]
	v_add_f64 v[86:87], v[86:87], v[104:105]
	v_add_f64 v[100:101], v[102:103], -v[100:101]
	v_add_f64 v[84:85], v[86:87], v[84:85]
	v_fma_f64 v[86:87], v[98:99], v[96:97], -v[108:109]
	v_add_f64 v[102:103], v[100:101], v[112:113]
	v_add_f64 v[84:85], v[86:87], v[84:85]
	v_ldexp_f64 v[86:87], v[106:107], 2
	v_add_f64 v[96:97], v[102:103], v[86:87]
	v_cmp_gt_f64_e32 vcc, 0, v[96:97]
	v_cndmask_b32_e32 v23, 0, v91, vcc
	v_add_f64 v[86:87], v[86:87], v[22:23]
	v_add_f64 v[96:97], v[102:103], v[86:87]
	v_cvt_i32_f64_e32 v23, v[96:97]
	v_cvt_f64_i32_e32 v[96:97], v23
	v_add_f64 v[86:87], v[86:87], -v[96:97]
	v_add_f64 v[100:101], v[102:103], -v[100:101]
	v_add_f64 v[96:97], v[102:103], v[86:87]
	v_add_f64 v[100:101], v[112:113], -v[100:101]
	v_add_f64 v[86:87], v[96:97], -v[86:87]
	v_cmp_le_f64_e32 vcc, 0.5, v[96:97]
	v_add_f64 v[84:85], v[100:101], v[84:85]
	v_add_f64 v[86:87], v[102:103], -v[86:87]
	v_addc_co_u32_e64 v89, s[8:9], 0, v23, vcc
	v_cndmask_b32_e32 v23, 0, v92, vcc
	v_add_f64 v[84:85], v[84:85], v[86:87]
	v_add_f64 v[86:87], v[96:97], -v[22:23]
	v_add_f64 v[96:97], v[86:87], v[84:85]
	v_add_f64 v[86:87], v[96:97], -v[86:87]
	s_mov_b32 s24, s26
	v_add_f64 v[84:85], v[84:85], -v[86:87]
	v_mul_f64 v[86:87], v[96:97], s[24:25]
	v_fma_f64 v[98:99], v[96:97], s[24:25], -v[86:87]
	s_mov_b32 s31, s29
	v_fmac_f64_e32 v[98:99], s[30:31], v[96:97]
	v_fmac_f64_e32 v[98:99], s[24:25], v[84:85]
	v_add_f64 v[84:85], v[86:87], v[98:99]
	v_add_f64 v[86:87], v[84:85], -v[86:87]
	v_add_f64 v[86:87], v[98:99], -v[86:87]
	s_andn2_saveexec_b64 s[8:9], s[56:57]
	s_cbranch_execnz .LBB94_279
	s_branch .LBB94_280
.LBB94_278:                             ;   in Loop: Header=BB94_161 Depth=1
	s_andn2_saveexec_b64 s[8:9], s[56:57]
	s_cbranch_execz .LBB94_280
.LBB94_279:                             ;   in Loop: Header=BB94_161 Depth=1
	v_mul_f64 v[84:85], |v[14:15]|, s[34:35]
	v_rndne_f64_e32 v[96:97], v[84:85]
	v_fma_f64 v[84:85], v[96:97], s[26:27], |v[14:15]|
	v_mul_f64 v[98:99], v[96:97], s[36:37]
	v_add_f64 v[102:103], v[84:85], v[98:99]
	v_fma_f64 v[86:87], s[36:37], v[96:97], v[84:85]
	s_mov_b32 s28, s36
	v_add_f64 v[84:85], v[84:85], -v[102:103]
	v_fma_f64 v[100:101], s[28:29], v[96:97], v[98:99]
	v_add_f64 v[84:85], v[84:85], v[98:99]
	v_add_f64 v[98:99], v[102:103], -v[86:87]
	v_add_f64 v[84:85], v[98:99], v[84:85]
	v_add_f64 v[98:99], v[84:85], -v[100:101]
	v_fmac_f64_e32 v[98:99], s[38:39], v[96:97]
	v_add_f64 v[84:85], v[86:87], v[98:99]
	v_add_f64 v[86:87], v[84:85], -v[86:87]
	v_add_f64 v[86:87], v[98:99], -v[86:87]
	v_cvt_i32_f64_e32 v89, v[96:97]
.LBB94_280:                             ;   in Loop: Header=BB94_161 Depth=1
	s_or_b64 exec, exec, s[8:9]
	v_mul_f64 v[96:97], v[16:17], v[16:17]
	v_pk_mov_b32 v[104:105], s[70:71], s[70:71] op_sel:[0,1]
	v_mul_f64 v[98:99], v[96:97], 0.5
	v_fma_f64 v[106:107], s[72:73], v[96:97], v[104:105]
	v_add_f64 v[100:101], -v[98:99], 1.0
	v_fma_f64 v[106:107], v[96:97], v[106:107], s[74:75]
	v_add_f64 v[102:103], -v[100:101], 1.0
	v_fma_f64 v[106:107], v[96:97], v[106:107], s[76:77]
	v_add_f64 v[98:99], v[102:103], -v[98:99]
	v_fma_f64 v[106:107], v[96:97], v[106:107], s[78:79]
	v_mul_f64 v[102:103], v[96:97], v[96:97]
	v_fma_f64 v[106:107], v[96:97], v[106:107], s[62:63]
	v_fma_f64 v[98:99], v[16:17], -v[18:19], v[98:99]
	v_fmac_f64_e32 v[98:99], v[102:103], v[106:107]
	v_add_f64 v[98:99], v[100:101], v[98:99]
	v_pk_mov_b32 v[100:101], s[80:81], s[80:81] op_sel:[0,1]
	v_fma_f64 v[102:103], s[82:83], v[96:97], v[100:101]
	v_fma_f64 v[102:103], v[96:97], v[102:103], s[84:85]
	;; [unrolled: 1-line block ×4, first 2 shown]
	v_mul_f64 v[106:107], v[16:17], -v[96:97]
	v_mul_f64 v[108:109], v[18:19], 0.5
	v_fmac_f64_e32 v[108:109], v[106:107], v[102:103]
	v_fma_f64 v[18:19], v[96:97], v[108:109], -v[18:19]
	s_mov_b32 s88, s62
	v_fmac_f64_e32 v[18:19], s[88:89], v[106:107]
	v_add_f64 v[16:17], v[16:17], -v[18:19]
	v_and_b32_e32 v18, 1, v88
	v_cmp_eq_u32_e32 vcc, 0, v18
	v_lshlrev_b32_e32 v18, 30, v88
	v_xor_b32_e32 v18, v18, v15
	v_cndmask_b32_e32 v17, v99, v17, vcc
	v_and_b32_e32 v18, 0x80000000, v18
	v_cndmask_b32_e32 v16, v98, v16, vcc
	v_xor_b32_e32 v17, v17, v18
	v_cmp_class_f64_e64 vcc, v[14:15], s58
	v_cndmask_b32_e32 v14, 0, v16, vcc
	v_cndmask_b32_e32 v15, v95, v17, vcc
	v_mul_f64 v[16:17], v[84:85], v[84:85]
	v_mul_f64 v[18:19], v[16:17], 0.5
	v_fmac_f64_e32 v[104:105], s[72:73], v[16:17]
	v_add_f64 v[96:97], -v[18:19], 1.0
	v_fma_f64 v[102:103], v[16:17], v[104:105], s[74:75]
	v_add_f64 v[98:99], -v[96:97], 1.0
	v_fma_f64 v[102:103], v[16:17], v[102:103], s[76:77]
	v_add_f64 v[18:19], v[98:99], -v[18:19]
	v_fma_f64 v[102:103], v[16:17], v[102:103], s[78:79]
	v_mul_f64 v[98:99], v[16:17], v[16:17]
	v_fma_f64 v[102:103], v[16:17], v[102:103], s[62:63]
	v_fma_f64 v[18:19], v[84:85], -v[86:87], v[18:19]
	v_fmac_f64_e32 v[18:19], v[98:99], v[102:103]
	v_fmac_f64_e32 v[100:101], s[82:83], v[16:17]
	v_add_f64 v[18:19], v[96:97], v[18:19]
	v_fma_f64 v[96:97], v[16:17], v[100:101], s[84:85]
	v_fma_f64 v[96:97], v[16:17], v[96:97], s[86:87]
	v_fma_f64 v[96:97], v[16:17], v[96:97], s[60:61]
	v_mul_f64 v[98:99], v[84:85], -v[16:17]
	v_mul_f64 v[100:101], v[86:87], 0.5
	v_fmac_f64_e32 v[100:101], v[98:99], v[96:97]
	v_fma_f64 v[16:17], v[16:17], v[100:101], -v[86:87]
	v_fmac_f64_e32 v[16:17], s[88:89], v[98:99]
	v_and_b32_e32 v23, 1, v89
	v_add_f64 v[16:17], v[84:85], -v[16:17]
	v_cmp_eq_u32_e64 s[8:9], 0, v23
	v_xor_b32_e32 v17, 0x80000000, v17
	v_cndmask_b32_e64 v16, v16, v18, s[8:9]
	v_lshlrev_b32_e32 v18, 30, v89
	v_cndmask_b32_e64 v17, v17, v19, s[8:9]
	v_and_b32_e32 v18, 0x80000000, v18
	v_xor_b32_e32 v17, v17, v18
	v_cndmask_b32_e32 v16, 0, v16, vcc
	v_cndmask_b32_e32 v17, v95, v17, vcc
	v_mul_f64 v[14:15], v[14:15], v[16:17]
.LBB94_281:                             ;   in Loop: Header=BB94_161 Depth=1
	s_or_b64 exec, exec, s[94:95]
	v_add_co_u32_e32 v20, vcc, 0, v20
	v_bfi_b32 v23, s46, 0, v15
	v_addc_co_u32_e32 v21, vcc, -2.0, v21, vcc
	v_pk_mov_b32 v[18:19], v[22:23], v[22:23] op_sel:[0,1]
.LBB94_282:                             ;   in Loop: Header=BB94_161 Depth=1
	s_or_b64 exec, exec, s[54:55]
.LBB94_283:                             ;   in Loop: Header=BB94_161 Depth=1
	s_or_b64 exec, exec, s[40:41]
	v_xor_b32_e32 v17, 0x80000000, v9
	v_and_b32_e32 v14, 0x7fffffff, v17
	v_mov_b32_e32 v16, v8
	v_cmp_gt_u32_e32 vcc, s47, v14
	s_and_saveexec_b64 s[8:9], vcc
	s_xor_b64 s[94:95], exec, s[8:9]
	s_cbranch_execz .LBB94_294
; %bb.284:                              ;   in Loop: Header=BB94_161 Depth=1
	v_cmp_class_f64_e64 s[8:9], v[6:7], s58
	s_and_saveexec_b64 s[40:41], s[8:9]
	s_xor_b64 s[40:41], exec, s[40:41]
	s_cbranch_execz .LBB94_313
; %bb.285:                              ;   in Loop: Header=BB94_161 Depth=1
	s_mov_b32 s8, 0x40360000
	v_cmp_gt_u32_e32 vcc, s8, v14
	s_and_saveexec_b64 s[8:9], vcc
	s_xor_b64 s[54:55], exec, s[8:9]
	s_cbranch_execz .LBB94_291
; %bb.286:                              ;   in Loop: Header=BB94_161 Depth=1
	v_cmp_nlt_f64_e64 s[8:9], |v[6:7]|, s[18:19]
                                        ; implicit-def: $vgpr16
                                        ; implicit-def: $vgpr14_vgpr15
                                        ; implicit-def: $vgpr84_vgpr85
	s_and_saveexec_b64 s[56:57], s[8:9]
	s_xor_b64 s[56:57], exec, s[56:57]
	s_cbranch_execz .LBB94_288
; %bb.287:                              ;   in Loop: Header=BB94_161 Depth=1
	v_and_b32_e32 v16, 0x7fffffff, v7
	v_ldexp_f64 v[86:87], |v[6:7]|, s59
	v_cmp_ge_f64_e64 vcc, |v[6:7]|, s[20:21]
	v_trig_preop_f64 v[14:15], |v[6:7]|, 0
	v_cndmask_b32_e32 v87, v16, v87, vcc
	v_cndmask_b32_e32 v86, v6, v86, vcc
	v_trig_preop_f64 v[84:85], |v[6:7]|, 1
	v_mul_f64 v[96:97], v[14:15], v[86:87]
	v_mul_f64 v[88:89], v[84:85], v[86:87]
	v_fma_f64 v[14:15], v[14:15], v[86:87], -v[96:97]
	v_add_f64 v[98:99], v[88:89], v[14:15]
	v_add_f64 v[100:101], v[96:97], v[98:99]
	v_ldexp_f64 v[102:103], v[100:101], -2
	v_fract_f64_e32 v[104:105], v[102:103]
	v_cmp_neq_f64_e64 vcc, |v[102:103]|, s[22:23]
	v_cndmask_b32_e32 v103, 0, v105, vcc
	v_cndmask_b32_e32 v102, 0, v104, vcc
	v_add_f64 v[104:105], v[98:99], -v[88:89]
	v_add_f64 v[14:15], v[14:15], -v[104:105]
	;; [unrolled: 1-line block ×4, first 2 shown]
	v_fma_f64 v[84:85], v[84:85], v[86:87], -v[88:89]
	v_trig_preop_f64 v[88:89], |v[6:7]|, 2
	v_add_f64 v[14:15], v[14:15], v[104:105]
	v_mul_f64 v[104:105], v[88:89], v[86:87]
	v_add_f64 v[106:107], v[104:105], v[84:85]
	v_add_f64 v[108:109], v[106:107], v[14:15]
	v_add_f64 v[96:97], v[100:101], -v[96:97]
	v_add_f64 v[100:101], v[108:109], -v[106:107]
	;; [unrolled: 1-line block ×5, first 2 shown]
	v_add_f64 v[14:15], v[14:15], v[100:101]
	v_add_f64 v[100:101], v[106:107], -v[104:105]
	v_add_f64 v[84:85], v[84:85], -v[100:101]
	;; [unrolled: 1-line block ×4, first 2 shown]
	v_add_f64 v[84:85], v[84:85], v[100:101]
	v_add_f64 v[96:97], v[98:99], -v[96:97]
	v_add_f64 v[14:15], v[84:85], v[14:15]
	v_fma_f64 v[84:85], v[88:89], v[86:87], -v[104:105]
	v_add_f64 v[98:99], v[96:97], v[108:109]
	v_add_f64 v[14:15], v[84:85], v[14:15]
	v_ldexp_f64 v[84:85], v[102:103], 2
	v_add_f64 v[86:87], v[98:99], v[84:85]
	v_cmp_gt_f64_e32 vcc, 0, v[86:87]
	v_cndmask_b32_e32 v23, 0, v91, vcc
	v_add_f64 v[84:85], v[84:85], v[22:23]
	v_add_f64 v[86:87], v[98:99], v[84:85]
	v_cvt_i32_f64_e32 v16, v[86:87]
	v_cvt_f64_i32_e32 v[86:87], v16
	v_add_f64 v[84:85], v[84:85], -v[86:87]
	v_add_f64 v[96:97], v[98:99], -v[96:97]
	v_add_f64 v[86:87], v[98:99], v[84:85]
	v_add_f64 v[96:97], v[108:109], -v[96:97]
	v_add_f64 v[84:85], v[86:87], -v[84:85]
	v_cmp_le_f64_e32 vcc, 0.5, v[86:87]
	v_add_f64 v[14:15], v[96:97], v[14:15]
	v_add_f64 v[84:85], v[98:99], -v[84:85]
	v_cndmask_b32_e32 v23, 0, v92, vcc
	v_add_f64 v[14:15], v[14:15], v[84:85]
	v_add_f64 v[84:85], v[86:87], -v[22:23]
	v_add_f64 v[86:87], v[84:85], v[14:15]
	v_add_f64 v[84:85], v[86:87], -v[84:85]
	s_mov_b32 s24, s26
	v_add_f64 v[14:15], v[14:15], -v[84:85]
	v_mul_f64 v[84:85], v[86:87], s[24:25]
	v_fma_f64 v[88:89], v[86:87], s[24:25], -v[84:85]
	s_mov_b32 s31, s29
	v_fmac_f64_e32 v[88:89], s[30:31], v[86:87]
	v_fmac_f64_e32 v[88:89], s[24:25], v[14:15]
	v_add_f64 v[14:15], v[84:85], v[88:89]
	v_add_f64 v[84:85], v[14:15], -v[84:85]
	v_addc_co_u32_e64 v16, s[8:9], 0, v16, vcc
	v_add_f64 v[84:85], v[88:89], -v[84:85]
.LBB94_288:                             ;   in Loop: Header=BB94_161 Depth=1
	s_andn2_saveexec_b64 s[8:9], s[56:57]
	s_cbranch_execz .LBB94_290
; %bb.289:                              ;   in Loop: Header=BB94_161 Depth=1
	v_mul_f64 v[14:15], |v[6:7]|, s[34:35]
	v_rndne_f64_e32 v[86:87], v[14:15]
	v_fma_f64 v[14:15], v[86:87], s[26:27], |v[6:7]|
	v_mul_f64 v[88:89], v[86:87], s[36:37]
	v_add_f64 v[98:99], v[14:15], v[88:89]
	v_fma_f64 v[84:85], s[36:37], v[86:87], v[14:15]
	s_mov_b32 s28, s36
	v_add_f64 v[14:15], v[14:15], -v[98:99]
	v_fma_f64 v[96:97], s[28:29], v[86:87], v[88:89]
	v_add_f64 v[14:15], v[14:15], v[88:89]
	v_add_f64 v[88:89], v[98:99], -v[84:85]
	v_add_f64 v[14:15], v[88:89], v[14:15]
	v_add_f64 v[88:89], v[14:15], -v[96:97]
	v_fmac_f64_e32 v[88:89], s[38:39], v[86:87]
	v_add_f64 v[14:15], v[84:85], v[88:89]
	v_add_f64 v[84:85], v[14:15], -v[84:85]
	v_add_f64 v[84:85], v[88:89], -v[84:85]
	v_cvt_i32_f64_e32 v16, v[86:87]
.LBB94_290:                             ;   in Loop: Header=BB94_161 Depth=1
	s_or_b64 exec, exec, s[8:9]
	v_mul_f64 v[86:87], v[14:15], v[14:15]
	v_fma_f64 v[88:89], v[14:15], v[14:15], -v[86:87]
	v_add_f64 v[96:97], v[84:85], v[84:85]
	v_fmac_f64_e32 v[88:89], v[14:15], v[96:97]
	s_mov_b32 s8, 0xc751c08c
	v_add_f64 v[86:87], v[86:87], v[88:89]
	v_pk_mov_b32 v[88:89], v[34:35], v[34:35] op_sel:[0,1]
	s_mov_b32 s9, 0x3ef5e089
	v_fmac_f64_e32 v[88:89], s[8:9], v[86:87]
	v_pk_mov_b32 v[96:97], v[36:37], v[36:37] op_sel:[0,1]
	v_fmac_f64_e32 v[96:97], v[86:87], v[88:89]
	v_pk_mov_b32 v[88:89], v[38:39], v[38:39] op_sel:[0,1]
	;; [unrolled: 2-line block ×12, first 2 shown]
	v_fmac_f64_e32 v[88:89], v[86:87], v[96:97]
	v_mul_f64 v[86:87], v[86:87], v[88:89]
	v_mul_f64 v[88:89], v[14:15], v[86:87]
	v_add_f64 v[96:97], v[14:15], v[88:89]
	v_fma_f64 v[86:87], v[14:15], v[86:87], -v[88:89]
	v_add_f64 v[14:15], v[96:97], -v[14:15]
	v_add_f64 v[14:15], v[88:89], -v[14:15]
	v_add_f64 v[84:85], v[84:85], v[86:87]
	v_add_f64 v[14:15], v[84:85], v[14:15]
	;; [unrolled: 1-line block ×3, first 2 shown]
	v_rcp_f64_e32 v[86:87], v[84:85]
	v_add_f64 v[88:89], v[84:85], -v[96:97]
	v_add_f64 v[14:15], v[14:15], -v[88:89]
	v_and_b32_e32 v6, 1, v16
	v_fma_f64 v[88:89], -v[84:85], v[86:87], 1.0
	v_fmac_f64_e32 v[86:87], v[88:89], v[86:87]
	v_fma_f64 v[88:89], -v[84:85], v[86:87], 1.0
	v_fmac_f64_e32 v[86:87], v[88:89], v[86:87]
	v_mul_f64 v[88:89], v[84:85], v[86:87]
	v_fma_f64 v[96:97], v[86:87], v[84:85], -v[88:89]
	v_fmac_f64_e32 v[96:97], v[86:87], v[14:15]
	v_add_f64 v[14:15], v[88:89], v[96:97]
	v_add_f64 v[98:99], -v[14:15], 1.0
	v_add_f64 v[88:89], v[14:15], -v[88:89]
	v_add_f64 v[100:101], -v[98:99], 1.0
	v_add_f64 v[14:15], v[100:101], -v[14:15]
	v_add_f64 v[88:89], v[88:89], -v[96:97]
	v_add_f64 v[14:15], v[88:89], v[14:15]
	v_add_f64 v[14:15], v[98:99], v[14:15]
	v_mul_f64 v[14:15], v[86:87], v[14:15]
	v_add_f64 v[14:15], v[86:87], v[14:15]
	v_xor_b32_e32 v15, 0x80000000, v15
	v_cmp_eq_u32_e32 vcc, 0, v6
	v_cndmask_b32_e32 v6, v14, v84, vcc
	v_cndmask_b32_e32 v23, v15, v85, vcc
	v_add_f64 v[14:15], |v[8:9]|, s[42:43]
	v_add_f64 v[84:85], v[14:15], -|v[8:9]|
	v_add_f64 v[86:87], v[84:85], -v[14:15]
	s_mov_b32 s44, s42
	v_add_f64 v[86:87], |v[8:9]|, v[86:87]
	v_add_f64 v[84:85], v[84:85], s[44:45]
	s_mov_b32 s8, 0x3b39803f
	v_add_f64 v[84:85], v[86:87], -v[84:85]
	s_mov_b32 s9, 0xbc7abc9e
	v_add_f64 v[84:85], v[84:85], s[8:9]
	v_add_f64 v[86:87], v[14:15], v[84:85]
	s_mov_b32 s8, 0x652b82fe
	v_add_f64 v[14:15], v[14:15], -v[86:87]
	s_mov_b32 s9, 0xbff71547
	s_mov_b32 s48, s8
	v_add_f64 v[14:15], v[84:85], v[14:15]
	v_mul_f64 v[84:85], v[86:87], s[48:49]
	v_rndne_f64_e32 v[84:85], v[84:85]
	s_mov_b32 s53, s43
	v_fmac_f64_e32 v[86:87], s[52:53], v[84:85]
	v_add_f64 v[88:89], v[14:15], v[86:87]
	s_mov_b32 s8, 0xf278e000
	v_add_f64 v[86:87], v[86:87], -v[88:89]
	s_mov_b32 s9, 0xbd53de6a
	v_add_f64 v[14:15], v[14:15], v[86:87]
	v_mul_f64 v[86:87], v[84:85], s[8:9]
	v_add_f64 v[96:97], v[88:89], v[86:87]
	v_add_f64 v[88:89], v[88:89], -v[96:97]
	v_add_f64 v[86:87], v[88:89], v[86:87]
	v_add_f64 v[14:15], v[14:15], v[86:87]
	;; [unrolled: 1-line block ×3, first 2 shown]
	s_mov_b32 s8, 0xf97b57a0
	v_add_f64 v[88:89], v[96:97], -v[86:87]
	s_mov_b32 s9, 0xbac9cc01
	v_add_f64 v[14:15], v[14:15], v[88:89]
	v_mul_f64 v[88:89], v[84:85], s[8:9]
	v_add_f64 v[96:97], v[86:87], v[88:89]
	v_add_f64 v[86:87], v[86:87], -v[96:97]
	v_add_f64 v[86:87], v[86:87], v[88:89]
	v_add_f64 v[14:15], v[14:15], v[86:87]
	;; [unrolled: 1-line block ×3, first 2 shown]
	v_add_f64 v[88:89], v[96:97], -v[86:87]
	s_mov_b32 s8, 0x6a5dcb37
	v_add_f64 v[14:15], v[14:15], v[88:89]
	v_pk_mov_b32 v[88:89], v[60:61], v[60:61] op_sel:[0,1]
	s_mov_b32 s9, 0x3e5ade15
	v_fmac_f64_e32 v[88:89], s[8:9], v[86:87]
	v_pk_mov_b32 v[96:97], v[62:63], v[62:63] op_sel:[0,1]
	v_fmac_f64_e32 v[96:97], v[86:87], v[88:89]
	v_pk_mov_b32 v[88:89], v[64:65], v[64:65] op_sel:[0,1]
	v_fmac_f64_e32 v[88:89], v[86:87], v[96:97]
	v_pk_mov_b32 v[96:97], v[66:67], v[66:67] op_sel:[0,1]
	v_fmac_f64_e32 v[96:97], v[86:87], v[88:89]
	v_pk_mov_b32 v[88:89], v[68:69], v[68:69] op_sel:[0,1]
	v_fmac_f64_e32 v[88:89], v[86:87], v[96:97]
	v_pk_mov_b32 v[96:97], v[70:71], v[70:71] op_sel:[0,1]
	v_fmac_f64_e32 v[96:97], v[86:87], v[88:89]
	v_pk_mov_b32 v[88:89], v[72:73], v[72:73] op_sel:[0,1]
	v_fmac_f64_e32 v[88:89], v[86:87], v[96:97]
	v_pk_mov_b32 v[96:97], v[74:75], v[74:75] op_sel:[0,1]
	v_fmac_f64_e32 v[96:97], v[86:87], v[88:89]
	v_pk_mov_b32 v[88:89], v[76:77], v[76:77] op_sel:[0,1]
	v_fmac_f64_e32 v[88:89], v[86:87], v[96:97]
	v_mul_f64 v[96:97], v[86:87], v[86:87]
	v_fma_f64 v[98:99], v[86:87], v[86:87], -v[96:97]
	v_add_f64 v[100:101], v[14:15], v[14:15]
	v_fmac_f64_e32 v[98:99], v[86:87], v[100:101]
	v_add_f64 v[100:101], v[96:97], v[98:99]
	v_add_f64 v[96:97], v[100:101], -v[96:97]
	v_add_f64 v[96:97], v[98:99], -v[96:97]
	v_mul_f64 v[98:99], v[100:101], v[88:89]
	v_fma_f64 v[100:101], v[100:101], v[88:89], -v[98:99]
	v_fmac_f64_e32 v[100:101], v[96:97], v[88:89]
	v_add_f64 v[88:89], v[98:99], v[100:101]
	v_add_f64 v[96:97], v[88:89], -v[98:99]
	v_add_f64 v[98:99], v[86:87], v[88:89]
	v_add_f64 v[96:97], v[100:101], -v[96:97]
	v_add_f64 v[86:87], v[98:99], -v[86:87]
	;; [unrolled: 1-line block ×3, first 2 shown]
	v_add_f64 v[14:15], v[14:15], v[96:97]
	v_add_f64 v[14:15], v[14:15], v[86:87]
	;; [unrolled: 1-line block ×3, first 2 shown]
	v_add_f64 v[88:89], v[86:87], -v[98:99]
	v_add_f64 v[14:15], v[14:15], -v[88:89]
	v_add_f64 v[88:89], v[86:87], 1.0
	v_add_f64 v[96:97], v[88:89], -1.0
	v_add_f64 v[86:87], v[86:87], -v[96:97]
	v_add_f64 v[14:15], v[14:15], v[86:87]
	v_add_f64 v[86:87], v[88:89], v[14:15]
	v_cvt_i32_f64_e32 v98, v[84:85]
	v_ldexp_f64 v[84:85], v[86:87], v98
	v_rcp_f64_e32 v[96:97], v[84:85]
	v_add_f64 v[86:87], v[86:87], -v[88:89]
	v_add_f64 v[14:15], v[14:15], -v[86:87]
	v_ldexp_f64 v[14:15], v[14:15], v98
	v_fma_f64 v[86:87], -v[84:85], v[96:97], 1.0
	v_fmac_f64_e32 v[96:97], v[86:87], v[96:97]
	v_fma_f64 v[86:87], -v[84:85], v[96:97], 1.0
	v_fmac_f64_e32 v[96:97], v[86:87], v[96:97]
	v_mul_f64 v[86:87], v[84:85], v[96:97]
	v_fma_f64 v[88:89], v[96:97], v[84:85], -v[86:87]
	v_fmac_f64_e32 v[88:89], v[96:97], v[14:15]
	v_add_f64 v[98:99], v[86:87], v[88:89]
	v_add_f64 v[100:101], -v[98:99], 1.0
	v_add_f64 v[86:87], v[98:99], -v[86:87]
	v_add_f64 v[102:103], -v[100:101], 1.0
	v_add_f64 v[98:99], v[102:103], -v[98:99]
	v_add_f64 v[86:87], v[86:87], -v[88:89]
	v_add_f64 v[86:87], v[86:87], v[98:99]
	v_add_f64 v[88:89], v[100:101], v[86:87]
	v_add_f64 v[98:99], v[100:101], -v[88:89]
	v_add_f64 v[86:87], v[86:87], v[98:99]
	v_mul_f64 v[98:99], v[96:97], v[88:89]
	v_mul_f64 v[100:101], v[84:85], v[98:99]
	v_fma_f64 v[102:103], v[98:99], v[84:85], -v[100:101]
	v_fmac_f64_e32 v[102:103], v[98:99], v[14:15]
	v_add_f64 v[104:105], v[100:101], v[102:103]
	v_add_f64 v[106:107], v[88:89], -v[104:105]
	v_add_f64 v[88:89], v[88:89], -v[106:107]
	;; [unrolled: 1-line block ×4, first 2 shown]
	v_add_f64 v[86:87], v[86:87], v[88:89]
	v_add_f64 v[88:89], v[100:101], -v[102:103]
	v_add_f64 v[86:87], v[88:89], v[86:87]
	v_add_f64 v[86:87], v[106:107], v[86:87]
	;; [unrolled: 1-line block ×3, first 2 shown]
	v_mul_f64 v[86:87], v[96:97], v[86:87]
	v_add_f64 v[96:97], v[88:89], -v[96:97]
	v_add_f64 v[96:97], v[98:99], -v[96:97]
	v_add_f64 v[86:87], v[96:97], v[86:87]
	v_add_f64 v[96:97], v[88:89], v[86:87]
	v_add_f64 v[88:89], v[96:97], -v[88:89]
	v_add_f64 v[86:87], v[86:87], -v[88:89]
	v_ldexp_f64 v[88:89], v[96:97], -2
	v_add_f64 v[96:97], v[84:85], -v[88:89]
	v_add_f64 v[84:85], v[84:85], -v[96:97]
	;; [unrolled: 1-line block ×3, first 2 shown]
	s_mov_b32 s8, 0x8fb9f87e
	v_ldexp_f64 v[86:87], v[86:87], -2
	v_add_f64 v[14:15], v[14:15], v[84:85]
	s_mov_b32 s9, 0x408633ce
	v_add_f64 v[14:15], v[14:15], -v[86:87]
	v_cmp_nge_f64_e64 vcc, |v[8:9]|, s[8:9]
	s_mov_b32 s8, 0
	v_add_f64 v[14:15], v[96:97], v[14:15]
	s_mov_b32 s9, 0x3e400000
	v_and_b32_e32 v16, 0x7fffffff, v9
	v_cndmask_b32_e32 v15, v93, v15, vcc
	v_cndmask_b32_e32 v14, 0, v14, vcc
	v_cmp_lt_f64_e64 vcc, |v[8:9]|, s[8:9]
	v_cndmask_b32_e32 v9, v15, v16, vcc
	v_cndmask_b32_e32 v8, v14, v8, vcc
	v_bfi_b32 v9, s46, v9, v17
	s_mov_b32 s8, 0
	v_fma_f64 v[14:15], v[8:9], v[8:9], 1.0
	s_brev_b32 s9, 8
	v_cmp_gt_f64_e32 vcc, s[8:9], v[14:15]
	v_cndmask_b32_e64 v16, 0, 1, vcc
	v_lshlrev_b32_e32 v16, 8, v16
	v_ldexp_f64 v[14:15], v[14:15], v16
	v_rsq_f64_e32 v[16:17], v[14:15]
	v_and_b32_e32 v7, 0x80000000, v7
	v_xor_b32_e32 v7, v23, v7
	v_fma_f64 v[84:85], v[6:7], v[6:7], 1.0
	v_mul_f64 v[86:87], v[14:15], v[16:17]
	v_mul_f64 v[16:17], v[16:17], 0.5
	v_fma_f64 v[88:89], -v[16:17], v[86:87], 0.5
	v_fmac_f64_e32 v[86:87], v[86:87], v[88:89]
	v_fma_f64 v[96:97], -v[86:87], v[86:87], v[14:15]
	v_fmac_f64_e32 v[16:17], v[16:17], v[88:89]
	v_fmac_f64_e32 v[86:87], v[96:97], v[16:17]
	v_fma_f64 v[88:89], -v[86:87], v[86:87], v[14:15]
	v_fmac_f64_e32 v[86:87], v[88:89], v[16:17]
	v_cndmask_b32_e32 v16, 0, v94, vcc
	v_ldexp_f64 v[16:17], v[86:87], v16
	v_cmp_class_f64_e32 vcc, v[14:15], v90
	v_cndmask_b32_e32 v15, v17, v15, vcc
	v_cndmask_b32_e32 v14, v16, v14, vcc
	v_mul_f64 v[16:17], v[8:9], v[84:85]
	v_mul_f64 v[14:15], v[14:15], v[84:85]
	v_fma_f64 v[86:87], v[8:9], v[16:17], 1.0
	v_mul_f64 v[8:9], v[8:9], v[14:15]
	v_div_scale_f64 v[14:15], s[8:9], v[86:87], v[86:87], v[8:9]
	v_rcp_f64_e32 v[16:17], v[14:15]
	v_fma_f64 v[84:85], -v[14:15], v[16:17], 1.0
	v_fmac_f64_e32 v[16:17], v[16:17], v[84:85]
	v_fma_f64 v[84:85], -v[14:15], v[16:17], 1.0
	v_fmac_f64_e32 v[16:17], v[16:17], v[84:85]
	v_div_scale_f64 v[84:85], vcc, v[8:9], v[86:87], v[8:9]
	v_mul_f64 v[88:89], v[84:85], v[16:17]
	v_fma_f64 v[14:15], -v[14:15], v[88:89], v[84:85]
	v_div_scale_f64 v[84:85], s[8:9], v[86:87], v[86:87], v[6:7]
	v_rcp_f64_e32 v[96:97], v[84:85]
	v_div_fmas_f64 v[14:15], v[14:15], v[16:17], v[88:89]
	v_div_fixup_f64 v[16:17], v[14:15], v[86:87], v[8:9]
	v_fma_f64 v[8:9], -v[84:85], v[96:97], 1.0
	v_fmac_f64_e32 v[96:97], v[96:97], v[8:9]
	v_fma_f64 v[8:9], -v[84:85], v[96:97], 1.0
	v_fmac_f64_e32 v[96:97], v[96:97], v[8:9]
	v_div_scale_f64 v[8:9], vcc, v[6:7], v[86:87], v[6:7]
	v_mul_f64 v[14:15], v[8:9], v[96:97]
	v_fma_f64 v[8:9], -v[84:85], v[14:15], v[8:9]
	s_nop 1
	v_div_fmas_f64 v[8:9], v[8:9], v[96:97], v[14:15]
	v_div_fixup_f64 v[14:15], v[8:9], v[86:87], v[6:7]
                                        ; implicit-def: $vgpr6_vgpr7
.LBB94_291:                             ;   in Loop: Header=BB94_161 Depth=1
	s_andn2_saveexec_b64 s[54:55], s[54:55]
	s_cbranch_execz .LBB94_312
; %bb.292:                              ;   in Loop: Header=BB94_161 Depth=1
	v_cmp_nlt_f64_e64 s[56:57], |v[6:7]|, s[18:19]
                                        ; implicit-def: $vgpr16
                                        ; implicit-def: $vgpr14_vgpr15
                                        ; implicit-def: $vgpr84_vgpr85
	s_and_saveexec_b64 s[8:9], s[56:57]
	s_xor_b64 s[64:65], exec, s[8:9]
	s_cbranch_execz .LBB94_301
; %bb.293:                              ;   in Loop: Header=BB94_161 Depth=1
	v_and_b32_e32 v16, 0x7fffffff, v7
	v_ldexp_f64 v[86:87], |v[6:7]|, s59
	v_cmp_ge_f64_e64 vcc, |v[6:7]|, s[20:21]
	v_trig_preop_f64 v[14:15], |v[6:7]|, 0
	v_cndmask_b32_e32 v87, v16, v87, vcc
	v_cndmask_b32_e32 v86, v6, v86, vcc
	v_trig_preop_f64 v[84:85], |v[6:7]|, 1
	v_mul_f64 v[96:97], v[14:15], v[86:87]
	v_mul_f64 v[88:89], v[84:85], v[86:87]
	v_fma_f64 v[14:15], v[14:15], v[86:87], -v[96:97]
	v_add_f64 v[98:99], v[88:89], v[14:15]
	v_add_f64 v[100:101], v[96:97], v[98:99]
	v_ldexp_f64 v[102:103], v[100:101], -2
	v_fract_f64_e32 v[104:105], v[102:103]
	v_cmp_neq_f64_e64 vcc, |v[102:103]|, s[22:23]
	v_cndmask_b32_e32 v103, 0, v105, vcc
	v_cndmask_b32_e32 v102, 0, v104, vcc
	v_add_f64 v[104:105], v[98:99], -v[88:89]
	v_add_f64 v[14:15], v[14:15], -v[104:105]
	;; [unrolled: 1-line block ×4, first 2 shown]
	v_fma_f64 v[84:85], v[84:85], v[86:87], -v[88:89]
	v_trig_preop_f64 v[88:89], |v[6:7]|, 2
	v_add_f64 v[14:15], v[14:15], v[104:105]
	v_mul_f64 v[104:105], v[88:89], v[86:87]
	v_add_f64 v[106:107], v[104:105], v[84:85]
	v_add_f64 v[108:109], v[106:107], v[14:15]
	v_add_f64 v[96:97], v[100:101], -v[96:97]
	v_add_f64 v[100:101], v[108:109], -v[106:107]
	;; [unrolled: 1-line block ×5, first 2 shown]
	v_add_f64 v[14:15], v[14:15], v[100:101]
	v_add_f64 v[100:101], v[106:107], -v[104:105]
	v_add_f64 v[84:85], v[84:85], -v[100:101]
	v_add_f64 v[100:101], v[106:107], -v[100:101]
	v_add_f64 v[100:101], v[104:105], -v[100:101]
	v_add_f64 v[84:85], v[84:85], v[100:101]
	v_add_f64 v[96:97], v[98:99], -v[96:97]
	v_add_f64 v[14:15], v[84:85], v[14:15]
	v_fma_f64 v[84:85], v[88:89], v[86:87], -v[104:105]
	v_add_f64 v[98:99], v[96:97], v[108:109]
	v_add_f64 v[14:15], v[84:85], v[14:15]
	v_ldexp_f64 v[84:85], v[102:103], 2
	v_add_f64 v[86:87], v[98:99], v[84:85]
	v_cmp_gt_f64_e32 vcc, 0, v[86:87]
	v_cndmask_b32_e32 v23, 0, v91, vcc
	v_add_f64 v[84:85], v[84:85], v[22:23]
	v_add_f64 v[86:87], v[98:99], v[84:85]
	v_cvt_i32_f64_e32 v16, v[86:87]
	v_cvt_f64_i32_e32 v[86:87], v16
	v_add_f64 v[84:85], v[84:85], -v[86:87]
	v_add_f64 v[96:97], v[98:99], -v[96:97]
	v_add_f64 v[86:87], v[98:99], v[84:85]
	v_add_f64 v[96:97], v[108:109], -v[96:97]
	v_add_f64 v[84:85], v[86:87], -v[84:85]
	v_cmp_le_f64_e32 vcc, 0.5, v[86:87]
	v_add_f64 v[14:15], v[96:97], v[14:15]
	v_add_f64 v[84:85], v[98:99], -v[84:85]
	v_cndmask_b32_e32 v23, 0, v92, vcc
	v_add_f64 v[14:15], v[14:15], v[84:85]
	v_add_f64 v[84:85], v[86:87], -v[22:23]
	v_add_f64 v[86:87], v[84:85], v[14:15]
	v_add_f64 v[84:85], v[86:87], -v[84:85]
	s_mov_b32 s24, s26
	v_add_f64 v[14:15], v[14:15], -v[84:85]
	v_mul_f64 v[84:85], v[86:87], s[24:25]
	v_fma_f64 v[88:89], v[86:87], s[24:25], -v[84:85]
	s_mov_b32 s31, s29
	v_fmac_f64_e32 v[88:89], s[30:31], v[86:87]
	v_fmac_f64_e32 v[88:89], s[24:25], v[14:15]
	v_add_f64 v[14:15], v[84:85], v[88:89]
	v_add_f64 v[84:85], v[14:15], -v[84:85]
	v_addc_co_u32_e64 v16, s[8:9], 0, v16, vcc
	v_add_f64 v[84:85], v[88:89], -v[84:85]
	s_andn2_saveexec_b64 s[8:9], s[64:65]
	s_cbranch_execz .LBB94_303
	s_branch .LBB94_302
.LBB94_294:                             ;   in Loop: Header=BB94_161 Depth=1
	s_andn2_saveexec_b64 s[40:41], s[94:95]
	s_cbranch_execz .LBB94_316
.LBB94_295:                             ;   in Loop: Header=BB94_161 Depth=1
	v_and_or_b32 v14, v17, s50, v16
	v_cmp_ne_u32_e32 vcc, 0, v14
	s_and_saveexec_b64 s[8:9], vcc
	s_xor_b64 s[8:9], exec, s[8:9]
; %bb.296:                              ;   in Loop: Header=BB94_161 Depth=1
	v_mul_f64 v[8:9], v[6:7], -v[8:9]
	v_cmp_eq_f64_e32 vcc, 0, v[6:7]
	v_cndmask_b32_e32 v15, v9, v7, vcc
	v_cndmask_b32_e32 v14, v8, v6, vcc
                                        ; implicit-def: $vgpr6_vgpr7
; %bb.297:                              ;   in Loop: Header=BB94_161 Depth=1
	s_andn2_saveexec_b64 s[54:55], s[8:9]
	s_cbranch_execz .LBB94_324
; %bb.298:                              ;   in Loop: Header=BB94_161 Depth=1
	v_cmp_neq_f64_e64 s[8:9], |v[6:7]|, s[22:23]
	s_and_saveexec_b64 s[94:95], s[8:9]
	s_cbranch_execz .LBB94_323
; %bb.299:                              ;   in Loop: Header=BB94_161 Depth=1
	v_cmp_nlt_f64_e64 s[56:57], |v[6:7]|, s[18:19]
                                        ; implicit-def: $vgpr88
                                        ; implicit-def: $vgpr8_vgpr9
                                        ; implicit-def: $vgpr14_vgpr15
	s_and_saveexec_b64 s[8:9], s[56:57]
	s_xor_b64 s[64:65], exec, s[8:9]
	s_cbranch_execz .LBB94_305
; %bb.300:                              ;   in Loop: Header=BB94_161 Depth=1
	v_and_b32_e32 v23, 0x7fffffff, v7
	v_ldexp_f64 v[84:85], |v[6:7]|, s59
	v_cmp_ge_f64_e64 vcc, |v[6:7]|, s[20:21]
	v_trig_preop_f64 v[8:9], |v[6:7]|, 0
	v_cndmask_b32_e32 v85, v23, v85, vcc
	v_cndmask_b32_e32 v84, v6, v84, vcc
	v_trig_preop_f64 v[14:15], |v[6:7]|, 1
	v_mul_f64 v[88:89], v[8:9], v[84:85]
	v_mul_f64 v[86:87], v[14:15], v[84:85]
	v_fma_f64 v[8:9], v[8:9], v[84:85], -v[88:89]
	v_add_f64 v[96:97], v[86:87], v[8:9]
	v_add_f64 v[98:99], v[88:89], v[96:97]
	v_ldexp_f64 v[100:101], v[98:99], -2
	v_fract_f64_e32 v[102:103], v[100:101]
	v_cmp_neq_f64_e64 vcc, |v[100:101]|, s[22:23]
	v_cndmask_b32_e32 v101, 0, v103, vcc
	v_cndmask_b32_e32 v100, 0, v102, vcc
	v_add_f64 v[102:103], v[96:97], -v[86:87]
	v_add_f64 v[8:9], v[8:9], -v[102:103]
	v_add_f64 v[102:103], v[96:97], -v[102:103]
	v_add_f64 v[102:103], v[86:87], -v[102:103]
	v_fma_f64 v[14:15], v[14:15], v[84:85], -v[86:87]
	v_trig_preop_f64 v[86:87], |v[6:7]|, 2
	v_add_f64 v[8:9], v[8:9], v[102:103]
	v_mul_f64 v[102:103], v[86:87], v[84:85]
	v_add_f64 v[104:105], v[102:103], v[14:15]
	v_add_f64 v[106:107], v[104:105], v[8:9]
	v_add_f64 v[88:89], v[98:99], -v[88:89]
	v_add_f64 v[98:99], v[106:107], -v[104:105]
	;; [unrolled: 1-line block ×5, first 2 shown]
	v_add_f64 v[8:9], v[8:9], v[98:99]
	v_add_f64 v[98:99], v[104:105], -v[102:103]
	v_add_f64 v[14:15], v[14:15], -v[98:99]
	;; [unrolled: 1-line block ×4, first 2 shown]
	v_add_f64 v[14:15], v[14:15], v[98:99]
	v_add_f64 v[88:89], v[96:97], -v[88:89]
	v_add_f64 v[8:9], v[14:15], v[8:9]
	v_fma_f64 v[14:15], v[86:87], v[84:85], -v[102:103]
	v_add_f64 v[96:97], v[88:89], v[106:107]
	v_add_f64 v[8:9], v[14:15], v[8:9]
	v_ldexp_f64 v[14:15], v[100:101], 2
	v_add_f64 v[84:85], v[96:97], v[14:15]
	v_cmp_gt_f64_e32 vcc, 0, v[84:85]
	v_cndmask_b32_e32 v23, 0, v91, vcc
	v_add_f64 v[14:15], v[14:15], v[22:23]
	v_add_f64 v[84:85], v[96:97], v[14:15]
	v_cvt_i32_f64_e32 v23, v[84:85]
	v_cvt_f64_i32_e32 v[84:85], v23
	v_add_f64 v[14:15], v[14:15], -v[84:85]
	v_add_f64 v[88:89], v[96:97], -v[88:89]
	v_add_f64 v[84:85], v[96:97], v[14:15]
	v_add_f64 v[88:89], v[106:107], -v[88:89]
	v_add_f64 v[14:15], v[84:85], -v[14:15]
	v_cmp_le_f64_e32 vcc, 0.5, v[84:85]
	v_add_f64 v[8:9], v[88:89], v[8:9]
	v_add_f64 v[14:15], v[96:97], -v[14:15]
	v_addc_co_u32_e64 v88, s[8:9], 0, v23, vcc
	v_cndmask_b32_e32 v23, 0, v92, vcc
	v_add_f64 v[8:9], v[8:9], v[14:15]
	v_add_f64 v[14:15], v[84:85], -v[22:23]
	v_add_f64 v[84:85], v[14:15], v[8:9]
	v_add_f64 v[14:15], v[84:85], -v[14:15]
	s_mov_b32 s24, s26
	v_add_f64 v[8:9], v[8:9], -v[14:15]
	v_mul_f64 v[14:15], v[84:85], s[24:25]
	v_fma_f64 v[86:87], v[84:85], s[24:25], -v[14:15]
	s_mov_b32 s31, s29
	v_fmac_f64_e32 v[86:87], s[30:31], v[84:85]
	v_fmac_f64_e32 v[86:87], s[24:25], v[8:9]
	v_add_f64 v[8:9], v[14:15], v[86:87]
	v_add_f64 v[14:15], v[8:9], -v[14:15]
	v_add_f64 v[14:15], v[86:87], -v[14:15]
	s_andn2_saveexec_b64 s[8:9], s[64:65]
	s_cbranch_execz .LBB94_307
	s_branch .LBB94_306
.LBB94_301:                             ;   in Loop: Header=BB94_161 Depth=1
	s_andn2_saveexec_b64 s[8:9], s[64:65]
	s_cbranch_execz .LBB94_303
.LBB94_302:                             ;   in Loop: Header=BB94_161 Depth=1
	v_mul_f64 v[14:15], |v[6:7]|, s[34:35]
	v_rndne_f64_e32 v[86:87], v[14:15]
	v_fma_f64 v[14:15], v[86:87], s[26:27], |v[6:7]|
	v_mul_f64 v[88:89], v[86:87], s[36:37]
	v_add_f64 v[98:99], v[14:15], v[88:89]
	v_fma_f64 v[84:85], s[36:37], v[86:87], v[14:15]
	s_mov_b32 s28, s36
	v_add_f64 v[14:15], v[14:15], -v[98:99]
	v_fma_f64 v[96:97], s[28:29], v[86:87], v[88:89]
	v_add_f64 v[14:15], v[14:15], v[88:89]
	v_add_f64 v[88:89], v[98:99], -v[84:85]
	v_add_f64 v[14:15], v[88:89], v[14:15]
	v_add_f64 v[88:89], v[14:15], -v[96:97]
	v_fmac_f64_e32 v[88:89], s[38:39], v[86:87]
	v_add_f64 v[14:15], v[84:85], v[88:89]
	v_add_f64 v[84:85], v[14:15], -v[84:85]
	v_add_f64 v[84:85], v[88:89], -v[84:85]
	v_cvt_i32_f64_e32 v16, v[86:87]
.LBB94_303:                             ;   in Loop: Header=BB94_161 Depth=1
	s_or_b64 exec, exec, s[8:9]
                                        ; implicit-def: $vgpr96
                                        ; implicit-def: $vgpr86_vgpr87
                                        ; implicit-def: $vgpr88_vgpr89
	s_and_saveexec_b64 s[8:9], s[56:57]
	s_xor_b64 s[56:57], exec, s[8:9]
	s_cbranch_execz .LBB94_309
; %bb.304:                              ;   in Loop: Header=BB94_161 Depth=1
	v_and_b32_e32 v23, 0x7fffffff, v7
	v_ldexp_f64 v[96:97], |v[6:7]|, s59
	v_cmp_ge_f64_e64 vcc, |v[6:7]|, s[20:21]
	v_trig_preop_f64 v[86:87], |v[6:7]|, 0
	v_cndmask_b32_e32 v97, v23, v97, vcc
	v_cndmask_b32_e32 v96, v6, v96, vcc
	v_trig_preop_f64 v[88:89], |v[6:7]|, 1
	v_mul_f64 v[100:101], v[86:87], v[96:97]
	v_mul_f64 v[98:99], v[88:89], v[96:97]
	v_fma_f64 v[86:87], v[86:87], v[96:97], -v[100:101]
	v_add_f64 v[102:103], v[98:99], v[86:87]
	v_add_f64 v[104:105], v[100:101], v[102:103]
	v_ldexp_f64 v[106:107], v[104:105], -2
	v_fract_f64_e32 v[108:109], v[106:107]
	v_cmp_neq_f64_e64 vcc, |v[106:107]|, s[22:23]
	v_cndmask_b32_e32 v107, 0, v109, vcc
	v_cndmask_b32_e32 v106, 0, v108, vcc
	v_add_f64 v[108:109], v[102:103], -v[98:99]
	v_add_f64 v[86:87], v[86:87], -v[108:109]
	v_add_f64 v[108:109], v[102:103], -v[108:109]
	v_add_f64 v[108:109], v[98:99], -v[108:109]
	v_fma_f64 v[88:89], v[88:89], v[96:97], -v[98:99]
	v_trig_preop_f64 v[98:99], |v[6:7]|, 2
	v_add_f64 v[86:87], v[86:87], v[108:109]
	v_mul_f64 v[108:109], v[98:99], v[96:97]
	v_add_f64 v[110:111], v[108:109], v[88:89]
	v_add_f64 v[112:113], v[110:111], v[86:87]
	v_add_f64 v[100:101], v[104:105], -v[100:101]
	v_add_f64 v[104:105], v[112:113], -v[110:111]
	;; [unrolled: 1-line block ×5, first 2 shown]
	v_add_f64 v[86:87], v[86:87], v[104:105]
	v_add_f64 v[104:105], v[110:111], -v[108:109]
	v_add_f64 v[88:89], v[88:89], -v[104:105]
	;; [unrolled: 1-line block ×4, first 2 shown]
	v_add_f64 v[88:89], v[88:89], v[104:105]
	v_add_f64 v[100:101], v[102:103], -v[100:101]
	v_add_f64 v[86:87], v[88:89], v[86:87]
	v_fma_f64 v[88:89], v[98:99], v[96:97], -v[108:109]
	v_add_f64 v[102:103], v[100:101], v[112:113]
	v_add_f64 v[86:87], v[88:89], v[86:87]
	v_ldexp_f64 v[88:89], v[106:107], 2
	v_add_f64 v[96:97], v[102:103], v[88:89]
	v_cmp_gt_f64_e32 vcc, 0, v[96:97]
	v_cndmask_b32_e32 v23, 0, v91, vcc
	v_add_f64 v[88:89], v[88:89], v[22:23]
	v_add_f64 v[96:97], v[102:103], v[88:89]
	v_cvt_i32_f64_e32 v23, v[96:97]
	v_cvt_f64_i32_e32 v[96:97], v23
	v_add_f64 v[88:89], v[88:89], -v[96:97]
	v_add_f64 v[100:101], v[102:103], -v[100:101]
	v_add_f64 v[98:99], v[102:103], v[88:89]
	v_add_f64 v[100:101], v[112:113], -v[100:101]
	v_add_f64 v[88:89], v[98:99], -v[88:89]
	v_cmp_le_f64_e32 vcc, 0.5, v[98:99]
	v_add_f64 v[86:87], v[100:101], v[86:87]
	v_add_f64 v[88:89], v[102:103], -v[88:89]
	v_addc_co_u32_e64 v96, s[8:9], 0, v23, vcc
	v_cndmask_b32_e32 v23, 0, v92, vcc
	v_add_f64 v[86:87], v[86:87], v[88:89]
	v_add_f64 v[88:89], v[98:99], -v[22:23]
	v_add_f64 v[98:99], v[88:89], v[86:87]
	v_add_f64 v[88:89], v[98:99], -v[88:89]
	s_mov_b32 s24, s26
	v_add_f64 v[86:87], v[86:87], -v[88:89]
	v_mul_f64 v[88:89], v[98:99], s[24:25]
	v_fma_f64 v[100:101], v[98:99], s[24:25], -v[88:89]
	s_mov_b32 s31, s29
	v_fmac_f64_e32 v[100:101], s[30:31], v[98:99]
	v_fmac_f64_e32 v[100:101], s[24:25], v[86:87]
	v_add_f64 v[86:87], v[88:89], v[100:101]
	v_add_f64 v[88:89], v[86:87], -v[88:89]
	v_add_f64 v[88:89], v[100:101], -v[88:89]
	s_andn2_saveexec_b64 s[8:9], s[56:57]
	s_cbranch_execnz .LBB94_310
	s_branch .LBB94_311
.LBB94_305:                             ;   in Loop: Header=BB94_161 Depth=1
	s_andn2_saveexec_b64 s[8:9], s[64:65]
	s_cbranch_execz .LBB94_307
.LBB94_306:                             ;   in Loop: Header=BB94_161 Depth=1
	v_mul_f64 v[8:9], |v[6:7]|, s[34:35]
	v_rndne_f64_e32 v[84:85], v[8:9]
	v_fma_f64 v[8:9], v[84:85], s[26:27], |v[6:7]|
	v_mul_f64 v[86:87], v[84:85], s[36:37]
	v_add_f64 v[96:97], v[8:9], v[86:87]
	v_fma_f64 v[14:15], s[36:37], v[84:85], v[8:9]
	s_mov_b32 s28, s36
	v_add_f64 v[8:9], v[8:9], -v[96:97]
	v_fma_f64 v[88:89], s[28:29], v[84:85], v[86:87]
	v_add_f64 v[8:9], v[8:9], v[86:87]
	v_add_f64 v[86:87], v[96:97], -v[14:15]
	v_add_f64 v[8:9], v[86:87], v[8:9]
	v_add_f64 v[86:87], v[8:9], -v[88:89]
	v_fmac_f64_e32 v[86:87], s[38:39], v[84:85]
	v_add_f64 v[8:9], v[14:15], v[86:87]
	v_add_f64 v[14:15], v[8:9], -v[14:15]
	v_add_f64 v[14:15], v[86:87], -v[14:15]
	v_cvt_i32_f64_e32 v88, v[84:85]
.LBB94_307:                             ;   in Loop: Header=BB94_161 Depth=1
	s_or_b64 exec, exec, s[8:9]
                                        ; implicit-def: $vgpr89
                                        ; implicit-def: $vgpr84_vgpr85
                                        ; implicit-def: $vgpr86_vgpr87
	s_and_saveexec_b64 s[8:9], s[56:57]
	s_xor_b64 s[56:57], exec, s[8:9]
	s_cbranch_execz .LBB94_320
; %bb.308:                              ;   in Loop: Header=BB94_161 Depth=1
	v_and_b32_e32 v23, 0x7fffffff, v7
	v_ldexp_f64 v[96:97], |v[6:7]|, s59
	v_cmp_ge_f64_e64 vcc, |v[6:7]|, s[20:21]
	v_trig_preop_f64 v[84:85], |v[6:7]|, 0
	v_cndmask_b32_e32 v97, v23, v97, vcc
	v_cndmask_b32_e32 v96, v6, v96, vcc
	v_trig_preop_f64 v[86:87], |v[6:7]|, 1
	v_mul_f64 v[100:101], v[84:85], v[96:97]
	v_mul_f64 v[98:99], v[86:87], v[96:97]
	v_fma_f64 v[84:85], v[84:85], v[96:97], -v[100:101]
	v_add_f64 v[102:103], v[98:99], v[84:85]
	v_add_f64 v[104:105], v[100:101], v[102:103]
	v_ldexp_f64 v[106:107], v[104:105], -2
	v_fract_f64_e32 v[108:109], v[106:107]
	v_cmp_neq_f64_e64 vcc, |v[106:107]|, s[22:23]
	v_cndmask_b32_e32 v107, 0, v109, vcc
	v_cndmask_b32_e32 v106, 0, v108, vcc
	v_add_f64 v[108:109], v[102:103], -v[98:99]
	v_add_f64 v[84:85], v[84:85], -v[108:109]
	;; [unrolled: 1-line block ×4, first 2 shown]
	v_fma_f64 v[86:87], v[86:87], v[96:97], -v[98:99]
	v_trig_preop_f64 v[98:99], |v[6:7]|, 2
	v_add_f64 v[84:85], v[84:85], v[108:109]
	v_mul_f64 v[108:109], v[98:99], v[96:97]
	v_add_f64 v[110:111], v[108:109], v[86:87]
	v_add_f64 v[112:113], v[110:111], v[84:85]
	v_add_f64 v[100:101], v[104:105], -v[100:101]
	v_add_f64 v[104:105], v[112:113], -v[110:111]
	;; [unrolled: 1-line block ×5, first 2 shown]
	v_add_f64 v[84:85], v[84:85], v[104:105]
	v_add_f64 v[104:105], v[110:111], -v[108:109]
	v_add_f64 v[86:87], v[86:87], -v[104:105]
	;; [unrolled: 1-line block ×4, first 2 shown]
	v_add_f64 v[86:87], v[86:87], v[104:105]
	v_add_f64 v[100:101], v[102:103], -v[100:101]
	v_add_f64 v[84:85], v[86:87], v[84:85]
	v_fma_f64 v[86:87], v[98:99], v[96:97], -v[108:109]
	v_add_f64 v[102:103], v[100:101], v[112:113]
	v_add_f64 v[84:85], v[86:87], v[84:85]
	v_ldexp_f64 v[86:87], v[106:107], 2
	v_add_f64 v[96:97], v[102:103], v[86:87]
	v_cmp_gt_f64_e32 vcc, 0, v[96:97]
	v_cndmask_b32_e32 v23, 0, v91, vcc
	v_add_f64 v[86:87], v[86:87], v[22:23]
	v_add_f64 v[96:97], v[102:103], v[86:87]
	v_cvt_i32_f64_e32 v23, v[96:97]
	v_cvt_f64_i32_e32 v[96:97], v23
	v_add_f64 v[86:87], v[86:87], -v[96:97]
	v_add_f64 v[100:101], v[102:103], -v[100:101]
	v_add_f64 v[96:97], v[102:103], v[86:87]
	v_add_f64 v[100:101], v[112:113], -v[100:101]
	v_add_f64 v[86:87], v[96:97], -v[86:87]
	v_cmp_le_f64_e32 vcc, 0.5, v[96:97]
	v_add_f64 v[84:85], v[100:101], v[84:85]
	v_add_f64 v[86:87], v[102:103], -v[86:87]
	v_addc_co_u32_e64 v89, s[8:9], 0, v23, vcc
	v_cndmask_b32_e32 v23, 0, v92, vcc
	v_add_f64 v[84:85], v[84:85], v[86:87]
	v_add_f64 v[86:87], v[96:97], -v[22:23]
	v_add_f64 v[96:97], v[86:87], v[84:85]
	v_add_f64 v[86:87], v[96:97], -v[86:87]
	s_mov_b32 s24, s26
	v_add_f64 v[84:85], v[84:85], -v[86:87]
	v_mul_f64 v[86:87], v[96:97], s[24:25]
	v_fma_f64 v[98:99], v[96:97], s[24:25], -v[86:87]
	s_mov_b32 s31, s29
	v_fmac_f64_e32 v[98:99], s[30:31], v[96:97]
	v_fmac_f64_e32 v[98:99], s[24:25], v[84:85]
	v_add_f64 v[84:85], v[86:87], v[98:99]
	v_add_f64 v[86:87], v[84:85], -v[86:87]
	v_add_f64 v[86:87], v[98:99], -v[86:87]
	s_andn2_saveexec_b64 s[8:9], s[56:57]
	s_cbranch_execnz .LBB94_321
	s_branch .LBB94_322
.LBB94_309:                             ;   in Loop: Header=BB94_161 Depth=1
	s_andn2_saveexec_b64 s[8:9], s[56:57]
	s_cbranch_execz .LBB94_311
.LBB94_310:                             ;   in Loop: Header=BB94_161 Depth=1
	v_mul_f64 v[86:87], |v[6:7]|, s[34:35]
	v_rndne_f64_e32 v[96:97], v[86:87]
	v_fma_f64 v[86:87], v[96:97], s[26:27], |v[6:7]|
	v_mul_f64 v[98:99], v[96:97], s[36:37]
	v_add_f64 v[102:103], v[86:87], v[98:99]
	v_fma_f64 v[88:89], s[36:37], v[96:97], v[86:87]
	s_mov_b32 s28, s36
	v_add_f64 v[86:87], v[86:87], -v[102:103]
	v_fma_f64 v[100:101], s[28:29], v[96:97], v[98:99]
	v_add_f64 v[86:87], v[86:87], v[98:99]
	v_add_f64 v[98:99], v[102:103], -v[88:89]
	v_add_f64 v[86:87], v[98:99], v[86:87]
	v_add_f64 v[98:99], v[86:87], -v[100:101]
	v_fmac_f64_e32 v[98:99], s[38:39], v[96:97]
	v_add_f64 v[86:87], v[88:89], v[98:99]
	v_add_f64 v[88:89], v[86:87], -v[88:89]
	v_add_f64 v[88:89], v[98:99], -v[88:89]
	v_cvt_i32_f64_e32 v96, v[96:97]
.LBB94_311:                             ;   in Loop: Header=BB94_161 Depth=1
	s_or_b64 exec, exec, s[8:9]
	v_mul_f64 v[98:99], v[14:15], v[14:15]
	v_pk_mov_b32 v[106:107], s[70:71], s[70:71] op_sel:[0,1]
	v_mul_f64 v[100:101], v[98:99], 0.5
	v_fma_f64 v[108:109], s[72:73], v[98:99], v[106:107]
	v_add_f64 v[102:103], -v[100:101], 1.0
	v_fma_f64 v[108:109], v[98:99], v[108:109], s[74:75]
	v_add_f64 v[104:105], -v[102:103], 1.0
	v_fma_f64 v[108:109], v[98:99], v[108:109], s[76:77]
	v_add_f64 v[100:101], v[104:105], -v[100:101]
	v_fma_f64 v[108:109], v[98:99], v[108:109], s[78:79]
	v_mul_f64 v[104:105], v[98:99], v[98:99]
	v_fma_f64 v[108:109], v[98:99], v[108:109], s[62:63]
	v_fma_f64 v[100:101], v[14:15], -v[84:85], v[100:101]
	v_fmac_f64_e32 v[100:101], v[104:105], v[108:109]
	v_add_f64 v[100:101], v[102:103], v[100:101]
	v_pk_mov_b32 v[102:103], s[80:81], s[80:81] op_sel:[0,1]
	v_fma_f64 v[104:105], s[82:83], v[98:99], v[102:103]
	v_fma_f64 v[104:105], v[98:99], v[104:105], s[84:85]
	;; [unrolled: 1-line block ×4, first 2 shown]
	v_mul_f64 v[108:109], v[14:15], -v[98:99]
	v_mul_f64 v[110:111], v[84:85], 0.5
	v_fmac_f64_e32 v[110:111], v[108:109], v[104:105]
	v_fma_f64 v[84:85], v[98:99], v[110:111], -v[84:85]
	s_mov_b32 s88, s62
	v_fmac_f64_e32 v[84:85], s[88:89], v[108:109]
	v_and_b32_e32 v6, 1, v16
	v_add_f64 v[14:15], v[14:15], -v[84:85]
	v_cmp_eq_u32_e32 vcc, 0, v6
	v_cndmask_b32_e32 v6, v100, v14, vcc
	v_cndmask_b32_e32 v14, v101, v15, vcc
	v_lshlrev_b32_e32 v15, 30, v16
	v_xor_b32_e32 v7, v15, v7
	s_mov_b32 s8, 0x652b82fe
	v_and_b32_e32 v7, 0x80000000, v7
	s_mov_b32 s9, 0xbff71547
	v_xor_b32_e32 v7, v14, v7
	v_mul_f64 v[14:15], |v[8:9]|, s[8:9]
	v_rndne_f64_e32 v[14:15], v[14:15]
	s_mov_b32 s8, 0x3b39803f
	v_fma_f64 v[84:85], v[14:15], s[42:43], -|v[8:9]|
	s_mov_b32 s9, 0xbc7abc9e
	v_fmac_f64_e32 v[84:85], s[8:9], v[14:15]
	s_mov_b32 s8, 0x6a5dcb37
	v_pk_mov_b32 v[98:99], v[60:61], v[60:61] op_sel:[0,1]
	s_mov_b32 s9, 0x3e5ade15
	v_fmac_f64_e32 v[98:99], s[8:9], v[84:85]
	v_pk_mov_b32 v[100:101], v[62:63], v[62:63] op_sel:[0,1]
	v_fmac_f64_e32 v[100:101], v[84:85], v[98:99]
	v_pk_mov_b32 v[98:99], v[64:65], v[64:65] op_sel:[0,1]
	;; [unrolled: 2-line block ×8, first 2 shown]
	v_fmac_f64_e32 v[98:99], v[84:85], v[100:101]
	v_fma_f64 v[98:99], v[84:85], v[98:99], 1.0
	s_mov_b32 s8, 0
	v_fma_f64 v[84:85], v[84:85], v[98:99], 1.0
	v_cvt_i32_f64_e32 v14, v[14:15]
	s_mov_b32 s9, 0x4090cc00
	v_ldexp_f64 v[14:15], v[84:85], v14
	v_cmp_ngt_f64_e64 vcc, |v[8:9]|, s[8:9]
	v_cndmask_b32_e32 v9, 0, v15, vcc
	v_cndmask_b32_e32 v8, 0, v14, vcc
	v_mul_f64 v[14:15], v[86:87], v[86:87]
	v_bfi_b32 v23, s46, v92, v17
	v_mul_f64 v[16:17], v[14:15], 0.5
	v_fmac_f64_e32 v[106:107], s[72:73], v[14:15]
	v_add_f64 v[84:85], -v[16:17], 1.0
	v_fma_f64 v[100:101], v[14:15], v[106:107], s[74:75]
	v_add_f64 v[98:99], -v[84:85], 1.0
	v_fma_f64 v[100:101], v[14:15], v[100:101], s[76:77]
	v_add_f64 v[16:17], v[98:99], -v[16:17]
	v_fma_f64 v[100:101], v[14:15], v[100:101], s[78:79]
	v_mul_f64 v[98:99], v[14:15], v[14:15]
	v_fma_f64 v[100:101], v[14:15], v[100:101], s[62:63]
	v_fma_f64 v[16:17], v[86:87], -v[88:89], v[16:17]
	v_fmac_f64_e32 v[16:17], v[98:99], v[100:101]
	v_fmac_f64_e32 v[102:103], s[82:83], v[14:15]
	v_add_f64 v[16:17], v[84:85], v[16:17]
	v_fma_f64 v[84:85], v[14:15], v[102:103], s[84:85]
	v_fma_f64 v[84:85], v[14:15], v[84:85], s[86:87]
	;; [unrolled: 1-line block ×3, first 2 shown]
	v_mul_f64 v[98:99], v[86:87], -v[14:15]
	v_mul_f64 v[100:101], v[88:89], 0.5
	v_fmac_f64_e32 v[100:101], v[98:99], v[84:85]
	v_fma_f64 v[14:15], v[14:15], v[100:101], -v[88:89]
	v_fmac_f64_e32 v[14:15], s[88:89], v[98:99]
	v_and_b32_e32 v84, 1, v96
	v_add_f64 v[14:15], v[86:87], -v[14:15]
	v_cmp_eq_u32_e32 vcc, 0, v84
	v_xor_b32_e32 v15, 0x80000000, v15
	v_cndmask_b32_e32 v14, v14, v16, vcc
	v_lshlrev_b32_e32 v16, 30, v96
	v_cndmask_b32_e32 v15, v15, v17, vcc
	v_and_b32_e32 v16, 0x80000000, v16
	v_mul_f64 v[6:7], v[6:7], 4.0
	v_xor_b32_e32 v15, v15, v16
	v_mul_f64 v[6:7], v[6:7], v[14:15]
	v_mul_f64 v[6:7], v[8:9], v[6:7]
	;; [unrolled: 1-line block ×3, first 2 shown]
	v_pk_mov_b32 v[16:17], v[22:23], v[22:23] op_sel:[0,1]
.LBB94_312:                             ;   in Loop: Header=BB94_161 Depth=1
	s_or_b64 exec, exec, s[54:55]
                                        ; implicit-def: $vgpr6_vgpr7
.LBB94_313:                             ;   in Loop: Header=BB94_161 Depth=1
	s_andn2_saveexec_b64 s[8:9], s[40:41]
; %bb.314:                              ;   in Loop: Header=BB94_161 Depth=1
	v_add_f64 v[14:15], v[6:7], -v[6:7]
	v_pk_mov_b32 v[16:17], v[14:15], v[14:15] op_sel:[0,1]
; %bb.315:                              ;   in Loop: Header=BB94_161 Depth=1
	s_or_b64 exec, exec, s[8:9]
                                        ; implicit-def: $vgpr6_vgpr7
	s_andn2_saveexec_b64 s[40:41], s[94:95]
	s_cbranch_execnz .LBB94_295
.LBB94_316:                             ;   in Loop: Header=BB94_161 Depth=1
	s_or_b64 exec, exec, s[40:41]
	s_and_saveexec_b64 s[8:9], s[0:1]
	s_xor_b64 s[0:1], exec, s[8:9]
	s_cbranch_execz .LBB94_325
.LBB94_317:                             ;   in Loop: Header=BB94_161 Depth=1
	v_mov_b32_e32 v7, s11
	v_add_co_u32_e32 v6, vcc, s10, v24
	v_xor_b32_e32 v5, 0x80000000, v5
	v_addc_co_u32_e32 v7, vcc, v25, v7, vcc
	global_store_dwordx4 v[6:7], v[2:5], off offset:-8
	s_or_b64 exec, exec, s[0:1]
	s_and_saveexec_b64 s[0:1], s[2:3]
	s_cbranch_execnz .LBB94_326
.LBB94_318:                             ;   in Loop: Header=BB94_161 Depth=1
	s_or_b64 exec, exec, s[0:1]
	s_and_saveexec_b64 s[0:1], s[4:5]
	s_cbranch_execz .LBB94_327
.LBB94_319:                             ;   in Loop: Header=BB94_161 Depth=1
	v_mov_b32_e32 v3, s11
	v_add_co_u32_e32 v2, vcc, s10, v32
	v_xor_b32_e32 v21, 0x80000000, v21
	v_addc_co_u32_e32 v3, vcc, v33, v3, vcc
	global_store_dwordx4 v[2:3], v[18:21], off offset:-8
	s_or_b64 exec, exec, s[0:1]
	s_and_saveexec_b64 s[0:1], s[6:7]
	s_cbranch_execz .LBB94_160
	s_branch .LBB94_328
.LBB94_320:                             ;   in Loop: Header=BB94_161 Depth=1
	s_andn2_saveexec_b64 s[8:9], s[56:57]
	s_cbranch_execz .LBB94_322
.LBB94_321:                             ;   in Loop: Header=BB94_161 Depth=1
	v_mul_f64 v[84:85], |v[6:7]|, s[34:35]
	v_rndne_f64_e32 v[96:97], v[84:85]
	v_fma_f64 v[84:85], v[96:97], s[26:27], |v[6:7]|
	v_mul_f64 v[98:99], v[96:97], s[36:37]
	v_add_f64 v[102:103], v[84:85], v[98:99]
	v_fma_f64 v[86:87], s[36:37], v[96:97], v[84:85]
	s_mov_b32 s28, s36
	v_add_f64 v[84:85], v[84:85], -v[102:103]
	v_fma_f64 v[100:101], s[28:29], v[96:97], v[98:99]
	v_add_f64 v[84:85], v[84:85], v[98:99]
	v_add_f64 v[98:99], v[102:103], -v[86:87]
	v_add_f64 v[84:85], v[98:99], v[84:85]
	v_add_f64 v[98:99], v[84:85], -v[100:101]
	v_fmac_f64_e32 v[98:99], s[38:39], v[96:97]
	v_add_f64 v[84:85], v[86:87], v[98:99]
	v_add_f64 v[86:87], v[84:85], -v[86:87]
	v_add_f64 v[86:87], v[98:99], -v[86:87]
	v_cvt_i32_f64_e32 v89, v[96:97]
.LBB94_322:                             ;   in Loop: Header=BB94_161 Depth=1
	s_or_b64 exec, exec, s[8:9]
	v_mul_f64 v[96:97], v[8:9], v[8:9]
	v_pk_mov_b32 v[104:105], s[70:71], s[70:71] op_sel:[0,1]
	v_mul_f64 v[98:99], v[96:97], 0.5
	v_fma_f64 v[106:107], s[72:73], v[96:97], v[104:105]
	v_add_f64 v[100:101], -v[98:99], 1.0
	v_fma_f64 v[106:107], v[96:97], v[106:107], s[74:75]
	v_add_f64 v[102:103], -v[100:101], 1.0
	v_fma_f64 v[106:107], v[96:97], v[106:107], s[76:77]
	v_add_f64 v[98:99], v[102:103], -v[98:99]
	v_fma_f64 v[106:107], v[96:97], v[106:107], s[78:79]
	v_mul_f64 v[102:103], v[96:97], v[96:97]
	v_fma_f64 v[106:107], v[96:97], v[106:107], s[62:63]
	v_fma_f64 v[98:99], v[8:9], -v[14:15], v[98:99]
	v_fmac_f64_e32 v[98:99], v[102:103], v[106:107]
	v_add_f64 v[98:99], v[100:101], v[98:99]
	v_pk_mov_b32 v[100:101], s[80:81], s[80:81] op_sel:[0,1]
	v_fma_f64 v[102:103], s[82:83], v[96:97], v[100:101]
	v_fma_f64 v[102:103], v[96:97], v[102:103], s[84:85]
	;; [unrolled: 1-line block ×4, first 2 shown]
	v_mul_f64 v[106:107], v[8:9], -v[96:97]
	v_mul_f64 v[108:109], v[14:15], 0.5
	v_fmac_f64_e32 v[108:109], v[106:107], v[102:103]
	v_fma_f64 v[14:15], v[96:97], v[108:109], -v[14:15]
	s_mov_b32 s88, s62
	v_fmac_f64_e32 v[14:15], s[88:89], v[106:107]
	v_add_f64 v[8:9], v[8:9], -v[14:15]
	v_and_b32_e32 v14, 1, v88
	v_cmp_eq_u32_e32 vcc, 0, v14
	v_lshlrev_b32_e32 v14, 30, v88
	v_xor_b32_e32 v14, v14, v7
	v_cndmask_b32_e32 v9, v99, v9, vcc
	v_and_b32_e32 v14, 0x80000000, v14
	v_cndmask_b32_e32 v8, v98, v8, vcc
	v_xor_b32_e32 v9, v9, v14
	v_cmp_class_f64_e64 vcc, v[6:7], s58
	v_cndmask_b32_e32 v6, 0, v8, vcc
	v_cndmask_b32_e32 v7, v95, v9, vcc
	v_mul_f64 v[8:9], v[84:85], v[84:85]
	v_mul_f64 v[14:15], v[8:9], 0.5
	v_fmac_f64_e32 v[104:105], s[72:73], v[8:9]
	v_add_f64 v[96:97], -v[14:15], 1.0
	v_fma_f64 v[102:103], v[8:9], v[104:105], s[74:75]
	v_add_f64 v[98:99], -v[96:97], 1.0
	v_fma_f64 v[102:103], v[8:9], v[102:103], s[76:77]
	v_add_f64 v[14:15], v[98:99], -v[14:15]
	v_fma_f64 v[102:103], v[8:9], v[102:103], s[78:79]
	v_mul_f64 v[98:99], v[8:9], v[8:9]
	v_fma_f64 v[102:103], v[8:9], v[102:103], s[62:63]
	v_fma_f64 v[14:15], v[84:85], -v[86:87], v[14:15]
	v_fmac_f64_e32 v[14:15], v[98:99], v[102:103]
	v_fmac_f64_e32 v[100:101], s[82:83], v[8:9]
	v_add_f64 v[14:15], v[96:97], v[14:15]
	v_fma_f64 v[96:97], v[8:9], v[100:101], s[84:85]
	v_fma_f64 v[96:97], v[8:9], v[96:97], s[86:87]
	;; [unrolled: 1-line block ×3, first 2 shown]
	v_mul_f64 v[98:99], v[84:85], -v[8:9]
	v_mul_f64 v[100:101], v[86:87], 0.5
	v_fmac_f64_e32 v[100:101], v[98:99], v[96:97]
	v_fma_f64 v[8:9], v[8:9], v[100:101], -v[86:87]
	v_fmac_f64_e32 v[8:9], s[88:89], v[98:99]
	v_and_b32_e32 v23, 1, v89
	v_add_f64 v[8:9], v[84:85], -v[8:9]
	v_cmp_eq_u32_e64 s[8:9], 0, v23
	v_xor_b32_e32 v9, 0x80000000, v9
	v_cndmask_b32_e64 v8, v8, v14, s[8:9]
	v_lshlrev_b32_e32 v14, 30, v89
	v_cndmask_b32_e64 v9, v9, v15, s[8:9]
	v_and_b32_e32 v14, 0x80000000, v14
	v_xor_b32_e32 v9, v9, v14
	v_cndmask_b32_e32 v8, 0, v8, vcc
	v_cndmask_b32_e32 v9, v95, v9, vcc
	v_mul_f64 v[6:7], v[6:7], v[8:9]
.LBB94_323:                             ;   in Loop: Header=BB94_161 Depth=1
	s_or_b64 exec, exec, s[94:95]
	v_add_co_u32_e32 v16, vcc, 0, v16
	v_bfi_b32 v23, s46, 0, v7
	v_addc_co_u32_e32 v17, vcc, -2.0, v17, vcc
	v_pk_mov_b32 v[14:15], v[22:23], v[22:23] op_sel:[0,1]
.LBB94_324:                             ;   in Loop: Header=BB94_161 Depth=1
	s_or_b64 exec, exec, s[54:55]
	s_or_b64 exec, exec, s[40:41]
	s_and_saveexec_b64 s[8:9], s[0:1]
	s_xor_b64 s[0:1], exec, s[8:9]
	s_cbranch_execnz .LBB94_317
.LBB94_325:                             ;   in Loop: Header=BB94_161 Depth=1
	s_or_b64 exec, exec, s[0:1]
	s_and_saveexec_b64 s[0:1], s[2:3]
	s_cbranch_execz .LBB94_318
.LBB94_326:                             ;   in Loop: Header=BB94_161 Depth=1
	v_mov_b32_e32 v3, s11
	v_add_co_u32_e32 v2, vcc, s10, v26
	v_xor_b32_e32 v13, 0x80000000, v13
	v_addc_co_u32_e32 v3, vcc, v27, v3, vcc
	global_store_dwordx4 v[2:3], v[10:13], off
	s_or_b64 exec, exec, s[0:1]
	s_and_saveexec_b64 s[0:1], s[4:5]
	s_cbranch_execnz .LBB94_319
.LBB94_327:                             ;   in Loop: Header=BB94_161 Depth=1
	s_or_b64 exec, exec, s[0:1]
	s_and_saveexec_b64 s[0:1], s[6:7]
	s_cbranch_execz .LBB94_160
.LBB94_328:                             ;   in Loop: Header=BB94_161 Depth=1
	v_mov_b32_e32 v3, s11
	v_add_co_u32_e32 v2, vcc, s10, v30
	v_xor_b32_e32 v17, 0x80000000, v17
	v_addc_co_u32_e32 v3, vcc, v31, v3, vcc
	global_store_dwordx4 v[2:3], v[14:17], off offset:-8
	s_branch .LBB94_160
.LBB94_329:
	s_endpgm
	.section	.rodata,"a",@progbits
	.p2align	6, 0x0
	.amdhsa_kernel _ZN2at6native12_GLOBAL__N_125multi_tensor_apply_kernelINS1_18TensorListMetadataILi2EEENS1_14UnaryOpFunctorIN3c107complexIdEELi2ELi1ELi1EEEJNS0_3TanIS8_EEEEEvT_T0_DpT1_
		.amdhsa_group_segment_fixed_size 0
		.amdhsa_private_segment_fixed_size 0
		.amdhsa_kernarg_size 3408
		.amdhsa_user_sgpr_count 6
		.amdhsa_user_sgpr_private_segment_buffer 1
		.amdhsa_user_sgpr_dispatch_ptr 0
		.amdhsa_user_sgpr_queue_ptr 0
		.amdhsa_user_sgpr_kernarg_segment_ptr 1
		.amdhsa_user_sgpr_dispatch_id 0
		.amdhsa_user_sgpr_flat_scratch_init 0
		.amdhsa_user_sgpr_kernarg_preload_length 0
		.amdhsa_user_sgpr_kernarg_preload_offset 0
		.amdhsa_user_sgpr_private_segment_size 0
		.amdhsa_uses_dynamic_stack 0
		.amdhsa_system_sgpr_private_segment_wavefront_offset 0
		.amdhsa_system_sgpr_workgroup_id_x 1
		.amdhsa_system_sgpr_workgroup_id_y 0
		.amdhsa_system_sgpr_workgroup_id_z 0
		.amdhsa_system_sgpr_workgroup_info 0
		.amdhsa_system_vgpr_workitem_id 0
		.amdhsa_next_free_vgpr 115
		.amdhsa_next_free_sgpr 96
		.amdhsa_accum_offset 116
		.amdhsa_reserve_vcc 1
		.amdhsa_reserve_flat_scratch 0
		.amdhsa_float_round_mode_32 0
		.amdhsa_float_round_mode_16_64 0
		.amdhsa_float_denorm_mode_32 3
		.amdhsa_float_denorm_mode_16_64 3
		.amdhsa_dx10_clamp 1
		.amdhsa_ieee_mode 1
		.amdhsa_fp16_overflow 0
		.amdhsa_tg_split 0
		.amdhsa_exception_fp_ieee_invalid_op 0
		.amdhsa_exception_fp_denorm_src 0
		.amdhsa_exception_fp_ieee_div_zero 0
		.amdhsa_exception_fp_ieee_overflow 0
		.amdhsa_exception_fp_ieee_underflow 0
		.amdhsa_exception_fp_ieee_inexact 0
		.amdhsa_exception_int_div_zero 0
	.end_amdhsa_kernel
	.section	.text._ZN2at6native12_GLOBAL__N_125multi_tensor_apply_kernelINS1_18TensorListMetadataILi2EEENS1_14UnaryOpFunctorIN3c107complexIdEELi2ELi1ELi1EEEJNS0_3TanIS8_EEEEEvT_T0_DpT1_,"axG",@progbits,_ZN2at6native12_GLOBAL__N_125multi_tensor_apply_kernelINS1_18TensorListMetadataILi2EEENS1_14UnaryOpFunctorIN3c107complexIdEELi2ELi1ELi1EEEJNS0_3TanIS8_EEEEEvT_T0_DpT1_,comdat
.Lfunc_end94:
	.size	_ZN2at6native12_GLOBAL__N_125multi_tensor_apply_kernelINS1_18TensorListMetadataILi2EEENS1_14UnaryOpFunctorIN3c107complexIdEELi2ELi1ELi1EEEJNS0_3TanIS8_EEEEEvT_T0_DpT1_, .Lfunc_end94-_ZN2at6native12_GLOBAL__N_125multi_tensor_apply_kernelINS1_18TensorListMetadataILi2EEENS1_14UnaryOpFunctorIN3c107complexIdEELi2ELi1ELi1EEEJNS0_3TanIS8_EEEEEvT_T0_DpT1_
                                        ; -- End function
	.section	.AMDGPU.csdata,"",@progbits
; Kernel info:
; codeLenInByte = 57532
; NumSgprs: 100
; NumVgprs: 115
; NumAgprs: 0
; TotalNumVgprs: 115
; ScratchSize: 0
; MemoryBound: 1
; FloatMode: 240
; IeeeMode: 1
; LDSByteSize: 0 bytes/workgroup (compile time only)
; SGPRBlocks: 12
; VGPRBlocks: 14
; NumSGPRsForWavesPerEU: 100
; NumVGPRsForWavesPerEU: 115
; AccumOffset: 116
; Occupancy: 4
; WaveLimiterHint : 0
; COMPUTE_PGM_RSRC2:SCRATCH_EN: 0
; COMPUTE_PGM_RSRC2:USER_SGPR: 6
; COMPUTE_PGM_RSRC2:TRAP_HANDLER: 0
; COMPUTE_PGM_RSRC2:TGID_X_EN: 1
; COMPUTE_PGM_RSRC2:TGID_Y_EN: 0
; COMPUTE_PGM_RSRC2:TGID_Z_EN: 0
; COMPUTE_PGM_RSRC2:TIDIG_COMP_CNT: 0
; COMPUTE_PGM_RSRC3_GFX90A:ACCUM_OFFSET: 28
; COMPUTE_PGM_RSRC3_GFX90A:TG_SPLIT: 0
	.section	.text._ZN2at6native12_GLOBAL__N_125multi_tensor_apply_kernelINS1_18TensorListMetadataILi2EEENS1_14UnaryOpFunctorIN3c107complexIfEELi2ELi1ELi1EEEJNS0_3TanIS8_EEEEEvT_T0_DpT1_,"axG",@progbits,_ZN2at6native12_GLOBAL__N_125multi_tensor_apply_kernelINS1_18TensorListMetadataILi2EEENS1_14UnaryOpFunctorIN3c107complexIfEELi2ELi1ELi1EEEJNS0_3TanIS8_EEEEEvT_T0_DpT1_,comdat
	.globl	_ZN2at6native12_GLOBAL__N_125multi_tensor_apply_kernelINS1_18TensorListMetadataILi2EEENS1_14UnaryOpFunctorIN3c107complexIfEELi2ELi1ELi1EEEJNS0_3TanIS8_EEEEEvT_T0_DpT1_ ; -- Begin function _ZN2at6native12_GLOBAL__N_125multi_tensor_apply_kernelINS1_18TensorListMetadataILi2EEENS1_14UnaryOpFunctorIN3c107complexIfEELi2ELi1ELi1EEEJNS0_3TanIS8_EEEEEvT_T0_DpT1_
	.p2align	8
	.type	_ZN2at6native12_GLOBAL__N_125multi_tensor_apply_kernelINS1_18TensorListMetadataILi2EEENS1_14UnaryOpFunctorIN3c107complexIfEELi2ELi1ELi1EEEJNS0_3TanIS8_EEEEEvT_T0_DpT1_,@function
_ZN2at6native12_GLOBAL__N_125multi_tensor_apply_kernelINS1_18TensorListMetadataILi2EEENS1_14UnaryOpFunctorIN3c107complexIfEELi2ELi1ELi1EEEJNS0_3TanIS8_EEEEEvT_T0_DpT1_: ; @_ZN2at6native12_GLOBAL__N_125multi_tensor_apply_kernelINS1_18TensorListMetadataILi2EEENS1_14UnaryOpFunctorIN3c107complexIfEELi2ELi1ELi1EEEJNS0_3TanIS8_EEEEEvT_T0_DpT1_
; %bb.0:
	v_mov_b32_e32 v1, s6
	global_load_ubyte v1, v1, s[4:5] offset:1536
	s_add_u32 s0, s4, s6
	s_mul_hi_u32 s3, s6, 3
	s_mul_i32 s6, s6, 3
	s_addc_u32 s7, s5, 0
	s_add_u32 s2, s0, s6
	s_addc_u32 s3, s7, s3
	s_load_dword s2, s[2:3], 0x740
	s_mov_b32 s13, 0
	s_mov_b32 s1, s13
	;; [unrolled: 1-line block ×3, first 2 shown]
	s_waitcnt lgkmcnt(0)
	s_ashr_i32 s3, s2, 31
	s_lshl_b64 s[14:15], s[2:3], 19
	s_waitcnt vmcnt(0)
	v_readfirstlane_b32 s0, v1
	s_lshl_b32 s0, s0, 3
	s_load_dwordx2 s[8:9], s[4:5], s0 offset:0x0
	s_load_dwordx2 s[6:7], s[4:5], s0 offset:0x400
	s_load_dwordx2 s[10:11], s[4:5], s0 offset:0x200
	s_waitcnt lgkmcnt(0)
	s_add_u32 s22, s8, s14
	s_addc_u32 s33, s9, s15
	s_add_u32 s38, s10, s14
	s_addc_u32 s39, s11, s15
	s_and_b32 s0, s22, 31
	s_and_b32 s16, s6, 3
	;; [unrolled: 1-line block ×3, first 2 shown]
	s_or_b64 s[0:1], s[0:1], s[16:17]
	s_lshl_b64 s[2:3], s[2:3], 16
	s_or_b64 s[0:1], s[12:13], s[0:1]
	s_sub_u32 s16, s6, s2
	s_subb_u32 s17, s7, s3
	s_cmp_eq_u64 s[0:1], 0
	s_mov_b64 s[0:1], -1
	s_cbranch_scc0 .LBB95_157
; %bb.1:
	v_mov_b32_e32 v15, 0
	v_lshlrev_b32_e32 v14, 2, v0
	v_cmp_gt_i64_e32 vcc, s[16:17], v[14:15]
	s_and_saveexec_b64 s[18:19], vcc
	s_cbranch_execz .LBB95_156
; %bb.2:
	s_load_dword s0, s[4:5], 0xc5c
	v_lshlrev_b32_e32 v16, 5, v0
	s_mov_b64 s[20:21], 0
	s_brev_b32 s41, -2
	s_mov_b32 s42, 0x7f800000
	s_waitcnt lgkmcnt(0)
	s_and_b32 s0, s0, 0xffff
	v_add_lshl_u32 v14, v0, s0, 2
	s_lshl_b32 s12, s0, 2
	s_lshl_b32 s40, s0, 5
	s_movk_i32 s43, 0x1f8
	s_mov_b32 s44, 0x41300000
	s_brev_b32 s45, 18
	s_mov_b32 s46, 0xfe5163ab
	s_mov_b32 s47, 0x3c439041
	;; [unrolled: 1-line block ×10, first 2 shown]
	v_mov_b32_e32 v1, 0x3f93f425
	s_mov_b32 s56, 0xbf317218
	v_mov_b32_e32 v19, 0x3f317218
	v_mov_b32_e32 v17, 0x3d2aadcc
	;; [unrolled: 1-line block ×4, first 2 shown]
	s_mov_b32 s23, -1.0
	s_mov_b32 s57, 0x42b2d4fc
	s_mov_b32 s58, 0x39800000
	;; [unrolled: 1-line block ×3, first 2 shown]
	v_mov_b32_e32 v26, 0x260
	v_mov_b32_e32 v27, 0xbe2aaa9d
	;; [unrolled: 1-line block ×4, first 2 shown]
	s_mov_b32 s60, 0xbfb8aa3b
	s_mov_b32 s61, 0xb2a5705f
	;; [unrolled: 1-line block ×4, first 2 shown]
	s_mov_b64 s[24:25], 0xffff
	v_not_b32_e32 v30, 63
	v_not_b32_e32 v31, 31
	v_mov_b32_e32 v21, -1.0
	v_mov_b32_e32 v32, 0x7f800000
	v_mov_b32_e32 v33, 0x7fc00000
	v_pk_mov_b32 v[22:23], v[14:15], v[14:15] op_sel:[0,1]
	s_branch .LBB95_7
.LBB95_3:                               ;   in Loop: Header=BB95_7 Depth=1
	s_or_b64 exec, exec, s[0:1]
	v_mul_f32_e32 v12, v5, v5
	v_mov_b32_e32 v18, 0x3c0881c4
	v_fmac_f32_e32 v18, 0xb94c1982, v12
	v_fma_f32 v18, v12, v18, v27
	v_mul_f32_e32 v18, v12, v18
	v_fmac_f32_e32 v5, v5, v18
	v_mov_b32_e32 v18, 0xbab64f3b
	v_fmac_f32_e32 v18, 0x37d75334, v12
	v_fma_f32 v18, v12, v18, v28
	v_fma_f32 v18, v12, v18, v29
	v_fma_f32 v12, v12, v18, 1.0
	v_and_b32_e32 v18, 1, v3
	v_lshlrev_b32_e32 v3, 30, v3
	v_cmp_eq_u32_e32 vcc, 0, v18
	v_and_b32_e32 v3, 0x80000000, v3
	v_cndmask_b32_e32 v5, v12, v5, vcc
	v_xor_b32_e32 v2, v2, v3
	v_xor_b32_e32 v2, v2, v5
	v_mul_f32_e32 v3, v20, v20
	v_mov_b32_e32 v5, 0x3c0881c4
	v_fmac_f32_e32 v5, 0xb94c1982, v3
	v_fma_f32 v5, v3, v5, v27
	v_mul_f32_e32 v5, v3, v5
	v_fmac_f32_e32 v20, v20, v5
	v_mov_b32_e32 v5, 0xbab64f3b
	v_fmac_f32_e32 v5, 0x37d75334, v3
	v_fma_f32 v5, v3, v5, v28
	v_fma_f32 v5, v3, v5, v29
	v_fma_f32 v3, v3, v5, 1.0
	v_and_b32_e32 v5, 1, v14
	v_cmp_eq_u32_e32 vcc, 0, v5
	v_lshlrev_b32_e32 v5, 30, v14
	v_cndmask_b32_e64 v3, -v20, v3, vcc
	v_and_b32_e32 v5, 0x80000000, v5
	v_xor_b32_e32 v2, v2, v4
	v_xor_b32_e32 v3, v5, v3
	v_mul_f32_e32 v2, v2, v3
	v_cmp_class_f32_e64 vcc, v4, s43
	v_cndmask_b32_e32 v4, v33, v2, vcc
.LBB95_4:                               ;   in Loop: Header=BB95_7 Depth=1
	s_or_b64 exec, exec, s[30:31]
	v_add_u32_e32 v13, -2.0, v13
	v_bfi_b32 v12, s41, 0, v4
.LBB95_5:                               ;   in Loop: Header=BB95_7 Depth=1
	s_or_b64 exec, exec, s[28:29]
.LBB95_6:                               ;   in Loop: Header=BB95_7 Depth=1
	s_or_b64 exec, exec, s[26:27]
	v_mov_b32_e32 v3, s39
	v_add_co_u32_e32 v2, vcc, s38, v16
	v_addc_co_u32_e32 v3, vcc, 0, v3, vcc
	v_cmp_le_i64_e32 vcc, s[16:17], v[22:23]
	v_cmp_lt_u64_e64 s[0:1], s[24:25], v[22:23]
	s_or_b64 s[0:1], vcc, s[0:1]
	s_add_u32 s22, s22, s40
	s_addc_u32 s33, s33, 0
	s_add_u32 s38, s38, s40
	v_xor_b32_e32 v9, 0x80000000, v9
	v_xor_b32_e32 v7, 0x80000000, v7
	s_addc_u32 s39, s39, 0
	v_xor_b32_e32 v11, 0x80000000, v11
	v_xor_b32_e32 v13, 0x80000000, v13
	global_store_dwordx4 v[2:3], v[6:9], off
	global_store_dwordx4 v[2:3], v[10:13], off offset:16
	v_mov_b32_e32 v2, s13
	s_and_b64 s[0:1], exec, s[0:1]
	v_add_co_u32_e32 v22, vcc, s12, v22
	s_or_b64 s[20:21], s[0:1], s[20:21]
	v_addc_co_u32_e32 v23, vcc, v23, v2, vcc
	s_andn2_b64 exec, exec, s[20:21]
	s_cbranch_execz .LBB95_156
.LBB95_7:                               ; =>This Inner Loop Header: Depth=1
	v_mov_b32_e32 v2, s33
	v_add_co_u32_e32 v6, vcc, s22, v16
	v_addc_co_u32_e32 v7, vcc, 0, v2, vcc
	global_load_dwordx4 v[10:13], v[6:7], off
	global_load_dwordx4 v[2:5], v[6:7], off offset:16
                                        ; implicit-def: $vgpr6
                                        ; implicit-def: $vgpr7
	s_waitcnt vmcnt(1)
	v_and_b32_e32 v18, 0x7fffffff, v11
	v_cmp_gt_u32_e32 vcc, s42, v18
	s_and_saveexec_b64 s[0:1], vcc
	s_xor_b64 s[26:27], exec, s[0:1]
	s_cbranch_execz .LBB95_29
; %bb.8:                                ;   in Loop: Header=BB95_7 Depth=1
	v_cmp_class_f32_e64 s[0:1], v10, s43
                                        ; implicit-def: $vgpr6
                                        ; implicit-def: $vgpr7
	s_and_saveexec_b64 s[2:3], s[0:1]
	s_xor_b64 s[28:29], exec, s[2:3]
	s_cbranch_execz .LBB95_26
; %bb.9:                                ;   in Loop: Header=BB95_7 Depth=1
	v_and_b32_e32 v8, 0x7fffffff, v10
	v_cmp_gt_u32_e32 vcc, s44, v18
                                        ; implicit-def: $vgpr6
                                        ; implicit-def: $vgpr7
	s_and_saveexec_b64 s[0:1], vcc
	s_xor_b64 s[30:31], exec, s[0:1]
	s_cbranch_execz .LBB95_15
; %bb.10:                               ;   in Loop: Header=BB95_7 Depth=1
	v_cmp_nlt_f32_e64 s[0:1], |v10|, s45
                                        ; implicit-def: $vgpr7
                                        ; implicit-def: $vgpr6
	s_and_saveexec_b64 s[2:3], s[0:1]
	s_xor_b64 s[34:35], exec, s[2:3]
	s_cbranch_execz .LBB95_12
; %bb.11:                               ;   in Loop: Header=BB95_7 Depth=1
	v_lshrrev_b32_e32 v6, 23, v8
	v_add_u32_e32 v6, 0xffffff88, v6
	v_cmp_lt_u32_e32 vcc, 63, v6
	v_cndmask_b32_e32 v7, 0, v30, vcc
	v_add_u32_e32 v6, v7, v6
	v_cmp_lt_u32_e64 s[0:1], 31, v6
	v_cndmask_b32_e64 v7, 0, v31, s[0:1]
	v_add_u32_e32 v6, v7, v6
	v_cmp_lt_u32_e64 s[2:3], 31, v6
	v_cndmask_b32_e64 v7, 0, v31, s[2:3]
	v_add_u32_e32 v9, v7, v6
	v_and_b32_e32 v6, 0x7fffff, v8
	v_or_b32_e32 v20, 0x800000, v6
	v_mad_u64_u32 v[6:7], s[6:7], v20, s46, 0
	v_mov_b32_e32 v14, v7
	v_mad_u64_u32 v[34:35], s[6:7], v20, s47, v[14:15]
	v_mov_b32_e32 v14, v35
	;; [unrolled: 2-line block ×6, first 2 shown]
	v_mad_u64_u32 v[44:45], s[6:7], v20, s52, v[14:15]
	v_cndmask_b32_e32 v7, v42, v38, vcc
	v_cndmask_b32_e32 v14, v44, v40, vcc
	;; [unrolled: 1-line block ×3, first 2 shown]
	v_cndmask_b32_e64 v20, v14, v7, s[0:1]
	v_cndmask_b32_e64 v14, v35, v14, s[0:1]
	v_cndmask_b32_e32 v35, v40, v36, vcc
	v_cndmask_b32_e64 v7, v7, v35, s[0:1]
	v_cndmask_b32_e64 v14, v14, v20, s[2:3]
	v_cndmask_b32_e64 v20, v20, v7, s[2:3]
	v_sub_u32_e32 v37, 32, v9
	v_alignbit_b32 v39, v14, v20, v37
	v_cmp_eq_u32_e64 s[6:7], 0, v9
	v_cndmask_b32_e64 v9, v39, v14, s[6:7]
	v_cndmask_b32_e32 v14, v38, v34, vcc
	v_cndmask_b32_e64 v34, v35, v14, s[0:1]
	v_cndmask_b32_e64 v7, v7, v34, s[2:3]
	v_cndmask_b32_e32 v6, v36, v6, vcc
	v_alignbit_b32 v35, v20, v7, v37
	v_cndmask_b32_e64 v6, v14, v6, s[0:1]
	v_cndmask_b32_e64 v20, v35, v20, s[6:7]
	v_bfe_u32 v39, v9, 29, 1
	v_cndmask_b32_e64 v6, v34, v6, s[2:3]
	v_alignbit_b32 v35, v9, v20, 30
	v_sub_u32_e32 v40, 0, v39
	v_alignbit_b32 v14, v7, v6, v37
	v_xor_b32_e32 v41, v35, v40
	v_cndmask_b32_e64 v7, v14, v7, s[6:7]
	v_alignbit_b32 v14, v20, v7, 30
	v_ffbh_u32_e32 v20, v41
	v_add_u32_e32 v20, 1, v20
	v_cmp_ne_u32_e32 vcc, v35, v40
	v_cndmask_b32_e32 v20, 33, v20, vcc
	v_alignbit_b32 v6, v7, v6, 30
	v_xor_b32_e32 v14, v14, v40
	v_sub_u32_e32 v34, 32, v20
	v_xor_b32_e32 v6, v6, v40
	v_alignbit_b32 v35, v41, v14, v34
	v_alignbit_b32 v6, v14, v6, v34
	;; [unrolled: 1-line block ×3, first 2 shown]
	v_ffbh_u32_e32 v14, v7
	v_min_u32_e32 v14, 32, v14
	v_lshrrev_b32_e32 v38, 29, v9
	v_sub_u32_e32 v34, 31, v14
	v_alignbit_b32 v6, v7, v6, v34
	v_lshlrev_b32_e32 v7, 31, v38
	v_or_b32_e32 v34, 0x33800000, v7
	v_add_lshl_u32 v14, v14, v20, 23
	v_lshrrev_b32_e32 v6, 9, v6
	v_sub_u32_e32 v14, v34, v14
	v_or_b32_e32 v6, v14, v6
	v_alignbit_b32 v14, v20, v35, 9
	v_or_b32_e32 v7, v14, v7
	v_xor_b32_e32 v7, 1.0, v7
	v_mul_f32_e32 v14, 0x3fc90fda, v7
	v_fma_f32 v20, v7, s53, -v14
	v_fmac_f32_e32 v20, 0x33a22168, v7
	v_fmac_f32_e32 v20, 0x3fc90fda, v6
	v_lshrrev_b32_e32 v7, 30, v9
	v_add_f32_e32 v6, v14, v20
	v_add_u32_e32 v7, v39, v7
.LBB95_12:                              ;   in Loop: Header=BB95_7 Depth=1
	s_andn2_saveexec_b64 s[0:1], s[34:35]
; %bb.13:                               ;   in Loop: Header=BB95_7 Depth=1
	v_mul_f32_e64 v6, |v10|, s54
	v_rndne_f32_e32 v9, v6
	v_cvt_i32_f32_e32 v7, v9
	v_fma_f32 v6, v9, s55, |v10|
	v_fmac_f32_e32 v6, 0xb3a22168, v9
	v_fmac_f32_e32 v6, 0xa7c234c4, v9
; %bb.14:                               ;   in Loop: Header=BB95_7 Depth=1
	s_or_b64 exec, exec, s[0:1]
	v_mul_f32_e32 v9, v6, v6
	v_mov_b32_e32 v14, 0xbf039337
	v_fmac_f32_e32 v14, 0x3c971480, v9
	v_fma_f32 v14, v9, v14, v1
	v_rcp_f32_e32 v14, v14
	v_mov_b32_e32 v20, 0x3ec54587
	v_fmac_f32_e32 v20, 0xbc8cedd3, v9
	v_and_b32_e32 v7, 1, v7
	v_mul_f32_e32 v14, v20, v14
	v_mul_f32_e32 v9, v9, v14
	v_fma_f32 v14, v9, v6, v6
	v_rcp_f32_e32 v20, v14
	v_sub_f32_e32 v34, v14, v6
	v_fma_f32 v6, v9, v6, -v34
	v_cmp_eq_u32_e32 vcc, 0, v7
	v_fma_f32 v9, v14, -v20, 1.0
	v_fma_f32 v6, v6, -v20, v9
	v_fma_f32 v6, v6, -v20, -v20
	v_cndmask_b32_e32 v9, v6, v14, vcc
	v_add_f32_e64 v14, |v11|, s56
	v_sub_f32_e64 v7, v14, |v11|
	v_sub_f32_e32 v6, v7, v14
	v_pk_add_f32 v[6:7], v[18:19], v[6:7]
	v_sub_f32_e32 v6, v6, v7
	v_add_f32_e32 v6, 0x3102e308, v6
	v_add_f32_e32 v7, v14, v6
	v_sub_f32_e32 v14, v14, v7
	v_add_f32_e32 v6, v6, v14
	v_mul_f32_e32 v14, 0x3fb8aa3b, v7
	v_rndne_f32_e32 v14, v14
	v_fmac_f32_e32 v7, 0xbf317200, v14
	v_add_f32_e32 v18, v6, v7
	v_mul_f32_e32 v20, 0x35bfbc00, v14
	v_sub_f32_e32 v34, v18, v20
	v_sub_f32_e32 v7, v7, v18
	;; [unrolled: 1-line block ×3, first 2 shown]
	v_add_f32_e32 v6, v6, v7
	v_sub_f32_e32 v18, v18, v20
	v_add_f32_e32 v18, v6, v18
	v_add_f32_e32 v35, v34, v18
	v_mul_f32_e32 v7, 0x2ea39ef3, v14
	v_mov_b32_e32 v6, v35
	v_pk_add_f32 v[36:37], v[34:35], v[6:7] neg_lo:[0,1] neg_hi:[0,1]
	v_sub_f32_e32 v6, v35, v37
	v_sub_f32_e32 v6, v6, v7
	v_add_f32_e32 v7, v18, v36
	v_add_f32_e32 v6, v7, v6
	;; [unrolled: 1-line block ×3, first 2 shown]
	v_sub_f32_e32 v20, v37, v7
	v_mov_b32_e32 v18, 0x3c091de6
	v_add_f32_e32 v6, v6, v20
	v_mul_f32_e32 v34, v7, v7
	v_fmac_f32_e32 v18, 0x3ab42872, v7
	v_add_f32_e32 v20, v6, v6
	v_fma_f32 v35, v7, v7, -v34
	v_fma_f32 v18, v7, v18, v17
	v_fmac_f32_e32 v35, v7, v20
	v_fma_f32 v18, v7, v18, v24
	v_add_f32_e32 v20, v34, v35
	v_fma_f32 v18, v7, v18, v25
	v_sub_f32_e32 v34, v20, v34
	v_sub_f32_e32 v34, v35, v34
	v_mul_f32_e32 v35, v18, v20
	v_fma_f32 v20, v20, v18, -v35
	v_fmac_f32_e32 v20, v34, v18
	v_add_f32_e32 v18, v35, v20
	v_sub_f32_e32 v34, v18, v35
	v_sub_f32_e32 v34, v20, v34
	v_add_f32_e32 v20, v7, v18
	v_sub_f32_e32 v7, v20, v7
	v_sub_f32_e32 v7, v18, v7
	v_add_f32_e32 v6, v6, v34
	v_add_f32_e32 v6, v6, v7
	;; [unrolled: 1-line block ×3, first 2 shown]
	v_add_f32_e32 v35, 1.0, v34
	v_pk_add_f32 v[36:37], v[34:35], v[20:21] neg_lo:[0,1] neg_hi:[0,1]
	v_pk_add_f32 v[38:39], v[34:35], s[22:23]
	v_mov_b32_e32 v37, v39
	v_mov_b32_e32 v7, v34
	v_cvt_i32_f32_e32 v14, v14
	v_pk_add_f32 v[6:7], v[6:7], v[36:37] neg_lo:[0,1] neg_hi:[0,1]
	v_add_f32_e32 v6, v6, v7
	v_add_f32_e32 v7, v35, v6
	v_ldexp_f32 v18, v7, v14
	v_rcp_f32_e32 v20, v18
	v_sub_f32_e32 v7, v7, v35
	v_sub_f32_e32 v6, v6, v7
	v_ldexp_f32 v6, v6, v14
	v_mul_f32_e32 v7, v18, v20
	v_fma_f32 v14, v20, v18, -v7
	v_fmac_f32_e32 v14, v20, v6
	v_add_f32_e32 v34, v7, v14
	v_sub_f32_e32 v35, 1.0, v34
	v_sub_f32_e32 v36, 1.0, v35
	v_sub_f32_e32 v7, v34, v7
	v_sub_f32_e32 v36, v36, v34
	;; [unrolled: 1-line block ×3, first 2 shown]
	v_add_f32_e32 v7, v7, v36
	v_add_f32_e32 v14, v35, v7
	v_mul_f32_e32 v34, v20, v14
	v_mul_f32_e32 v36, v18, v34
	v_fma_f32 v37, v34, v18, -v36
	v_fmac_f32_e32 v37, v34, v6
	v_sub_f32_e32 v35, v35, v14
	v_add_f32_e32 v7, v7, v35
	v_add_f32_e32 v35, v36, v37
	v_sub_f32_e32 v38, v14, v35
	v_sub_f32_e32 v14, v14, v38
	;; [unrolled: 1-line block ×4, first 2 shown]
	v_add_f32_e32 v7, v7, v14
	v_sub_f32_e32 v14, v36, v37
	v_add_f32_e32 v7, v14, v7
	v_add_f32_e32 v7, v38, v7
	;; [unrolled: 1-line block ×3, first 2 shown]
	v_mul_f32_e32 v7, v20, v7
	v_sub_f32_e32 v20, v14, v20
	v_sub_f32_e32 v20, v34, v20
	v_add_f32_e32 v7, v20, v7
	v_add_f32_e32 v20, v14, v7
	v_sub_f32_e32 v14, v20, v14
	v_sub_f32_e32 v7, v7, v14
	v_ldexp_f32 v14, v20, -2
	v_sub_f32_e32 v20, v18, v14
	v_sub_f32_e32 v18, v18, v20
	;; [unrolled: 1-line block ×3, first 2 shown]
	v_ldexp_f32 v7, v7, -2
	v_add_f32_e32 v6, v6, v14
	v_sub_f32_e32 v6, v6, v7
	v_add_f32_e32 v6, v20, v6
	v_cmp_ngt_f32_e64 vcc, |v11|, s57
	v_cndmask_b32_e32 v6, v32, v6, vcc
	v_cmp_lt_f32_e64 s[0:1], |v11|, s58
	v_cndmask_b32_e64 v6, v6, |v11|, s[0:1]
	v_xor_b32_e32 v7, 0x80000000, v11
	v_bfi_b32 v6, s41, v6, v7
	v_fma_f32 v7, v6, v6, 1.0
	v_mul_f32_e32 v14, 0x4f800000, v7
	v_cmp_gt_f32_e32 vcc, s59, v7
	v_cndmask_b32_e32 v7, v7, v14, vcc
	v_sqrt_f32_e32 v14, v7
	v_xor_b32_e32 v8, v8, v9
	v_xor_b32_e32 v8, v8, v10
	v_fma_f32 v9, v8, v8, 1.0
	v_add_u32_e32 v18, -1, v14
	v_fma_f32 v20, -v18, v14, v7
	v_cmp_ge_f32_e64 s[0:1], 0, v20
	v_add_u32_e32 v20, 1, v14
	v_cndmask_b32_e64 v18, v14, v18, s[0:1]
	v_fma_f32 v14, -v20, v14, v7
	v_cmp_lt_f32_e64 s[0:1], 0, v14
	v_cndmask_b32_e64 v14, v18, v20, s[0:1]
	v_mul_f32_e32 v18, 0x37800000, v14
	v_cndmask_b32_e32 v14, v14, v18, vcc
	v_cmp_class_f32_e32 vcc, v7, v26
	v_cndmask_b32_e32 v7, v14, v7, vcc
	v_mul_f32_e32 v14, v6, v9
	v_mul_f32_e32 v7, v7, v9
	v_fma_f32 v14, v6, v14, 1.0
	v_mul_f32_e32 v6, v6, v7
	v_div_scale_f32 v7, s[0:1], v14, v14, v6
	v_rcp_f32_e32 v9, v7
	v_fma_f32 v18, -v7, v9, 1.0
	v_fmac_f32_e32 v9, v18, v9
	v_div_scale_f32 v18, vcc, v6, v14, v6
	v_mul_f32_e32 v20, v18, v9
	v_fma_f32 v34, -v7, v20, v18
	v_fmac_f32_e32 v20, v34, v9
	v_fma_f32 v7, -v7, v20, v18
	v_div_scale_f32 v18, s[0:1], v14, v14, v8
	v_rcp_f32_e32 v34, v18
	v_div_fmas_f32 v7, v7, v9, v20
	v_div_fixup_f32 v7, v7, v14, v6
	v_fma_f32 v6, -v18, v34, 1.0
	v_fmac_f32_e32 v34, v6, v34
	v_div_scale_f32 v6, vcc, v8, v14, v8
	v_mul_f32_e32 v9, v6, v34
	v_fma_f32 v20, -v18, v9, v6
	v_fmac_f32_e32 v9, v20, v34
	v_fma_f32 v6, -v18, v9, v6
	v_div_fmas_f32 v6, v6, v34, v9
	v_div_fixup_f32 v6, v6, v14, v8
                                        ; implicit-def: $vgpr8
.LBB95_15:                              ;   in Loop: Header=BB95_7 Depth=1
	s_andn2_saveexec_b64 s[30:31], s[30:31]
	s_cbranch_execz .LBB95_18
; %bb.16:                               ;   in Loop: Header=BB95_7 Depth=1
	v_lshrrev_b32_e32 v6, 23, v8
	v_and_b32_e32 v7, 0x7fffff, v8
	v_cmp_nlt_f32_e64 s[34:35], |v10|, s45
	v_add_u32_e32 v18, 0xffffff88, v6
	v_or_b32_e32 v9, 0x800000, v7
                                        ; implicit-def: $vgpr6
                                        ; implicit-def: $vgpr7
	s_and_saveexec_b64 s[0:1], s[34:35]
	s_xor_b64 s[36:37], exec, s[0:1]
	s_cbranch_execz .LBB95_19
; %bb.17:                               ;   in Loop: Header=BB95_7 Depth=1
	v_cmp_lt_u32_e32 vcc, 63, v18
	v_cndmask_b32_e32 v6, 0, v30, vcc
	v_add_u32_e32 v6, v6, v18
	v_cmp_lt_u32_e64 s[0:1], 31, v6
	v_cndmask_b32_e64 v7, 0, v31, s[0:1]
	v_add_u32_e32 v6, v7, v6
	v_cmp_lt_u32_e64 s[2:3], 31, v6
	v_cndmask_b32_e64 v7, 0, v31, s[2:3]
	v_add_u32_e32 v20, v7, v6
	v_mad_u64_u32 v[6:7], s[6:7], v9, s46, 0
	v_mov_b32_e32 v14, v7
	v_mad_u64_u32 v[34:35], s[6:7], v9, s47, v[14:15]
	v_mov_b32_e32 v14, v35
	;; [unrolled: 2-line block ×6, first 2 shown]
	v_mad_u64_u32 v[44:45], s[6:7], v9, s52, v[14:15]
	v_cndmask_b32_e32 v7, v42, v38, vcc
	v_cndmask_b32_e32 v14, v44, v40, vcc
	;; [unrolled: 1-line block ×3, first 2 shown]
	v_cndmask_b32_e64 v35, v14, v7, s[0:1]
	v_cndmask_b32_e64 v14, v37, v14, s[0:1]
	v_cndmask_b32_e32 v37, v40, v36, vcc
	v_cndmask_b32_e64 v7, v7, v37, s[0:1]
	v_sub_u32_e32 v39, 32, v20
	v_cmp_eq_u32_e64 s[6:7], 0, v20
	v_cndmask_b32_e32 v20, v38, v34, vcc
	v_cndmask_b32_e64 v14, v14, v35, s[2:3]
	v_cndmask_b32_e64 v35, v35, v7, s[2:3]
	;; [unrolled: 1-line block ×3, first 2 shown]
	v_alignbit_b32 v40, v14, v35, v39
	v_cndmask_b32_e64 v7, v7, v34, s[2:3]
	v_cndmask_b32_e64 v14, v40, v14, s[6:7]
	v_alignbit_b32 v37, v35, v7, v39
	v_cndmask_b32_e64 v35, v37, v35, s[6:7]
	v_bfe_u32 v40, v14, 29, 1
	v_cndmask_b32_e32 v6, v36, v6, vcc
	v_alignbit_b32 v37, v14, v35, 30
	v_sub_u32_e32 v41, 0, v40
	v_cndmask_b32_e64 v6, v20, v6, s[0:1]
	v_xor_b32_e32 v42, v37, v41
	v_cndmask_b32_e64 v6, v34, v6, s[2:3]
	v_alignbit_b32 v20, v7, v6, v39
	v_ffbh_u32_e32 v34, v42
	v_cndmask_b32_e64 v7, v20, v7, s[6:7]
	v_add_u32_e32 v34, 1, v34
	v_cmp_ne_u32_e32 vcc, v37, v41
	v_alignbit_b32 v20, v35, v7, 30
	v_cndmask_b32_e32 v34, 33, v34, vcc
	v_alignbit_b32 v6, v7, v6, 30
	v_xor_b32_e32 v20, v20, v41
	v_sub_u32_e32 v35, 32, v34
	v_xor_b32_e32 v6, v6, v41
	v_alignbit_b32 v36, v42, v20, v35
	v_alignbit_b32 v6, v20, v6, v35
	;; [unrolled: 1-line block ×3, first 2 shown]
	v_ffbh_u32_e32 v20, v7
	v_min_u32_e32 v20, 32, v20
	v_lshrrev_b32_e32 v38, 29, v14
	v_sub_u32_e32 v35, 31, v20
	v_alignbit_b32 v6, v7, v6, v35
	v_lshlrev_b32_e32 v7, 31, v38
	v_or_b32_e32 v35, 0x33800000, v7
	v_add_lshl_u32 v20, v20, v34, 23
	v_lshrrev_b32_e32 v6, 9, v6
	v_sub_u32_e32 v20, v35, v20
	v_or_b32_e32 v6, v20, v6
	v_alignbit_b32 v20, v34, v36, 9
	v_or_b32_e32 v7, v20, v7
	v_xor_b32_e32 v7, 1.0, v7
	v_mul_f32_e32 v20, 0x3fc90fda, v7
	v_fma_f32 v34, v7, s53, -v20
	v_fmac_f32_e32 v34, 0x33a22168, v7
	v_fmac_f32_e32 v34, 0x3fc90fda, v6
	v_lshrrev_b32_e32 v6, 30, v14
	v_add_f32_e32 v7, v20, v34
	v_add_u32_e32 v6, v40, v6
	s_andn2_saveexec_b64 s[0:1], s[36:37]
	s_branch .LBB95_20
.LBB95_18:                              ;   in Loop: Header=BB95_7 Depth=1
	s_or_b64 exec, exec, s[30:31]
	s_andn2_saveexec_b64 s[0:1], s[28:29]
	s_cbranch_execnz .LBB95_27
	s_branch .LBB95_28
.LBB95_19:                              ;   in Loop: Header=BB95_7 Depth=1
	s_andn2_saveexec_b64 s[0:1], s[36:37]
.LBB95_20:                              ;   in Loop: Header=BB95_7 Depth=1
	v_mul_f32_e64 v6, |v10|, s54
	v_rndne_f32_e32 v14, v6
	v_cvt_i32_f32_e32 v6, v14
	v_fma_f32 v7, v14, s55, |v10|
	v_fmac_f32_e32 v7, 0xb3a22168, v14
	v_fmac_f32_e32 v7, 0xa7c234c4, v14
; %bb.21:                               ;   in Loop: Header=BB95_7 Depth=1
	s_or_b64 exec, exec, s[0:1]
                                        ; implicit-def: $vgpr14
                                        ; implicit-def: $vgpr20
	s_and_saveexec_b64 s[0:1], s[34:35]
	s_xor_b64 s[34:35], exec, s[0:1]
	s_cbranch_execz .LBB95_23
; %bb.22:                               ;   in Loop: Header=BB95_7 Depth=1
	v_cmp_lt_u32_e32 vcc, 63, v18
	v_cndmask_b32_e32 v14, 0, v30, vcc
	v_add_u32_e32 v14, v14, v18
	v_cmp_lt_u32_e64 s[0:1], 31, v14
	v_cndmask_b32_e64 v18, 0, v31, s[0:1]
	v_add_u32_e32 v14, v18, v14
	v_cmp_lt_u32_e64 s[2:3], 31, v14
	v_cndmask_b32_e64 v18, 0, v31, s[2:3]
	v_mad_u64_u32 v[34:35], s[6:7], v9, s46, 0
	v_add_u32_e32 v18, v18, v14
	v_mov_b32_e32 v14, v35
	v_mad_u64_u32 v[36:37], s[6:7], v9, s47, v[14:15]
	v_mov_b32_e32 v14, v37
	v_mad_u64_u32 v[38:39], s[6:7], v9, s48, v[14:15]
	;; [unrolled: 2-line block ×6, first 2 shown]
	v_cndmask_b32_e32 v20, v44, v40, vcc
	v_cndmask_b32_e32 v9, v46, v42, vcc
	;; [unrolled: 1-line block ×3, first 2 shown]
	v_cndmask_b32_e64 v14, v9, v20, s[0:1]
	v_cndmask_b32_e64 v9, v35, v9, s[0:1]
	v_cndmask_b32_e32 v35, v42, v38, vcc
	v_cndmask_b32_e64 v20, v20, v35, s[0:1]
	v_sub_u32_e32 v37, 32, v18
	v_cmp_eq_u32_e64 s[6:7], 0, v18
	v_cndmask_b32_e32 v18, v40, v36, vcc
	v_cndmask_b32_e64 v9, v9, v14, s[2:3]
	v_cndmask_b32_e64 v14, v14, v20, s[2:3]
	;; [unrolled: 1-line block ×3, first 2 shown]
	v_alignbit_b32 v39, v9, v14, v37
	v_cndmask_b32_e64 v20, v20, v35, s[2:3]
	v_cndmask_b32_e64 v9, v39, v9, s[6:7]
	v_alignbit_b32 v36, v14, v20, v37
	v_cndmask_b32_e32 v34, v38, v34, vcc
	v_cndmask_b32_e64 v14, v36, v14, s[6:7]
	v_bfe_u32 v40, v9, 29, 1
	v_cndmask_b32_e64 v18, v18, v34, s[0:1]
	v_alignbit_b32 v36, v9, v14, 30
	v_sub_u32_e32 v41, 0, v40
	v_cndmask_b32_e64 v18, v35, v18, s[2:3]
	v_xor_b32_e32 v42, v36, v41
	v_alignbit_b32 v34, v20, v18, v37
	v_cndmask_b32_e64 v20, v34, v20, s[6:7]
	v_ffbh_u32_e32 v34, v42
	v_add_u32_e32 v34, 1, v34
	v_cmp_ne_u32_e32 vcc, v36, v41
	v_alignbit_b32 v14, v14, v20, 30
	v_cndmask_b32_e32 v34, 33, v34, vcc
	v_alignbit_b32 v18, v20, v18, 30
	v_xor_b32_e32 v14, v14, v41
	v_sub_u32_e32 v35, 32, v34
	v_xor_b32_e32 v18, v18, v41
	v_alignbit_b32 v36, v42, v14, v35
	v_alignbit_b32 v14, v14, v18, v35
	;; [unrolled: 1-line block ×3, first 2 shown]
	v_ffbh_u32_e32 v20, v18
	v_min_u32_e32 v20, 32, v20
	v_lshrrev_b32_e32 v39, 29, v9
	v_sub_u32_e32 v35, 31, v20
	v_alignbit_b32 v14, v18, v14, v35
	v_lshlrev_b32_e32 v18, 31, v39
	v_or_b32_e32 v35, 0x33800000, v18
	v_add_lshl_u32 v20, v20, v34, 23
	v_lshrrev_b32_e32 v14, 9, v14
	v_sub_u32_e32 v20, v35, v20
	v_or_b32_e32 v14, v20, v14
	v_alignbit_b32 v20, v34, v36, 9
	v_or_b32_e32 v18, v20, v18
	v_xor_b32_e32 v18, 1.0, v18
	v_mul_f32_e32 v20, 0x3fc90fda, v18
	v_fma_f32 v34, v18, s53, -v20
	v_fmac_f32_e32 v34, 0x33a22168, v18
	v_fmac_f32_e32 v34, 0x3fc90fda, v14
	v_lshrrev_b32_e32 v9, 30, v9
	v_add_f32_e32 v20, v20, v34
	v_add_u32_e32 v14, v40, v9
	s_andn2_saveexec_b64 s[0:1], s[34:35]
	s_cbranch_execnz .LBB95_24
	s_branch .LBB95_25
.LBB95_23:                              ;   in Loop: Header=BB95_7 Depth=1
	s_andn2_saveexec_b64 s[0:1], s[34:35]
.LBB95_24:                              ;   in Loop: Header=BB95_7 Depth=1
	v_mul_f32_e64 v9, |v10|, s54
	v_rndne_f32_e32 v9, v9
	v_cvt_i32_f32_e32 v14, v9
	v_fma_f32 v20, v9, s55, |v10|
	v_fmac_f32_e32 v20, 0xb3a22168, v9
	v_fmac_f32_e32 v20, 0xa7c234c4, v9
.LBB95_25:                              ;   in Loop: Header=BB95_7 Depth=1
	s_or_b64 exec, exec, s[0:1]
	v_mul_f32_e32 v9, v7, v7
	v_mov_b32_e32 v18, 0x3c0881c4
	v_fmac_f32_e32 v18, 0xb94c1982, v9
	v_fma_f32 v18, v9, v18, v27
	v_mul_f32_e32 v18, v9, v18
	v_fmac_f32_e32 v7, v7, v18
	v_mov_b32_e32 v18, 0xbab64f3b
	v_fmac_f32_e32 v18, 0x37d75334, v9
	v_fma_f32 v18, v9, v18, v28
	v_fma_f32 v18, v9, v18, v29
	v_fma_f32 v9, v9, v18, 1.0
	v_and_b32_e32 v18, 1, v6
	v_lshlrev_b32_e32 v6, 30, v6
	v_and_b32_e32 v6, 0x80000000, v6
	v_cmp_eq_u32_e32 vcc, 0, v18
	v_xor_b32_e32 v6, v8, v6
	v_mul_f32_e64 v8, |v11|, s60
	v_cndmask_b32_e32 v7, v9, v7, vcc
	v_rndne_f32_e32 v9, v8
	v_sub_f32_e32 v18, v8, v9
	v_fma_f32 v8, |v11|, s60, -v8
	v_fma_f32 v8, |v11|, s61, v8
	v_add_f32_e32 v8, v18, v8
	v_exp_f32_e32 v8, v8
	v_cvt_i32_f32_e32 v9, v9
	v_xor_b32_e32 v6, v6, v7
	v_mov_b32_e32 v18, 0x3c0881c4
	v_cmp_ngt_f32_e64 vcc, |v11|, s62
	v_ldexp_f32 v7, v8, v9
	v_mul_f32_e32 v9, v20, v20
	v_fmac_f32_e32 v18, 0xb94c1982, v9
	v_fma_f32 v18, v9, v18, v27
	v_mul_f32_e32 v18, v9, v18
	v_fmac_f32_e32 v20, v20, v18
	v_mov_b32_e32 v18, 0xbab64f3b
	v_fmac_f32_e32 v18, 0x37d75334, v9
	v_fma_f32 v18, v9, v18, v28
	v_fma_f32 v18, v9, v18, v29
	v_cndmask_b32_e32 v7, 0, v7, vcc
	v_cmp_nlt_f32_e64 vcc, |v11|, s63
	v_fma_f32 v9, v9, v18, 1.0
	v_and_b32_e32 v18, 1, v14
	v_cndmask_b32_e32 v8, v32, v7, vcc
	v_cmp_eq_u32_e32 vcc, 0, v18
	v_lshlrev_b32_e32 v14, 30, v14
	v_xor_b32_e32 v6, v6, v10
	v_cndmask_b32_e64 v9, -v20, v9, vcc
	v_and_b32_e32 v14, 0x80000000, v14
	v_mul_f32_e32 v6, 4.0, v6
	v_xor_b32_e32 v9, v14, v9
	v_mul_f32_e32 v6, v6, v9
	v_xor_b32_e32 v7, 0x80000000, v11
	v_mul_f32_e32 v6, v8, v6
	v_bfi_b32 v7, s41, 1.0, v7
	v_mul_f32_e32 v6, v8, v6
	s_or_b64 exec, exec, s[30:31]
.LBB95_26:                              ;   in Loop: Header=BB95_7 Depth=1
	s_andn2_saveexec_b64 s[0:1], s[28:29]
.LBB95_27:                              ;   in Loop: Header=BB95_7 Depth=1
	v_sub_f32_e32 v6, v10, v10
	v_mov_b32_e32 v7, v6
.LBB95_28:                              ;   in Loop: Header=BB95_7 Depth=1
	s_or_b64 exec, exec, s[0:1]
.LBB95_29:                              ;   in Loop: Header=BB95_7 Depth=1
	s_andn2_saveexec_b64 s[26:27], s[26:27]
	s_cbranch_execz .LBB95_45
; %bb.30:                               ;   in Loop: Header=BB95_7 Depth=1
	v_xor_b32_e32 v7, 0x80000000, v11
	v_and_b32_e32 v6, 0x7fffff, v7
	v_cmp_ne_u32_e32 vcc, 0, v6
                                        ; implicit-def: $vgpr6
	s_and_saveexec_b64 s[0:1], vcc
	s_xor_b64 s[0:1], exec, s[0:1]
; %bb.31:                               ;   in Loop: Header=BB95_7 Depth=1
	v_mul_f32_e64 v6, v10, -v11
	v_cmp_eq_f32_e32 vcc, 0, v10
	v_cndmask_b32_e32 v6, v6, v10, vcc
; %bb.32:                               ;   in Loop: Header=BB95_7 Depth=1
	s_andn2_saveexec_b64 s[28:29], s[0:1]
	s_cbranch_execz .LBB95_44
; %bb.33:                               ;   in Loop: Header=BB95_7 Depth=1
	v_cmp_neq_f32_e64 s[0:1], |v10|, s42
	s_and_saveexec_b64 s[30:31], s[0:1]
	s_cbranch_execz .LBB95_43
; %bb.34:                               ;   in Loop: Header=BB95_7 Depth=1
	v_and_b32_e32 v6, 0x7fffffff, v10
	v_lshrrev_b32_e32 v8, 23, v6
	v_and_b32_e32 v9, 0x7fffff, v6
	v_cmp_nlt_f32_e64 s[34:35], |v10|, s45
	v_add_u32_e32 v18, 0xffffff88, v8
	v_or_b32_e32 v11, 0x800000, v9
                                        ; implicit-def: $vgpr8
                                        ; implicit-def: $vgpr9
	s_and_saveexec_b64 s[0:1], s[34:35]
	s_xor_b64 s[36:37], exec, s[0:1]
	s_cbranch_execz .LBB95_36
; %bb.35:                               ;   in Loop: Header=BB95_7 Depth=1
	v_cmp_lt_u32_e32 vcc, 63, v18
	v_cndmask_b32_e32 v8, 0, v30, vcc
	v_add_u32_e32 v8, v8, v18
	v_cmp_lt_u32_e64 s[0:1], 31, v8
	v_cndmask_b32_e64 v9, 0, v31, s[0:1]
	v_add_u32_e32 v8, v9, v8
	v_cmp_lt_u32_e64 s[2:3], 31, v8
	v_cndmask_b32_e64 v9, 0, v31, s[2:3]
	v_add_u32_e32 v20, v9, v8
	v_mad_u64_u32 v[8:9], s[6:7], v11, s46, 0
	v_mov_b32_e32 v14, v9
	v_mad_u64_u32 v[34:35], s[6:7], v11, s47, v[14:15]
	v_mov_b32_e32 v14, v35
	;; [unrolled: 2-line block ×6, first 2 shown]
	v_mad_u64_u32 v[44:45], s[6:7], v11, s52, v[14:15]
	v_cndmask_b32_e32 v9, v42, v38, vcc
	v_cndmask_b32_e32 v14, v44, v40, vcc
	;; [unrolled: 1-line block ×3, first 2 shown]
	v_cndmask_b32_e64 v35, v14, v9, s[0:1]
	v_cndmask_b32_e64 v14, v37, v14, s[0:1]
	v_cndmask_b32_e32 v37, v40, v36, vcc
	v_cndmask_b32_e64 v9, v9, v37, s[0:1]
	v_sub_u32_e32 v39, 32, v20
	v_cmp_eq_u32_e64 s[6:7], 0, v20
	v_cndmask_b32_e32 v20, v38, v34, vcc
	v_cndmask_b32_e64 v14, v14, v35, s[2:3]
	v_cndmask_b32_e64 v35, v35, v9, s[2:3]
	;; [unrolled: 1-line block ×3, first 2 shown]
	v_alignbit_b32 v40, v14, v35, v39
	v_cndmask_b32_e64 v9, v9, v34, s[2:3]
	v_cndmask_b32_e64 v14, v40, v14, s[6:7]
	v_alignbit_b32 v37, v35, v9, v39
	v_cndmask_b32_e64 v35, v37, v35, s[6:7]
	v_bfe_u32 v40, v14, 29, 1
	v_cndmask_b32_e32 v8, v36, v8, vcc
	v_alignbit_b32 v37, v14, v35, 30
	v_sub_u32_e32 v41, 0, v40
	v_cndmask_b32_e64 v8, v20, v8, s[0:1]
	v_xor_b32_e32 v42, v37, v41
	v_cndmask_b32_e64 v8, v34, v8, s[2:3]
	v_alignbit_b32 v20, v9, v8, v39
	v_ffbh_u32_e32 v34, v42
	v_cndmask_b32_e64 v9, v20, v9, s[6:7]
	v_add_u32_e32 v34, 1, v34
	v_cmp_ne_u32_e32 vcc, v37, v41
	v_alignbit_b32 v20, v35, v9, 30
	v_cndmask_b32_e32 v34, 33, v34, vcc
	v_alignbit_b32 v8, v9, v8, 30
	v_xor_b32_e32 v20, v20, v41
	v_sub_u32_e32 v35, 32, v34
	v_xor_b32_e32 v8, v8, v41
	v_alignbit_b32 v36, v42, v20, v35
	v_alignbit_b32 v8, v20, v8, v35
	;; [unrolled: 1-line block ×3, first 2 shown]
	v_ffbh_u32_e32 v20, v9
	v_min_u32_e32 v20, 32, v20
	v_lshrrev_b32_e32 v38, 29, v14
	v_sub_u32_e32 v35, 31, v20
	v_alignbit_b32 v8, v9, v8, v35
	v_lshlrev_b32_e32 v9, 31, v38
	v_or_b32_e32 v35, 0x33800000, v9
	v_add_lshl_u32 v20, v20, v34, 23
	v_lshrrev_b32_e32 v8, 9, v8
	v_sub_u32_e32 v20, v35, v20
	v_or_b32_e32 v8, v20, v8
	v_alignbit_b32 v20, v34, v36, 9
	v_or_b32_e32 v9, v20, v9
	v_xor_b32_e32 v9, 1.0, v9
	v_mul_f32_e32 v20, 0x3fc90fda, v9
	v_fma_f32 v34, v9, s53, -v20
	v_fmac_f32_e32 v34, 0x33a22168, v9
	v_fmac_f32_e32 v34, 0x3fc90fda, v8
	v_lshrrev_b32_e32 v8, 30, v14
	v_add_f32_e32 v9, v20, v34
	v_add_u32_e32 v8, v40, v8
.LBB95_36:                              ;   in Loop: Header=BB95_7 Depth=1
	s_or_saveexec_b64 s[0:1], s[36:37]
	v_mul_f32_e64 v14, |v10|, s54
	v_rndne_f32_e32 v34, v14
	s_xor_b64 exec, exec, s[0:1]
; %bb.37:                               ;   in Loop: Header=BB95_7 Depth=1
	v_cvt_i32_f32_e32 v8, v34
	v_fma_f32 v9, v34, s55, |v10|
	v_fmac_f32_e32 v9, 0xb3a22168, v34
	v_fmac_f32_e32 v9, 0xa7c234c4, v34
; %bb.38:                               ;   in Loop: Header=BB95_7 Depth=1
	s_or_b64 exec, exec, s[0:1]
                                        ; implicit-def: $vgpr14
                                        ; implicit-def: $vgpr20
	s_and_saveexec_b64 s[0:1], s[34:35]
	s_xor_b64 s[34:35], exec, s[0:1]
	s_cbranch_execz .LBB95_40
; %bb.39:                               ;   in Loop: Header=BB95_7 Depth=1
	v_cmp_lt_u32_e32 vcc, 63, v18
	v_cndmask_b32_e32 v14, 0, v30, vcc
	v_add_u32_e32 v14, v14, v18
	v_cmp_lt_u32_e64 s[0:1], 31, v14
	v_cndmask_b32_e64 v18, 0, v31, s[0:1]
	v_add_u32_e32 v14, v18, v14
	v_cmp_lt_u32_e64 s[2:3], 31, v14
	v_cndmask_b32_e64 v18, 0, v31, s[2:3]
	v_mad_u64_u32 v[34:35], s[6:7], v11, s46, 0
	v_add_u32_e32 v18, v18, v14
	v_mov_b32_e32 v14, v35
	v_mad_u64_u32 v[36:37], s[6:7], v11, s47, v[14:15]
	v_mov_b32_e32 v14, v37
	v_mad_u64_u32 v[38:39], s[6:7], v11, s48, v[14:15]
	;; [unrolled: 2-line block ×6, first 2 shown]
	v_cndmask_b32_e32 v20, v44, v40, vcc
	v_cndmask_b32_e32 v11, v46, v42, vcc
	;; [unrolled: 1-line block ×3, first 2 shown]
	v_cndmask_b32_e64 v14, v11, v20, s[0:1]
	v_cndmask_b32_e64 v11, v35, v11, s[0:1]
	v_cndmask_b32_e32 v35, v42, v38, vcc
	v_cndmask_b32_e64 v20, v20, v35, s[0:1]
	v_sub_u32_e32 v37, 32, v18
	v_cmp_eq_u32_e64 s[6:7], 0, v18
	v_cndmask_b32_e32 v18, v40, v36, vcc
	v_cndmask_b32_e64 v11, v11, v14, s[2:3]
	v_cndmask_b32_e64 v14, v14, v20, s[2:3]
	;; [unrolled: 1-line block ×3, first 2 shown]
	v_alignbit_b32 v39, v11, v14, v37
	v_cndmask_b32_e64 v20, v20, v35, s[2:3]
	v_cndmask_b32_e64 v11, v39, v11, s[6:7]
	v_alignbit_b32 v36, v14, v20, v37
	v_cndmask_b32_e32 v34, v38, v34, vcc
	v_cndmask_b32_e64 v14, v36, v14, s[6:7]
	v_bfe_u32 v40, v11, 29, 1
	v_cndmask_b32_e64 v18, v18, v34, s[0:1]
	v_alignbit_b32 v36, v11, v14, 30
	v_sub_u32_e32 v41, 0, v40
	v_cndmask_b32_e64 v18, v35, v18, s[2:3]
	v_xor_b32_e32 v42, v36, v41
	v_alignbit_b32 v34, v20, v18, v37
	v_cndmask_b32_e64 v20, v34, v20, s[6:7]
	v_ffbh_u32_e32 v34, v42
	v_add_u32_e32 v34, 1, v34
	v_cmp_ne_u32_e32 vcc, v36, v41
	v_alignbit_b32 v14, v14, v20, 30
	v_cndmask_b32_e32 v34, 33, v34, vcc
	v_alignbit_b32 v18, v20, v18, 30
	v_xor_b32_e32 v14, v14, v41
	v_sub_u32_e32 v35, 32, v34
	v_xor_b32_e32 v18, v18, v41
	v_alignbit_b32 v36, v42, v14, v35
	v_alignbit_b32 v14, v14, v18, v35
	;; [unrolled: 1-line block ×3, first 2 shown]
	v_ffbh_u32_e32 v20, v18
	v_min_u32_e32 v20, 32, v20
	v_lshrrev_b32_e32 v39, 29, v11
	v_sub_u32_e32 v35, 31, v20
	v_alignbit_b32 v14, v18, v14, v35
	v_lshlrev_b32_e32 v18, 31, v39
	v_or_b32_e32 v35, 0x33800000, v18
	v_add_lshl_u32 v20, v20, v34, 23
	v_lshrrev_b32_e32 v14, 9, v14
	v_sub_u32_e32 v20, v35, v20
	v_or_b32_e32 v14, v20, v14
	v_alignbit_b32 v20, v34, v36, 9
	v_or_b32_e32 v18, v20, v18
	v_xor_b32_e32 v18, 1.0, v18
	v_mul_f32_e32 v20, 0x3fc90fda, v18
	v_fma_f32 v34, v18, s53, -v20
	v_fmac_f32_e32 v34, 0x33a22168, v18
	v_fmac_f32_e32 v34, 0x3fc90fda, v14
	v_lshrrev_b32_e32 v11, 30, v11
	v_add_f32_e32 v20, v20, v34
	v_add_u32_e32 v14, v40, v11
                                        ; implicit-def: $vgpr34
	s_andn2_saveexec_b64 s[0:1], s[34:35]
	s_cbranch_execnz .LBB95_41
	s_branch .LBB95_42
.LBB95_40:                              ;   in Loop: Header=BB95_7 Depth=1
	s_andn2_saveexec_b64 s[0:1], s[34:35]
.LBB95_41:                              ;   in Loop: Header=BB95_7 Depth=1
	v_cvt_i32_f32_e32 v14, v34
	v_fma_f32 v20, v34, s55, |v10|
	v_fmac_f32_e32 v20, 0xb3a22168, v34
	v_fmac_f32_e32 v20, 0xa7c234c4, v34
.LBB95_42:                              ;   in Loop: Header=BB95_7 Depth=1
	s_or_b64 exec, exec, s[0:1]
	v_mul_f32_e32 v11, v9, v9
	v_mov_b32_e32 v18, 0x3c0881c4
	v_fmac_f32_e32 v18, 0xb94c1982, v11
	v_fma_f32 v18, v11, v18, v27
	v_mul_f32_e32 v18, v11, v18
	v_fmac_f32_e32 v9, v9, v18
	v_mov_b32_e32 v18, 0xbab64f3b
	v_fmac_f32_e32 v18, 0x37d75334, v11
	v_fma_f32 v18, v11, v18, v28
	v_fma_f32 v18, v11, v18, v29
	v_fma_f32 v11, v11, v18, 1.0
	v_and_b32_e32 v18, 1, v8
	v_lshlrev_b32_e32 v8, 30, v8
	v_cmp_eq_u32_e32 vcc, 0, v18
	v_and_b32_e32 v8, 0x80000000, v8
	v_cndmask_b32_e32 v9, v11, v9, vcc
	v_xor_b32_e32 v6, v6, v8
	v_xor_b32_e32 v6, v6, v9
	v_mul_f32_e32 v8, v20, v20
	v_mov_b32_e32 v9, 0x3c0881c4
	v_fmac_f32_e32 v9, 0xb94c1982, v8
	v_fma_f32 v9, v8, v9, v27
	v_mul_f32_e32 v9, v8, v9
	v_fmac_f32_e32 v20, v20, v9
	v_mov_b32_e32 v9, 0xbab64f3b
	v_fmac_f32_e32 v9, 0x37d75334, v8
	v_fma_f32 v9, v8, v9, v28
	v_fma_f32 v9, v8, v9, v29
	v_fma_f32 v8, v8, v9, 1.0
	v_and_b32_e32 v9, 1, v14
	v_cmp_eq_u32_e32 vcc, 0, v9
	v_lshlrev_b32_e32 v9, 30, v14
	v_cndmask_b32_e64 v8, -v20, v8, vcc
	v_and_b32_e32 v9, 0x80000000, v9
	v_xor_b32_e32 v6, v6, v10
	v_xor_b32_e32 v8, v9, v8
	v_mul_f32_e32 v6, v6, v8
	v_cmp_class_f32_e64 vcc, v10, s43
	v_cndmask_b32_e32 v10, v33, v6, vcc
.LBB95_43:                              ;   in Loop: Header=BB95_7 Depth=1
	s_or_b64 exec, exec, s[30:31]
	v_add_u32_e32 v7, -2.0, v7
	v_bfi_b32 v6, s41, 0, v10
.LBB95_44:                              ;   in Loop: Header=BB95_7 Depth=1
	s_or_b64 exec, exec, s[28:29]
.LBB95_45:                              ;   in Loop: Header=BB95_7 Depth=1
	s_or_b64 exec, exec, s[26:27]
	v_and_b32_e32 v18, 0x7fffffff, v13
	v_cmp_gt_u32_e32 vcc, s42, v18
                                        ; implicit-def: $vgpr9
	s_and_saveexec_b64 s[0:1], vcc
	s_xor_b64 s[26:27], exec, s[0:1]
	s_cbranch_execz .LBB95_67
; %bb.46:                               ;   in Loop: Header=BB95_7 Depth=1
	v_cmp_class_f32_e64 s[0:1], v12, s43
                                        ; implicit-def: $vgpr9
	s_and_saveexec_b64 s[2:3], s[0:1]
	s_xor_b64 s[28:29], exec, s[2:3]
	s_cbranch_execz .LBB95_64
; %bb.47:                               ;   in Loop: Header=BB95_7 Depth=1
	v_and_b32_e32 v10, 0x7fffffff, v12
	v_cmp_gt_u32_e32 vcc, s44, v18
                                        ; implicit-def: $vgpr9
	s_and_saveexec_b64 s[0:1], vcc
	s_xor_b64 s[30:31], exec, s[0:1]
	s_cbranch_execz .LBB95_53
; %bb.48:                               ;   in Loop: Header=BB95_7 Depth=1
	v_cmp_nlt_f32_e64 s[0:1], |v12|, s45
                                        ; implicit-def: $vgpr9
                                        ; implicit-def: $vgpr8
	s_and_saveexec_b64 s[2:3], s[0:1]
	s_xor_b64 s[34:35], exec, s[2:3]
	s_cbranch_execz .LBB95_50
; %bb.49:                               ;   in Loop: Header=BB95_7 Depth=1
	v_lshrrev_b32_e32 v8, 23, v10
	v_add_u32_e32 v8, 0xffffff88, v8
	v_cmp_lt_u32_e32 vcc, 63, v8
	v_cndmask_b32_e32 v9, 0, v30, vcc
	v_add_u32_e32 v8, v9, v8
	v_cmp_lt_u32_e64 s[0:1], 31, v8
	v_cndmask_b32_e64 v9, 0, v31, s[0:1]
	v_add_u32_e32 v8, v9, v8
	v_cmp_lt_u32_e64 s[2:3], 31, v8
	v_cndmask_b32_e64 v9, 0, v31, s[2:3]
	v_add_u32_e32 v11, v9, v8
	v_and_b32_e32 v8, 0x7fffff, v10
	v_or_b32_e32 v20, 0x800000, v8
	v_mad_u64_u32 v[8:9], s[6:7], v20, s46, 0
	v_mov_b32_e32 v14, v9
	v_mad_u64_u32 v[34:35], s[6:7], v20, s47, v[14:15]
	v_mov_b32_e32 v14, v35
	;; [unrolled: 2-line block ×6, first 2 shown]
	v_mad_u64_u32 v[44:45], s[6:7], v20, s52, v[14:15]
	v_cndmask_b32_e32 v9, v42, v38, vcc
	v_cndmask_b32_e32 v14, v44, v40, vcc
	;; [unrolled: 1-line block ×3, first 2 shown]
	v_cndmask_b32_e64 v20, v14, v9, s[0:1]
	v_cndmask_b32_e64 v14, v35, v14, s[0:1]
	v_cndmask_b32_e32 v35, v40, v36, vcc
	v_cndmask_b32_e64 v9, v9, v35, s[0:1]
	v_cndmask_b32_e64 v14, v14, v20, s[2:3]
	;; [unrolled: 1-line block ×3, first 2 shown]
	v_sub_u32_e32 v37, 32, v11
	v_alignbit_b32 v39, v14, v20, v37
	v_cmp_eq_u32_e64 s[6:7], 0, v11
	v_cndmask_b32_e64 v11, v39, v14, s[6:7]
	v_cndmask_b32_e32 v14, v38, v34, vcc
	v_cndmask_b32_e64 v34, v35, v14, s[0:1]
	v_cndmask_b32_e64 v9, v9, v34, s[2:3]
	v_cndmask_b32_e32 v8, v36, v8, vcc
	v_alignbit_b32 v35, v20, v9, v37
	v_cndmask_b32_e64 v8, v14, v8, s[0:1]
	v_cndmask_b32_e64 v20, v35, v20, s[6:7]
	v_bfe_u32 v39, v11, 29, 1
	v_cndmask_b32_e64 v8, v34, v8, s[2:3]
	v_alignbit_b32 v35, v11, v20, 30
	v_sub_u32_e32 v40, 0, v39
	v_alignbit_b32 v14, v9, v8, v37
	v_xor_b32_e32 v41, v35, v40
	v_cndmask_b32_e64 v9, v14, v9, s[6:7]
	v_alignbit_b32 v14, v20, v9, 30
	v_ffbh_u32_e32 v20, v41
	v_add_u32_e32 v20, 1, v20
	v_cmp_ne_u32_e32 vcc, v35, v40
	v_cndmask_b32_e32 v20, 33, v20, vcc
	v_alignbit_b32 v8, v9, v8, 30
	v_xor_b32_e32 v14, v14, v40
	v_sub_u32_e32 v34, 32, v20
	v_xor_b32_e32 v8, v8, v40
	v_alignbit_b32 v35, v41, v14, v34
	v_alignbit_b32 v8, v14, v8, v34
	;; [unrolled: 1-line block ×3, first 2 shown]
	v_ffbh_u32_e32 v14, v9
	v_min_u32_e32 v14, 32, v14
	v_lshrrev_b32_e32 v38, 29, v11
	v_sub_u32_e32 v34, 31, v14
	v_alignbit_b32 v8, v9, v8, v34
	v_lshlrev_b32_e32 v9, 31, v38
	v_or_b32_e32 v34, 0x33800000, v9
	v_add_lshl_u32 v14, v14, v20, 23
	v_lshrrev_b32_e32 v8, 9, v8
	v_sub_u32_e32 v14, v34, v14
	v_or_b32_e32 v8, v14, v8
	v_alignbit_b32 v14, v20, v35, 9
	v_or_b32_e32 v9, v14, v9
	v_xor_b32_e32 v9, 1.0, v9
	v_mul_f32_e32 v14, 0x3fc90fda, v9
	v_fma_f32 v20, v9, s53, -v14
	v_fmac_f32_e32 v20, 0x33a22168, v9
	v_fmac_f32_e32 v20, 0x3fc90fda, v8
	v_lshrrev_b32_e32 v9, 30, v11
	v_add_f32_e32 v8, v14, v20
	v_add_u32_e32 v9, v39, v9
.LBB95_50:                              ;   in Loop: Header=BB95_7 Depth=1
	s_andn2_saveexec_b64 s[0:1], s[34:35]
; %bb.51:                               ;   in Loop: Header=BB95_7 Depth=1
	v_mul_f32_e64 v8, |v12|, s54
	v_rndne_f32_e32 v11, v8
	v_cvt_i32_f32_e32 v9, v11
	v_fma_f32 v8, v11, s55, |v12|
	v_fmac_f32_e32 v8, 0xb3a22168, v11
	v_fmac_f32_e32 v8, 0xa7c234c4, v11
; %bb.52:                               ;   in Loop: Header=BB95_7 Depth=1
	s_or_b64 exec, exec, s[0:1]
	v_mul_f32_e32 v11, v8, v8
	v_mov_b32_e32 v14, 0xbf039337
	v_fmac_f32_e32 v14, 0x3c971480, v11
	v_fma_f32 v14, v11, v14, v1
	v_rcp_f32_e32 v14, v14
	v_mov_b32_e32 v20, 0x3ec54587
	v_fmac_f32_e32 v20, 0xbc8cedd3, v11
	v_and_b32_e32 v9, 1, v9
	v_mul_f32_e32 v14, v20, v14
	v_mul_f32_e32 v11, v11, v14
	v_fma_f32 v14, v11, v8, v8
	v_rcp_f32_e32 v20, v14
	v_sub_f32_e32 v34, v14, v8
	v_fma_f32 v8, v11, v8, -v34
	v_cmp_eq_u32_e32 vcc, 0, v9
	v_fma_f32 v11, v14, -v20, 1.0
	v_fma_f32 v8, v8, -v20, v11
	v_fma_f32 v8, v8, -v20, -v20
	v_cndmask_b32_e32 v11, v8, v14, vcc
	v_add_f32_e64 v14, |v13|, s56
	v_sub_f32_e64 v9, v14, |v13|
	v_sub_f32_e32 v8, v9, v14
	v_pk_add_f32 v[8:9], v[18:19], v[8:9]
	v_sub_f32_e32 v8, v8, v9
	v_add_f32_e32 v8, 0x3102e308, v8
	v_add_f32_e32 v9, v14, v8
	v_sub_f32_e32 v14, v14, v9
	v_add_f32_e32 v8, v8, v14
	v_mul_f32_e32 v14, 0x3fb8aa3b, v9
	v_rndne_f32_e32 v14, v14
	v_fmac_f32_e32 v9, 0xbf317200, v14
	v_add_f32_e32 v18, v8, v9
	v_mul_f32_e32 v20, 0x35bfbc00, v14
	v_sub_f32_e32 v34, v18, v20
	v_sub_f32_e32 v9, v9, v18
	;; [unrolled: 1-line block ×3, first 2 shown]
	v_add_f32_e32 v8, v8, v9
	v_sub_f32_e32 v18, v18, v20
	v_add_f32_e32 v18, v8, v18
	v_add_f32_e32 v35, v34, v18
	v_mul_f32_e32 v9, 0x2ea39ef3, v14
	v_mov_b32_e32 v8, v35
	v_pk_add_f32 v[36:37], v[34:35], v[8:9] neg_lo:[0,1] neg_hi:[0,1]
	v_sub_f32_e32 v8, v35, v37
	v_sub_f32_e32 v8, v8, v9
	v_add_f32_e32 v9, v18, v36
	v_add_f32_e32 v8, v9, v8
	;; [unrolled: 1-line block ×3, first 2 shown]
	v_sub_f32_e32 v20, v37, v9
	v_mov_b32_e32 v18, 0x3c091de6
	v_add_f32_e32 v8, v8, v20
	v_mul_f32_e32 v34, v9, v9
	v_fmac_f32_e32 v18, 0x3ab42872, v9
	v_add_f32_e32 v20, v8, v8
	v_fma_f32 v35, v9, v9, -v34
	v_fma_f32 v18, v9, v18, v17
	v_fmac_f32_e32 v35, v9, v20
	v_fma_f32 v18, v9, v18, v24
	v_add_f32_e32 v20, v34, v35
	v_fma_f32 v18, v9, v18, v25
	v_sub_f32_e32 v34, v20, v34
	v_sub_f32_e32 v34, v35, v34
	v_mul_f32_e32 v35, v18, v20
	v_fma_f32 v20, v20, v18, -v35
	v_fmac_f32_e32 v20, v34, v18
	v_add_f32_e32 v18, v35, v20
	v_sub_f32_e32 v34, v18, v35
	v_sub_f32_e32 v34, v20, v34
	v_add_f32_e32 v20, v9, v18
	v_sub_f32_e32 v9, v20, v9
	v_sub_f32_e32 v9, v18, v9
	v_add_f32_e32 v8, v8, v34
	v_add_f32_e32 v8, v8, v9
	;; [unrolled: 1-line block ×3, first 2 shown]
	v_add_f32_e32 v35, 1.0, v34
	v_pk_add_f32 v[36:37], v[34:35], v[20:21] neg_lo:[0,1] neg_hi:[0,1]
	v_pk_add_f32 v[38:39], v[34:35], s[22:23]
	v_mov_b32_e32 v37, v39
	v_mov_b32_e32 v9, v34
	v_cvt_i32_f32_e32 v14, v14
	v_pk_add_f32 v[8:9], v[8:9], v[36:37] neg_lo:[0,1] neg_hi:[0,1]
	v_add_f32_e32 v8, v8, v9
	v_add_f32_e32 v9, v35, v8
	v_ldexp_f32 v18, v9, v14
	v_rcp_f32_e32 v20, v18
	v_sub_f32_e32 v9, v9, v35
	v_sub_f32_e32 v8, v8, v9
	v_ldexp_f32 v8, v8, v14
	v_mul_f32_e32 v9, v18, v20
	v_fma_f32 v14, v20, v18, -v9
	v_fmac_f32_e32 v14, v20, v8
	v_add_f32_e32 v34, v9, v14
	v_sub_f32_e32 v35, 1.0, v34
	v_sub_f32_e32 v36, 1.0, v35
	v_sub_f32_e32 v9, v34, v9
	v_sub_f32_e32 v36, v36, v34
	;; [unrolled: 1-line block ×3, first 2 shown]
	v_add_f32_e32 v9, v9, v36
	v_add_f32_e32 v14, v35, v9
	v_mul_f32_e32 v34, v20, v14
	v_mul_f32_e32 v36, v18, v34
	v_fma_f32 v37, v34, v18, -v36
	v_fmac_f32_e32 v37, v34, v8
	v_sub_f32_e32 v35, v35, v14
	v_add_f32_e32 v9, v9, v35
	v_add_f32_e32 v35, v36, v37
	v_sub_f32_e32 v38, v14, v35
	v_sub_f32_e32 v14, v14, v38
	;; [unrolled: 1-line block ×4, first 2 shown]
	v_add_f32_e32 v9, v9, v14
	v_sub_f32_e32 v14, v36, v37
	v_add_f32_e32 v9, v14, v9
	v_add_f32_e32 v9, v38, v9
	;; [unrolled: 1-line block ×3, first 2 shown]
	v_mul_f32_e32 v9, v20, v9
	v_sub_f32_e32 v20, v14, v20
	v_sub_f32_e32 v20, v34, v20
	v_add_f32_e32 v9, v20, v9
	v_add_f32_e32 v20, v14, v9
	v_sub_f32_e32 v14, v20, v14
	v_sub_f32_e32 v9, v9, v14
	v_ldexp_f32 v14, v20, -2
	v_sub_f32_e32 v20, v18, v14
	v_sub_f32_e32 v18, v18, v20
	;; [unrolled: 1-line block ×3, first 2 shown]
	v_ldexp_f32 v9, v9, -2
	v_add_f32_e32 v8, v8, v14
	v_sub_f32_e32 v8, v8, v9
	v_add_f32_e32 v8, v20, v8
	v_cmp_ngt_f32_e64 vcc, |v13|, s57
	v_cndmask_b32_e32 v8, v32, v8, vcc
	v_cmp_lt_f32_e64 s[0:1], |v13|, s58
	v_cndmask_b32_e64 v8, v8, |v13|, s[0:1]
	v_xor_b32_e32 v9, 0x80000000, v13
	v_bfi_b32 v8, s41, v8, v9
	v_fma_f32 v9, v8, v8, 1.0
	v_mul_f32_e32 v13, 0x4f800000, v9
	v_cmp_gt_f32_e32 vcc, s59, v9
	v_cndmask_b32_e32 v9, v9, v13, vcc
	v_sqrt_f32_e32 v13, v9
	v_xor_b32_e32 v10, v10, v11
	v_xor_b32_e32 v10, v10, v12
	v_fma_f32 v11, v10, v10, 1.0
	v_add_u32_e32 v12, -1, v13
	v_fma_f32 v14, -v12, v13, v9
	v_cmp_ge_f32_e64 s[0:1], 0, v14
	v_add_u32_e32 v14, 1, v13
	v_cndmask_b32_e64 v12, v13, v12, s[0:1]
	v_fma_f32 v13, -v14, v13, v9
	v_cmp_lt_f32_e64 s[0:1], 0, v13
	v_cndmask_b32_e64 v12, v12, v14, s[0:1]
	v_mul_f32_e32 v13, 0x37800000, v12
	v_cndmask_b32_e32 v12, v12, v13, vcc
	v_cmp_class_f32_e32 vcc, v9, v26
	v_cndmask_b32_e32 v9, v12, v9, vcc
	v_mul_f32_e32 v12, v8, v11
	v_mul_f32_e32 v9, v9, v11
	v_fma_f32 v12, v8, v12, 1.0
	v_mul_f32_e32 v8, v8, v9
	v_div_scale_f32 v9, s[0:1], v12, v12, v8
	v_rcp_f32_e32 v11, v9
	v_fma_f32 v13, -v9, v11, 1.0
	v_fmac_f32_e32 v11, v13, v11
	v_div_scale_f32 v13, vcc, v8, v12, v8
	v_mul_f32_e32 v14, v13, v11
	v_fma_f32 v18, -v9, v14, v13
	v_fmac_f32_e32 v14, v18, v11
	v_fma_f32 v9, -v9, v14, v13
	v_div_scale_f32 v13, s[0:1], v12, v12, v10
	v_rcp_f32_e32 v18, v13
	v_div_fmas_f32 v9, v9, v11, v14
	v_div_fixup_f32 v9, v9, v12, v8
	v_fma_f32 v8, -v13, v18, 1.0
	v_fmac_f32_e32 v18, v8, v18
	v_div_scale_f32 v8, vcc, v10, v12, v10
	v_mul_f32_e32 v11, v8, v18
	v_fma_f32 v14, -v13, v11, v8
	v_fmac_f32_e32 v11, v14, v18
	v_fma_f32 v8, -v13, v11, v8
	v_div_fmas_f32 v8, v8, v18, v11
	v_div_fixup_f32 v8, v8, v12, v10
                                        ; implicit-def: $vgpr10_vgpr11_vgpr12_vgpr13
                                        ; implicit-def: $vgpr10
.LBB95_53:                              ;   in Loop: Header=BB95_7 Depth=1
	s_andn2_saveexec_b64 s[30:31], s[30:31]
	s_cbranch_execz .LBB95_63
; %bb.54:                               ;   in Loop: Header=BB95_7 Depth=1
	v_lshrrev_b32_e32 v8, 23, v10
	v_and_b32_e32 v9, 0x7fffff, v10
	v_cmp_nlt_f32_e64 s[34:35], |v12|, s45
	v_add_u32_e32 v18, 0xffffff88, v8
	v_or_b32_e32 v11, 0x800000, v9
                                        ; implicit-def: $vgpr8
                                        ; implicit-def: $vgpr9
	s_and_saveexec_b64 s[0:1], s[34:35]
	s_xor_b64 s[36:37], exec, s[0:1]
	s_cbranch_execz .LBB95_56
; %bb.55:                               ;   in Loop: Header=BB95_7 Depth=1
	v_cmp_lt_u32_e32 vcc, 63, v18
	v_cndmask_b32_e32 v8, 0, v30, vcc
	v_add_u32_e32 v8, v8, v18
	v_cmp_lt_u32_e64 s[0:1], 31, v8
	v_cndmask_b32_e64 v9, 0, v31, s[0:1]
	v_add_u32_e32 v8, v9, v8
	v_cmp_lt_u32_e64 s[2:3], 31, v8
	v_cndmask_b32_e64 v9, 0, v31, s[2:3]
	v_add_u32_e32 v20, v9, v8
	v_mad_u64_u32 v[8:9], s[6:7], v11, s46, 0
	v_mov_b32_e32 v14, v9
	v_mad_u64_u32 v[34:35], s[6:7], v11, s47, v[14:15]
	v_mov_b32_e32 v14, v35
	v_mad_u64_u32 v[36:37], s[6:7], v11, s48, v[14:15]
	v_mov_b32_e32 v14, v37
	v_mad_u64_u32 v[38:39], s[6:7], v11, s49, v[14:15]
	v_mov_b32_e32 v14, v39
	v_mad_u64_u32 v[40:41], s[6:7], v11, s50, v[14:15]
	v_mov_b32_e32 v14, v41
	v_mad_u64_u32 v[42:43], s[6:7], v11, s51, v[14:15]
	v_mov_b32_e32 v14, v43
	v_mad_u64_u32 v[44:45], s[6:7], v11, s52, v[14:15]
	v_cndmask_b32_e32 v9, v42, v38, vcc
	v_cndmask_b32_e32 v14, v44, v40, vcc
	;; [unrolled: 1-line block ×3, first 2 shown]
	v_cndmask_b32_e64 v35, v14, v9, s[0:1]
	v_cndmask_b32_e64 v14, v37, v14, s[0:1]
	v_cndmask_b32_e32 v37, v40, v36, vcc
	v_cndmask_b32_e64 v9, v9, v37, s[0:1]
	v_sub_u32_e32 v39, 32, v20
	v_cmp_eq_u32_e64 s[6:7], 0, v20
	v_cndmask_b32_e32 v20, v38, v34, vcc
	v_cndmask_b32_e64 v14, v14, v35, s[2:3]
	v_cndmask_b32_e64 v35, v35, v9, s[2:3]
	;; [unrolled: 1-line block ×3, first 2 shown]
	v_alignbit_b32 v40, v14, v35, v39
	v_cndmask_b32_e64 v9, v9, v34, s[2:3]
	v_cndmask_b32_e64 v14, v40, v14, s[6:7]
	v_alignbit_b32 v37, v35, v9, v39
	v_cndmask_b32_e64 v35, v37, v35, s[6:7]
	v_bfe_u32 v40, v14, 29, 1
	v_cndmask_b32_e32 v8, v36, v8, vcc
	v_alignbit_b32 v37, v14, v35, 30
	v_sub_u32_e32 v41, 0, v40
	v_cndmask_b32_e64 v8, v20, v8, s[0:1]
	v_xor_b32_e32 v42, v37, v41
	v_cndmask_b32_e64 v8, v34, v8, s[2:3]
	v_alignbit_b32 v20, v9, v8, v39
	v_ffbh_u32_e32 v34, v42
	v_cndmask_b32_e64 v9, v20, v9, s[6:7]
	v_add_u32_e32 v34, 1, v34
	v_cmp_ne_u32_e32 vcc, v37, v41
	v_alignbit_b32 v20, v35, v9, 30
	v_cndmask_b32_e32 v34, 33, v34, vcc
	v_alignbit_b32 v8, v9, v8, 30
	v_xor_b32_e32 v20, v20, v41
	v_sub_u32_e32 v35, 32, v34
	v_xor_b32_e32 v8, v8, v41
	v_alignbit_b32 v36, v42, v20, v35
	v_alignbit_b32 v8, v20, v8, v35
	;; [unrolled: 1-line block ×3, first 2 shown]
	v_ffbh_u32_e32 v20, v9
	v_min_u32_e32 v20, 32, v20
	v_lshrrev_b32_e32 v38, 29, v14
	v_sub_u32_e32 v35, 31, v20
	v_alignbit_b32 v8, v9, v8, v35
	v_lshlrev_b32_e32 v9, 31, v38
	v_or_b32_e32 v35, 0x33800000, v9
	v_add_lshl_u32 v20, v20, v34, 23
	v_lshrrev_b32_e32 v8, 9, v8
	v_sub_u32_e32 v20, v35, v20
	v_or_b32_e32 v8, v20, v8
	v_alignbit_b32 v20, v34, v36, 9
	v_or_b32_e32 v9, v20, v9
	v_xor_b32_e32 v9, 1.0, v9
	v_mul_f32_e32 v20, 0x3fc90fda, v9
	v_fma_f32 v34, v9, s53, -v20
	v_fmac_f32_e32 v34, 0x33a22168, v9
	v_fmac_f32_e32 v34, 0x3fc90fda, v8
	v_lshrrev_b32_e32 v8, 30, v14
	v_add_f32_e32 v9, v20, v34
	v_add_u32_e32 v8, v40, v8
	s_andn2_saveexec_b64 s[0:1], s[36:37]
	s_branch .LBB95_57
.LBB95_56:                              ;   in Loop: Header=BB95_7 Depth=1
	s_andn2_saveexec_b64 s[0:1], s[36:37]
.LBB95_57:                              ;   in Loop: Header=BB95_7 Depth=1
	v_mul_f32_e64 v8, |v12|, s54
	v_rndne_f32_e32 v14, v8
	v_cvt_i32_f32_e32 v8, v14
	v_fma_f32 v9, v14, s55, |v12|
	v_fmac_f32_e32 v9, 0xb3a22168, v14
	v_fmac_f32_e32 v9, 0xa7c234c4, v14
; %bb.58:                               ;   in Loop: Header=BB95_7 Depth=1
	s_or_b64 exec, exec, s[0:1]
                                        ; implicit-def: $vgpr14
                                        ; implicit-def: $vgpr20
	s_and_saveexec_b64 s[0:1], s[34:35]
	s_xor_b64 s[34:35], exec, s[0:1]
	s_cbranch_execz .LBB95_60
; %bb.59:                               ;   in Loop: Header=BB95_7 Depth=1
	v_cmp_lt_u32_e32 vcc, 63, v18
	v_cndmask_b32_e32 v14, 0, v30, vcc
	v_add_u32_e32 v14, v14, v18
	v_cmp_lt_u32_e64 s[0:1], 31, v14
	v_cndmask_b32_e64 v18, 0, v31, s[0:1]
	v_add_u32_e32 v14, v18, v14
	v_cmp_lt_u32_e64 s[2:3], 31, v14
	v_cndmask_b32_e64 v18, 0, v31, s[2:3]
	v_mad_u64_u32 v[34:35], s[6:7], v11, s46, 0
	v_add_u32_e32 v18, v18, v14
	v_mov_b32_e32 v14, v35
	v_mad_u64_u32 v[36:37], s[6:7], v11, s47, v[14:15]
	v_mov_b32_e32 v14, v37
	v_mad_u64_u32 v[38:39], s[6:7], v11, s48, v[14:15]
	;; [unrolled: 2-line block ×6, first 2 shown]
	v_cndmask_b32_e32 v20, v44, v40, vcc
	v_cndmask_b32_e32 v11, v46, v42, vcc
	;; [unrolled: 1-line block ×3, first 2 shown]
	v_cndmask_b32_e64 v14, v11, v20, s[0:1]
	v_cndmask_b32_e64 v11, v35, v11, s[0:1]
	v_cndmask_b32_e32 v35, v42, v38, vcc
	v_cndmask_b32_e64 v20, v20, v35, s[0:1]
	v_sub_u32_e32 v37, 32, v18
	v_cmp_eq_u32_e64 s[6:7], 0, v18
	v_cndmask_b32_e32 v18, v40, v36, vcc
	v_cndmask_b32_e64 v11, v11, v14, s[2:3]
	v_cndmask_b32_e64 v14, v14, v20, s[2:3]
	;; [unrolled: 1-line block ×3, first 2 shown]
	v_alignbit_b32 v39, v11, v14, v37
	v_cndmask_b32_e64 v20, v20, v35, s[2:3]
	v_cndmask_b32_e64 v11, v39, v11, s[6:7]
	v_alignbit_b32 v36, v14, v20, v37
	v_cndmask_b32_e32 v34, v38, v34, vcc
	v_cndmask_b32_e64 v14, v36, v14, s[6:7]
	v_bfe_u32 v40, v11, 29, 1
	v_cndmask_b32_e64 v18, v18, v34, s[0:1]
	v_alignbit_b32 v36, v11, v14, 30
	v_sub_u32_e32 v41, 0, v40
	v_cndmask_b32_e64 v18, v35, v18, s[2:3]
	v_xor_b32_e32 v42, v36, v41
	v_alignbit_b32 v34, v20, v18, v37
	v_cndmask_b32_e64 v20, v34, v20, s[6:7]
	v_ffbh_u32_e32 v34, v42
	v_add_u32_e32 v34, 1, v34
	v_cmp_ne_u32_e32 vcc, v36, v41
	v_alignbit_b32 v14, v14, v20, 30
	v_cndmask_b32_e32 v34, 33, v34, vcc
	v_alignbit_b32 v18, v20, v18, 30
	v_xor_b32_e32 v14, v14, v41
	v_sub_u32_e32 v35, 32, v34
	v_xor_b32_e32 v18, v18, v41
	v_alignbit_b32 v36, v42, v14, v35
	v_alignbit_b32 v14, v14, v18, v35
	;; [unrolled: 1-line block ×3, first 2 shown]
	v_ffbh_u32_e32 v20, v18
	v_min_u32_e32 v20, 32, v20
	v_lshrrev_b32_e32 v39, 29, v11
	v_sub_u32_e32 v35, 31, v20
	v_alignbit_b32 v14, v18, v14, v35
	v_lshlrev_b32_e32 v18, 31, v39
	v_or_b32_e32 v35, 0x33800000, v18
	v_add_lshl_u32 v20, v20, v34, 23
	v_lshrrev_b32_e32 v14, 9, v14
	v_sub_u32_e32 v20, v35, v20
	v_or_b32_e32 v14, v20, v14
	v_alignbit_b32 v20, v34, v36, 9
	v_or_b32_e32 v18, v20, v18
	v_xor_b32_e32 v18, 1.0, v18
	v_mul_f32_e32 v20, 0x3fc90fda, v18
	v_fma_f32 v34, v18, s53, -v20
	v_fmac_f32_e32 v34, 0x33a22168, v18
	v_fmac_f32_e32 v34, 0x3fc90fda, v14
	v_lshrrev_b32_e32 v11, 30, v11
	v_add_f32_e32 v20, v20, v34
	v_add_u32_e32 v14, v40, v11
	s_andn2_saveexec_b64 s[0:1], s[34:35]
	s_cbranch_execnz .LBB95_61
	s_branch .LBB95_62
.LBB95_60:                              ;   in Loop: Header=BB95_7 Depth=1
	s_andn2_saveexec_b64 s[0:1], s[34:35]
.LBB95_61:                              ;   in Loop: Header=BB95_7 Depth=1
	v_mul_f32_e64 v11, |v12|, s54
	v_rndne_f32_e32 v11, v11
	v_cvt_i32_f32_e32 v14, v11
	v_fma_f32 v20, v11, s55, |v12|
	v_fmac_f32_e32 v20, 0xb3a22168, v11
	v_fmac_f32_e32 v20, 0xa7c234c4, v11
.LBB95_62:                              ;   in Loop: Header=BB95_7 Depth=1
	s_or_b64 exec, exec, s[0:1]
	v_mul_f32_e32 v11, v9, v9
	v_mov_b32_e32 v18, 0x3c0881c4
	v_fmac_f32_e32 v18, 0xb94c1982, v11
	v_fma_f32 v18, v11, v18, v27
	v_mul_f32_e32 v18, v11, v18
	v_fmac_f32_e32 v9, v9, v18
	v_mov_b32_e32 v18, 0xbab64f3b
	v_fmac_f32_e32 v18, 0x37d75334, v11
	v_fma_f32 v18, v11, v18, v28
	v_fma_f32 v18, v11, v18, v29
	v_fma_f32 v11, v11, v18, 1.0
	v_and_b32_e32 v18, 1, v8
	v_lshlrev_b32_e32 v8, 30, v8
	v_and_b32_e32 v8, 0x80000000, v8
	v_cmp_eq_u32_e32 vcc, 0, v18
	v_xor_b32_e32 v8, v10, v8
	v_mul_f32_e64 v10, |v13|, s60
	v_cndmask_b32_e32 v9, v11, v9, vcc
	v_rndne_f32_e32 v11, v10
	v_sub_f32_e32 v18, v10, v11
	v_fma_f32 v10, |v13|, s60, -v10
	v_fma_f32 v10, |v13|, s61, v10
	v_add_f32_e32 v10, v18, v10
	v_exp_f32_e32 v10, v10
	v_cvt_i32_f32_e32 v11, v11
	v_xor_b32_e32 v8, v8, v9
	v_xor_b32_e32 v8, v8, v12
	v_mov_b32_e32 v12, 0x3c0881c4
	v_ldexp_f32 v9, v10, v11
	v_mul_f32_e32 v11, v20, v20
	v_fmac_f32_e32 v12, 0xb94c1982, v11
	v_fma_f32 v12, v11, v12, v27
	v_mul_f32_e32 v12, v11, v12
	v_fmac_f32_e32 v20, v20, v12
	v_mov_b32_e32 v12, 0xbab64f3b
	v_fmac_f32_e32 v12, 0x37d75334, v11
	v_fma_f32 v12, v11, v12, v28
	v_cmp_ngt_f32_e64 vcc, |v13|, s62
	v_fma_f32 v12, v11, v12, v29
	v_cndmask_b32_e32 v9, 0, v9, vcc
	v_cmp_nlt_f32_e64 vcc, |v13|, s63
	v_fma_f32 v11, v11, v12, 1.0
	v_and_b32_e32 v12, 1, v14
	v_cndmask_b32_e32 v10, v32, v9, vcc
	v_cmp_eq_u32_e32 vcc, 0, v12
	v_lshlrev_b32_e32 v12, 30, v14
	v_cndmask_b32_e64 v11, -v20, v11, vcc
	v_and_b32_e32 v12, 0x80000000, v12
	v_mul_f32_e32 v8, 4.0, v8
	v_xor_b32_e32 v11, v12, v11
	v_mul_f32_e32 v8, v8, v11
	v_xor_b32_e32 v9, 0x80000000, v13
	v_mul_f32_e32 v8, v10, v8
	v_bfi_b32 v9, s41, 1.0, v9
	v_mul_f32_e32 v8, v10, v8
.LBB95_63:                              ;   in Loop: Header=BB95_7 Depth=1
	s_or_b64 exec, exec, s[30:31]
                                        ; implicit-def: $vgpr10_vgpr11_vgpr12_vgpr13
.LBB95_64:                              ;   in Loop: Header=BB95_7 Depth=1
	s_andn2_saveexec_b64 s[0:1], s[28:29]
; %bb.65:                               ;   in Loop: Header=BB95_7 Depth=1
	v_sub_f32_e32 v8, v12, v12
	v_mov_b32_e32 v9, v8
; %bb.66:                               ;   in Loop: Header=BB95_7 Depth=1
	s_or_b64 exec, exec, s[0:1]
                                        ; implicit-def: $vgpr10_vgpr11_vgpr12_vgpr13
.LBB95_67:                              ;   in Loop: Header=BB95_7 Depth=1
	s_andn2_saveexec_b64 s[26:27], s[26:27]
	s_cbranch_execz .LBB95_83
; %bb.68:                               ;   in Loop: Header=BB95_7 Depth=1
	v_xor_b32_e32 v9, 0x80000000, v13
	v_and_b32_e32 v8, 0x7fffff, v9
	v_cmp_ne_u32_e32 vcc, 0, v8
	s_and_saveexec_b64 s[0:1], vcc
	s_xor_b64 s[0:1], exec, s[0:1]
; %bb.69:                               ;   in Loop: Header=BB95_7 Depth=1
	v_mul_f32_e64 v8, v12, -v13
	v_cmp_eq_f32_e32 vcc, 0, v12
	v_cndmask_b32_e32 v8, v8, v12, vcc
                                        ; implicit-def: $vgpr10_vgpr11_vgpr12_vgpr13
; %bb.70:                               ;   in Loop: Header=BB95_7 Depth=1
	s_andn2_saveexec_b64 s[28:29], s[0:1]
	s_cbranch_execz .LBB95_82
; %bb.71:                               ;   in Loop: Header=BB95_7 Depth=1
	v_cmp_neq_f32_e64 s[0:1], |v12|, s42
	s_and_saveexec_b64 s[30:31], s[0:1]
	s_cbranch_execz .LBB95_81
; %bb.72:                               ;   in Loop: Header=BB95_7 Depth=1
	v_and_b32_e32 v8, 0x7fffffff, v12
	v_lshrrev_b32_e32 v10, 23, v8
	v_and_b32_e32 v11, 0x7fffff, v8
	v_cmp_nlt_f32_e64 s[34:35], |v12|, s45
	v_add_u32_e32 v18, 0xffffff88, v10
	v_or_b32_e32 v13, 0x800000, v11
                                        ; implicit-def: $vgpr10
                                        ; implicit-def: $vgpr11
	s_and_saveexec_b64 s[0:1], s[34:35]
	s_xor_b64 s[36:37], exec, s[0:1]
	s_cbranch_execz .LBB95_74
; %bb.73:                               ;   in Loop: Header=BB95_7 Depth=1
	v_cmp_lt_u32_e32 vcc, 63, v18
	v_cndmask_b32_e32 v10, 0, v30, vcc
	v_add_u32_e32 v10, v10, v18
	v_cmp_lt_u32_e64 s[0:1], 31, v10
	v_cndmask_b32_e64 v11, 0, v31, s[0:1]
	v_add_u32_e32 v10, v11, v10
	v_cmp_lt_u32_e64 s[2:3], 31, v10
	v_cndmask_b32_e64 v11, 0, v31, s[2:3]
	v_add_u32_e32 v20, v11, v10
	v_mad_u64_u32 v[10:11], s[6:7], v13, s46, 0
	v_mov_b32_e32 v14, v11
	v_mad_u64_u32 v[34:35], s[6:7], v13, s47, v[14:15]
	v_mov_b32_e32 v14, v35
	v_mad_u64_u32 v[36:37], s[6:7], v13, s48, v[14:15]
	v_mov_b32_e32 v14, v37
	v_mad_u64_u32 v[38:39], s[6:7], v13, s49, v[14:15]
	v_mov_b32_e32 v14, v39
	v_mad_u64_u32 v[40:41], s[6:7], v13, s50, v[14:15]
	v_mov_b32_e32 v14, v41
	v_mad_u64_u32 v[42:43], s[6:7], v13, s51, v[14:15]
	v_mov_b32_e32 v14, v43
	v_mad_u64_u32 v[44:45], s[6:7], v13, s52, v[14:15]
	v_cndmask_b32_e32 v11, v42, v38, vcc
	v_cndmask_b32_e32 v14, v44, v40, vcc
	;; [unrolled: 1-line block ×3, first 2 shown]
	v_cndmask_b32_e64 v35, v14, v11, s[0:1]
	v_cndmask_b32_e64 v14, v37, v14, s[0:1]
	v_cndmask_b32_e32 v37, v40, v36, vcc
	v_cndmask_b32_e64 v11, v11, v37, s[0:1]
	v_sub_u32_e32 v39, 32, v20
	v_cmp_eq_u32_e64 s[6:7], 0, v20
	v_cndmask_b32_e32 v20, v38, v34, vcc
	v_cndmask_b32_e64 v14, v14, v35, s[2:3]
	v_cndmask_b32_e64 v35, v35, v11, s[2:3]
	;; [unrolled: 1-line block ×3, first 2 shown]
	v_alignbit_b32 v40, v14, v35, v39
	v_cndmask_b32_e64 v11, v11, v34, s[2:3]
	v_cndmask_b32_e64 v14, v40, v14, s[6:7]
	v_alignbit_b32 v37, v35, v11, v39
	v_cndmask_b32_e64 v35, v37, v35, s[6:7]
	v_bfe_u32 v40, v14, 29, 1
	v_cndmask_b32_e32 v10, v36, v10, vcc
	v_alignbit_b32 v37, v14, v35, 30
	v_sub_u32_e32 v41, 0, v40
	v_cndmask_b32_e64 v10, v20, v10, s[0:1]
	v_xor_b32_e32 v42, v37, v41
	v_cndmask_b32_e64 v10, v34, v10, s[2:3]
	v_alignbit_b32 v20, v11, v10, v39
	v_ffbh_u32_e32 v34, v42
	v_cndmask_b32_e64 v11, v20, v11, s[6:7]
	v_add_u32_e32 v34, 1, v34
	v_cmp_ne_u32_e32 vcc, v37, v41
	v_alignbit_b32 v20, v35, v11, 30
	v_cndmask_b32_e32 v34, 33, v34, vcc
	v_alignbit_b32 v10, v11, v10, 30
	v_xor_b32_e32 v20, v20, v41
	v_sub_u32_e32 v35, 32, v34
	v_xor_b32_e32 v10, v10, v41
	v_alignbit_b32 v36, v42, v20, v35
	v_alignbit_b32 v10, v20, v10, v35
	;; [unrolled: 1-line block ×3, first 2 shown]
	v_ffbh_u32_e32 v20, v11
	v_min_u32_e32 v20, 32, v20
	v_lshrrev_b32_e32 v38, 29, v14
	v_sub_u32_e32 v35, 31, v20
	v_alignbit_b32 v10, v11, v10, v35
	v_lshlrev_b32_e32 v11, 31, v38
	v_or_b32_e32 v35, 0x33800000, v11
	v_add_lshl_u32 v20, v20, v34, 23
	v_lshrrev_b32_e32 v10, 9, v10
	v_sub_u32_e32 v20, v35, v20
	v_or_b32_e32 v10, v20, v10
	v_alignbit_b32 v20, v34, v36, 9
	v_or_b32_e32 v11, v20, v11
	v_xor_b32_e32 v11, 1.0, v11
	v_mul_f32_e32 v20, 0x3fc90fda, v11
	v_fma_f32 v34, v11, s53, -v20
	v_fmac_f32_e32 v34, 0x33a22168, v11
	v_fmac_f32_e32 v34, 0x3fc90fda, v10
	v_lshrrev_b32_e32 v10, 30, v14
	v_add_f32_e32 v11, v20, v34
	v_add_u32_e32 v10, v40, v10
.LBB95_74:                              ;   in Loop: Header=BB95_7 Depth=1
	s_or_saveexec_b64 s[0:1], s[36:37]
	v_mul_f32_e64 v14, |v12|, s54
	v_rndne_f32_e32 v34, v14
	s_xor_b64 exec, exec, s[0:1]
; %bb.75:                               ;   in Loop: Header=BB95_7 Depth=1
	v_cvt_i32_f32_e32 v10, v34
	v_fma_f32 v11, v34, s55, |v12|
	v_fmac_f32_e32 v11, 0xb3a22168, v34
	v_fmac_f32_e32 v11, 0xa7c234c4, v34
; %bb.76:                               ;   in Loop: Header=BB95_7 Depth=1
	s_or_b64 exec, exec, s[0:1]
                                        ; implicit-def: $vgpr14
                                        ; implicit-def: $vgpr20
	s_and_saveexec_b64 s[0:1], s[34:35]
	s_xor_b64 s[34:35], exec, s[0:1]
	s_cbranch_execz .LBB95_78
; %bb.77:                               ;   in Loop: Header=BB95_7 Depth=1
	v_cmp_lt_u32_e32 vcc, 63, v18
	v_cndmask_b32_e32 v14, 0, v30, vcc
	v_add_u32_e32 v14, v14, v18
	v_cmp_lt_u32_e64 s[0:1], 31, v14
	v_cndmask_b32_e64 v18, 0, v31, s[0:1]
	v_add_u32_e32 v14, v18, v14
	v_cmp_lt_u32_e64 s[2:3], 31, v14
	v_cndmask_b32_e64 v18, 0, v31, s[2:3]
	v_mad_u64_u32 v[34:35], s[6:7], v13, s46, 0
	v_add_u32_e32 v18, v18, v14
	v_mov_b32_e32 v14, v35
	v_mad_u64_u32 v[36:37], s[6:7], v13, s47, v[14:15]
	v_mov_b32_e32 v14, v37
	v_mad_u64_u32 v[38:39], s[6:7], v13, s48, v[14:15]
	v_mov_b32_e32 v14, v39
	v_mad_u64_u32 v[40:41], s[6:7], v13, s49, v[14:15]
	v_mov_b32_e32 v14, v41
	v_mad_u64_u32 v[42:43], s[6:7], v13, s50, v[14:15]
	v_mov_b32_e32 v14, v43
	v_mad_u64_u32 v[44:45], s[6:7], v13, s51, v[14:15]
	v_mov_b32_e32 v14, v45
	v_mad_u64_u32 v[46:47], s[6:7], v13, s52, v[14:15]
	v_cndmask_b32_e32 v20, v44, v40, vcc
	v_cndmask_b32_e32 v13, v46, v42, vcc
	;; [unrolled: 1-line block ×3, first 2 shown]
	v_cndmask_b32_e64 v14, v13, v20, s[0:1]
	v_cndmask_b32_e64 v13, v35, v13, s[0:1]
	v_cndmask_b32_e32 v35, v42, v38, vcc
	v_cndmask_b32_e64 v20, v20, v35, s[0:1]
	v_sub_u32_e32 v37, 32, v18
	v_cmp_eq_u32_e64 s[6:7], 0, v18
	v_cndmask_b32_e32 v18, v40, v36, vcc
	v_cndmask_b32_e64 v13, v13, v14, s[2:3]
	v_cndmask_b32_e64 v14, v14, v20, s[2:3]
	;; [unrolled: 1-line block ×3, first 2 shown]
	v_alignbit_b32 v39, v13, v14, v37
	v_cndmask_b32_e64 v20, v20, v35, s[2:3]
	v_cndmask_b32_e64 v13, v39, v13, s[6:7]
	v_alignbit_b32 v36, v14, v20, v37
	v_cndmask_b32_e32 v34, v38, v34, vcc
	v_cndmask_b32_e64 v14, v36, v14, s[6:7]
	v_bfe_u32 v40, v13, 29, 1
	v_cndmask_b32_e64 v18, v18, v34, s[0:1]
	v_alignbit_b32 v36, v13, v14, 30
	v_sub_u32_e32 v41, 0, v40
	v_cndmask_b32_e64 v18, v35, v18, s[2:3]
	v_xor_b32_e32 v42, v36, v41
	v_alignbit_b32 v34, v20, v18, v37
	v_cndmask_b32_e64 v20, v34, v20, s[6:7]
	v_ffbh_u32_e32 v34, v42
	v_add_u32_e32 v34, 1, v34
	v_cmp_ne_u32_e32 vcc, v36, v41
	v_alignbit_b32 v14, v14, v20, 30
	v_cndmask_b32_e32 v34, 33, v34, vcc
	v_alignbit_b32 v18, v20, v18, 30
	v_xor_b32_e32 v14, v14, v41
	v_sub_u32_e32 v35, 32, v34
	v_xor_b32_e32 v18, v18, v41
	v_alignbit_b32 v36, v42, v14, v35
	v_alignbit_b32 v14, v14, v18, v35
	;; [unrolled: 1-line block ×3, first 2 shown]
	v_ffbh_u32_e32 v20, v18
	v_min_u32_e32 v20, 32, v20
	v_lshrrev_b32_e32 v39, 29, v13
	v_sub_u32_e32 v35, 31, v20
	v_alignbit_b32 v14, v18, v14, v35
	v_lshlrev_b32_e32 v18, 31, v39
	v_or_b32_e32 v35, 0x33800000, v18
	v_add_lshl_u32 v20, v20, v34, 23
	v_lshrrev_b32_e32 v14, 9, v14
	v_sub_u32_e32 v20, v35, v20
	v_or_b32_e32 v14, v20, v14
	v_alignbit_b32 v20, v34, v36, 9
	v_or_b32_e32 v18, v20, v18
	v_xor_b32_e32 v18, 1.0, v18
	v_mul_f32_e32 v20, 0x3fc90fda, v18
	v_fma_f32 v34, v18, s53, -v20
	v_fmac_f32_e32 v34, 0x33a22168, v18
	v_fmac_f32_e32 v34, 0x3fc90fda, v14
	v_lshrrev_b32_e32 v13, 30, v13
	v_add_f32_e32 v20, v20, v34
	v_add_u32_e32 v14, v40, v13
                                        ; implicit-def: $vgpr34
	s_andn2_saveexec_b64 s[0:1], s[34:35]
	s_cbranch_execnz .LBB95_79
	s_branch .LBB95_80
.LBB95_78:                              ;   in Loop: Header=BB95_7 Depth=1
	s_andn2_saveexec_b64 s[0:1], s[34:35]
.LBB95_79:                              ;   in Loop: Header=BB95_7 Depth=1
	v_cvt_i32_f32_e32 v14, v34
	v_fma_f32 v20, v34, s55, |v12|
	v_fmac_f32_e32 v20, 0xb3a22168, v34
	v_fmac_f32_e32 v20, 0xa7c234c4, v34
.LBB95_80:                              ;   in Loop: Header=BB95_7 Depth=1
	s_or_b64 exec, exec, s[0:1]
	v_mul_f32_e32 v13, v11, v11
	v_mov_b32_e32 v18, 0x3c0881c4
	v_fmac_f32_e32 v18, 0xb94c1982, v13
	v_fma_f32 v18, v13, v18, v27
	v_mul_f32_e32 v18, v13, v18
	v_fmac_f32_e32 v11, v11, v18
	v_mov_b32_e32 v18, 0xbab64f3b
	v_fmac_f32_e32 v18, 0x37d75334, v13
	v_fma_f32 v18, v13, v18, v28
	v_fma_f32 v18, v13, v18, v29
	v_fma_f32 v13, v13, v18, 1.0
	v_and_b32_e32 v18, 1, v10
	v_lshlrev_b32_e32 v10, 30, v10
	v_cmp_eq_u32_e32 vcc, 0, v18
	v_and_b32_e32 v10, 0x80000000, v10
	v_cndmask_b32_e32 v11, v13, v11, vcc
	v_xor_b32_e32 v8, v8, v10
	v_xor_b32_e32 v8, v8, v11
	v_mul_f32_e32 v10, v20, v20
	v_mov_b32_e32 v11, 0x3c0881c4
	v_fmac_f32_e32 v11, 0xb94c1982, v10
	v_fma_f32 v11, v10, v11, v27
	v_mul_f32_e32 v11, v10, v11
	v_fmac_f32_e32 v20, v20, v11
	v_mov_b32_e32 v11, 0xbab64f3b
	v_fmac_f32_e32 v11, 0x37d75334, v10
	v_fma_f32 v11, v10, v11, v28
	v_fma_f32 v11, v10, v11, v29
	v_fma_f32 v10, v10, v11, 1.0
	v_and_b32_e32 v11, 1, v14
	v_cmp_eq_u32_e32 vcc, 0, v11
	v_lshlrev_b32_e32 v11, 30, v14
	v_cndmask_b32_e64 v10, -v20, v10, vcc
	v_and_b32_e32 v11, 0x80000000, v11
	v_xor_b32_e32 v8, v8, v12
	v_xor_b32_e32 v10, v11, v10
	v_mul_f32_e32 v8, v8, v10
	v_cmp_class_f32_e64 vcc, v12, s43
	v_cndmask_b32_e32 v12, v33, v8, vcc
.LBB95_81:                              ;   in Loop: Header=BB95_7 Depth=1
	s_or_b64 exec, exec, s[30:31]
	v_add_u32_e32 v9, -2.0, v9
	v_bfi_b32 v8, s41, 0, v12
.LBB95_82:                              ;   in Loop: Header=BB95_7 Depth=1
	s_or_b64 exec, exec, s[28:29]
.LBB95_83:                              ;   in Loop: Header=BB95_7 Depth=1
	s_or_b64 exec, exec, s[26:27]
	s_waitcnt vmcnt(0)
	v_and_b32_e32 v18, 0x7fffffff, v3
	v_cmp_gt_u32_e32 vcc, s42, v18
                                        ; implicit-def: $vgpr10
                                        ; implicit-def: $vgpr11
	s_and_saveexec_b64 s[0:1], vcc
	s_xor_b64 s[26:27], exec, s[0:1]
	s_cbranch_execz .LBB95_105
; %bb.84:                               ;   in Loop: Header=BB95_7 Depth=1
	v_cmp_class_f32_e64 s[0:1], v2, s43
                                        ; implicit-def: $vgpr10
                                        ; implicit-def: $vgpr11
	s_and_saveexec_b64 s[2:3], s[0:1]
	s_xor_b64 s[28:29], exec, s[2:3]
	s_cbranch_execz .LBB95_102
; %bb.85:                               ;   in Loop: Header=BB95_7 Depth=1
	v_and_b32_e32 v12, 0x7fffffff, v2
	v_cmp_gt_u32_e32 vcc, s44, v18
                                        ; implicit-def: $vgpr10
                                        ; implicit-def: $vgpr11
	s_and_saveexec_b64 s[0:1], vcc
	s_xor_b64 s[30:31], exec, s[0:1]
	s_cbranch_execz .LBB95_91
; %bb.86:                               ;   in Loop: Header=BB95_7 Depth=1
	v_cmp_nlt_f32_e64 s[0:1], |v2|, s45
                                        ; implicit-def: $vgpr11
                                        ; implicit-def: $vgpr10
	s_and_saveexec_b64 s[2:3], s[0:1]
	s_xor_b64 s[34:35], exec, s[2:3]
	s_cbranch_execz .LBB95_88
; %bb.87:                               ;   in Loop: Header=BB95_7 Depth=1
	v_lshrrev_b32_e32 v10, 23, v12
	v_add_u32_e32 v10, 0xffffff88, v10
	v_cmp_lt_u32_e32 vcc, 63, v10
	v_cndmask_b32_e32 v11, 0, v30, vcc
	v_add_u32_e32 v10, v11, v10
	v_cmp_lt_u32_e64 s[0:1], 31, v10
	v_cndmask_b32_e64 v11, 0, v31, s[0:1]
	v_add_u32_e32 v10, v11, v10
	v_cmp_lt_u32_e64 s[2:3], 31, v10
	v_cndmask_b32_e64 v11, 0, v31, s[2:3]
	v_add_u32_e32 v13, v11, v10
	v_and_b32_e32 v10, 0x7fffff, v12
	v_or_b32_e32 v20, 0x800000, v10
	v_mad_u64_u32 v[10:11], s[6:7], v20, s46, 0
	v_mov_b32_e32 v14, v11
	v_mad_u64_u32 v[34:35], s[6:7], v20, s47, v[14:15]
	v_mov_b32_e32 v14, v35
	;; [unrolled: 2-line block ×6, first 2 shown]
	v_mad_u64_u32 v[44:45], s[6:7], v20, s52, v[14:15]
	v_cndmask_b32_e32 v11, v42, v38, vcc
	v_cndmask_b32_e32 v14, v44, v40, vcc
	;; [unrolled: 1-line block ×3, first 2 shown]
	v_cndmask_b32_e64 v20, v14, v11, s[0:1]
	v_cndmask_b32_e64 v14, v35, v14, s[0:1]
	v_cndmask_b32_e32 v35, v40, v36, vcc
	v_cndmask_b32_e64 v11, v11, v35, s[0:1]
	v_cndmask_b32_e64 v14, v14, v20, s[2:3]
	;; [unrolled: 1-line block ×3, first 2 shown]
	v_sub_u32_e32 v37, 32, v13
	v_alignbit_b32 v39, v14, v20, v37
	v_cmp_eq_u32_e64 s[6:7], 0, v13
	v_cndmask_b32_e64 v13, v39, v14, s[6:7]
	v_cndmask_b32_e32 v14, v38, v34, vcc
	v_cndmask_b32_e64 v34, v35, v14, s[0:1]
	v_cndmask_b32_e64 v11, v11, v34, s[2:3]
	v_cndmask_b32_e32 v10, v36, v10, vcc
	v_alignbit_b32 v35, v20, v11, v37
	v_cndmask_b32_e64 v10, v14, v10, s[0:1]
	v_cndmask_b32_e64 v20, v35, v20, s[6:7]
	v_bfe_u32 v39, v13, 29, 1
	v_cndmask_b32_e64 v10, v34, v10, s[2:3]
	v_alignbit_b32 v35, v13, v20, 30
	v_sub_u32_e32 v40, 0, v39
	v_alignbit_b32 v14, v11, v10, v37
	v_xor_b32_e32 v41, v35, v40
	v_cndmask_b32_e64 v11, v14, v11, s[6:7]
	v_alignbit_b32 v14, v20, v11, 30
	v_ffbh_u32_e32 v20, v41
	v_add_u32_e32 v20, 1, v20
	v_cmp_ne_u32_e32 vcc, v35, v40
	v_cndmask_b32_e32 v20, 33, v20, vcc
	v_alignbit_b32 v10, v11, v10, 30
	v_xor_b32_e32 v14, v14, v40
	v_sub_u32_e32 v34, 32, v20
	v_xor_b32_e32 v10, v10, v40
	v_alignbit_b32 v35, v41, v14, v34
	v_alignbit_b32 v10, v14, v10, v34
	v_alignbit_b32 v11, v35, v10, 9
	v_ffbh_u32_e32 v14, v11
	v_min_u32_e32 v14, 32, v14
	v_lshrrev_b32_e32 v38, 29, v13
	v_sub_u32_e32 v34, 31, v14
	v_alignbit_b32 v10, v11, v10, v34
	v_lshlrev_b32_e32 v11, 31, v38
	v_or_b32_e32 v34, 0x33800000, v11
	v_add_lshl_u32 v14, v14, v20, 23
	v_lshrrev_b32_e32 v10, 9, v10
	v_sub_u32_e32 v14, v34, v14
	v_or_b32_e32 v10, v14, v10
	v_alignbit_b32 v14, v20, v35, 9
	v_or_b32_e32 v11, v14, v11
	v_xor_b32_e32 v11, 1.0, v11
	v_mul_f32_e32 v14, 0x3fc90fda, v11
	v_fma_f32 v20, v11, s53, -v14
	v_fmac_f32_e32 v20, 0x33a22168, v11
	v_fmac_f32_e32 v20, 0x3fc90fda, v10
	v_lshrrev_b32_e32 v11, 30, v13
	v_add_f32_e32 v10, v14, v20
	v_add_u32_e32 v11, v39, v11
.LBB95_88:                              ;   in Loop: Header=BB95_7 Depth=1
	s_andn2_saveexec_b64 s[0:1], s[34:35]
; %bb.89:                               ;   in Loop: Header=BB95_7 Depth=1
	v_mul_f32_e64 v10, |v2|, s54
	v_rndne_f32_e32 v13, v10
	v_cvt_i32_f32_e32 v11, v13
	v_fma_f32 v10, v13, s55, |v2|
	v_fmac_f32_e32 v10, 0xb3a22168, v13
	v_fmac_f32_e32 v10, 0xa7c234c4, v13
; %bb.90:                               ;   in Loop: Header=BB95_7 Depth=1
	s_or_b64 exec, exec, s[0:1]
	v_mul_f32_e32 v13, v10, v10
	v_mov_b32_e32 v14, 0xbf039337
	v_fmac_f32_e32 v14, 0x3c971480, v13
	v_fma_f32 v14, v13, v14, v1
	v_rcp_f32_e32 v14, v14
	v_mov_b32_e32 v20, 0x3ec54587
	v_fmac_f32_e32 v20, 0xbc8cedd3, v13
	v_and_b32_e32 v11, 1, v11
	v_mul_f32_e32 v14, v20, v14
	v_mul_f32_e32 v13, v13, v14
	v_fma_f32 v14, v13, v10, v10
	v_rcp_f32_e32 v20, v14
	v_sub_f32_e32 v34, v14, v10
	v_fma_f32 v10, v13, v10, -v34
	v_cmp_eq_u32_e32 vcc, 0, v11
	v_fma_f32 v13, v14, -v20, 1.0
	v_fma_f32 v10, v10, -v20, v13
	v_fma_f32 v10, v10, -v20, -v20
	v_cndmask_b32_e32 v13, v10, v14, vcc
	v_add_f32_e64 v14, |v3|, s56
	v_sub_f32_e64 v11, v14, |v3|
	v_sub_f32_e32 v10, v11, v14
	v_pk_add_f32 v[10:11], v[18:19], v[10:11]
	v_sub_f32_e32 v10, v10, v11
	v_add_f32_e32 v10, 0x3102e308, v10
	v_add_f32_e32 v11, v14, v10
	v_sub_f32_e32 v14, v14, v11
	v_add_f32_e32 v10, v10, v14
	v_mul_f32_e32 v14, 0x3fb8aa3b, v11
	v_rndne_f32_e32 v14, v14
	v_fmac_f32_e32 v11, 0xbf317200, v14
	v_add_f32_e32 v18, v10, v11
	v_mul_f32_e32 v20, 0x35bfbc00, v14
	v_sub_f32_e32 v34, v18, v20
	v_sub_f32_e32 v11, v11, v18
	;; [unrolled: 1-line block ×3, first 2 shown]
	v_add_f32_e32 v10, v10, v11
	v_sub_f32_e32 v18, v18, v20
	v_add_f32_e32 v18, v10, v18
	v_add_f32_e32 v35, v34, v18
	v_mul_f32_e32 v11, 0x2ea39ef3, v14
	v_mov_b32_e32 v10, v35
	v_pk_add_f32 v[36:37], v[34:35], v[10:11] neg_lo:[0,1] neg_hi:[0,1]
	v_sub_f32_e32 v10, v35, v37
	v_sub_f32_e32 v10, v10, v11
	v_add_f32_e32 v11, v18, v36
	v_add_f32_e32 v10, v11, v10
	;; [unrolled: 1-line block ×3, first 2 shown]
	v_sub_f32_e32 v20, v37, v11
	v_mov_b32_e32 v18, 0x3c091de6
	v_add_f32_e32 v10, v10, v20
	v_mul_f32_e32 v34, v11, v11
	v_fmac_f32_e32 v18, 0x3ab42872, v11
	v_add_f32_e32 v20, v10, v10
	v_fma_f32 v35, v11, v11, -v34
	v_fma_f32 v18, v11, v18, v17
	v_fmac_f32_e32 v35, v11, v20
	v_fma_f32 v18, v11, v18, v24
	v_add_f32_e32 v20, v34, v35
	v_fma_f32 v18, v11, v18, v25
	v_sub_f32_e32 v34, v20, v34
	v_sub_f32_e32 v34, v35, v34
	v_mul_f32_e32 v35, v18, v20
	v_fma_f32 v20, v20, v18, -v35
	v_fmac_f32_e32 v20, v34, v18
	v_add_f32_e32 v18, v35, v20
	v_sub_f32_e32 v34, v18, v35
	v_sub_f32_e32 v34, v20, v34
	v_add_f32_e32 v20, v11, v18
	v_sub_f32_e32 v11, v20, v11
	v_sub_f32_e32 v11, v18, v11
	v_add_f32_e32 v10, v10, v34
	v_add_f32_e32 v10, v10, v11
	;; [unrolled: 1-line block ×3, first 2 shown]
	v_add_f32_e32 v35, 1.0, v34
	v_pk_add_f32 v[36:37], v[34:35], v[20:21] neg_lo:[0,1] neg_hi:[0,1]
	v_pk_add_f32 v[38:39], v[34:35], s[22:23]
	v_mov_b32_e32 v37, v39
	v_mov_b32_e32 v11, v34
	v_cvt_i32_f32_e32 v14, v14
	v_pk_add_f32 v[10:11], v[10:11], v[36:37] neg_lo:[0,1] neg_hi:[0,1]
	v_add_f32_e32 v10, v10, v11
	v_add_f32_e32 v11, v35, v10
	v_ldexp_f32 v18, v11, v14
	v_rcp_f32_e32 v20, v18
	v_sub_f32_e32 v11, v11, v35
	v_sub_f32_e32 v10, v10, v11
	v_ldexp_f32 v10, v10, v14
	v_mul_f32_e32 v11, v18, v20
	v_fma_f32 v14, v20, v18, -v11
	v_fmac_f32_e32 v14, v20, v10
	v_add_f32_e32 v34, v11, v14
	v_sub_f32_e32 v35, 1.0, v34
	v_sub_f32_e32 v36, 1.0, v35
	v_sub_f32_e32 v11, v34, v11
	v_sub_f32_e32 v36, v36, v34
	v_sub_f32_e32 v11, v11, v14
	v_add_f32_e32 v11, v11, v36
	v_add_f32_e32 v14, v35, v11
	v_mul_f32_e32 v34, v20, v14
	v_mul_f32_e32 v36, v18, v34
	v_fma_f32 v37, v34, v18, -v36
	v_fmac_f32_e32 v37, v34, v10
	v_sub_f32_e32 v35, v35, v14
	v_add_f32_e32 v11, v11, v35
	v_add_f32_e32 v35, v36, v37
	v_sub_f32_e32 v38, v14, v35
	v_sub_f32_e32 v14, v14, v38
	;; [unrolled: 1-line block ×4, first 2 shown]
	v_add_f32_e32 v11, v11, v14
	v_sub_f32_e32 v14, v36, v37
	v_add_f32_e32 v11, v14, v11
	v_add_f32_e32 v11, v38, v11
	v_add_f32_e32 v14, v20, v34
	v_mul_f32_e32 v11, v20, v11
	v_sub_f32_e32 v20, v14, v20
	v_sub_f32_e32 v20, v34, v20
	v_add_f32_e32 v11, v20, v11
	v_add_f32_e32 v20, v14, v11
	v_sub_f32_e32 v14, v20, v14
	v_sub_f32_e32 v11, v11, v14
	v_ldexp_f32 v14, v20, -2
	v_sub_f32_e32 v20, v18, v14
	v_sub_f32_e32 v18, v18, v20
	;; [unrolled: 1-line block ×3, first 2 shown]
	v_ldexp_f32 v11, v11, -2
	v_add_f32_e32 v10, v10, v14
	v_sub_f32_e32 v10, v10, v11
	v_add_f32_e32 v10, v20, v10
	v_cmp_ngt_f32_e64 vcc, |v3|, s57
	v_cndmask_b32_e32 v10, v32, v10, vcc
	v_cmp_lt_f32_e64 s[0:1], |v3|, s58
	v_cndmask_b32_e64 v10, v10, |v3|, s[0:1]
	v_xor_b32_e32 v11, 0x80000000, v3
	v_bfi_b32 v10, s41, v10, v11
	v_fma_f32 v11, v10, v10, 1.0
	v_mul_f32_e32 v14, 0x4f800000, v11
	v_cmp_gt_f32_e32 vcc, s59, v11
	v_cndmask_b32_e32 v11, v11, v14, vcc
	v_sqrt_f32_e32 v14, v11
	v_xor_b32_e32 v12, v12, v13
	v_xor_b32_e32 v12, v12, v2
	v_fma_f32 v13, v12, v12, 1.0
	v_add_u32_e32 v18, -1, v14
	v_fma_f32 v20, -v18, v14, v11
	v_cmp_ge_f32_e64 s[0:1], 0, v20
	v_add_u32_e32 v20, 1, v14
	v_cndmask_b32_e64 v18, v14, v18, s[0:1]
	v_fma_f32 v14, -v20, v14, v11
	v_cmp_lt_f32_e64 s[0:1], 0, v14
	v_cndmask_b32_e64 v14, v18, v20, s[0:1]
	v_mul_f32_e32 v18, 0x37800000, v14
	v_cndmask_b32_e32 v14, v14, v18, vcc
	v_cmp_class_f32_e32 vcc, v11, v26
	v_cndmask_b32_e32 v11, v14, v11, vcc
	v_mul_f32_e32 v14, v10, v13
	v_mul_f32_e32 v11, v11, v13
	v_fma_f32 v14, v10, v14, 1.0
	v_mul_f32_e32 v10, v10, v11
	v_div_scale_f32 v11, s[0:1], v14, v14, v10
	v_rcp_f32_e32 v13, v11
	v_fma_f32 v18, -v11, v13, 1.0
	v_fmac_f32_e32 v13, v18, v13
	v_div_scale_f32 v18, vcc, v10, v14, v10
	v_mul_f32_e32 v20, v18, v13
	v_fma_f32 v34, -v11, v20, v18
	v_fmac_f32_e32 v20, v34, v13
	v_fma_f32 v11, -v11, v20, v18
	v_div_scale_f32 v18, s[0:1], v14, v14, v12
	v_rcp_f32_e32 v34, v18
	v_div_fmas_f32 v11, v11, v13, v20
	v_div_fixup_f32 v11, v11, v14, v10
	v_fma_f32 v10, -v18, v34, 1.0
	v_fmac_f32_e32 v34, v10, v34
	v_div_scale_f32 v10, vcc, v12, v14, v12
	v_mul_f32_e32 v13, v10, v34
	v_fma_f32 v20, -v18, v13, v10
	v_fmac_f32_e32 v13, v20, v34
	v_fma_f32 v10, -v18, v13, v10
	v_div_fmas_f32 v10, v10, v34, v13
	v_div_fixup_f32 v10, v10, v14, v12
                                        ; implicit-def: $vgpr12
.LBB95_91:                              ;   in Loop: Header=BB95_7 Depth=1
	s_andn2_saveexec_b64 s[30:31], s[30:31]
	s_cbranch_execz .LBB95_101
; %bb.92:                               ;   in Loop: Header=BB95_7 Depth=1
	v_lshrrev_b32_e32 v10, 23, v12
	v_and_b32_e32 v11, 0x7fffff, v12
	v_cmp_nlt_f32_e64 s[34:35], |v2|, s45
	v_add_u32_e32 v18, 0xffffff88, v10
	v_or_b32_e32 v13, 0x800000, v11
                                        ; implicit-def: $vgpr10
                                        ; implicit-def: $vgpr11
	s_and_saveexec_b64 s[0:1], s[34:35]
	s_xor_b64 s[36:37], exec, s[0:1]
	s_cbranch_execz .LBB95_94
; %bb.93:                               ;   in Loop: Header=BB95_7 Depth=1
	v_cmp_lt_u32_e32 vcc, 63, v18
	v_cndmask_b32_e32 v10, 0, v30, vcc
	v_add_u32_e32 v10, v10, v18
	v_cmp_lt_u32_e64 s[0:1], 31, v10
	v_cndmask_b32_e64 v11, 0, v31, s[0:1]
	v_add_u32_e32 v10, v11, v10
	v_cmp_lt_u32_e64 s[2:3], 31, v10
	v_cndmask_b32_e64 v11, 0, v31, s[2:3]
	v_add_u32_e32 v20, v11, v10
	v_mad_u64_u32 v[10:11], s[6:7], v13, s46, 0
	v_mov_b32_e32 v14, v11
	v_mad_u64_u32 v[34:35], s[6:7], v13, s47, v[14:15]
	v_mov_b32_e32 v14, v35
	;; [unrolled: 2-line block ×6, first 2 shown]
	v_mad_u64_u32 v[44:45], s[6:7], v13, s52, v[14:15]
	v_cndmask_b32_e32 v11, v42, v38, vcc
	v_cndmask_b32_e32 v14, v44, v40, vcc
	;; [unrolled: 1-line block ×3, first 2 shown]
	v_cndmask_b32_e64 v35, v14, v11, s[0:1]
	v_cndmask_b32_e64 v14, v37, v14, s[0:1]
	v_cndmask_b32_e32 v37, v40, v36, vcc
	v_cndmask_b32_e64 v11, v11, v37, s[0:1]
	v_sub_u32_e32 v39, 32, v20
	v_cmp_eq_u32_e64 s[6:7], 0, v20
	v_cndmask_b32_e32 v20, v38, v34, vcc
	v_cndmask_b32_e64 v14, v14, v35, s[2:3]
	v_cndmask_b32_e64 v35, v35, v11, s[2:3]
	;; [unrolled: 1-line block ×3, first 2 shown]
	v_alignbit_b32 v40, v14, v35, v39
	v_cndmask_b32_e64 v11, v11, v34, s[2:3]
	v_cndmask_b32_e64 v14, v40, v14, s[6:7]
	v_alignbit_b32 v37, v35, v11, v39
	v_cndmask_b32_e64 v35, v37, v35, s[6:7]
	v_bfe_u32 v40, v14, 29, 1
	v_cndmask_b32_e32 v10, v36, v10, vcc
	v_alignbit_b32 v37, v14, v35, 30
	v_sub_u32_e32 v41, 0, v40
	v_cndmask_b32_e64 v10, v20, v10, s[0:1]
	v_xor_b32_e32 v42, v37, v41
	v_cndmask_b32_e64 v10, v34, v10, s[2:3]
	v_alignbit_b32 v20, v11, v10, v39
	v_ffbh_u32_e32 v34, v42
	v_cndmask_b32_e64 v11, v20, v11, s[6:7]
	v_add_u32_e32 v34, 1, v34
	v_cmp_ne_u32_e32 vcc, v37, v41
	v_alignbit_b32 v20, v35, v11, 30
	v_cndmask_b32_e32 v34, 33, v34, vcc
	v_alignbit_b32 v10, v11, v10, 30
	v_xor_b32_e32 v20, v20, v41
	v_sub_u32_e32 v35, 32, v34
	v_xor_b32_e32 v10, v10, v41
	v_alignbit_b32 v36, v42, v20, v35
	v_alignbit_b32 v10, v20, v10, v35
	;; [unrolled: 1-line block ×3, first 2 shown]
	v_ffbh_u32_e32 v20, v11
	v_min_u32_e32 v20, 32, v20
	v_lshrrev_b32_e32 v38, 29, v14
	v_sub_u32_e32 v35, 31, v20
	v_alignbit_b32 v10, v11, v10, v35
	v_lshlrev_b32_e32 v11, 31, v38
	v_or_b32_e32 v35, 0x33800000, v11
	v_add_lshl_u32 v20, v20, v34, 23
	v_lshrrev_b32_e32 v10, 9, v10
	v_sub_u32_e32 v20, v35, v20
	v_or_b32_e32 v10, v20, v10
	v_alignbit_b32 v20, v34, v36, 9
	v_or_b32_e32 v11, v20, v11
	v_xor_b32_e32 v11, 1.0, v11
	v_mul_f32_e32 v20, 0x3fc90fda, v11
	v_fma_f32 v34, v11, s53, -v20
	v_fmac_f32_e32 v34, 0x33a22168, v11
	v_fmac_f32_e32 v34, 0x3fc90fda, v10
	v_lshrrev_b32_e32 v10, 30, v14
	v_add_f32_e32 v11, v20, v34
	v_add_u32_e32 v10, v40, v10
	s_andn2_saveexec_b64 s[0:1], s[36:37]
	s_branch .LBB95_95
.LBB95_94:                              ;   in Loop: Header=BB95_7 Depth=1
	s_andn2_saveexec_b64 s[0:1], s[36:37]
.LBB95_95:                              ;   in Loop: Header=BB95_7 Depth=1
	v_mul_f32_e64 v10, |v2|, s54
	v_rndne_f32_e32 v14, v10
	v_cvt_i32_f32_e32 v10, v14
	v_fma_f32 v11, v14, s55, |v2|
	v_fmac_f32_e32 v11, 0xb3a22168, v14
	v_fmac_f32_e32 v11, 0xa7c234c4, v14
; %bb.96:                               ;   in Loop: Header=BB95_7 Depth=1
	s_or_b64 exec, exec, s[0:1]
                                        ; implicit-def: $vgpr14
                                        ; implicit-def: $vgpr20
	s_and_saveexec_b64 s[0:1], s[34:35]
	s_xor_b64 s[34:35], exec, s[0:1]
	s_cbranch_execz .LBB95_98
; %bb.97:                               ;   in Loop: Header=BB95_7 Depth=1
	v_cmp_lt_u32_e32 vcc, 63, v18
	v_cndmask_b32_e32 v14, 0, v30, vcc
	v_add_u32_e32 v14, v14, v18
	v_cmp_lt_u32_e64 s[0:1], 31, v14
	v_cndmask_b32_e64 v18, 0, v31, s[0:1]
	v_add_u32_e32 v14, v18, v14
	v_cmp_lt_u32_e64 s[2:3], 31, v14
	v_cndmask_b32_e64 v18, 0, v31, s[2:3]
	v_mad_u64_u32 v[34:35], s[6:7], v13, s46, 0
	v_add_u32_e32 v18, v18, v14
	v_mov_b32_e32 v14, v35
	v_mad_u64_u32 v[36:37], s[6:7], v13, s47, v[14:15]
	v_mov_b32_e32 v14, v37
	v_mad_u64_u32 v[38:39], s[6:7], v13, s48, v[14:15]
	v_mov_b32_e32 v14, v39
	v_mad_u64_u32 v[40:41], s[6:7], v13, s49, v[14:15]
	v_mov_b32_e32 v14, v41
	v_mad_u64_u32 v[42:43], s[6:7], v13, s50, v[14:15]
	v_mov_b32_e32 v14, v43
	v_mad_u64_u32 v[44:45], s[6:7], v13, s51, v[14:15]
	v_mov_b32_e32 v14, v45
	v_mad_u64_u32 v[46:47], s[6:7], v13, s52, v[14:15]
	v_cndmask_b32_e32 v20, v44, v40, vcc
	v_cndmask_b32_e32 v13, v46, v42, vcc
	v_cndmask_b32_e32 v35, v47, v44, vcc
	v_cndmask_b32_e64 v14, v13, v20, s[0:1]
	v_cndmask_b32_e64 v13, v35, v13, s[0:1]
	v_cndmask_b32_e32 v35, v42, v38, vcc
	v_cndmask_b32_e64 v20, v20, v35, s[0:1]
	v_sub_u32_e32 v37, 32, v18
	v_cmp_eq_u32_e64 s[6:7], 0, v18
	v_cndmask_b32_e32 v18, v40, v36, vcc
	v_cndmask_b32_e64 v13, v13, v14, s[2:3]
	v_cndmask_b32_e64 v14, v14, v20, s[2:3]
	;; [unrolled: 1-line block ×3, first 2 shown]
	v_alignbit_b32 v39, v13, v14, v37
	v_cndmask_b32_e64 v20, v20, v35, s[2:3]
	v_cndmask_b32_e64 v13, v39, v13, s[6:7]
	v_alignbit_b32 v36, v14, v20, v37
	v_cndmask_b32_e32 v34, v38, v34, vcc
	v_cndmask_b32_e64 v14, v36, v14, s[6:7]
	v_bfe_u32 v40, v13, 29, 1
	v_cndmask_b32_e64 v18, v18, v34, s[0:1]
	v_alignbit_b32 v36, v13, v14, 30
	v_sub_u32_e32 v41, 0, v40
	v_cndmask_b32_e64 v18, v35, v18, s[2:3]
	v_xor_b32_e32 v42, v36, v41
	v_alignbit_b32 v34, v20, v18, v37
	v_cndmask_b32_e64 v20, v34, v20, s[6:7]
	v_ffbh_u32_e32 v34, v42
	v_add_u32_e32 v34, 1, v34
	v_cmp_ne_u32_e32 vcc, v36, v41
	v_alignbit_b32 v14, v14, v20, 30
	v_cndmask_b32_e32 v34, 33, v34, vcc
	v_alignbit_b32 v18, v20, v18, 30
	v_xor_b32_e32 v14, v14, v41
	v_sub_u32_e32 v35, 32, v34
	v_xor_b32_e32 v18, v18, v41
	v_alignbit_b32 v36, v42, v14, v35
	v_alignbit_b32 v14, v14, v18, v35
	;; [unrolled: 1-line block ×3, first 2 shown]
	v_ffbh_u32_e32 v20, v18
	v_min_u32_e32 v20, 32, v20
	v_lshrrev_b32_e32 v39, 29, v13
	v_sub_u32_e32 v35, 31, v20
	v_alignbit_b32 v14, v18, v14, v35
	v_lshlrev_b32_e32 v18, 31, v39
	v_or_b32_e32 v35, 0x33800000, v18
	v_add_lshl_u32 v20, v20, v34, 23
	v_lshrrev_b32_e32 v14, 9, v14
	v_sub_u32_e32 v20, v35, v20
	v_or_b32_e32 v14, v20, v14
	v_alignbit_b32 v20, v34, v36, 9
	v_or_b32_e32 v18, v20, v18
	v_xor_b32_e32 v18, 1.0, v18
	v_mul_f32_e32 v20, 0x3fc90fda, v18
	v_fma_f32 v34, v18, s53, -v20
	v_fmac_f32_e32 v34, 0x33a22168, v18
	v_fmac_f32_e32 v34, 0x3fc90fda, v14
	v_lshrrev_b32_e32 v13, 30, v13
	v_add_f32_e32 v20, v20, v34
	v_add_u32_e32 v14, v40, v13
	s_andn2_saveexec_b64 s[0:1], s[34:35]
	s_cbranch_execnz .LBB95_99
	s_branch .LBB95_100
.LBB95_98:                              ;   in Loop: Header=BB95_7 Depth=1
	s_andn2_saveexec_b64 s[0:1], s[34:35]
.LBB95_99:                              ;   in Loop: Header=BB95_7 Depth=1
	v_mul_f32_e64 v13, |v2|, s54
	v_rndne_f32_e32 v13, v13
	v_cvt_i32_f32_e32 v14, v13
	v_fma_f32 v20, v13, s55, |v2|
	v_fmac_f32_e32 v20, 0xb3a22168, v13
	v_fmac_f32_e32 v20, 0xa7c234c4, v13
.LBB95_100:                             ;   in Loop: Header=BB95_7 Depth=1
	s_or_b64 exec, exec, s[0:1]
	v_mul_f32_e32 v13, v11, v11
	v_mov_b32_e32 v18, 0x3c0881c4
	v_fmac_f32_e32 v18, 0xb94c1982, v13
	v_fma_f32 v18, v13, v18, v27
	v_mul_f32_e32 v18, v13, v18
	v_fmac_f32_e32 v11, v11, v18
	v_mov_b32_e32 v18, 0xbab64f3b
	v_fmac_f32_e32 v18, 0x37d75334, v13
	v_fma_f32 v18, v13, v18, v28
	v_fma_f32 v18, v13, v18, v29
	v_fma_f32 v13, v13, v18, 1.0
	v_and_b32_e32 v18, 1, v10
	v_lshlrev_b32_e32 v10, 30, v10
	v_and_b32_e32 v10, 0x80000000, v10
	v_cmp_eq_u32_e32 vcc, 0, v18
	v_xor_b32_e32 v10, v12, v10
	v_mul_f32_e64 v12, |v3|, s60
	v_cndmask_b32_e32 v11, v13, v11, vcc
	v_rndne_f32_e32 v13, v12
	v_sub_f32_e32 v18, v12, v13
	v_fma_f32 v12, |v3|, s60, -v12
	v_fma_f32 v12, |v3|, s61, v12
	v_add_f32_e32 v12, v18, v12
	v_exp_f32_e32 v12, v12
	v_cvt_i32_f32_e32 v13, v13
	v_xor_b32_e32 v10, v10, v11
	v_mov_b32_e32 v18, 0x3c0881c4
	v_cmp_ngt_f32_e64 vcc, |v3|, s62
	v_ldexp_f32 v11, v12, v13
	v_mul_f32_e32 v13, v20, v20
	v_fmac_f32_e32 v18, 0xb94c1982, v13
	v_fma_f32 v18, v13, v18, v27
	v_mul_f32_e32 v18, v13, v18
	v_fmac_f32_e32 v20, v20, v18
	v_mov_b32_e32 v18, 0xbab64f3b
	v_fmac_f32_e32 v18, 0x37d75334, v13
	v_fma_f32 v18, v13, v18, v28
	v_fma_f32 v18, v13, v18, v29
	v_cndmask_b32_e32 v11, 0, v11, vcc
	v_cmp_nlt_f32_e64 vcc, |v3|, s63
	v_fma_f32 v13, v13, v18, 1.0
	v_and_b32_e32 v18, 1, v14
	v_cndmask_b32_e32 v12, v32, v11, vcc
	v_cmp_eq_u32_e32 vcc, 0, v18
	v_lshlrev_b32_e32 v14, 30, v14
	v_xor_b32_e32 v10, v10, v2
	v_cndmask_b32_e64 v13, -v20, v13, vcc
	v_and_b32_e32 v14, 0x80000000, v14
	v_mul_f32_e32 v10, 4.0, v10
	v_xor_b32_e32 v13, v14, v13
	v_mul_f32_e32 v10, v10, v13
	v_xor_b32_e32 v11, 0x80000000, v3
	v_mul_f32_e32 v10, v12, v10
	v_bfi_b32 v11, s41, 1.0, v11
	v_mul_f32_e32 v10, v12, v10
.LBB95_101:                             ;   in Loop: Header=BB95_7 Depth=1
	s_or_b64 exec, exec, s[30:31]
.LBB95_102:                             ;   in Loop: Header=BB95_7 Depth=1
	s_andn2_saveexec_b64 s[0:1], s[28:29]
; %bb.103:                              ;   in Loop: Header=BB95_7 Depth=1
	v_sub_f32_e32 v10, v2, v2
	v_mov_b32_e32 v11, v10
; %bb.104:                              ;   in Loop: Header=BB95_7 Depth=1
	s_or_b64 exec, exec, s[0:1]
.LBB95_105:                             ;   in Loop: Header=BB95_7 Depth=1
	s_andn2_saveexec_b64 s[26:27], s[26:27]
	s_cbranch_execz .LBB95_121
; %bb.106:                              ;   in Loop: Header=BB95_7 Depth=1
	v_xor_b32_e32 v11, 0x80000000, v3
	v_and_b32_e32 v10, 0x7fffff, v11
	v_cmp_ne_u32_e32 vcc, 0, v10
                                        ; implicit-def: $vgpr10
	s_and_saveexec_b64 s[0:1], vcc
	s_xor_b64 s[0:1], exec, s[0:1]
; %bb.107:                              ;   in Loop: Header=BB95_7 Depth=1
	v_mul_f32_e64 v3, v2, -v3
	v_cmp_eq_f32_e32 vcc, 0, v2
	v_cndmask_b32_e32 v10, v3, v2, vcc
; %bb.108:                              ;   in Loop: Header=BB95_7 Depth=1
	s_andn2_saveexec_b64 s[28:29], s[0:1]
	s_cbranch_execz .LBB95_120
; %bb.109:                              ;   in Loop: Header=BB95_7 Depth=1
	v_cmp_neq_f32_e64 s[0:1], |v2|, s42
	s_and_saveexec_b64 s[30:31], s[0:1]
	s_cbranch_execz .LBB95_119
; %bb.110:                              ;   in Loop: Header=BB95_7 Depth=1
	v_and_b32_e32 v3, 0x7fffffff, v2
	v_lshrrev_b32_e32 v10, 23, v3
	v_and_b32_e32 v12, 0x7fffff, v3
	v_cmp_nlt_f32_e64 s[34:35], |v2|, s45
	v_add_u32_e32 v18, 0xffffff88, v10
	v_or_b32_e32 v13, 0x800000, v12
                                        ; implicit-def: $vgpr10
                                        ; implicit-def: $vgpr12
	s_and_saveexec_b64 s[0:1], s[34:35]
	s_xor_b64 s[36:37], exec, s[0:1]
	s_cbranch_execz .LBB95_112
; %bb.111:                              ;   in Loop: Header=BB95_7 Depth=1
	v_mad_u64_u32 v[34:35], s[6:7], v13, s46, 0
	v_mov_b32_e32 v14, v35
	v_mad_u64_u32 v[36:37], s[6:7], v13, s47, v[14:15]
	v_mov_b32_e32 v14, v37
	v_mad_u64_u32 v[38:39], s[6:7], v13, s48, v[14:15]
	v_cmp_lt_u32_e32 vcc, 63, v18
	v_mov_b32_e32 v14, v39
	v_cndmask_b32_e32 v10, 0, v30, vcc
	v_mad_u64_u32 v[40:41], s[6:7], v13, s49, v[14:15]
	v_add_u32_e32 v10, v10, v18
	v_mov_b32_e32 v14, v41
	v_cmp_lt_u32_e64 s[0:1], 31, v10
	v_mad_u64_u32 v[42:43], s[6:7], v13, s50, v[14:15]
	v_cndmask_b32_e64 v12, 0, v31, s[0:1]
	v_mov_b32_e32 v14, v43
	v_add_u32_e32 v10, v12, v10
	v_mad_u64_u32 v[44:45], s[6:7], v13, s51, v[14:15]
	v_cmp_lt_u32_e64 s[2:3], 31, v10
	v_mov_b32_e32 v14, v45
	v_cndmask_b32_e64 v12, 0, v31, s[2:3]
	v_mad_u64_u32 v[46:47], s[6:7], v13, s52, v[14:15]
	v_add_u32_e32 v10, v12, v10
	v_cndmask_b32_e32 v12, v44, v40, vcc
	v_cndmask_b32_e32 v14, v46, v42, vcc
	;; [unrolled: 1-line block ×3, first 2 shown]
	v_cndmask_b32_e64 v20, v14, v12, s[0:1]
	v_cndmask_b32_e64 v14, v35, v14, s[0:1]
	v_cndmask_b32_e32 v35, v42, v38, vcc
	v_cndmask_b32_e64 v12, v12, v35, s[0:1]
	v_cndmask_b32_e64 v14, v14, v20, s[2:3]
	;; [unrolled: 1-line block ×3, first 2 shown]
	v_sub_u32_e32 v37, 32, v10
	v_alignbit_b32 v39, v14, v20, v37
	v_cmp_eq_u32_e64 s[6:7], 0, v10
	v_cndmask_b32_e64 v10, v39, v14, s[6:7]
	v_cndmask_b32_e32 v14, v40, v36, vcc
	v_cndmask_b32_e64 v35, v35, v14, s[0:1]
	v_cndmask_b32_e64 v12, v12, v35, s[2:3]
	v_alignbit_b32 v36, v20, v12, v37
	v_cndmask_b32_e32 v34, v38, v34, vcc
	v_cndmask_b32_e64 v20, v36, v20, s[6:7]
	v_bfe_u32 v40, v10, 29, 1
	v_cndmask_b32_e64 v14, v14, v34, s[0:1]
	v_alignbit_b32 v36, v10, v20, 30
	v_sub_u32_e32 v41, 0, v40
	v_cndmask_b32_e64 v14, v35, v14, s[2:3]
	v_xor_b32_e32 v42, v36, v41
	v_alignbit_b32 v34, v12, v14, v37
	v_cndmask_b32_e64 v12, v34, v12, s[6:7]
	v_ffbh_u32_e32 v34, v42
	v_add_u32_e32 v34, 1, v34
	v_cmp_ne_u32_e32 vcc, v36, v41
	v_alignbit_b32 v20, v20, v12, 30
	v_cndmask_b32_e32 v34, 33, v34, vcc
	v_alignbit_b32 v12, v12, v14, 30
	v_xor_b32_e32 v20, v20, v41
	v_sub_u32_e32 v35, 32, v34
	v_xor_b32_e32 v12, v12, v41
	v_alignbit_b32 v36, v42, v20, v35
	v_alignbit_b32 v12, v20, v12, v35
	;; [unrolled: 1-line block ×3, first 2 shown]
	v_ffbh_u32_e32 v20, v14
	v_min_u32_e32 v20, 32, v20
	v_lshrrev_b32_e32 v39, 29, v10
	v_sub_u32_e32 v35, 31, v20
	v_alignbit_b32 v12, v14, v12, v35
	v_lshlrev_b32_e32 v14, 31, v39
	v_or_b32_e32 v35, 0x33800000, v14
	v_add_lshl_u32 v20, v20, v34, 23
	v_lshrrev_b32_e32 v12, 9, v12
	v_sub_u32_e32 v20, v35, v20
	v_or_b32_e32 v12, v20, v12
	v_alignbit_b32 v20, v34, v36, 9
	v_or_b32_e32 v14, v20, v14
	v_xor_b32_e32 v14, 1.0, v14
	v_mul_f32_e32 v20, 0x3fc90fda, v14
	v_fma_f32 v34, v14, s53, -v20
	v_fmac_f32_e32 v34, 0x33a22168, v14
	v_fmac_f32_e32 v34, 0x3fc90fda, v12
	v_lshrrev_b32_e32 v10, 30, v10
	v_add_f32_e32 v12, v20, v34
	v_add_u32_e32 v10, v40, v10
.LBB95_112:                             ;   in Loop: Header=BB95_7 Depth=1
	s_or_saveexec_b64 s[0:1], s[36:37]
	v_mul_f32_e64 v14, |v2|, s54
	v_rndne_f32_e32 v34, v14
	s_xor_b64 exec, exec, s[0:1]
; %bb.113:                              ;   in Loop: Header=BB95_7 Depth=1
	v_cvt_i32_f32_e32 v10, v34
	v_fma_f32 v12, v34, s55, |v2|
	v_fmac_f32_e32 v12, 0xb3a22168, v34
	v_fmac_f32_e32 v12, 0xa7c234c4, v34
; %bb.114:                              ;   in Loop: Header=BB95_7 Depth=1
	s_or_b64 exec, exec, s[0:1]
                                        ; implicit-def: $vgpr14
                                        ; implicit-def: $vgpr20
	s_and_saveexec_b64 s[0:1], s[34:35]
	s_xor_b64 s[34:35], exec, s[0:1]
	s_cbranch_execz .LBB95_116
; %bb.115:                              ;   in Loop: Header=BB95_7 Depth=1
	v_cmp_lt_u32_e32 vcc, 63, v18
	v_cndmask_b32_e32 v14, 0, v30, vcc
	v_add_u32_e32 v14, v14, v18
	v_cmp_lt_u32_e64 s[0:1], 31, v14
	v_cndmask_b32_e64 v18, 0, v31, s[0:1]
	v_add_u32_e32 v14, v18, v14
	v_cmp_lt_u32_e64 s[2:3], 31, v14
	v_cndmask_b32_e64 v18, 0, v31, s[2:3]
	v_mad_u64_u32 v[34:35], s[6:7], v13, s46, 0
	v_add_u32_e32 v18, v18, v14
	v_mov_b32_e32 v14, v35
	v_mad_u64_u32 v[36:37], s[6:7], v13, s47, v[14:15]
	v_mov_b32_e32 v14, v37
	v_mad_u64_u32 v[38:39], s[6:7], v13, s48, v[14:15]
	;; [unrolled: 2-line block ×6, first 2 shown]
	v_cndmask_b32_e32 v20, v44, v40, vcc
	v_cndmask_b32_e32 v13, v46, v42, vcc
	;; [unrolled: 1-line block ×3, first 2 shown]
	v_cndmask_b32_e64 v14, v13, v20, s[0:1]
	v_cndmask_b32_e64 v13, v35, v13, s[0:1]
	v_cndmask_b32_e32 v35, v42, v38, vcc
	v_cndmask_b32_e64 v20, v20, v35, s[0:1]
	v_sub_u32_e32 v37, 32, v18
	v_cmp_eq_u32_e64 s[6:7], 0, v18
	v_cndmask_b32_e32 v18, v40, v36, vcc
	v_cndmask_b32_e64 v13, v13, v14, s[2:3]
	v_cndmask_b32_e64 v14, v14, v20, s[2:3]
	;; [unrolled: 1-line block ×3, first 2 shown]
	v_alignbit_b32 v39, v13, v14, v37
	v_cndmask_b32_e64 v20, v20, v35, s[2:3]
	v_cndmask_b32_e64 v13, v39, v13, s[6:7]
	v_alignbit_b32 v36, v14, v20, v37
	v_cndmask_b32_e32 v34, v38, v34, vcc
	v_cndmask_b32_e64 v14, v36, v14, s[6:7]
	v_bfe_u32 v40, v13, 29, 1
	v_cndmask_b32_e64 v18, v18, v34, s[0:1]
	v_alignbit_b32 v36, v13, v14, 30
	v_sub_u32_e32 v41, 0, v40
	v_cndmask_b32_e64 v18, v35, v18, s[2:3]
	v_xor_b32_e32 v42, v36, v41
	v_alignbit_b32 v34, v20, v18, v37
	v_cndmask_b32_e64 v20, v34, v20, s[6:7]
	v_ffbh_u32_e32 v34, v42
	v_add_u32_e32 v34, 1, v34
	v_cmp_ne_u32_e32 vcc, v36, v41
	v_alignbit_b32 v14, v14, v20, 30
	v_cndmask_b32_e32 v34, 33, v34, vcc
	v_alignbit_b32 v18, v20, v18, 30
	v_xor_b32_e32 v14, v14, v41
	v_sub_u32_e32 v35, 32, v34
	v_xor_b32_e32 v18, v18, v41
	v_alignbit_b32 v36, v42, v14, v35
	v_alignbit_b32 v14, v14, v18, v35
	;; [unrolled: 1-line block ×3, first 2 shown]
	v_ffbh_u32_e32 v20, v18
	v_min_u32_e32 v20, 32, v20
	v_lshrrev_b32_e32 v39, 29, v13
	v_sub_u32_e32 v35, 31, v20
	v_alignbit_b32 v14, v18, v14, v35
	v_lshlrev_b32_e32 v18, 31, v39
	v_or_b32_e32 v35, 0x33800000, v18
	v_add_lshl_u32 v20, v20, v34, 23
	v_lshrrev_b32_e32 v14, 9, v14
	v_sub_u32_e32 v20, v35, v20
	v_or_b32_e32 v14, v20, v14
	v_alignbit_b32 v20, v34, v36, 9
	v_or_b32_e32 v18, v20, v18
	v_xor_b32_e32 v18, 1.0, v18
	v_mul_f32_e32 v20, 0x3fc90fda, v18
	v_fma_f32 v34, v18, s53, -v20
	v_fmac_f32_e32 v34, 0x33a22168, v18
	v_fmac_f32_e32 v34, 0x3fc90fda, v14
	v_lshrrev_b32_e32 v13, 30, v13
	v_add_f32_e32 v20, v20, v34
	v_add_u32_e32 v14, v40, v13
                                        ; implicit-def: $vgpr34
	s_andn2_saveexec_b64 s[0:1], s[34:35]
	s_cbranch_execnz .LBB95_117
	s_branch .LBB95_118
.LBB95_116:                             ;   in Loop: Header=BB95_7 Depth=1
	s_andn2_saveexec_b64 s[0:1], s[34:35]
.LBB95_117:                             ;   in Loop: Header=BB95_7 Depth=1
	v_cvt_i32_f32_e32 v14, v34
	v_fma_f32 v20, v34, s55, |v2|
	v_fmac_f32_e32 v20, 0xb3a22168, v34
	v_fmac_f32_e32 v20, 0xa7c234c4, v34
.LBB95_118:                             ;   in Loop: Header=BB95_7 Depth=1
	s_or_b64 exec, exec, s[0:1]
	v_mul_f32_e32 v13, v12, v12
	v_mov_b32_e32 v18, 0x3c0881c4
	v_fmac_f32_e32 v18, 0xb94c1982, v13
	v_fma_f32 v18, v13, v18, v27
	v_mul_f32_e32 v18, v13, v18
	v_fmac_f32_e32 v12, v12, v18
	v_mov_b32_e32 v18, 0xbab64f3b
	v_fmac_f32_e32 v18, 0x37d75334, v13
	v_fma_f32 v18, v13, v18, v28
	v_fma_f32 v18, v13, v18, v29
	v_fma_f32 v13, v13, v18, 1.0
	v_and_b32_e32 v18, 1, v10
	v_lshlrev_b32_e32 v10, 30, v10
	v_cmp_eq_u32_e32 vcc, 0, v18
	v_and_b32_e32 v10, 0x80000000, v10
	v_cndmask_b32_e32 v12, v13, v12, vcc
	v_xor_b32_e32 v3, v3, v10
	v_xor_b32_e32 v3, v3, v12
	v_mul_f32_e32 v10, v20, v20
	v_mov_b32_e32 v12, 0x3c0881c4
	v_fmac_f32_e32 v12, 0xb94c1982, v10
	v_fma_f32 v12, v10, v12, v27
	v_mul_f32_e32 v12, v10, v12
	v_fmac_f32_e32 v20, v20, v12
	v_mov_b32_e32 v12, 0xbab64f3b
	v_fmac_f32_e32 v12, 0x37d75334, v10
	v_fma_f32 v12, v10, v12, v28
	v_fma_f32 v12, v10, v12, v29
	v_fma_f32 v10, v10, v12, 1.0
	v_and_b32_e32 v12, 1, v14
	v_cmp_eq_u32_e32 vcc, 0, v12
	v_lshlrev_b32_e32 v12, 30, v14
	v_cndmask_b32_e64 v10, -v20, v10, vcc
	v_and_b32_e32 v12, 0x80000000, v12
	v_xor_b32_e32 v3, v3, v2
	v_xor_b32_e32 v10, v12, v10
	v_mul_f32_e32 v3, v3, v10
	v_cmp_class_f32_e64 vcc, v2, s43
	v_cndmask_b32_e32 v2, v33, v3, vcc
.LBB95_119:                             ;   in Loop: Header=BB95_7 Depth=1
	s_or_b64 exec, exec, s[30:31]
	v_add_u32_e32 v11, -2.0, v11
	v_bfi_b32 v10, s41, 0, v2
.LBB95_120:                             ;   in Loop: Header=BB95_7 Depth=1
	s_or_b64 exec, exec, s[28:29]
.LBB95_121:                             ;   in Loop: Header=BB95_7 Depth=1
	s_or_b64 exec, exec, s[26:27]
	v_and_b32_e32 v18, 0x7fffffff, v5
	v_cmp_gt_u32_e32 vcc, s42, v18
                                        ; implicit-def: $vgpr13
	s_and_saveexec_b64 s[0:1], vcc
	s_xor_b64 s[26:27], exec, s[0:1]
	s_cbranch_execz .LBB95_143
; %bb.122:                              ;   in Loop: Header=BB95_7 Depth=1
	v_cmp_class_f32_e64 s[0:1], v4, s43
                                        ; implicit-def: $vgpr13
	s_and_saveexec_b64 s[2:3], s[0:1]
	s_xor_b64 s[28:29], exec, s[2:3]
	s_cbranch_execz .LBB95_140
; %bb.123:                              ;   in Loop: Header=BB95_7 Depth=1
	v_and_b32_e32 v2, 0x7fffffff, v4
	v_cmp_gt_u32_e32 vcc, s44, v18
                                        ; implicit-def: $vgpr13
	s_and_saveexec_b64 s[0:1], vcc
	s_xor_b64 s[30:31], exec, s[0:1]
	s_cbranch_execz .LBB95_129
; %bb.124:                              ;   in Loop: Header=BB95_7 Depth=1
	v_cmp_nlt_f32_e64 s[0:1], |v4|, s45
                                        ; implicit-def: $vgpr12
                                        ; implicit-def: $vgpr3
	s_and_saveexec_b64 s[2:3], s[0:1]
	s_xor_b64 s[34:35], exec, s[2:3]
	s_cbranch_execz .LBB95_126
; %bb.125:                              ;   in Loop: Header=BB95_7 Depth=1
	v_lshrrev_b32_e32 v3, 23, v2
	v_add_u32_e32 v3, 0xffffff88, v3
	v_cmp_lt_u32_e32 vcc, 63, v3
	v_cndmask_b32_e32 v12, 0, v30, vcc
	v_add_u32_e32 v3, v12, v3
	v_cmp_lt_u32_e64 s[0:1], 31, v3
	v_cndmask_b32_e64 v12, 0, v31, s[0:1]
	v_add_u32_e32 v3, v12, v3
	v_cmp_lt_u32_e64 s[2:3], 31, v3
	v_cndmask_b32_e64 v12, 0, v31, s[2:3]
	v_add_u32_e32 v3, v12, v3
	v_and_b32_e32 v12, 0x7fffff, v2
	v_or_b32_e32 v20, 0x800000, v12
	v_mad_u64_u32 v[12:13], s[6:7], v20, s46, 0
	v_mov_b32_e32 v14, v13
	v_mad_u64_u32 v[34:35], s[6:7], v20, s47, v[14:15]
	v_mov_b32_e32 v14, v35
	;; [unrolled: 2-line block ×6, first 2 shown]
	v_mad_u64_u32 v[44:45], s[6:7], v20, s52, v[14:15]
	v_cndmask_b32_e32 v13, v42, v38, vcc
	v_cndmask_b32_e32 v14, v44, v40, vcc
	;; [unrolled: 1-line block ×3, first 2 shown]
	v_cndmask_b32_e64 v20, v14, v13, s[0:1]
	v_cndmask_b32_e64 v14, v35, v14, s[0:1]
	v_cndmask_b32_e32 v35, v40, v36, vcc
	v_cndmask_b32_e64 v13, v13, v35, s[0:1]
	v_sub_u32_e32 v37, 32, v3
	v_cmp_eq_u32_e64 s[6:7], 0, v3
	v_cndmask_b32_e32 v3, v38, v34, vcc
	v_cndmask_b32_e64 v14, v14, v20, s[2:3]
	v_cndmask_b32_e64 v20, v20, v13, s[2:3]
	;; [unrolled: 1-line block ×3, first 2 shown]
	v_alignbit_b32 v39, v14, v20, v37
	v_cndmask_b32_e64 v13, v13, v34, s[2:3]
	v_cndmask_b32_e32 v12, v36, v12, vcc
	v_cndmask_b32_e64 v14, v39, v14, s[6:7]
	v_alignbit_b32 v35, v20, v13, v37
	v_cndmask_b32_e64 v3, v3, v12, s[0:1]
	v_cndmask_b32_e64 v20, v35, v20, s[6:7]
	v_bfe_u32 v39, v14, 29, 1
	v_cndmask_b32_e64 v3, v34, v3, s[2:3]
	v_alignbit_b32 v35, v14, v20, 30
	v_sub_u32_e32 v40, 0, v39
	v_alignbit_b32 v12, v13, v3, v37
	v_xor_b32_e32 v41, v35, v40
	v_cndmask_b32_e64 v12, v12, v13, s[6:7]
	v_alignbit_b32 v13, v20, v12, 30
	v_ffbh_u32_e32 v20, v41
	v_add_u32_e32 v20, 1, v20
	v_cmp_ne_u32_e32 vcc, v35, v40
	v_cndmask_b32_e32 v20, 33, v20, vcc
	v_alignbit_b32 v3, v12, v3, 30
	v_xor_b32_e32 v13, v13, v40
	v_sub_u32_e32 v34, 32, v20
	v_xor_b32_e32 v3, v3, v40
	v_alignbit_b32 v35, v41, v13, v34
	v_alignbit_b32 v3, v13, v3, v34
	;; [unrolled: 1-line block ×3, first 2 shown]
	v_ffbh_u32_e32 v13, v12
	v_min_u32_e32 v13, 32, v13
	v_lshrrev_b32_e32 v38, 29, v14
	v_sub_u32_e32 v34, 31, v13
	v_alignbit_b32 v3, v12, v3, v34
	v_lshlrev_b32_e32 v12, 31, v38
	v_or_b32_e32 v34, 0x33800000, v12
	v_add_lshl_u32 v13, v13, v20, 23
	v_lshrrev_b32_e32 v3, 9, v3
	v_sub_u32_e32 v13, v34, v13
	v_or_b32_e32 v3, v13, v3
	v_alignbit_b32 v13, v20, v35, 9
	v_or_b32_e32 v12, v13, v12
	v_xor_b32_e32 v12, 1.0, v12
	v_mul_f32_e32 v13, 0x3fc90fda, v12
	v_fma_f32 v20, v12, s53, -v13
	v_fmac_f32_e32 v20, 0x33a22168, v12
	v_fmac_f32_e32 v20, 0x3fc90fda, v3
	v_lshrrev_b32_e32 v12, 30, v14
	v_add_f32_e32 v3, v13, v20
	v_add_u32_e32 v12, v39, v12
.LBB95_126:                             ;   in Loop: Header=BB95_7 Depth=1
	s_andn2_saveexec_b64 s[0:1], s[34:35]
; %bb.127:                              ;   in Loop: Header=BB95_7 Depth=1
	v_mul_f32_e64 v3, |v4|, s54
	v_rndne_f32_e32 v13, v3
	v_cvt_i32_f32_e32 v12, v13
	v_fma_f32 v3, v13, s55, |v4|
	v_fmac_f32_e32 v3, 0xb3a22168, v13
	v_fmac_f32_e32 v3, 0xa7c234c4, v13
; %bb.128:                              ;   in Loop: Header=BB95_7 Depth=1
	s_or_b64 exec, exec, s[0:1]
	v_mul_f32_e32 v13, v3, v3
	v_mov_b32_e32 v14, 0xbf039337
	v_fmac_f32_e32 v14, 0x3c971480, v13
	v_fma_f32 v14, v13, v14, v1
	v_rcp_f32_e32 v14, v14
	v_mov_b32_e32 v20, 0x3ec54587
	v_fmac_f32_e32 v20, 0xbc8cedd3, v13
	v_and_b32_e32 v12, 1, v12
	v_mul_f32_e32 v14, v20, v14
	v_mul_f32_e32 v13, v13, v14
	v_fma_f32 v14, v13, v3, v3
	v_rcp_f32_e32 v20, v14
	v_sub_f32_e32 v34, v14, v3
	v_fma_f32 v3, v13, v3, -v34
	v_cmp_eq_u32_e32 vcc, 0, v12
	v_fma_f32 v13, v14, -v20, 1.0
	v_fma_f32 v3, v3, -v20, v13
	v_fma_f32 v3, v3, -v20, -v20
	v_cndmask_b32_e32 v3, v3, v14, vcc
	v_add_f32_e64 v14, |v5|, s56
	v_sub_f32_e64 v13, v14, |v5|
	v_sub_f32_e32 v12, v13, v14
	v_pk_add_f32 v[12:13], v[18:19], v[12:13]
	v_sub_f32_e32 v12, v12, v13
	v_add_f32_e32 v12, 0x3102e308, v12
	v_add_f32_e32 v13, v14, v12
	v_sub_f32_e32 v14, v14, v13
	v_add_f32_e32 v12, v12, v14
	v_mul_f32_e32 v14, 0x3fb8aa3b, v13
	v_rndne_f32_e32 v14, v14
	v_fmac_f32_e32 v13, 0xbf317200, v14
	v_add_f32_e32 v18, v12, v13
	v_mul_f32_e32 v20, 0x35bfbc00, v14
	v_sub_f32_e32 v34, v18, v20
	v_sub_f32_e32 v13, v13, v18
	;; [unrolled: 1-line block ×3, first 2 shown]
	v_add_f32_e32 v12, v12, v13
	v_sub_f32_e32 v18, v18, v20
	v_add_f32_e32 v18, v12, v18
	v_add_f32_e32 v35, v34, v18
	v_mul_f32_e32 v13, 0x2ea39ef3, v14
	v_mov_b32_e32 v12, v35
	v_pk_add_f32 v[36:37], v[34:35], v[12:13] neg_lo:[0,1] neg_hi:[0,1]
	v_sub_f32_e32 v12, v35, v37
	v_sub_f32_e32 v12, v12, v13
	v_add_f32_e32 v13, v18, v36
	v_add_f32_e32 v12, v13, v12
	v_add_f32_e32 v13, v37, v12
	v_sub_f32_e32 v20, v37, v13
	v_mov_b32_e32 v18, 0x3c091de6
	v_add_f32_e32 v12, v12, v20
	v_mul_f32_e32 v34, v13, v13
	v_fmac_f32_e32 v18, 0x3ab42872, v13
	v_add_f32_e32 v20, v12, v12
	v_fma_f32 v35, v13, v13, -v34
	v_fma_f32 v18, v13, v18, v17
	v_fmac_f32_e32 v35, v13, v20
	v_fma_f32 v18, v13, v18, v24
	v_add_f32_e32 v20, v34, v35
	v_fma_f32 v18, v13, v18, v25
	v_sub_f32_e32 v34, v20, v34
	v_sub_f32_e32 v34, v35, v34
	v_mul_f32_e32 v35, v18, v20
	v_fma_f32 v20, v20, v18, -v35
	v_fmac_f32_e32 v20, v34, v18
	v_add_f32_e32 v18, v35, v20
	v_sub_f32_e32 v34, v18, v35
	v_sub_f32_e32 v34, v20, v34
	v_add_f32_e32 v20, v13, v18
	v_sub_f32_e32 v13, v20, v13
	v_sub_f32_e32 v13, v18, v13
	v_add_f32_e32 v12, v12, v34
	v_add_f32_e32 v12, v12, v13
	;; [unrolled: 1-line block ×3, first 2 shown]
	v_add_f32_e32 v35, 1.0, v34
	v_pk_add_f32 v[36:37], v[34:35], v[20:21] neg_lo:[0,1] neg_hi:[0,1]
	v_pk_add_f32 v[38:39], v[34:35], s[22:23]
	v_mov_b32_e32 v37, v39
	v_mov_b32_e32 v13, v34
	v_cvt_i32_f32_e32 v14, v14
	v_pk_add_f32 v[12:13], v[12:13], v[36:37] neg_lo:[0,1] neg_hi:[0,1]
	v_add_f32_e32 v12, v12, v13
	v_add_f32_e32 v13, v35, v12
	v_ldexp_f32 v18, v13, v14
	v_rcp_f32_e32 v20, v18
	v_sub_f32_e32 v13, v13, v35
	v_sub_f32_e32 v12, v12, v13
	v_ldexp_f32 v12, v12, v14
	v_mul_f32_e32 v13, v18, v20
	v_fma_f32 v14, v20, v18, -v13
	v_fmac_f32_e32 v14, v20, v12
	v_add_f32_e32 v34, v13, v14
	v_sub_f32_e32 v35, 1.0, v34
	v_sub_f32_e32 v36, 1.0, v35
	v_sub_f32_e32 v13, v34, v13
	v_sub_f32_e32 v36, v36, v34
	;; [unrolled: 1-line block ×3, first 2 shown]
	v_add_f32_e32 v13, v13, v36
	v_add_f32_e32 v14, v35, v13
	v_mul_f32_e32 v34, v20, v14
	v_mul_f32_e32 v36, v18, v34
	v_fma_f32 v37, v34, v18, -v36
	v_fmac_f32_e32 v37, v34, v12
	v_sub_f32_e32 v35, v35, v14
	v_add_f32_e32 v13, v13, v35
	v_add_f32_e32 v35, v36, v37
	v_sub_f32_e32 v38, v14, v35
	v_sub_f32_e32 v14, v14, v38
	;; [unrolled: 1-line block ×4, first 2 shown]
	v_add_f32_e32 v13, v13, v14
	v_sub_f32_e32 v14, v36, v37
	v_add_f32_e32 v13, v14, v13
	v_add_f32_e32 v13, v38, v13
	;; [unrolled: 1-line block ×3, first 2 shown]
	v_mul_f32_e32 v13, v20, v13
	v_sub_f32_e32 v20, v14, v20
	v_sub_f32_e32 v20, v34, v20
	v_add_f32_e32 v13, v20, v13
	v_add_f32_e32 v20, v14, v13
	v_sub_f32_e32 v14, v20, v14
	v_sub_f32_e32 v13, v13, v14
	v_ldexp_f32 v14, v20, -2
	v_sub_f32_e32 v20, v18, v14
	v_sub_f32_e32 v18, v18, v20
	;; [unrolled: 1-line block ×3, first 2 shown]
	v_ldexp_f32 v13, v13, -2
	v_add_f32_e32 v12, v12, v14
	v_sub_f32_e32 v12, v12, v13
	v_add_f32_e32 v12, v20, v12
	v_cmp_ngt_f32_e64 vcc, |v5|, s57
	v_cndmask_b32_e32 v12, v32, v12, vcc
	v_cmp_lt_f32_e64 s[0:1], |v5|, s58
	v_cndmask_b32_e64 v12, v12, |v5|, s[0:1]
	v_xor_b32_e32 v5, 0x80000000, v5
	v_bfi_b32 v5, s41, v12, v5
	v_fma_f32 v12, v5, v5, 1.0
	v_mul_f32_e32 v13, 0x4f800000, v12
	v_cmp_gt_f32_e32 vcc, s59, v12
	v_cndmask_b32_e32 v12, v12, v13, vcc
	v_sqrt_f32_e32 v13, v12
	v_xor_b32_e32 v2, v2, v3
	v_xor_b32_e32 v2, v2, v4
	v_fma_f32 v3, v2, v2, 1.0
	v_add_u32_e32 v4, -1, v13
	v_fma_f32 v14, -v4, v13, v12
	v_cmp_ge_f32_e64 s[0:1], 0, v14
	v_add_u32_e32 v14, 1, v13
	v_cndmask_b32_e64 v4, v13, v4, s[0:1]
	v_fma_f32 v13, -v14, v13, v12
	v_cmp_lt_f32_e64 s[0:1], 0, v13
	v_cndmask_b32_e64 v4, v4, v14, s[0:1]
	v_mul_f32_e32 v13, 0x37800000, v4
	v_cndmask_b32_e32 v4, v4, v13, vcc
	v_cmp_class_f32_e32 vcc, v12, v26
	v_cndmask_b32_e32 v4, v4, v12, vcc
	v_mul_f32_e32 v12, v5, v3
	v_mul_f32_e32 v3, v4, v3
	v_fma_f32 v12, v5, v12, 1.0
	v_mul_f32_e32 v3, v5, v3
	v_div_scale_f32 v4, s[0:1], v12, v12, v3
	v_rcp_f32_e32 v5, v4
	v_fma_f32 v13, -v4, v5, 1.0
	v_fmac_f32_e32 v5, v13, v5
	v_div_scale_f32 v13, vcc, v3, v12, v3
	v_mul_f32_e32 v14, v13, v5
	v_fma_f32 v18, -v4, v14, v13
	v_fmac_f32_e32 v14, v18, v5
	v_div_scale_f32 v18, s[0:1], v12, v12, v2
	v_rcp_f32_e32 v20, v18
	v_fma_f32 v4, -v4, v14, v13
	v_div_fmas_f32 v4, v4, v5, v14
	v_div_fixup_f32 v13, v4, v12, v3
	v_fma_f32 v3, -v18, v20, 1.0
	v_fmac_f32_e32 v20, v3, v20
	v_div_scale_f32 v3, vcc, v2, v12, v2
	v_mul_f32_e32 v4, v3, v20
	v_fma_f32 v5, -v18, v4, v3
	v_fmac_f32_e32 v4, v5, v20
	v_fma_f32 v3, -v18, v4, v3
	v_div_fmas_f32 v3, v3, v20, v4
	v_div_fixup_f32 v12, v3, v12, v2
                                        ; implicit-def: $vgpr2_vgpr3_vgpr4_vgpr5
                                        ; implicit-def: $vgpr2
.LBB95_129:                             ;   in Loop: Header=BB95_7 Depth=1
	s_andn2_saveexec_b64 s[30:31], s[30:31]
	s_cbranch_execz .LBB95_139
; %bb.130:                              ;   in Loop: Header=BB95_7 Depth=1
	v_lshrrev_b32_e32 v3, 23, v2
	v_and_b32_e32 v12, 0x7fffff, v2
	v_cmp_nlt_f32_e64 s[34:35], |v4|, s45
	v_add_u32_e32 v18, 0xffffff88, v3
	v_or_b32_e32 v13, 0x800000, v12
                                        ; implicit-def: $vgpr3
                                        ; implicit-def: $vgpr12
	s_and_saveexec_b64 s[0:1], s[34:35]
	s_xor_b64 s[36:37], exec, s[0:1]
	s_cbranch_execz .LBB95_132
; %bb.131:                              ;   in Loop: Header=BB95_7 Depth=1
	v_mad_u64_u32 v[34:35], s[6:7], v13, s46, 0
	v_mov_b32_e32 v14, v35
	v_mad_u64_u32 v[36:37], s[6:7], v13, s47, v[14:15]
	v_mov_b32_e32 v14, v37
	v_mad_u64_u32 v[38:39], s[6:7], v13, s48, v[14:15]
	v_cmp_lt_u32_e32 vcc, 63, v18
	v_mov_b32_e32 v14, v39
	v_cndmask_b32_e32 v3, 0, v30, vcc
	v_mad_u64_u32 v[40:41], s[6:7], v13, s49, v[14:15]
	v_add_u32_e32 v3, v3, v18
	v_mov_b32_e32 v14, v41
	v_cmp_lt_u32_e64 s[0:1], 31, v3
	v_mad_u64_u32 v[42:43], s[6:7], v13, s50, v[14:15]
	v_cndmask_b32_e64 v12, 0, v31, s[0:1]
	v_mov_b32_e32 v14, v43
	v_add_u32_e32 v3, v12, v3
	v_mad_u64_u32 v[44:45], s[6:7], v13, s51, v[14:15]
	v_cmp_lt_u32_e64 s[2:3], 31, v3
	v_mov_b32_e32 v14, v45
	v_cndmask_b32_e64 v12, 0, v31, s[2:3]
	v_mad_u64_u32 v[46:47], s[6:7], v13, s52, v[14:15]
	v_add_u32_e32 v3, v12, v3
	v_cndmask_b32_e32 v12, v44, v40, vcc
	v_cndmask_b32_e32 v14, v46, v42, vcc
	;; [unrolled: 1-line block ×3, first 2 shown]
	v_cndmask_b32_e64 v20, v14, v12, s[0:1]
	v_cndmask_b32_e64 v14, v35, v14, s[0:1]
	v_cndmask_b32_e32 v35, v42, v38, vcc
	v_cndmask_b32_e64 v12, v12, v35, s[0:1]
	v_cndmask_b32_e64 v14, v14, v20, s[2:3]
	;; [unrolled: 1-line block ×3, first 2 shown]
	v_sub_u32_e32 v37, 32, v3
	v_alignbit_b32 v39, v14, v20, v37
	v_cmp_eq_u32_e64 s[6:7], 0, v3
	v_cndmask_b32_e64 v3, v39, v14, s[6:7]
	v_cndmask_b32_e32 v14, v40, v36, vcc
	v_cndmask_b32_e64 v35, v35, v14, s[0:1]
	v_cndmask_b32_e64 v12, v12, v35, s[2:3]
	v_alignbit_b32 v36, v20, v12, v37
	v_cndmask_b32_e32 v34, v38, v34, vcc
	v_cndmask_b32_e64 v20, v36, v20, s[6:7]
	v_bfe_u32 v40, v3, 29, 1
	v_cndmask_b32_e64 v14, v14, v34, s[0:1]
	v_alignbit_b32 v36, v3, v20, 30
	v_sub_u32_e32 v41, 0, v40
	v_cndmask_b32_e64 v14, v35, v14, s[2:3]
	v_xor_b32_e32 v42, v36, v41
	v_alignbit_b32 v34, v12, v14, v37
	v_cndmask_b32_e64 v12, v34, v12, s[6:7]
	v_ffbh_u32_e32 v34, v42
	v_add_u32_e32 v34, 1, v34
	v_cmp_ne_u32_e32 vcc, v36, v41
	v_alignbit_b32 v20, v20, v12, 30
	v_cndmask_b32_e32 v34, 33, v34, vcc
	v_alignbit_b32 v12, v12, v14, 30
	v_xor_b32_e32 v20, v20, v41
	v_sub_u32_e32 v35, 32, v34
	v_xor_b32_e32 v12, v12, v41
	v_alignbit_b32 v36, v42, v20, v35
	v_alignbit_b32 v12, v20, v12, v35
	;; [unrolled: 1-line block ×3, first 2 shown]
	v_ffbh_u32_e32 v20, v14
	v_min_u32_e32 v20, 32, v20
	v_lshrrev_b32_e32 v39, 29, v3
	v_sub_u32_e32 v35, 31, v20
	v_alignbit_b32 v12, v14, v12, v35
	v_lshlrev_b32_e32 v14, 31, v39
	v_or_b32_e32 v35, 0x33800000, v14
	v_add_lshl_u32 v20, v20, v34, 23
	v_lshrrev_b32_e32 v12, 9, v12
	v_sub_u32_e32 v20, v35, v20
	v_or_b32_e32 v12, v20, v12
	v_alignbit_b32 v20, v34, v36, 9
	v_or_b32_e32 v14, v20, v14
	v_xor_b32_e32 v14, 1.0, v14
	v_mul_f32_e32 v20, 0x3fc90fda, v14
	v_fma_f32 v34, v14, s53, -v20
	v_fmac_f32_e32 v34, 0x33a22168, v14
	v_fmac_f32_e32 v34, 0x3fc90fda, v12
	v_lshrrev_b32_e32 v3, 30, v3
	v_add_f32_e32 v12, v20, v34
	v_add_u32_e32 v3, v40, v3
	s_andn2_saveexec_b64 s[0:1], s[36:37]
	s_branch .LBB95_133
.LBB95_132:                             ;   in Loop: Header=BB95_7 Depth=1
	s_andn2_saveexec_b64 s[0:1], s[36:37]
.LBB95_133:                             ;   in Loop: Header=BB95_7 Depth=1
	v_mul_f32_e64 v3, |v4|, s54
	v_rndne_f32_e32 v14, v3
	v_cvt_i32_f32_e32 v3, v14
	v_fma_f32 v12, v14, s55, |v4|
	v_fmac_f32_e32 v12, 0xb3a22168, v14
	v_fmac_f32_e32 v12, 0xa7c234c4, v14
; %bb.134:                              ;   in Loop: Header=BB95_7 Depth=1
	s_or_b64 exec, exec, s[0:1]
                                        ; implicit-def: $vgpr14
                                        ; implicit-def: $vgpr20
	s_and_saveexec_b64 s[0:1], s[34:35]
	s_xor_b64 s[34:35], exec, s[0:1]
	s_cbranch_execz .LBB95_136
; %bb.135:                              ;   in Loop: Header=BB95_7 Depth=1
	v_cmp_lt_u32_e32 vcc, 63, v18
	v_cndmask_b32_e32 v14, 0, v30, vcc
	v_add_u32_e32 v14, v14, v18
	v_cmp_lt_u32_e64 s[0:1], 31, v14
	v_cndmask_b32_e64 v18, 0, v31, s[0:1]
	v_add_u32_e32 v14, v18, v14
	v_cmp_lt_u32_e64 s[2:3], 31, v14
	v_cndmask_b32_e64 v18, 0, v31, s[2:3]
	v_mad_u64_u32 v[34:35], s[6:7], v13, s46, 0
	v_add_u32_e32 v18, v18, v14
	v_mov_b32_e32 v14, v35
	v_mad_u64_u32 v[36:37], s[6:7], v13, s47, v[14:15]
	v_mov_b32_e32 v14, v37
	v_mad_u64_u32 v[38:39], s[6:7], v13, s48, v[14:15]
	;; [unrolled: 2-line block ×6, first 2 shown]
	v_cndmask_b32_e32 v20, v44, v40, vcc
	v_cndmask_b32_e32 v13, v46, v42, vcc
	v_cndmask_b32_e32 v35, v47, v44, vcc
	v_cndmask_b32_e64 v14, v13, v20, s[0:1]
	v_cndmask_b32_e64 v13, v35, v13, s[0:1]
	v_cndmask_b32_e32 v35, v42, v38, vcc
	v_cndmask_b32_e64 v20, v20, v35, s[0:1]
	v_sub_u32_e32 v37, 32, v18
	v_cmp_eq_u32_e64 s[6:7], 0, v18
	v_cndmask_b32_e32 v18, v40, v36, vcc
	v_cndmask_b32_e64 v13, v13, v14, s[2:3]
	v_cndmask_b32_e64 v14, v14, v20, s[2:3]
	;; [unrolled: 1-line block ×3, first 2 shown]
	v_alignbit_b32 v39, v13, v14, v37
	v_cndmask_b32_e64 v20, v20, v35, s[2:3]
	v_cndmask_b32_e64 v13, v39, v13, s[6:7]
	v_alignbit_b32 v36, v14, v20, v37
	v_cndmask_b32_e32 v34, v38, v34, vcc
	v_cndmask_b32_e64 v14, v36, v14, s[6:7]
	v_bfe_u32 v40, v13, 29, 1
	v_cndmask_b32_e64 v18, v18, v34, s[0:1]
	v_alignbit_b32 v36, v13, v14, 30
	v_sub_u32_e32 v41, 0, v40
	v_cndmask_b32_e64 v18, v35, v18, s[2:3]
	v_xor_b32_e32 v42, v36, v41
	v_alignbit_b32 v34, v20, v18, v37
	v_cndmask_b32_e64 v20, v34, v20, s[6:7]
	v_ffbh_u32_e32 v34, v42
	v_add_u32_e32 v34, 1, v34
	v_cmp_ne_u32_e32 vcc, v36, v41
	v_alignbit_b32 v14, v14, v20, 30
	v_cndmask_b32_e32 v34, 33, v34, vcc
	v_alignbit_b32 v18, v20, v18, 30
	v_xor_b32_e32 v14, v14, v41
	v_sub_u32_e32 v35, 32, v34
	v_xor_b32_e32 v18, v18, v41
	v_alignbit_b32 v36, v42, v14, v35
	v_alignbit_b32 v14, v14, v18, v35
	;; [unrolled: 1-line block ×3, first 2 shown]
	v_ffbh_u32_e32 v20, v18
	v_min_u32_e32 v20, 32, v20
	v_lshrrev_b32_e32 v39, 29, v13
	v_sub_u32_e32 v35, 31, v20
	v_alignbit_b32 v14, v18, v14, v35
	v_lshlrev_b32_e32 v18, 31, v39
	v_or_b32_e32 v35, 0x33800000, v18
	v_add_lshl_u32 v20, v20, v34, 23
	v_lshrrev_b32_e32 v14, 9, v14
	v_sub_u32_e32 v20, v35, v20
	v_or_b32_e32 v14, v20, v14
	v_alignbit_b32 v20, v34, v36, 9
	v_or_b32_e32 v18, v20, v18
	v_xor_b32_e32 v18, 1.0, v18
	v_mul_f32_e32 v20, 0x3fc90fda, v18
	v_fma_f32 v34, v18, s53, -v20
	v_fmac_f32_e32 v34, 0x33a22168, v18
	v_fmac_f32_e32 v34, 0x3fc90fda, v14
	v_lshrrev_b32_e32 v13, 30, v13
	v_add_f32_e32 v20, v20, v34
	v_add_u32_e32 v14, v40, v13
	s_andn2_saveexec_b64 s[0:1], s[34:35]
	s_cbranch_execnz .LBB95_137
	s_branch .LBB95_138
.LBB95_136:                             ;   in Loop: Header=BB95_7 Depth=1
	s_andn2_saveexec_b64 s[0:1], s[34:35]
.LBB95_137:                             ;   in Loop: Header=BB95_7 Depth=1
	v_mul_f32_e64 v13, |v4|, s54
	v_rndne_f32_e32 v13, v13
	v_cvt_i32_f32_e32 v14, v13
	v_fma_f32 v20, v13, s55, |v4|
	v_fmac_f32_e32 v20, 0xb3a22168, v13
	v_fmac_f32_e32 v20, 0xa7c234c4, v13
.LBB95_138:                             ;   in Loop: Header=BB95_7 Depth=1
	s_or_b64 exec, exec, s[0:1]
	v_mul_f32_e32 v13, v12, v12
	v_mov_b32_e32 v18, 0x3c0881c4
	v_fmac_f32_e32 v18, 0xb94c1982, v13
	v_fma_f32 v18, v13, v18, v27
	v_mul_f32_e32 v18, v13, v18
	v_fmac_f32_e32 v12, v12, v18
	v_mov_b32_e32 v18, 0xbab64f3b
	v_fmac_f32_e32 v18, 0x37d75334, v13
	v_fma_f32 v18, v13, v18, v28
	v_fma_f32 v18, v13, v18, v29
	v_fma_f32 v13, v13, v18, 1.0
	v_and_b32_e32 v18, 1, v3
	v_lshlrev_b32_e32 v3, 30, v3
	v_and_b32_e32 v3, 0x80000000, v3
	v_cmp_eq_u32_e32 vcc, 0, v18
	v_xor_b32_e32 v2, v2, v3
	v_mul_f32_e64 v3, |v5|, s60
	v_cndmask_b32_e32 v12, v13, v12, vcc
	v_rndne_f32_e32 v13, v3
	v_sub_f32_e32 v18, v3, v13
	v_fma_f32 v3, |v5|, s60, -v3
	v_fma_f32 v3, |v5|, s61, v3
	v_add_f32_e32 v3, v18, v3
	v_exp_f32_e32 v3, v3
	v_cvt_i32_f32_e32 v13, v13
	v_xor_b32_e32 v2, v2, v12
	v_xor_b32_e32 v2, v2, v4
	v_cmp_ngt_f32_e64 vcc, |v5|, s62
	v_ldexp_f32 v3, v3, v13
	v_xor_b32_e32 v4, 0x80000000, v5
	v_cndmask_b32_e32 v3, 0, v3, vcc
	v_cmp_nlt_f32_e64 vcc, |v5|, s63
	v_bfi_b32 v13, s41, 1.0, v4
	v_mul_f32_e32 v4, v20, v20
	v_mov_b32_e32 v5, 0x3c0881c4
	v_fmac_f32_e32 v5, 0xb94c1982, v4
	v_fma_f32 v5, v4, v5, v27
	v_mul_f32_e32 v5, v4, v5
	v_fmac_f32_e32 v20, v20, v5
	v_mov_b32_e32 v5, 0xbab64f3b
	v_fmac_f32_e32 v5, 0x37d75334, v4
	v_fma_f32 v5, v4, v5, v28
	v_fma_f32 v5, v4, v5, v29
	v_fma_f32 v4, v4, v5, 1.0
	v_and_b32_e32 v5, 1, v14
	v_cndmask_b32_e32 v3, v32, v3, vcc
	v_cmp_eq_u32_e32 vcc, 0, v5
	v_lshlrev_b32_e32 v5, 30, v14
	v_cndmask_b32_e64 v4, -v20, v4, vcc
	v_and_b32_e32 v5, 0x80000000, v5
	v_mul_f32_e32 v2, 4.0, v2
	v_xor_b32_e32 v4, v5, v4
	v_mul_f32_e32 v2, v2, v4
	v_mul_f32_e32 v2, v3, v2
	;; [unrolled: 1-line block ×3, first 2 shown]
.LBB95_139:                             ;   in Loop: Header=BB95_7 Depth=1
	s_or_b64 exec, exec, s[30:31]
                                        ; implicit-def: $vgpr2_vgpr3_vgpr4_vgpr5
.LBB95_140:                             ;   in Loop: Header=BB95_7 Depth=1
	s_andn2_saveexec_b64 s[0:1], s[28:29]
; %bb.141:                              ;   in Loop: Header=BB95_7 Depth=1
	v_sub_f32_e32 v12, v4, v4
	v_mov_b32_e32 v13, v12
; %bb.142:                              ;   in Loop: Header=BB95_7 Depth=1
	s_or_b64 exec, exec, s[0:1]
                                        ; implicit-def: $vgpr2_vgpr3_vgpr4_vgpr5
.LBB95_143:                             ;   in Loop: Header=BB95_7 Depth=1
	s_andn2_saveexec_b64 s[26:27], s[26:27]
	s_cbranch_execz .LBB95_6
; %bb.144:                              ;   in Loop: Header=BB95_7 Depth=1
	v_xor_b32_e32 v13, 0x80000000, v5
	v_and_b32_e32 v2, 0x7fffff, v13
	v_cmp_ne_u32_e32 vcc, 0, v2
	s_and_saveexec_b64 s[0:1], vcc
	s_xor_b64 s[0:1], exec, s[0:1]
; %bb.145:                              ;   in Loop: Header=BB95_7 Depth=1
	v_mul_f32_e64 v2, v4, -v5
	v_cmp_eq_f32_e32 vcc, 0, v4
	v_cndmask_b32_e32 v12, v2, v4, vcc
                                        ; implicit-def: $vgpr2_vgpr3_vgpr4_vgpr5
; %bb.146:                              ;   in Loop: Header=BB95_7 Depth=1
	s_andn2_saveexec_b64 s[28:29], s[0:1]
	s_cbranch_execz .LBB95_5
; %bb.147:                              ;   in Loop: Header=BB95_7 Depth=1
	v_cmp_neq_f32_e64 s[0:1], |v4|, s42
	s_and_saveexec_b64 s[30:31], s[0:1]
	s_cbranch_execz .LBB95_4
; %bb.148:                              ;   in Loop: Header=BB95_7 Depth=1
	v_and_b32_e32 v2, 0x7fffffff, v4
	v_lshrrev_b32_e32 v3, 23, v2
	v_and_b32_e32 v5, 0x7fffff, v2
	v_cmp_nlt_f32_e64 s[34:35], |v4|, s45
	v_add_u32_e32 v18, 0xffffff88, v3
	v_or_b32_e32 v12, 0x800000, v5
                                        ; implicit-def: $vgpr3
                                        ; implicit-def: $vgpr5
	s_and_saveexec_b64 s[0:1], s[34:35]
	s_xor_b64 s[36:37], exec, s[0:1]
	s_cbranch_execz .LBB95_150
; %bb.149:                              ;   in Loop: Header=BB95_7 Depth=1
	v_mad_u64_u32 v[34:35], s[6:7], v12, s46, 0
	v_mov_b32_e32 v14, v35
	v_mad_u64_u32 v[36:37], s[6:7], v12, s47, v[14:15]
	v_mov_b32_e32 v14, v37
	v_mad_u64_u32 v[38:39], s[6:7], v12, s48, v[14:15]
	v_cmp_lt_u32_e32 vcc, 63, v18
	v_mov_b32_e32 v14, v39
	v_cndmask_b32_e32 v3, 0, v30, vcc
	v_mad_u64_u32 v[40:41], s[6:7], v12, s49, v[14:15]
	v_add_u32_e32 v3, v3, v18
	v_mov_b32_e32 v14, v41
	v_cmp_lt_u32_e64 s[0:1], 31, v3
	v_mad_u64_u32 v[42:43], s[6:7], v12, s50, v[14:15]
	v_cndmask_b32_e64 v5, 0, v31, s[0:1]
	v_mov_b32_e32 v14, v43
	v_add_u32_e32 v3, v5, v3
	v_mad_u64_u32 v[44:45], s[6:7], v12, s51, v[14:15]
	v_cmp_lt_u32_e64 s[2:3], 31, v3
	v_mov_b32_e32 v14, v45
	v_cndmask_b32_e64 v5, 0, v31, s[2:3]
	v_mad_u64_u32 v[46:47], s[6:7], v12, s52, v[14:15]
	v_add_u32_e32 v3, v5, v3
	v_cndmask_b32_e32 v5, v44, v40, vcc
	v_cndmask_b32_e32 v14, v46, v42, vcc
	;; [unrolled: 1-line block ×3, first 2 shown]
	v_cndmask_b32_e64 v20, v14, v5, s[0:1]
	v_cndmask_b32_e64 v14, v35, v14, s[0:1]
	v_cndmask_b32_e32 v35, v42, v38, vcc
	v_cndmask_b32_e64 v5, v5, v35, s[0:1]
	v_cndmask_b32_e64 v14, v14, v20, s[2:3]
	;; [unrolled: 1-line block ×3, first 2 shown]
	v_sub_u32_e32 v37, 32, v3
	v_alignbit_b32 v39, v14, v20, v37
	v_cmp_eq_u32_e64 s[6:7], 0, v3
	v_cndmask_b32_e64 v3, v39, v14, s[6:7]
	v_cndmask_b32_e32 v14, v40, v36, vcc
	v_cndmask_b32_e64 v35, v35, v14, s[0:1]
	v_cndmask_b32_e64 v5, v5, v35, s[2:3]
	v_alignbit_b32 v36, v20, v5, v37
	v_cndmask_b32_e32 v34, v38, v34, vcc
	v_cndmask_b32_e64 v20, v36, v20, s[6:7]
	v_bfe_u32 v40, v3, 29, 1
	v_cndmask_b32_e64 v14, v14, v34, s[0:1]
	v_alignbit_b32 v36, v3, v20, 30
	v_sub_u32_e32 v41, 0, v40
	v_cndmask_b32_e64 v14, v35, v14, s[2:3]
	v_xor_b32_e32 v42, v36, v41
	v_alignbit_b32 v34, v5, v14, v37
	v_cndmask_b32_e64 v5, v34, v5, s[6:7]
	v_ffbh_u32_e32 v34, v42
	v_add_u32_e32 v34, 1, v34
	v_cmp_ne_u32_e32 vcc, v36, v41
	v_alignbit_b32 v20, v20, v5, 30
	v_cndmask_b32_e32 v34, 33, v34, vcc
	v_alignbit_b32 v5, v5, v14, 30
	v_xor_b32_e32 v20, v20, v41
	v_sub_u32_e32 v35, 32, v34
	v_xor_b32_e32 v5, v5, v41
	v_alignbit_b32 v36, v42, v20, v35
	v_alignbit_b32 v5, v20, v5, v35
	;; [unrolled: 1-line block ×3, first 2 shown]
	v_ffbh_u32_e32 v20, v14
	v_min_u32_e32 v20, 32, v20
	v_lshrrev_b32_e32 v39, 29, v3
	v_sub_u32_e32 v35, 31, v20
	v_alignbit_b32 v5, v14, v5, v35
	v_lshlrev_b32_e32 v14, 31, v39
	v_or_b32_e32 v35, 0x33800000, v14
	v_add_lshl_u32 v20, v20, v34, 23
	v_lshrrev_b32_e32 v5, 9, v5
	v_sub_u32_e32 v20, v35, v20
	v_or_b32_e32 v5, v20, v5
	v_alignbit_b32 v20, v34, v36, 9
	v_or_b32_e32 v14, v20, v14
	v_xor_b32_e32 v14, 1.0, v14
	v_mul_f32_e32 v20, 0x3fc90fda, v14
	v_fma_f32 v34, v14, s53, -v20
	v_fmac_f32_e32 v34, 0x33a22168, v14
	v_fmac_f32_e32 v34, 0x3fc90fda, v5
	v_lshrrev_b32_e32 v3, 30, v3
	v_add_f32_e32 v5, v20, v34
	v_add_u32_e32 v3, v40, v3
.LBB95_150:                             ;   in Loop: Header=BB95_7 Depth=1
	s_or_saveexec_b64 s[0:1], s[36:37]
	v_mul_f32_e64 v14, |v4|, s54
	v_rndne_f32_e32 v34, v14
	s_xor_b64 exec, exec, s[0:1]
; %bb.151:                              ;   in Loop: Header=BB95_7 Depth=1
	v_cvt_i32_f32_e32 v3, v34
	v_fma_f32 v5, v34, s55, |v4|
	v_fmac_f32_e32 v5, 0xb3a22168, v34
	v_fmac_f32_e32 v5, 0xa7c234c4, v34
; %bb.152:                              ;   in Loop: Header=BB95_7 Depth=1
	s_or_b64 exec, exec, s[0:1]
                                        ; implicit-def: $vgpr14
                                        ; implicit-def: $vgpr20
	s_and_saveexec_b64 s[0:1], s[34:35]
	s_xor_b64 s[34:35], exec, s[0:1]
	s_cbranch_execz .LBB95_154
; %bb.153:                              ;   in Loop: Header=BB95_7 Depth=1
	v_cmp_lt_u32_e32 vcc, 63, v18
	v_cndmask_b32_e32 v14, 0, v30, vcc
	v_add_u32_e32 v14, v14, v18
	v_cmp_lt_u32_e64 s[0:1], 31, v14
	v_cndmask_b32_e64 v18, 0, v31, s[0:1]
	v_add_u32_e32 v14, v18, v14
	v_cmp_lt_u32_e64 s[2:3], 31, v14
	v_cndmask_b32_e64 v18, 0, v31, s[2:3]
	v_mad_u64_u32 v[34:35], s[6:7], v12, s46, 0
	v_add_u32_e32 v18, v18, v14
	v_mov_b32_e32 v14, v35
	v_mad_u64_u32 v[36:37], s[6:7], v12, s47, v[14:15]
	v_mov_b32_e32 v14, v37
	v_mad_u64_u32 v[38:39], s[6:7], v12, s48, v[14:15]
	;; [unrolled: 2-line block ×6, first 2 shown]
	v_cndmask_b32_e32 v20, v44, v40, vcc
	v_cndmask_b32_e32 v12, v46, v42, vcc
	;; [unrolled: 1-line block ×3, first 2 shown]
	v_cndmask_b32_e64 v14, v12, v20, s[0:1]
	v_cndmask_b32_e64 v12, v35, v12, s[0:1]
	v_cndmask_b32_e32 v35, v42, v38, vcc
	v_cndmask_b32_e64 v20, v20, v35, s[0:1]
	v_sub_u32_e32 v37, 32, v18
	v_cmp_eq_u32_e64 s[6:7], 0, v18
	v_cndmask_b32_e32 v18, v40, v36, vcc
	v_cndmask_b32_e64 v12, v12, v14, s[2:3]
	v_cndmask_b32_e64 v14, v14, v20, s[2:3]
	;; [unrolled: 1-line block ×3, first 2 shown]
	v_alignbit_b32 v39, v12, v14, v37
	v_cndmask_b32_e64 v20, v20, v35, s[2:3]
	v_cndmask_b32_e64 v12, v39, v12, s[6:7]
	v_alignbit_b32 v36, v14, v20, v37
	v_cndmask_b32_e32 v34, v38, v34, vcc
	v_cndmask_b32_e64 v14, v36, v14, s[6:7]
	v_bfe_u32 v40, v12, 29, 1
	v_cndmask_b32_e64 v18, v18, v34, s[0:1]
	v_alignbit_b32 v36, v12, v14, 30
	v_sub_u32_e32 v41, 0, v40
	v_cndmask_b32_e64 v18, v35, v18, s[2:3]
	v_xor_b32_e32 v42, v36, v41
	v_alignbit_b32 v34, v20, v18, v37
	v_cndmask_b32_e64 v20, v34, v20, s[6:7]
	v_ffbh_u32_e32 v34, v42
	v_add_u32_e32 v34, 1, v34
	v_cmp_ne_u32_e32 vcc, v36, v41
	v_alignbit_b32 v14, v14, v20, 30
	v_cndmask_b32_e32 v34, 33, v34, vcc
	v_alignbit_b32 v18, v20, v18, 30
	v_xor_b32_e32 v14, v14, v41
	v_sub_u32_e32 v35, 32, v34
	v_xor_b32_e32 v18, v18, v41
	v_alignbit_b32 v36, v42, v14, v35
	v_alignbit_b32 v14, v14, v18, v35
	;; [unrolled: 1-line block ×3, first 2 shown]
	v_ffbh_u32_e32 v20, v18
	v_min_u32_e32 v20, 32, v20
	v_lshrrev_b32_e32 v39, 29, v12
	v_sub_u32_e32 v35, 31, v20
	v_alignbit_b32 v14, v18, v14, v35
	v_lshlrev_b32_e32 v18, 31, v39
	v_or_b32_e32 v35, 0x33800000, v18
	v_add_lshl_u32 v20, v20, v34, 23
	v_lshrrev_b32_e32 v14, 9, v14
	v_sub_u32_e32 v20, v35, v20
	v_or_b32_e32 v14, v20, v14
	v_alignbit_b32 v20, v34, v36, 9
	v_or_b32_e32 v18, v20, v18
	v_xor_b32_e32 v18, 1.0, v18
	v_mul_f32_e32 v20, 0x3fc90fda, v18
	v_fma_f32 v34, v18, s53, -v20
	v_fmac_f32_e32 v34, 0x33a22168, v18
	v_fmac_f32_e32 v34, 0x3fc90fda, v14
	v_lshrrev_b32_e32 v12, 30, v12
	v_add_f32_e32 v20, v20, v34
	v_add_u32_e32 v14, v40, v12
                                        ; implicit-def: $vgpr34
	s_andn2_saveexec_b64 s[0:1], s[34:35]
	s_cbranch_execz .LBB95_3
	s_branch .LBB95_155
.LBB95_154:                             ;   in Loop: Header=BB95_7 Depth=1
	s_andn2_saveexec_b64 s[0:1], s[34:35]
	s_cbranch_execz .LBB95_3
.LBB95_155:                             ;   in Loop: Header=BB95_7 Depth=1
	v_cvt_i32_f32_e32 v14, v34
	v_fma_f32 v20, v34, s55, |v4|
	v_fmac_f32_e32 v20, 0xb3a22168, v34
	v_fmac_f32_e32 v20, 0xa7c234c4, v34
	s_branch .LBB95_3
.LBB95_156:
	s_or_b64 exec, exec, s[18:19]
	s_mov_b64 s[0:1], 0
.LBB95_157:
	s_andn2_b64 vcc, exec, s[0:1]
	s_cbranch_vccnz .LBB95_329
; %bb.158:
	v_cmp_lt_i64_e64 s[0:1], s[16:17], 1
	s_and_b64 vcc, exec, s[0:1]
	s_cbranch_vccnz .LBB95_329
; %bb.159:
	s_load_dword s0, s[4:5], 0xc5c
	v_mov_b32_e32 v2, 0x10000
	v_mov_b32_e32 v3, 0
	v_cmp_lt_u64_e32 vcc, s[16:17], v[2:3]
	v_lshlrev_b32_e32 v10, 3, v0
	s_waitcnt lgkmcnt(0)
	s_and_b32 s33, s0, 0xffff
	s_and_b64 s[0:1], vcc, exec
	v_mov_b32_e32 v17, s9
	v_add_co_u32_e32 v2, vcc, s8, v10
	v_addc_co_u32_e32 v3, vcc, 0, v17, vcc
	v_mov_b32_e32 v14, s11
	v_add_co_u32_e32 v4, vcc, s10, v10
	v_mov_b32_e32 v1, 0
	v_addc_co_u32_e32 v5, vcc, 0, v14, vcc
	v_mov_b32_e32 v11, v1
	v_add_co_u32_e32 v4, vcc, 4, v4
	v_addc_co_u32_e32 v5, vcc, 0, v5, vcc
	v_mad_u64_u32 v[8:9], s[0:1], s33, 24, v[10:11]
	v_add_co_u32_e32 v6, vcc, s8, v8
	v_addc_co_u32_e32 v7, vcc, v17, v9, vcc
	v_add_co_u32_e32 v8, vcc, s10, v8
	v_addc_co_u32_e32 v9, vcc, v9, v14, vcc
	v_add_co_u32_e32 v8, vcc, 4, v8
	s_cselect_b32 s19, s17, 0
	s_cselect_b32 s18, s16, 0x10000
	v_addc_co_u32_e32 v9, vcc, 0, v9, vcc
	s_lshl_b32 s0, s33, 4
	v_add_co_u32_e32 v15, vcc, s0, v10
	v_addc_co_u32_e64 v16, s[0:1], 0, 0, vcc
	v_add_co_u32_e32 v10, vcc, s8, v15
	v_addc_co_u32_e32 v11, vcc, v17, v16, vcc
	v_add_lshl_u32 v18, v0, s33, 3
	v_mov_b32_e32 v13, s11
	v_add_co_u32_e32 v12, vcc, s10, v18
	v_addc_co_u32_e32 v13, vcc, 0, v13, vcc
	v_add_co_u32_e32 v15, vcc, s10, v15
	v_addc_co_u32_e32 v16, vcc, v16, v14, vcc
	v_add_co_u32_e32 v14, vcc, 4, v15
	s_mov_b32 s22, 0
	v_addc_co_u32_e32 v15, vcc, 0, v16, vcc
	s_lshl_b32 s20, s33, 2
	s_mov_b32 s21, s22
	v_add_co_u32_e32 v16, vcc, s8, v18
	s_lshl_b32 s38, s33, 1
	s_mov_b32 s39, s22
	s_mul_i32 s40, s33, 3
	s_mov_b32 s41, s22
	s_lshl_b32 s42, s33, 5
	s_mov_b32 s43, s22
	v_addc_co_u32_e32 v17, vcc, 0, v17, vcc
	s_brev_b32 s44, -2
	s_mov_b32 s45, 0x7f800000
	s_movk_i32 s46, 0x1f8
	s_mov_b32 s47, 0x41300000
	s_brev_b32 s48, 18
	s_mov_b32 s49, 0xfe5163ab
	s_mov_b32 s50, 0x3c439041
	;; [unrolled: 1-line block ×10, first 2 shown]
	v_mov_b32_e32 v34, 0x3f93f425
	s_mov_b32 s59, 0xbf317218
	v_mov_b32_e32 v19, 0x3f317218
	v_mov_b32_e32 v35, 0x3d2aadcc
	;; [unrolled: 1-line block ×4, first 2 shown]
	s_mov_b32 s23, -1.0
	s_mov_b32 s60, 0x42b2d4fc
	s_mov_b32 s61, 0x39800000
	;; [unrolled: 1-line block ×3, first 2 shown]
	v_mov_b32_e32 v38, 0x260
	v_mov_b32_e32 v39, 0xbe2aaa9d
	;; [unrolled: 1-line block ×4, first 2 shown]
	s_mov_b32 s63, 0xbfb8aa3b
	s_mov_b32 s64, 0xb2a5705f
	s_mov_b32 s65, 0x42ce8ed0
	s_mov_b32 s66, 0xc2b17218
	v_not_b32_e32 v42, 63
	v_not_b32_e32 v43, 31
	v_mov_b32_e32 v21, -1.0
	v_mov_b32_e32 v44, 0x7f800000
	v_mov_b32_e32 v45, 0x7fc00000
	v_pk_mov_b32 v[22:23], v[0:1], v[0:1] op_sel:[0,1]
	s_mov_b64 s[24:25], s[20:21]
	s_branch .LBB95_161
.LBB95_160:                             ;   in Loop: Header=BB95_161 Depth=1
	s_or_b64 exec, exec, s[0:1]
	v_pk_mov_b32 v[24:25], s[16:17], s[16:17] op_sel:[0,1]
	v_cmp_ge_i64_e32 vcc, s[24:25], v[24:25]
	v_mov_b32_e32 v24, 0xffff
	v_mov_b32_e32 v25, 0
	v_cmp_gt_u64_e64 s[0:1], s[24:25], v[24:25]
	s_or_b64 s[0:1], vcc, s[0:1]
	v_mov_b32_e32 v0, s43
	v_add_co_u32_e32 v2, vcc, s42, v2
	v_addc_co_u32_e32 v3, vcc, v3, v0, vcc
	v_mov_b32_e32 v18, s21
	v_add_co_u32_e32 v22, vcc, s20, v22
	v_addc_co_u32_e32 v23, vcc, v23, v18, vcc
	v_add_co_u32_e32 v4, vcc, s42, v4
	v_addc_co_u32_e32 v5, vcc, v5, v0, vcc
	v_add_co_u32_e32 v6, vcc, s42, v6
	v_addc_co_u32_e32 v7, vcc, v7, v0, vcc
	v_add_co_u32_e32 v8, vcc, s42, v8
	v_addc_co_u32_e32 v9, vcc, v9, v0, vcc
	v_add_co_u32_e32 v10, vcc, s42, v10
	v_addc_co_u32_e32 v11, vcc, v11, v0, vcc
	v_add_co_u32_e32 v12, vcc, s42, v12
	v_addc_co_u32_e32 v13, vcc, v13, v0, vcc
	v_add_co_u32_e32 v14, vcc, s42, v14
	v_addc_co_u32_e32 v15, vcc, v15, v0, vcc
	v_add_co_u32_e32 v16, vcc, s42, v16
	s_add_u32 s24, s24, s20
	v_addc_co_u32_e32 v17, vcc, v17, v0, vcc
	s_addc_u32 s25, s25, 0
	s_and_b64 vcc, exec, s[0:1]
	s_cbranch_vccnz .LBB95_329
.LBB95_161:                             ; =>This Inner Loop Header: Depth=1
	v_cmp_gt_u64_e64 s[0:1], s[18:19], v[22:23]
	v_mov_b32_e32 v30, 0
	v_mov_b32_e32 v31, 0
	s_and_saveexec_b64 s[2:3], s[0:1]
	s_cbranch_execz .LBB95_163
; %bb.162:                              ;   in Loop: Header=BB95_161 Depth=1
	v_mov_b32_e32 v0, s15
	v_add_co_u32_e32 v24, vcc, s14, v2
	v_addc_co_u32_e32 v25, vcc, v3, v0, vcc
	global_load_dwordx2 v[30:31], v[24:25], off
.LBB95_163:                             ;   in Loop: Header=BB95_161 Depth=1
	s_or_b64 exec, exec, s[2:3]
	v_mov_b32_e32 v0, s22
	v_add_co_u32_e32 v24, vcc, s33, v22
	v_addc_co_u32_e32 v25, vcc, v0, v23, vcc
	v_cmp_gt_u64_e64 s[2:3], s[18:19], v[24:25]
	v_mov_b32_e32 v28, 0
	v_mov_b32_e32 v32, 0
	;; [unrolled: 1-line block ×3, first 2 shown]
	s_and_saveexec_b64 s[4:5], s[2:3]
	s_cbranch_execz .LBB95_165
; %bb.164:                              ;   in Loop: Header=BB95_161 Depth=1
	v_mov_b32_e32 v0, s15
	v_add_co_u32_e32 v24, vcc, s14, v16
	v_addc_co_u32_e32 v25, vcc, v17, v0, vcc
	global_load_dwordx2 v[32:33], v[24:25], off
.LBB95_165:                             ;   in Loop: Header=BB95_161 Depth=1
	s_or_b64 exec, exec, s[4:5]
	v_mov_b32_e32 v0, s39
	v_add_co_u32_e32 v24, vcc, s38, v22
	v_addc_co_u32_e32 v25, vcc, v0, v23, vcc
	v_cmp_gt_u64_e64 s[4:5], s[18:19], v[24:25]
	v_mov_b32_e32 v29, 0
	s_and_saveexec_b64 s[6:7], s[4:5]
	s_cbranch_execz .LBB95_167
; %bb.166:                              ;   in Loop: Header=BB95_161 Depth=1
	v_mov_b32_e32 v0, s15
	v_add_co_u32_e32 v24, vcc, s14, v10
	v_addc_co_u32_e32 v25, vcc, v11, v0, vcc
	global_load_dwordx2 v[28:29], v[24:25], off
.LBB95_167:                             ;   in Loop: Header=BB95_161 Depth=1
	s_or_b64 exec, exec, s[6:7]
	v_mov_b32_e32 v0, s41
	v_add_co_u32_e32 v24, vcc, s40, v22
	v_addc_co_u32_e32 v25, vcc, v0, v23, vcc
	v_cmp_gt_u64_e64 s[6:7], s[18:19], v[24:25]
	v_mov_b32_e32 v24, 0
	v_mov_b32_e32 v25, 0
	s_and_saveexec_b64 s[8:9], s[6:7]
	s_cbranch_execz .LBB95_169
; %bb.168:                              ;   in Loop: Header=BB95_161 Depth=1
	v_mov_b32_e32 v0, s15
	v_add_co_u32_e32 v24, vcc, s14, v6
	v_addc_co_u32_e32 v25, vcc, v7, v0, vcc
	global_load_dwordx2 v[24:25], v[24:25], off
.LBB95_169:                             ;   in Loop: Header=BB95_161 Depth=1
	s_or_b64 exec, exec, s[8:9]
	s_waitcnt vmcnt(0)
	v_and_b32_e32 v18, 0x7fffffff, v31
	v_cmp_gt_u32_e32 vcc, s45, v18
                                        ; implicit-def: $vgpr26
                                        ; implicit-def: $vgpr27
	s_and_saveexec_b64 s[8:9], vcc
	s_xor_b64 s[26:27], exec, s[8:9]
	s_cbranch_execz .LBB95_190
; %bb.170:                              ;   in Loop: Header=BB95_161 Depth=1
	v_cmp_class_f32_e64 s[8:9], v30, s46
                                        ; implicit-def: $vgpr26
                                        ; implicit-def: $vgpr27
	s_and_saveexec_b64 s[10:11], s[8:9]
	s_xor_b64 s[28:29], exec, s[10:11]
	s_cbranch_execz .LBB95_187
; %bb.171:                              ;   in Loop: Header=BB95_161 Depth=1
	v_and_b32_e32 v46, 0x7fffffff, v30
	v_cmp_gt_u32_e32 vcc, s47, v18
                                        ; implicit-def: $vgpr26
                                        ; implicit-def: $vgpr27
	s_and_saveexec_b64 s[8:9], vcc
	s_xor_b64 s[30:31], exec, s[8:9]
	s_cbranch_execz .LBB95_177
; %bb.172:                              ;   in Loop: Header=BB95_161 Depth=1
	v_cmp_nlt_f32_e64 s[8:9], |v30|, s48
                                        ; implicit-def: $vgpr20
                                        ; implicit-def: $vgpr0
	s_and_saveexec_b64 s[10:11], s[8:9]
	s_xor_b64 s[34:35], exec, s[10:11]
	s_cbranch_execz .LBB95_174
; %bb.173:                              ;   in Loop: Header=BB95_161 Depth=1
	v_lshrrev_b32_e32 v0, 23, v46
	v_add_u32_e32 v0, 0xffffff88, v0
	v_cmp_lt_u32_e32 vcc, 63, v0
	v_cndmask_b32_e32 v20, 0, v42, vcc
	v_add_u32_e32 v0, v20, v0
	v_cmp_lt_u32_e64 s[8:9], 31, v0
	v_cndmask_b32_e64 v20, 0, v43, s[8:9]
	v_add_u32_e32 v0, v20, v0
	v_cmp_lt_u32_e64 s[10:11], 31, v0
	v_cndmask_b32_e64 v20, 0, v43, s[10:11]
	v_add_u32_e32 v20, v20, v0
	v_and_b32_e32 v0, 0x7fffff, v46
	v_or_b32_e32 v47, 0x800000, v0
	v_mad_u64_u32 v[26:27], s[12:13], v47, s49, 0
	v_mov_b32_e32 v0, v27
	v_mad_u64_u32 v[48:49], s[12:13], v47, s50, v[0:1]
	v_mov_b32_e32 v0, v49
	;; [unrolled: 2-line block ×6, first 2 shown]
	v_mad_u64_u32 v[58:59], s[12:13], v47, s55, v[0:1]
	v_cndmask_b32_e32 v27, v56, v52, vcc
	v_cndmask_b32_e32 v0, v58, v54, vcc
	;; [unrolled: 1-line block ×3, first 2 shown]
	v_cndmask_b32_e64 v47, v0, v27, s[8:9]
	v_cndmask_b32_e64 v0, v49, v0, s[8:9]
	v_cndmask_b32_e32 v49, v54, v50, vcc
	v_cndmask_b32_e64 v27, v27, v49, s[8:9]
	v_cndmask_b32_e64 v0, v0, v47, s[10:11]
	;; [unrolled: 1-line block ×3, first 2 shown]
	v_sub_u32_e32 v51, 32, v20
	v_alignbit_b32 v53, v0, v47, v51
	v_cmp_eq_u32_e64 s[12:13], 0, v20
	v_cndmask_b32_e64 v20, v53, v0, s[12:13]
	v_cndmask_b32_e32 v0, v52, v48, vcc
	v_cndmask_b32_e64 v48, v49, v0, s[8:9]
	v_cndmask_b32_e64 v27, v27, v48, s[10:11]
	v_cndmask_b32_e32 v26, v50, v26, vcc
	v_alignbit_b32 v49, v47, v27, v51
	v_cndmask_b32_e64 v0, v0, v26, s[8:9]
	v_cndmask_b32_e64 v47, v49, v47, s[12:13]
	v_bfe_u32 v53, v20, 29, 1
	v_cndmask_b32_e64 v0, v48, v0, s[10:11]
	v_alignbit_b32 v49, v20, v47, 30
	v_sub_u32_e32 v54, 0, v53
	v_alignbit_b32 v26, v27, v0, v51
	v_xor_b32_e32 v55, v49, v54
	v_cndmask_b32_e64 v26, v26, v27, s[12:13]
	v_alignbit_b32 v27, v47, v26, 30
	v_ffbh_u32_e32 v47, v55
	v_add_u32_e32 v47, 1, v47
	v_cmp_ne_u32_e32 vcc, v49, v54
	v_cndmask_b32_e32 v47, 33, v47, vcc
	v_alignbit_b32 v0, v26, v0, 30
	v_xor_b32_e32 v27, v27, v54
	v_sub_u32_e32 v48, 32, v47
	v_xor_b32_e32 v0, v0, v54
	v_alignbit_b32 v49, v55, v27, v48
	v_alignbit_b32 v0, v27, v0, v48
	;; [unrolled: 1-line block ×3, first 2 shown]
	v_ffbh_u32_e32 v27, v26
	v_min_u32_e32 v27, 32, v27
	v_lshrrev_b32_e32 v52, 29, v20
	v_sub_u32_e32 v48, 31, v27
	v_alignbit_b32 v0, v26, v0, v48
	v_lshlrev_b32_e32 v26, 31, v52
	v_or_b32_e32 v48, 0x33800000, v26
	v_add_lshl_u32 v27, v27, v47, 23
	v_lshrrev_b32_e32 v0, 9, v0
	v_sub_u32_e32 v27, v48, v27
	v_or_b32_e32 v0, v27, v0
	v_alignbit_b32 v27, v47, v49, 9
	v_or_b32_e32 v26, v27, v26
	v_xor_b32_e32 v26, 1.0, v26
	v_mul_f32_e32 v27, 0x3fc90fda, v26
	v_fma_f32 v47, v26, s56, -v27
	v_fmac_f32_e32 v47, 0x33a22168, v26
	v_fmac_f32_e32 v47, 0x3fc90fda, v0
	v_lshrrev_b32_e32 v20, 30, v20
	v_add_f32_e32 v0, v27, v47
	v_add_u32_e32 v20, v53, v20
.LBB95_174:                             ;   in Loop: Header=BB95_161 Depth=1
	s_andn2_saveexec_b64 s[8:9], s[34:35]
; %bb.175:                              ;   in Loop: Header=BB95_161 Depth=1
	v_mul_f32_e64 v0, |v30|, s57
	v_rndne_f32_e32 v26, v0
	v_cvt_i32_f32_e32 v20, v26
	v_fma_f32 v0, v26, s58, |v30|
	v_fmac_f32_e32 v0, 0xb3a22168, v26
	v_fmac_f32_e32 v0, 0xa7c234c4, v26
; %bb.176:                              ;   in Loop: Header=BB95_161 Depth=1
	s_or_b64 exec, exec, s[8:9]
	v_mul_f32_e32 v26, v0, v0
	v_mov_b32_e32 v27, 0xbf039337
	v_fmac_f32_e32 v27, 0x3c971480, v26
	v_fma_f32 v27, v26, v27, v34
	v_rcp_f32_e32 v27, v27
	v_mov_b32_e32 v47, 0x3ec54587
	v_fmac_f32_e32 v47, 0xbc8cedd3, v26
	v_and_b32_e32 v20, 1, v20
	v_mul_f32_e32 v27, v47, v27
	v_mul_f32_e32 v26, v26, v27
	v_fma_f32 v27, v26, v0, v0
	v_rcp_f32_e32 v47, v27
	v_sub_f32_e32 v48, v27, v0
	v_fma_f32 v0, v26, v0, -v48
	v_cmp_eq_u32_e32 vcc, 0, v20
	v_fma_f32 v26, v27, -v47, 1.0
	v_fma_f32 v0, v0, -v47, v26
	v_fma_f32 v0, v0, -v47, -v47
	v_add_f32_e64 v20, |v31|, s59
	v_cndmask_b32_e32 v0, v0, v27, vcc
	v_sub_f32_e64 v27, v20, |v31|
	v_sub_f32_e32 v26, v27, v20
	v_pk_add_f32 v[26:27], v[18:19], v[26:27]
	v_sub_f32_e32 v18, v26, v27
	v_add_f32_e32 v18, 0x3102e308, v18
	v_add_f32_e32 v26, v20, v18
	v_sub_f32_e32 v20, v20, v26
	v_add_f32_e32 v18, v18, v20
	v_mul_f32_e32 v20, 0x3fb8aa3b, v26
	v_rndne_f32_e32 v47, v20
	v_fmac_f32_e32 v26, 0xbf317200, v47
	v_add_f32_e32 v20, v18, v26
	v_sub_f32_e32 v26, v26, v20
	v_add_f32_e32 v18, v18, v26
	v_mul_f32_e32 v26, 0x35bfbc00, v47
	v_sub_f32_e32 v48, v20, v26
	v_sub_f32_e32 v20, v20, v48
	;; [unrolled: 1-line block ×3, first 2 shown]
	v_add_f32_e32 v18, v18, v20
	v_add_f32_e32 v49, v48, v18
	v_mul_f32_e32 v27, 0x2ea39ef3, v47
	v_mov_b32_e32 v26, v49
	v_pk_add_f32 v[50:51], v[48:49], v[26:27] neg_lo:[0,1] neg_hi:[0,1]
	v_sub_f32_e32 v20, v49, v51
	v_sub_f32_e32 v20, v20, v27
	v_add_f32_e32 v18, v18, v50
	v_add_f32_e32 v18, v18, v20
	;; [unrolled: 1-line block ×3, first 2 shown]
	v_sub_f32_e32 v27, v51, v26
	v_mov_b32_e32 v20, 0x3c091de6
	v_add_f32_e32 v18, v18, v27
	v_mul_f32_e32 v48, v26, v26
	v_fmac_f32_e32 v20, 0x3ab42872, v26
	v_add_f32_e32 v27, v18, v18
	v_fma_f32 v49, v26, v26, -v48
	v_fma_f32 v20, v26, v20, v35
	v_fmac_f32_e32 v49, v26, v27
	v_fma_f32 v20, v26, v20, v36
	v_add_f32_e32 v27, v48, v49
	v_fma_f32 v20, v26, v20, v37
	v_sub_f32_e32 v48, v27, v48
	v_sub_f32_e32 v48, v49, v48
	v_mul_f32_e32 v49, v20, v27
	v_fma_f32 v27, v27, v20, -v49
	v_fmac_f32_e32 v27, v48, v20
	v_add_f32_e32 v48, v49, v27
	v_sub_f32_e32 v20, v48, v49
	v_sub_f32_e32 v27, v27, v20
	v_add_f32_e32 v20, v26, v48
	v_sub_f32_e32 v26, v20, v26
	v_sub_f32_e32 v26, v48, v26
	v_add_f32_e32 v18, v18, v27
	v_add_f32_e32 v26, v18, v26
	;; [unrolled: 1-line block ×3, first 2 shown]
	v_add_f32_e32 v49, 1.0, v48
	v_pk_add_f32 v[50:51], v[48:49], v[20:21] neg_lo:[0,1] neg_hi:[0,1]
	v_pk_add_f32 v[52:53], v[48:49], s[22:23]
	v_mov_b32_e32 v51, v53
	v_mov_b32_e32 v27, v48
	v_cvt_i32_f32_e32 v18, v47
	v_pk_add_f32 v[26:27], v[26:27], v[50:51] neg_lo:[0,1] neg_hi:[0,1]
	v_add_f32_e32 v20, v26, v27
	v_add_f32_e32 v26, v49, v20
	v_ldexp_f32 v27, v26, v18
	v_rcp_f32_e32 v47, v27
	v_sub_f32_e32 v26, v26, v49
	v_sub_f32_e32 v20, v20, v26
	v_ldexp_f32 v18, v20, v18
	v_mul_f32_e32 v20, v27, v47
	v_fma_f32 v26, v47, v27, -v20
	v_fmac_f32_e32 v26, v47, v18
	v_add_f32_e32 v48, v20, v26
	v_sub_f32_e32 v49, 1.0, v48
	v_sub_f32_e32 v50, 1.0, v49
	v_sub_f32_e32 v20, v48, v20
	v_sub_f32_e32 v50, v50, v48
	;; [unrolled: 1-line block ×3, first 2 shown]
	v_add_f32_e32 v20, v20, v50
	v_add_f32_e32 v26, v49, v20
	v_mul_f32_e32 v48, v47, v26
	v_mul_f32_e32 v50, v27, v48
	v_fma_f32 v51, v48, v27, -v50
	v_fmac_f32_e32 v51, v48, v18
	v_sub_f32_e32 v49, v49, v26
	v_add_f32_e32 v20, v20, v49
	v_add_f32_e32 v49, v50, v51
	v_sub_f32_e32 v52, v26, v49
	v_sub_f32_e32 v26, v26, v52
	;; [unrolled: 1-line block ×4, first 2 shown]
	v_add_f32_e32 v20, v20, v26
	v_sub_f32_e32 v26, v50, v51
	v_add_f32_e32 v20, v26, v20
	v_add_f32_e32 v20, v52, v20
	;; [unrolled: 1-line block ×3, first 2 shown]
	v_mul_f32_e32 v20, v47, v20
	v_sub_f32_e32 v47, v26, v47
	v_sub_f32_e32 v47, v48, v47
	v_add_f32_e32 v20, v47, v20
	v_add_f32_e32 v47, v26, v20
	v_sub_f32_e32 v26, v47, v26
	v_sub_f32_e32 v20, v20, v26
	v_ldexp_f32 v26, v47, -2
	v_sub_f32_e32 v47, v27, v26
	v_sub_f32_e32 v27, v27, v47
	;; [unrolled: 1-line block ×3, first 2 shown]
	v_ldexp_f32 v20, v20, -2
	v_add_f32_e32 v18, v18, v26
	v_sub_f32_e32 v18, v18, v20
	v_add_f32_e32 v18, v47, v18
	v_cmp_ngt_f32_e64 vcc, |v31|, s60
	v_cndmask_b32_e32 v18, v44, v18, vcc
	v_cmp_lt_f32_e64 s[8:9], |v31|, s61
	v_cndmask_b32_e64 v18, v18, |v31|, s[8:9]
	v_xor_b32_e32 v20, 0x80000000, v31
	v_bfi_b32 v18, s44, v18, v20
	v_fma_f32 v20, v18, v18, 1.0
	v_mul_f32_e32 v26, 0x4f800000, v20
	v_cmp_gt_f32_e32 vcc, s62, v20
	v_cndmask_b32_e32 v20, v20, v26, vcc
	v_sqrt_f32_e32 v26, v20
	v_xor_b32_e32 v0, v46, v0
	v_xor_b32_e32 v0, v0, v30
	v_fma_f32 v27, v0, v0, 1.0
	v_add_u32_e32 v30, -1, v26
	v_fma_f32 v31, -v30, v26, v20
	v_cmp_ge_f32_e64 s[8:9], 0, v31
	v_add_u32_e32 v31, 1, v26
	v_cndmask_b32_e64 v30, v26, v30, s[8:9]
	v_fma_f32 v26, -v31, v26, v20
	v_cmp_lt_f32_e64 s[8:9], 0, v26
	v_cndmask_b32_e64 v26, v30, v31, s[8:9]
	v_mul_f32_e32 v30, 0x37800000, v26
	v_cndmask_b32_e32 v26, v26, v30, vcc
	v_cmp_class_f32_e32 vcc, v20, v38
	v_cndmask_b32_e32 v20, v26, v20, vcc
	v_mul_f32_e32 v26, v18, v27
	v_mul_f32_e32 v20, v20, v27
	v_fma_f32 v26, v18, v26, 1.0
	v_mul_f32_e32 v18, v18, v20
	v_div_scale_f32 v20, s[8:9], v26, v26, v18
	v_rcp_f32_e32 v27, v20
	v_fma_f32 v30, -v20, v27, 1.0
	v_fmac_f32_e32 v27, v30, v27
	v_div_scale_f32 v30, vcc, v18, v26, v18
	v_mul_f32_e32 v31, v30, v27
	v_fma_f32 v46, -v20, v31, v30
	v_fmac_f32_e32 v31, v46, v27
	v_fma_f32 v20, -v20, v31, v30
	v_div_scale_f32 v30, s[8:9], v26, v26, v0
	v_rcp_f32_e32 v46, v30
	v_div_fmas_f32 v20, v20, v27, v31
	v_div_fixup_f32 v27, v20, v26, v18
	v_fma_f32 v18, -v30, v46, 1.0
	v_fmac_f32_e32 v46, v18, v46
	v_div_scale_f32 v18, vcc, v0, v26, v0
	v_mul_f32_e32 v20, v18, v46
	v_fma_f32 v31, -v30, v20, v18
	v_fmac_f32_e32 v20, v31, v46
	v_fma_f32 v18, -v30, v20, v18
	v_div_fmas_f32 v18, v18, v46, v20
	v_div_fixup_f32 v26, v18, v26, v0
                                        ; implicit-def: $vgpr30
                                        ; implicit-def: $vgpr46
.LBB95_177:                             ;   in Loop: Header=BB95_161 Depth=1
	s_andn2_saveexec_b64 s[30:31], s[30:31]
	s_cbranch_execz .LBB95_197
; %bb.178:                              ;   in Loop: Header=BB95_161 Depth=1
	v_cmp_nlt_f32_e64 s[34:35], |v30|, s48
                                        ; implicit-def: $vgpr18
                                        ; implicit-def: $vgpr20
	s_and_saveexec_b64 s[8:9], s[34:35]
	s_xor_b64 s[36:37], exec, s[8:9]
	s_cbranch_execz .LBB95_180
; %bb.179:                              ;   in Loop: Header=BB95_161 Depth=1
	v_lshrrev_b32_e32 v0, 23, v46
	v_add_u32_e32 v0, 0xffffff88, v0
	v_cmp_lt_u32_e32 vcc, 63, v0
	v_cndmask_b32_e32 v18, 0, v42, vcc
	v_add_u32_e32 v0, v18, v0
	v_cmp_lt_u32_e64 s[8:9], 31, v0
	v_cndmask_b32_e64 v18, 0, v43, s[8:9]
	v_add_u32_e32 v0, v18, v0
	v_cmp_lt_u32_e64 s[10:11], 31, v0
	v_cndmask_b32_e64 v18, 0, v43, s[10:11]
	v_add_u32_e32 v18, v18, v0
	v_and_b32_e32 v0, 0x7fffff, v46
	v_or_b32_e32 v20, 0x800000, v0
	v_mad_u64_u32 v[26:27], s[12:13], v20, s49, 0
	v_mov_b32_e32 v0, v27
	v_mad_u64_u32 v[48:49], s[12:13], v20, s50, v[0:1]
	v_mov_b32_e32 v0, v49
	;; [unrolled: 2-line block ×6, first 2 shown]
	v_mad_u64_u32 v[58:59], s[12:13], v20, s55, v[0:1]
	v_cndmask_b32_e32 v27, v56, v52, vcc
	v_cndmask_b32_e32 v0, v58, v54, vcc
	;; [unrolled: 1-line block ×3, first 2 shown]
	v_cndmask_b32_e64 v20, v0, v27, s[8:9]
	v_cndmask_b32_e64 v0, v47, v0, s[8:9]
	v_cndmask_b32_e32 v47, v54, v50, vcc
	v_cndmask_b32_e64 v27, v27, v47, s[8:9]
	v_sub_u32_e32 v49, 32, v18
	v_cmp_eq_u32_e64 s[12:13], 0, v18
	v_cndmask_b32_e32 v18, v52, v48, vcc
	v_cndmask_b32_e64 v0, v0, v20, s[10:11]
	v_cndmask_b32_e64 v20, v20, v27, s[10:11]
	;; [unrolled: 1-line block ×3, first 2 shown]
	v_alignbit_b32 v51, v0, v20, v49
	v_cndmask_b32_e64 v27, v27, v47, s[10:11]
	v_cndmask_b32_e64 v0, v51, v0, s[12:13]
	v_alignbit_b32 v48, v20, v27, v49
	v_cndmask_b32_e32 v26, v50, v26, vcc
	v_cndmask_b32_e64 v20, v48, v20, s[12:13]
	v_bfe_u32 v52, v0, 29, 1
	v_cndmask_b32_e64 v18, v18, v26, s[8:9]
	v_alignbit_b32 v48, v0, v20, 30
	v_sub_u32_e32 v53, 0, v52
	v_cndmask_b32_e64 v18, v47, v18, s[10:11]
	v_xor_b32_e32 v54, v48, v53
	v_alignbit_b32 v26, v27, v18, v49
	v_cndmask_b32_e64 v26, v26, v27, s[12:13]
	v_ffbh_u32_e32 v27, v54
	v_add_u32_e32 v27, 1, v27
	v_cmp_ne_u32_e32 vcc, v48, v53
	v_alignbit_b32 v20, v20, v26, 30
	v_cndmask_b32_e32 v27, 33, v27, vcc
	v_alignbit_b32 v18, v26, v18, 30
	v_xor_b32_e32 v20, v20, v53
	v_sub_u32_e32 v47, 32, v27
	v_xor_b32_e32 v18, v18, v53
	v_alignbit_b32 v48, v54, v20, v47
	v_alignbit_b32 v18, v20, v18, v47
	;; [unrolled: 1-line block ×3, first 2 shown]
	v_ffbh_u32_e32 v26, v20
	v_min_u32_e32 v26, 32, v26
	v_lshrrev_b32_e32 v51, 29, v0
	v_sub_u32_e32 v47, 31, v26
	v_alignbit_b32 v18, v20, v18, v47
	v_lshlrev_b32_e32 v20, 31, v51
	v_or_b32_e32 v47, 0x33800000, v20
	v_add_lshl_u32 v26, v26, v27, 23
	v_lshrrev_b32_e32 v18, 9, v18
	v_sub_u32_e32 v26, v47, v26
	v_or_b32_e32 v18, v26, v18
	v_alignbit_b32 v26, v27, v48, 9
	v_or_b32_e32 v20, v26, v20
	v_xor_b32_e32 v20, 1.0, v20
	v_mul_f32_e32 v26, 0x3fc90fda, v20
	v_fma_f32 v27, v20, s56, -v26
	v_fmac_f32_e32 v27, 0x33a22168, v20
	v_fmac_f32_e32 v27, 0x3fc90fda, v18
	v_lshrrev_b32_e32 v0, 30, v0
	v_add_f32_e32 v20, v26, v27
	v_add_u32_e32 v18, v52, v0
	s_andn2_saveexec_b64 s[8:9], s[36:37]
	s_branch .LBB95_181
.LBB95_180:                             ;   in Loop: Header=BB95_161 Depth=1
	s_andn2_saveexec_b64 s[8:9], s[36:37]
.LBB95_181:                             ;   in Loop: Header=BB95_161 Depth=1
	v_mul_f32_e64 v0, |v30|, s57
	v_rndne_f32_e32 v0, v0
	v_cvt_i32_f32_e32 v18, v0
	v_fma_f32 v20, v0, s58, |v30|
	v_fmac_f32_e32 v20, 0xb3a22168, v0
	v_fmac_f32_e32 v20, 0xa7c234c4, v0
; %bb.182:                              ;   in Loop: Header=BB95_161 Depth=1
	s_or_b64 exec, exec, s[8:9]
                                        ; implicit-def: $vgpr0
                                        ; implicit-def: $vgpr26
	s_and_saveexec_b64 s[8:9], s[34:35]
	s_xor_b64 s[34:35], exec, s[8:9]
	s_cbranch_execz .LBB95_184
; %bb.183:                              ;   in Loop: Header=BB95_161 Depth=1
	v_lshrrev_b32_e32 v0, 23, v46
	v_add_u32_e32 v0, 0xffffff88, v0
	v_cmp_lt_u32_e32 vcc, 63, v0
	v_cndmask_b32_e32 v26, 0, v42, vcc
	v_add_u32_e32 v0, v26, v0
	v_cmp_lt_u32_e64 s[8:9], 31, v0
	v_cndmask_b32_e64 v26, 0, v43, s[8:9]
	v_add_u32_e32 v0, v26, v0
	v_cmp_lt_u32_e64 s[10:11], 31, v0
	v_cndmask_b32_e64 v26, 0, v43, s[10:11]
	v_add_u32_e32 v47, v26, v0
	v_and_b32_e32 v0, 0x7fffff, v46
	v_or_b32_e32 v58, 0x800000, v0
	v_mad_u64_u32 v[26:27], s[12:13], v58, s49, 0
	v_mov_b32_e32 v0, v27
	v_mad_u64_u32 v[48:49], s[12:13], v58, s50, v[0:1]
	v_mov_b32_e32 v0, v49
	;; [unrolled: 2-line block ×6, first 2 shown]
	v_mad_u64_u32 v[58:59], s[12:13], v58, s55, v[0:1]
	v_cndmask_b32_e32 v27, v56, v52, vcc
	v_cndmask_b32_e32 v0, v58, v54, vcc
	;; [unrolled: 1-line block ×3, first 2 shown]
	v_cndmask_b32_e64 v49, v0, v27, s[8:9]
	v_cndmask_b32_e64 v0, v51, v0, s[8:9]
	v_cndmask_b32_e32 v51, v54, v50, vcc
	v_cndmask_b32_e64 v27, v27, v51, s[8:9]
	v_sub_u32_e32 v53, 32, v47
	v_cmp_eq_u32_e64 s[12:13], 0, v47
	v_cndmask_b32_e32 v47, v52, v48, vcc
	v_cndmask_b32_e64 v0, v0, v49, s[10:11]
	v_cndmask_b32_e64 v49, v49, v27, s[10:11]
	v_cndmask_b32_e64 v48, v51, v47, s[8:9]
	v_alignbit_b32 v54, v0, v49, v53
	v_cndmask_b32_e64 v27, v27, v48, s[10:11]
	v_cndmask_b32_e64 v0, v54, v0, s[12:13]
	v_alignbit_b32 v51, v49, v27, v53
	v_cndmask_b32_e64 v49, v51, v49, s[12:13]
	v_bfe_u32 v54, v0, 29, 1
	v_cndmask_b32_e32 v26, v50, v26, vcc
	v_alignbit_b32 v51, v0, v49, 30
	v_sub_u32_e32 v55, 0, v54
	v_cndmask_b32_e64 v26, v47, v26, s[8:9]
	v_xor_b32_e32 v56, v51, v55
	v_cndmask_b32_e64 v26, v48, v26, s[10:11]
	v_alignbit_b32 v47, v27, v26, v53
	v_ffbh_u32_e32 v48, v56
	v_cndmask_b32_e64 v27, v47, v27, s[12:13]
	v_add_u32_e32 v48, 1, v48
	v_cmp_ne_u32_e32 vcc, v51, v55
	v_alignbit_b32 v47, v49, v27, 30
	v_cndmask_b32_e32 v48, 33, v48, vcc
	v_alignbit_b32 v26, v27, v26, 30
	v_xor_b32_e32 v47, v47, v55
	v_sub_u32_e32 v49, 32, v48
	v_xor_b32_e32 v26, v26, v55
	v_alignbit_b32 v50, v56, v47, v49
	v_alignbit_b32 v26, v47, v26, v49
	v_alignbit_b32 v27, v50, v26, 9
	v_ffbh_u32_e32 v47, v27
	v_min_u32_e32 v47, 32, v47
	v_lshrrev_b32_e32 v52, 29, v0
	v_sub_u32_e32 v49, 31, v47
	v_alignbit_b32 v26, v27, v26, v49
	v_lshlrev_b32_e32 v27, 31, v52
	v_or_b32_e32 v49, 0x33800000, v27
	v_add_lshl_u32 v47, v47, v48, 23
	v_lshrrev_b32_e32 v26, 9, v26
	v_sub_u32_e32 v47, v49, v47
	v_or_b32_e32 v26, v47, v26
	v_alignbit_b32 v47, v48, v50, 9
	v_or_b32_e32 v27, v47, v27
	v_xor_b32_e32 v27, 1.0, v27
	v_mul_f32_e32 v47, 0x3fc90fda, v27
	v_fma_f32 v48, v27, s56, -v47
	v_fmac_f32_e32 v48, 0x33a22168, v27
	v_fmac_f32_e32 v48, 0x3fc90fda, v26
	v_lshrrev_b32_e32 v0, 30, v0
	v_add_f32_e32 v26, v47, v48
	v_add_u32_e32 v0, v54, v0
	s_andn2_saveexec_b64 s[8:9], s[34:35]
	s_cbranch_execnz .LBB95_185
	s_branch .LBB95_186
.LBB95_184:                             ;   in Loop: Header=BB95_161 Depth=1
	s_andn2_saveexec_b64 s[8:9], s[34:35]
.LBB95_185:                             ;   in Loop: Header=BB95_161 Depth=1
	v_mul_f32_e64 v0, |v30|, s57
	v_rndne_f32_e32 v27, v0
	v_cvt_i32_f32_e32 v0, v27
	v_fma_f32 v26, v27, s58, |v30|
	v_fmac_f32_e32 v26, 0xb3a22168, v27
	v_fmac_f32_e32 v26, 0xa7c234c4, v27
.LBB95_186:                             ;   in Loop: Header=BB95_161 Depth=1
	s_or_b64 exec, exec, s[8:9]
	v_mul_f32_e32 v27, v20, v20
	v_mov_b32_e32 v47, 0x3c0881c4
	v_fmac_f32_e32 v47, 0xb94c1982, v27
	v_fma_f32 v47, v27, v47, v39
	v_mul_f32_e32 v47, v27, v47
	v_fmac_f32_e32 v20, v20, v47
	v_mov_b32_e32 v47, 0xbab64f3b
	v_fmac_f32_e32 v47, 0x37d75334, v27
	v_fma_f32 v47, v27, v47, v40
	v_fma_f32 v47, v27, v47, v41
	v_fma_f32 v27, v27, v47, 1.0
	v_and_b32_e32 v47, 1, v18
	v_cmp_eq_u32_e32 vcc, 0, v47
	v_lshlrev_b32_e32 v18, 30, v18
	v_cndmask_b32_e32 v20, v27, v20, vcc
	v_and_b32_e32 v18, 0x80000000, v18
	v_mul_f32_e64 v27, |v31|, s63
	v_xor_b32_e32 v18, v46, v18
	v_rndne_f32_e32 v46, v27
	v_sub_f32_e32 v47, v27, v46
	v_fma_f32 v27, |v31|, s63, -v27
	v_fma_f32 v27, |v31|, s64, v27
	v_add_f32_e32 v27, v47, v27
	v_exp_f32_e32 v27, v27
	v_cvt_i32_f32_e32 v46, v46
	v_xor_b32_e32 v18, v18, v20
	v_cmp_ngt_f32_e64 vcc, |v31|, s65
	v_xor_b32_e32 v18, v18, v30
	v_ldexp_f32 v20, v27, v46
	v_cndmask_b32_e32 v20, 0, v20, vcc
	v_cmp_nlt_f32_e64 vcc, |v31|, s66
	v_xor_b32_e32 v27, 0x80000000, v31
	v_mul_f32_e32 v30, v26, v26
	v_mov_b32_e32 v31, 0x3c0881c4
	v_fmac_f32_e32 v31, 0xb94c1982, v30
	v_fma_f32 v31, v30, v31, v39
	v_mul_f32_e32 v31, v30, v31
	v_fmac_f32_e32 v26, v26, v31
	v_mov_b32_e32 v31, 0xbab64f3b
	v_fmac_f32_e32 v31, 0x37d75334, v30
	v_fma_f32 v31, v30, v31, v40
	v_fma_f32 v31, v30, v31, v41
	v_fma_f32 v30, v30, v31, 1.0
	v_and_b32_e32 v31, 1, v0
	v_cndmask_b32_e32 v20, v44, v20, vcc
	v_cmp_eq_u32_e32 vcc, 0, v31
	v_lshlrev_b32_e32 v0, 30, v0
	v_cndmask_b32_e64 v26, -v26, v30, vcc
	v_and_b32_e32 v0, 0x80000000, v0
	v_mul_f32_e32 v18, 4.0, v18
	v_xor_b32_e32 v0, v0, v26
	v_mul_f32_e32 v0, v18, v0
	v_mul_f32_e32 v0, v20, v0
	v_bfi_b32 v27, s44, 1.0, v27
	v_mul_f32_e32 v26, v20, v0
	s_or_b64 exec, exec, s[30:31]
                                        ; implicit-def: $vgpr30
.LBB95_187:                             ;   in Loop: Header=BB95_161 Depth=1
	s_andn2_saveexec_b64 s[8:9], s[28:29]
.LBB95_188:                             ;   in Loop: Header=BB95_161 Depth=1
	v_sub_f32_e32 v26, v30, v30
	v_mov_b32_e32 v27, v26
.LBB95_189:                             ;   in Loop: Header=BB95_161 Depth=1
	s_or_b64 exec, exec, s[8:9]
                                        ; implicit-def: $vgpr31
.LBB95_190:                             ;   in Loop: Header=BB95_161 Depth=1
	s_andn2_saveexec_b64 s[26:27], s[26:27]
	s_cbranch_execz .LBB95_207
; %bb.191:                              ;   in Loop: Header=BB95_161 Depth=1
	v_xor_b32_e32 v27, 0x80000000, v31
	v_and_b32_e32 v0, 0x7fffff, v27
	v_cmp_ne_u32_e32 vcc, 0, v0
                                        ; implicit-def: $vgpr26
	s_and_saveexec_b64 s[8:9], vcc
	s_xor_b64 s[8:9], exec, s[8:9]
; %bb.192:                              ;   in Loop: Header=BB95_161 Depth=1
	v_mul_f32_e64 v0, v30, -v31
	v_cmp_eq_f32_e32 vcc, 0, v30
	v_cndmask_b32_e32 v26, v0, v30, vcc
                                        ; implicit-def: $vgpr30
; %bb.193:                              ;   in Loop: Header=BB95_161 Depth=1
	s_andn2_saveexec_b64 s[28:29], s[8:9]
	s_cbranch_execz .LBB95_206
; %bb.194:                              ;   in Loop: Header=BB95_161 Depth=1
	v_cmp_neq_f32_e64 s[8:9], |v30|, s45
	s_and_saveexec_b64 s[30:31], s[8:9]
	s_cbranch_execz .LBB95_205
; %bb.195:                              ;   in Loop: Header=BB95_161 Depth=1
	v_and_b32_e32 v18, 0x7fffffff, v30
	v_cmp_nlt_f32_e64 s[34:35], |v30|, s48
                                        ; implicit-def: $vgpr20
                                        ; implicit-def: $vgpr26
	s_and_saveexec_b64 s[8:9], s[34:35]
	s_xor_b64 s[36:37], exec, s[8:9]
	s_cbranch_execz .LBB95_198
; %bb.196:                              ;   in Loop: Header=BB95_161 Depth=1
	v_lshrrev_b32_e32 v0, 23, v18
	v_add_u32_e32 v0, 0xffffff88, v0
	v_cmp_lt_u32_e32 vcc, 63, v0
	v_cndmask_b32_e32 v20, 0, v42, vcc
	v_add_u32_e32 v0, v20, v0
	v_cmp_lt_u32_e64 s[8:9], 31, v0
	v_cndmask_b32_e64 v20, 0, v43, s[8:9]
	v_add_u32_e32 v0, v20, v0
	v_cmp_lt_u32_e64 s[10:11], 31, v0
	v_cndmask_b32_e64 v20, 0, v43, s[10:11]
	v_add_u32_e32 v20, v20, v0
	v_and_b32_e32 v0, 0x7fffff, v18
	v_or_b32_e32 v26, 0x800000, v0
	v_mad_u64_u32 v[46:47], s[12:13], v26, s49, 0
	v_mov_b32_e32 v0, v47
	v_mad_u64_u32 v[48:49], s[12:13], v26, s50, v[0:1]
	v_mov_b32_e32 v0, v49
	;; [unrolled: 2-line block ×6, first 2 shown]
	v_mad_u64_u32 v[58:59], s[12:13], v26, s55, v[0:1]
	v_cndmask_b32_e32 v31, v56, v52, vcc
	v_cndmask_b32_e32 v0, v58, v54, vcc
	v_cndmask_b32_e32 v47, v59, v56, vcc
	v_cndmask_b32_e64 v26, v0, v31, s[8:9]
	v_cndmask_b32_e64 v0, v47, v0, s[8:9]
	v_cndmask_b32_e32 v47, v54, v50, vcc
	v_cndmask_b32_e64 v31, v31, v47, s[8:9]
	v_sub_u32_e32 v49, 32, v20
	v_cmp_eq_u32_e64 s[12:13], 0, v20
	v_cndmask_b32_e32 v20, v52, v48, vcc
	v_cndmask_b32_e64 v0, v0, v26, s[10:11]
	v_cndmask_b32_e64 v26, v26, v31, s[10:11]
	;; [unrolled: 1-line block ×3, first 2 shown]
	v_alignbit_b32 v51, v0, v26, v49
	v_cndmask_b32_e64 v31, v31, v47, s[10:11]
	v_cndmask_b32_e64 v0, v51, v0, s[12:13]
	v_alignbit_b32 v48, v26, v31, v49
	v_cndmask_b32_e32 v46, v50, v46, vcc
	v_cndmask_b32_e64 v26, v48, v26, s[12:13]
	v_bfe_u32 v52, v0, 29, 1
	v_cndmask_b32_e64 v20, v20, v46, s[8:9]
	v_alignbit_b32 v48, v0, v26, 30
	v_sub_u32_e32 v53, 0, v52
	v_cndmask_b32_e64 v20, v47, v20, s[10:11]
	v_xor_b32_e32 v54, v48, v53
	v_alignbit_b32 v46, v31, v20, v49
	v_cndmask_b32_e64 v31, v46, v31, s[12:13]
	v_ffbh_u32_e32 v46, v54
	v_add_u32_e32 v46, 1, v46
	v_cmp_ne_u32_e32 vcc, v48, v53
	v_alignbit_b32 v26, v26, v31, 30
	v_cndmask_b32_e32 v46, 33, v46, vcc
	v_alignbit_b32 v20, v31, v20, 30
	v_xor_b32_e32 v26, v26, v53
	v_sub_u32_e32 v47, 32, v46
	v_xor_b32_e32 v20, v20, v53
	v_alignbit_b32 v48, v54, v26, v47
	v_alignbit_b32 v20, v26, v20, v47
	;; [unrolled: 1-line block ×3, first 2 shown]
	v_ffbh_u32_e32 v31, v26
	v_min_u32_e32 v31, 32, v31
	v_lshrrev_b32_e32 v51, 29, v0
	v_sub_u32_e32 v47, 31, v31
	v_alignbit_b32 v20, v26, v20, v47
	v_lshlrev_b32_e32 v26, 31, v51
	v_or_b32_e32 v47, 0x33800000, v26
	v_add_lshl_u32 v31, v31, v46, 23
	v_lshrrev_b32_e32 v20, 9, v20
	v_sub_u32_e32 v31, v47, v31
	v_or_b32_e32 v20, v31, v20
	v_alignbit_b32 v31, v46, v48, 9
	v_or_b32_e32 v26, v31, v26
	v_xor_b32_e32 v26, 1.0, v26
	v_mul_f32_e32 v31, 0x3fc90fda, v26
	v_fma_f32 v46, v26, s56, -v31
	v_fmac_f32_e32 v46, 0x33a22168, v26
	v_fmac_f32_e32 v46, 0x3fc90fda, v20
	v_lshrrev_b32_e32 v0, 30, v0
	v_add_f32_e32 v26, v31, v46
	v_add_u32_e32 v20, v52, v0
	s_andn2_saveexec_b64 s[8:9], s[36:37]
	s_branch .LBB95_199
.LBB95_197:                             ;   in Loop: Header=BB95_161 Depth=1
	s_or_b64 exec, exec, s[30:31]
                                        ; implicit-def: $vgpr30
	s_andn2_saveexec_b64 s[8:9], s[28:29]
	s_cbranch_execnz .LBB95_188
	s_branch .LBB95_189
.LBB95_198:                             ;   in Loop: Header=BB95_161 Depth=1
	s_andn2_saveexec_b64 s[8:9], s[36:37]
.LBB95_199:                             ;   in Loop: Header=BB95_161 Depth=1
	v_mul_f32_e64 v0, |v30|, s57
	v_rndne_f32_e32 v0, v0
	v_cvt_i32_f32_e32 v20, v0
	v_fma_f32 v26, v0, s58, |v30|
	v_fmac_f32_e32 v26, 0xb3a22168, v0
	v_fmac_f32_e32 v26, 0xa7c234c4, v0
; %bb.200:                              ;   in Loop: Header=BB95_161 Depth=1
	s_or_b64 exec, exec, s[8:9]
                                        ; implicit-def: $vgpr0
                                        ; implicit-def: $vgpr31
	s_and_saveexec_b64 s[8:9], s[34:35]
	s_xor_b64 s[34:35], exec, s[8:9]
	s_cbranch_execz .LBB95_202
; %bb.201:                              ;   in Loop: Header=BB95_161 Depth=1
	v_lshrrev_b32_e32 v0, 23, v18
	v_add_u32_e32 v0, 0xffffff88, v0
	v_cmp_lt_u32_e32 vcc, 63, v0
	v_cndmask_b32_e32 v31, 0, v42, vcc
	v_add_u32_e32 v0, v31, v0
	v_cmp_lt_u32_e64 s[8:9], 31, v0
	v_cndmask_b32_e64 v31, 0, v43, s[8:9]
	v_add_u32_e32 v0, v31, v0
	v_cmp_lt_u32_e64 s[10:11], 31, v0
	v_cndmask_b32_e64 v31, 0, v43, s[10:11]
	v_add_u32_e32 v31, v31, v0
	v_and_b32_e32 v0, 0x7fffff, v18
	v_or_b32_e32 v58, 0x800000, v0
	v_mad_u64_u32 v[46:47], s[12:13], v58, s49, 0
	v_mov_b32_e32 v0, v47
	v_mad_u64_u32 v[48:49], s[12:13], v58, s50, v[0:1]
	v_mov_b32_e32 v0, v49
	;; [unrolled: 2-line block ×6, first 2 shown]
	v_mad_u64_u32 v[58:59], s[12:13], v58, s55, v[0:1]
	v_cndmask_b32_e32 v47, v56, v52, vcc
	v_cndmask_b32_e32 v0, v58, v54, vcc
	;; [unrolled: 1-line block ×3, first 2 shown]
	v_cndmask_b32_e64 v49, v0, v47, s[8:9]
	v_cndmask_b32_e64 v0, v51, v0, s[8:9]
	v_cndmask_b32_e32 v51, v54, v50, vcc
	v_cndmask_b32_e64 v47, v47, v51, s[8:9]
	v_sub_u32_e32 v53, 32, v31
	v_cmp_eq_u32_e64 s[12:13], 0, v31
	v_cndmask_b32_e32 v31, v52, v48, vcc
	v_cndmask_b32_e64 v0, v0, v49, s[10:11]
	v_cndmask_b32_e64 v49, v49, v47, s[10:11]
	v_cndmask_b32_e64 v48, v51, v31, s[8:9]
	v_alignbit_b32 v54, v0, v49, v53
	v_cndmask_b32_e64 v47, v47, v48, s[10:11]
	v_cndmask_b32_e64 v0, v54, v0, s[12:13]
	v_alignbit_b32 v51, v49, v47, v53
	v_cndmask_b32_e64 v49, v51, v49, s[12:13]
	v_bfe_u32 v54, v0, 29, 1
	v_cndmask_b32_e32 v46, v50, v46, vcc
	v_alignbit_b32 v51, v0, v49, 30
	v_sub_u32_e32 v55, 0, v54
	v_cndmask_b32_e64 v31, v31, v46, s[8:9]
	v_xor_b32_e32 v56, v51, v55
	v_cndmask_b32_e64 v31, v48, v31, s[10:11]
	v_alignbit_b32 v46, v47, v31, v53
	v_ffbh_u32_e32 v48, v56
	v_cndmask_b32_e64 v46, v46, v47, s[12:13]
	v_add_u32_e32 v48, 1, v48
	v_cmp_ne_u32_e32 vcc, v51, v55
	v_alignbit_b32 v47, v49, v46, 30
	v_cndmask_b32_e32 v48, 33, v48, vcc
	v_alignbit_b32 v31, v46, v31, 30
	v_xor_b32_e32 v47, v47, v55
	v_sub_u32_e32 v49, 32, v48
	v_xor_b32_e32 v31, v31, v55
	v_alignbit_b32 v50, v56, v47, v49
	v_alignbit_b32 v31, v47, v31, v49
	;; [unrolled: 1-line block ×3, first 2 shown]
	v_ffbh_u32_e32 v47, v46
	v_min_u32_e32 v47, 32, v47
	v_lshrrev_b32_e32 v52, 29, v0
	v_sub_u32_e32 v49, 31, v47
	v_alignbit_b32 v31, v46, v31, v49
	v_lshlrev_b32_e32 v46, 31, v52
	v_or_b32_e32 v49, 0x33800000, v46
	v_add_lshl_u32 v47, v47, v48, 23
	v_lshrrev_b32_e32 v31, 9, v31
	v_sub_u32_e32 v47, v49, v47
	v_or_b32_e32 v31, v47, v31
	v_alignbit_b32 v47, v48, v50, 9
	v_or_b32_e32 v46, v47, v46
	v_xor_b32_e32 v46, 1.0, v46
	v_mul_f32_e32 v47, 0x3fc90fda, v46
	v_fma_f32 v48, v46, s56, -v47
	v_fmac_f32_e32 v48, 0x33a22168, v46
	v_fmac_f32_e32 v48, 0x3fc90fda, v31
	v_lshrrev_b32_e32 v0, 30, v0
	v_add_f32_e32 v31, v47, v48
	v_add_u32_e32 v0, v54, v0
	s_andn2_saveexec_b64 s[8:9], s[34:35]
	s_cbranch_execnz .LBB95_203
	s_branch .LBB95_204
.LBB95_202:                             ;   in Loop: Header=BB95_161 Depth=1
	s_andn2_saveexec_b64 s[8:9], s[34:35]
.LBB95_203:                             ;   in Loop: Header=BB95_161 Depth=1
	v_mul_f32_e64 v0, |v30|, s57
	v_rndne_f32_e32 v46, v0
	v_cvt_i32_f32_e32 v0, v46
	v_fma_f32 v31, v46, s58, |v30|
	v_fmac_f32_e32 v31, 0xb3a22168, v46
	v_fmac_f32_e32 v31, 0xa7c234c4, v46
.LBB95_204:                             ;   in Loop: Header=BB95_161 Depth=1
	s_or_b64 exec, exec, s[8:9]
	v_mul_f32_e32 v46, v26, v26
	v_mov_b32_e32 v47, 0x3c0881c4
	v_fmac_f32_e32 v47, 0xb94c1982, v46
	v_fma_f32 v47, v46, v47, v39
	v_mul_f32_e32 v47, v46, v47
	v_fmac_f32_e32 v26, v26, v47
	v_mov_b32_e32 v47, 0xbab64f3b
	v_fmac_f32_e32 v47, 0x37d75334, v46
	v_fma_f32 v47, v46, v47, v40
	v_fma_f32 v47, v46, v47, v41
	v_fma_f32 v46, v46, v47, 1.0
	v_and_b32_e32 v47, 1, v20
	v_lshlrev_b32_e32 v20, 30, v20
	v_cmp_eq_u32_e32 vcc, 0, v47
	v_and_b32_e32 v20, 0x80000000, v20
	v_cndmask_b32_e32 v26, v46, v26, vcc
	v_xor_b32_e32 v18, v18, v20
	v_xor_b32_e32 v18, v18, v26
	v_mul_f32_e32 v20, v31, v31
	v_mov_b32_e32 v26, 0x3c0881c4
	v_fmac_f32_e32 v26, 0xb94c1982, v20
	v_fma_f32 v26, v20, v26, v39
	v_mul_f32_e32 v26, v20, v26
	v_fmac_f32_e32 v31, v31, v26
	v_mov_b32_e32 v26, 0xbab64f3b
	v_fmac_f32_e32 v26, 0x37d75334, v20
	v_fma_f32 v26, v20, v26, v40
	v_fma_f32 v26, v20, v26, v41
	v_fma_f32 v20, v20, v26, 1.0
	v_and_b32_e32 v26, 1, v0
	v_cmp_eq_u32_e32 vcc, 0, v26
	v_lshlrev_b32_e32 v0, 30, v0
	v_cndmask_b32_e64 v20, -v31, v20, vcc
	v_and_b32_e32 v0, 0x80000000, v0
	v_xor_b32_e32 v18, v18, v30
	v_xor_b32_e32 v0, v0, v20
	v_mul_f32_e32 v0, v18, v0
	v_cmp_class_f32_e64 vcc, v30, s46
	v_cndmask_b32_e32 v30, v45, v0, vcc
.LBB95_205:                             ;   in Loop: Header=BB95_161 Depth=1
	s_or_b64 exec, exec, s[30:31]
	v_add_u32_e32 v27, -2.0, v27
	v_bfi_b32 v26, s44, 0, v30
.LBB95_206:                             ;   in Loop: Header=BB95_161 Depth=1
	s_or_b64 exec, exec, s[28:29]
.LBB95_207:                             ;   in Loop: Header=BB95_161 Depth=1
	s_or_b64 exec, exec, s[26:27]
	v_and_b32_e32 v18, 0x7fffffff, v33
	v_cmp_gt_u32_e32 vcc, s45, v18
                                        ; implicit-def: $vgpr30
                                        ; implicit-def: $vgpr31
	s_and_saveexec_b64 s[8:9], vcc
	s_xor_b64 s[26:27], exec, s[8:9]
	s_cbranch_execz .LBB95_229
; %bb.208:                              ;   in Loop: Header=BB95_161 Depth=1
	v_cmp_class_f32_e64 s[8:9], v32, s46
                                        ; implicit-def: $vgpr30
                                        ; implicit-def: $vgpr31
	s_and_saveexec_b64 s[10:11], s[8:9]
	s_xor_b64 s[28:29], exec, s[10:11]
	s_cbranch_execz .LBB95_226
; %bb.209:                              ;   in Loop: Header=BB95_161 Depth=1
	v_and_b32_e32 v46, 0x7fffffff, v32
	v_cmp_gt_u32_e32 vcc, s47, v18
                                        ; implicit-def: $vgpr30
                                        ; implicit-def: $vgpr31
	s_and_saveexec_b64 s[8:9], vcc
	s_xor_b64 s[30:31], exec, s[8:9]
	s_cbranch_execz .LBB95_215
; %bb.210:                              ;   in Loop: Header=BB95_161 Depth=1
	v_cmp_nlt_f32_e64 s[8:9], |v32|, s48
                                        ; implicit-def: $vgpr20
                                        ; implicit-def: $vgpr0
	s_and_saveexec_b64 s[10:11], s[8:9]
	s_xor_b64 s[34:35], exec, s[10:11]
	s_cbranch_execz .LBB95_212
; %bb.211:                              ;   in Loop: Header=BB95_161 Depth=1
	v_lshrrev_b32_e32 v0, 23, v46
	v_add_u32_e32 v0, 0xffffff88, v0
	v_cmp_lt_u32_e32 vcc, 63, v0
	v_cndmask_b32_e32 v20, 0, v42, vcc
	v_add_u32_e32 v0, v20, v0
	v_cmp_lt_u32_e64 s[8:9], 31, v0
	v_cndmask_b32_e64 v20, 0, v43, s[8:9]
	v_add_u32_e32 v0, v20, v0
	v_cmp_lt_u32_e64 s[10:11], 31, v0
	v_cndmask_b32_e64 v20, 0, v43, s[10:11]
	v_add_u32_e32 v20, v20, v0
	v_and_b32_e32 v0, 0x7fffff, v46
	v_or_b32_e32 v47, 0x800000, v0
	v_mad_u64_u32 v[30:31], s[12:13], v47, s49, 0
	v_mov_b32_e32 v0, v31
	v_mad_u64_u32 v[48:49], s[12:13], v47, s50, v[0:1]
	v_mov_b32_e32 v0, v49
	;; [unrolled: 2-line block ×6, first 2 shown]
	v_mad_u64_u32 v[58:59], s[12:13], v47, s55, v[0:1]
	v_cndmask_b32_e32 v31, v56, v52, vcc
	v_cndmask_b32_e32 v0, v58, v54, vcc
	;; [unrolled: 1-line block ×3, first 2 shown]
	v_cndmask_b32_e64 v47, v0, v31, s[8:9]
	v_cndmask_b32_e64 v0, v49, v0, s[8:9]
	v_cndmask_b32_e32 v49, v54, v50, vcc
	v_cndmask_b32_e64 v31, v31, v49, s[8:9]
	v_cndmask_b32_e64 v0, v0, v47, s[10:11]
	;; [unrolled: 1-line block ×3, first 2 shown]
	v_sub_u32_e32 v51, 32, v20
	v_alignbit_b32 v53, v0, v47, v51
	v_cmp_eq_u32_e64 s[12:13], 0, v20
	v_cndmask_b32_e64 v20, v53, v0, s[12:13]
	v_cndmask_b32_e32 v0, v52, v48, vcc
	v_cndmask_b32_e64 v48, v49, v0, s[8:9]
	v_cndmask_b32_e64 v31, v31, v48, s[10:11]
	v_cndmask_b32_e32 v30, v50, v30, vcc
	v_alignbit_b32 v49, v47, v31, v51
	v_cndmask_b32_e64 v0, v0, v30, s[8:9]
	v_cndmask_b32_e64 v47, v49, v47, s[12:13]
	v_bfe_u32 v53, v20, 29, 1
	v_cndmask_b32_e64 v0, v48, v0, s[10:11]
	v_alignbit_b32 v49, v20, v47, 30
	v_sub_u32_e32 v54, 0, v53
	v_alignbit_b32 v30, v31, v0, v51
	v_xor_b32_e32 v55, v49, v54
	v_cndmask_b32_e64 v30, v30, v31, s[12:13]
	v_alignbit_b32 v31, v47, v30, 30
	v_ffbh_u32_e32 v47, v55
	v_add_u32_e32 v47, 1, v47
	v_cmp_ne_u32_e32 vcc, v49, v54
	v_cndmask_b32_e32 v47, 33, v47, vcc
	v_alignbit_b32 v0, v30, v0, 30
	v_xor_b32_e32 v31, v31, v54
	v_sub_u32_e32 v48, 32, v47
	v_xor_b32_e32 v0, v0, v54
	v_alignbit_b32 v49, v55, v31, v48
	v_alignbit_b32 v0, v31, v0, v48
	;; [unrolled: 1-line block ×3, first 2 shown]
	v_ffbh_u32_e32 v31, v30
	v_min_u32_e32 v31, 32, v31
	v_lshrrev_b32_e32 v52, 29, v20
	v_sub_u32_e32 v48, 31, v31
	v_alignbit_b32 v0, v30, v0, v48
	v_lshlrev_b32_e32 v30, 31, v52
	v_or_b32_e32 v48, 0x33800000, v30
	v_add_lshl_u32 v31, v31, v47, 23
	v_lshrrev_b32_e32 v0, 9, v0
	v_sub_u32_e32 v31, v48, v31
	v_or_b32_e32 v0, v31, v0
	v_alignbit_b32 v31, v47, v49, 9
	v_or_b32_e32 v30, v31, v30
	v_xor_b32_e32 v30, 1.0, v30
	v_mul_f32_e32 v31, 0x3fc90fda, v30
	v_fma_f32 v47, v30, s56, -v31
	v_fmac_f32_e32 v47, 0x33a22168, v30
	v_fmac_f32_e32 v47, 0x3fc90fda, v0
	v_lshrrev_b32_e32 v20, 30, v20
	v_add_f32_e32 v0, v31, v47
	v_add_u32_e32 v20, v53, v20
.LBB95_212:                             ;   in Loop: Header=BB95_161 Depth=1
	s_andn2_saveexec_b64 s[8:9], s[34:35]
; %bb.213:                              ;   in Loop: Header=BB95_161 Depth=1
	v_mul_f32_e64 v0, |v32|, s57
	v_rndne_f32_e32 v30, v0
	v_cvt_i32_f32_e32 v20, v30
	v_fma_f32 v0, v30, s58, |v32|
	v_fmac_f32_e32 v0, 0xb3a22168, v30
	v_fmac_f32_e32 v0, 0xa7c234c4, v30
; %bb.214:                              ;   in Loop: Header=BB95_161 Depth=1
	s_or_b64 exec, exec, s[8:9]
	v_mul_f32_e32 v30, v0, v0
	v_mov_b32_e32 v31, 0xbf039337
	v_fmac_f32_e32 v31, 0x3c971480, v30
	v_fma_f32 v31, v30, v31, v34
	v_rcp_f32_e32 v31, v31
	v_mov_b32_e32 v47, 0x3ec54587
	v_fmac_f32_e32 v47, 0xbc8cedd3, v30
	v_and_b32_e32 v20, 1, v20
	v_mul_f32_e32 v31, v47, v31
	v_mul_f32_e32 v30, v30, v31
	v_fma_f32 v31, v30, v0, v0
	v_rcp_f32_e32 v47, v31
	v_sub_f32_e32 v48, v31, v0
	v_fma_f32 v0, v30, v0, -v48
	v_cmp_eq_u32_e32 vcc, 0, v20
	v_fma_f32 v30, v31, -v47, 1.0
	v_fma_f32 v0, v0, -v47, v30
	v_fma_f32 v0, v0, -v47, -v47
	v_add_f32_e64 v20, |v33|, s59
	v_cndmask_b32_e32 v0, v0, v31, vcc
	v_sub_f32_e64 v31, v20, |v33|
	v_sub_f32_e32 v30, v31, v20
	v_pk_add_f32 v[30:31], v[18:19], v[30:31]
	v_sub_f32_e32 v18, v30, v31
	v_add_f32_e32 v18, 0x3102e308, v18
	v_add_f32_e32 v30, v20, v18
	v_sub_f32_e32 v20, v20, v30
	v_add_f32_e32 v18, v18, v20
	v_mul_f32_e32 v20, 0x3fb8aa3b, v30
	v_rndne_f32_e32 v47, v20
	v_fmac_f32_e32 v30, 0xbf317200, v47
	v_add_f32_e32 v20, v18, v30
	v_sub_f32_e32 v30, v30, v20
	v_add_f32_e32 v18, v18, v30
	v_mul_f32_e32 v30, 0x35bfbc00, v47
	v_sub_f32_e32 v48, v20, v30
	v_sub_f32_e32 v20, v20, v48
	;; [unrolled: 1-line block ×3, first 2 shown]
	v_add_f32_e32 v18, v18, v20
	v_add_f32_e32 v49, v48, v18
	v_mul_f32_e32 v31, 0x2ea39ef3, v47
	v_mov_b32_e32 v30, v49
	v_pk_add_f32 v[50:51], v[48:49], v[30:31] neg_lo:[0,1] neg_hi:[0,1]
	v_sub_f32_e32 v20, v49, v51
	v_sub_f32_e32 v20, v20, v31
	v_add_f32_e32 v18, v18, v50
	v_add_f32_e32 v18, v18, v20
	;; [unrolled: 1-line block ×3, first 2 shown]
	v_sub_f32_e32 v31, v51, v30
	v_mov_b32_e32 v20, 0x3c091de6
	v_add_f32_e32 v18, v18, v31
	v_mul_f32_e32 v48, v30, v30
	v_fmac_f32_e32 v20, 0x3ab42872, v30
	v_add_f32_e32 v31, v18, v18
	v_fma_f32 v49, v30, v30, -v48
	v_fma_f32 v20, v30, v20, v35
	v_fmac_f32_e32 v49, v30, v31
	v_fma_f32 v20, v30, v20, v36
	v_add_f32_e32 v31, v48, v49
	v_fma_f32 v20, v30, v20, v37
	v_sub_f32_e32 v48, v31, v48
	v_sub_f32_e32 v48, v49, v48
	v_mul_f32_e32 v49, v20, v31
	v_fma_f32 v31, v31, v20, -v49
	v_fmac_f32_e32 v31, v48, v20
	v_add_f32_e32 v48, v49, v31
	v_sub_f32_e32 v20, v48, v49
	v_sub_f32_e32 v31, v31, v20
	v_add_f32_e32 v20, v30, v48
	v_sub_f32_e32 v30, v20, v30
	v_sub_f32_e32 v30, v48, v30
	v_add_f32_e32 v18, v18, v31
	v_add_f32_e32 v30, v18, v30
	;; [unrolled: 1-line block ×3, first 2 shown]
	v_add_f32_e32 v49, 1.0, v48
	v_pk_add_f32 v[50:51], v[48:49], v[20:21] neg_lo:[0,1] neg_hi:[0,1]
	v_pk_add_f32 v[52:53], v[48:49], s[22:23]
	v_mov_b32_e32 v51, v53
	v_mov_b32_e32 v31, v48
	v_cvt_i32_f32_e32 v18, v47
	v_pk_add_f32 v[30:31], v[30:31], v[50:51] neg_lo:[0,1] neg_hi:[0,1]
	v_add_f32_e32 v20, v30, v31
	v_add_f32_e32 v30, v49, v20
	v_ldexp_f32 v31, v30, v18
	v_rcp_f32_e32 v47, v31
	v_sub_f32_e32 v30, v30, v49
	v_sub_f32_e32 v20, v20, v30
	v_ldexp_f32 v18, v20, v18
	v_mul_f32_e32 v20, v31, v47
	v_fma_f32 v30, v47, v31, -v20
	v_fmac_f32_e32 v30, v47, v18
	v_add_f32_e32 v48, v20, v30
	v_sub_f32_e32 v49, 1.0, v48
	v_sub_f32_e32 v50, 1.0, v49
	v_sub_f32_e32 v20, v48, v20
	v_sub_f32_e32 v50, v50, v48
	;; [unrolled: 1-line block ×3, first 2 shown]
	v_add_f32_e32 v20, v20, v50
	v_add_f32_e32 v30, v49, v20
	v_mul_f32_e32 v48, v47, v30
	v_mul_f32_e32 v50, v31, v48
	v_fma_f32 v51, v48, v31, -v50
	v_fmac_f32_e32 v51, v48, v18
	v_sub_f32_e32 v49, v49, v30
	v_add_f32_e32 v20, v20, v49
	v_add_f32_e32 v49, v50, v51
	v_sub_f32_e32 v52, v30, v49
	v_sub_f32_e32 v30, v30, v52
	;; [unrolled: 1-line block ×4, first 2 shown]
	v_add_f32_e32 v20, v20, v30
	v_sub_f32_e32 v30, v50, v51
	v_add_f32_e32 v20, v30, v20
	v_add_f32_e32 v20, v52, v20
	;; [unrolled: 1-line block ×3, first 2 shown]
	v_mul_f32_e32 v20, v47, v20
	v_sub_f32_e32 v47, v30, v47
	v_sub_f32_e32 v47, v48, v47
	v_add_f32_e32 v20, v47, v20
	v_add_f32_e32 v47, v30, v20
	v_sub_f32_e32 v30, v47, v30
	v_sub_f32_e32 v20, v20, v30
	v_ldexp_f32 v30, v47, -2
	v_sub_f32_e32 v47, v31, v30
	v_sub_f32_e32 v31, v31, v47
	v_sub_f32_e32 v30, v31, v30
	v_ldexp_f32 v20, v20, -2
	v_add_f32_e32 v18, v18, v30
	v_sub_f32_e32 v18, v18, v20
	v_add_f32_e32 v18, v47, v18
	v_cmp_ngt_f32_e64 vcc, |v33|, s60
	v_cndmask_b32_e32 v18, v44, v18, vcc
	v_cmp_lt_f32_e64 s[8:9], |v33|, s61
	v_cndmask_b32_e64 v18, v18, |v33|, s[8:9]
	v_xor_b32_e32 v20, 0x80000000, v33
	v_bfi_b32 v18, s44, v18, v20
	v_fma_f32 v20, v18, v18, 1.0
	v_mul_f32_e32 v30, 0x4f800000, v20
	v_cmp_gt_f32_e32 vcc, s62, v20
	v_cndmask_b32_e32 v20, v20, v30, vcc
	v_sqrt_f32_e32 v30, v20
	v_xor_b32_e32 v0, v46, v0
	v_xor_b32_e32 v0, v0, v32
	v_fma_f32 v31, v0, v0, 1.0
	v_add_u32_e32 v32, -1, v30
	v_fma_f32 v33, -v32, v30, v20
	v_cmp_ge_f32_e64 s[8:9], 0, v33
	v_add_u32_e32 v33, 1, v30
	v_cndmask_b32_e64 v32, v30, v32, s[8:9]
	v_fma_f32 v30, -v33, v30, v20
	v_cmp_lt_f32_e64 s[8:9], 0, v30
	v_cndmask_b32_e64 v30, v32, v33, s[8:9]
	v_mul_f32_e32 v32, 0x37800000, v30
	v_cndmask_b32_e32 v30, v30, v32, vcc
	v_cmp_class_f32_e32 vcc, v20, v38
	v_cndmask_b32_e32 v20, v30, v20, vcc
	v_mul_f32_e32 v30, v18, v31
	v_mul_f32_e32 v20, v20, v31
	v_fma_f32 v30, v18, v30, 1.0
	v_mul_f32_e32 v18, v18, v20
	v_div_scale_f32 v20, s[8:9], v30, v30, v18
	v_rcp_f32_e32 v31, v20
	v_fma_f32 v32, -v20, v31, 1.0
	v_fmac_f32_e32 v31, v32, v31
	v_div_scale_f32 v32, vcc, v18, v30, v18
	v_mul_f32_e32 v33, v32, v31
	v_fma_f32 v46, -v20, v33, v32
	v_fmac_f32_e32 v33, v46, v31
	v_fma_f32 v20, -v20, v33, v32
	v_div_scale_f32 v32, s[8:9], v30, v30, v0
	v_rcp_f32_e32 v46, v32
	v_div_fmas_f32 v20, v20, v31, v33
	v_div_fixup_f32 v31, v20, v30, v18
	v_fma_f32 v18, -v32, v46, 1.0
	v_fmac_f32_e32 v46, v18, v46
	v_div_scale_f32 v18, vcc, v0, v30, v0
	v_mul_f32_e32 v20, v18, v46
	v_fma_f32 v33, -v32, v20, v18
	v_fmac_f32_e32 v20, v33, v46
	v_fma_f32 v18, -v32, v20, v18
	v_div_fmas_f32 v18, v18, v46, v20
	v_div_fixup_f32 v30, v18, v30, v0
                                        ; implicit-def: $vgpr32
                                        ; implicit-def: $vgpr46
.LBB95_215:                             ;   in Loop: Header=BB95_161 Depth=1
	s_andn2_saveexec_b64 s[30:31], s[30:31]
	s_cbranch_execz .LBB95_225
; %bb.216:                              ;   in Loop: Header=BB95_161 Depth=1
	v_cmp_nlt_f32_e64 s[34:35], |v32|, s48
                                        ; implicit-def: $vgpr18
                                        ; implicit-def: $vgpr20
	s_and_saveexec_b64 s[8:9], s[34:35]
	s_xor_b64 s[36:37], exec, s[8:9]
	s_cbranch_execz .LBB95_218
; %bb.217:                              ;   in Loop: Header=BB95_161 Depth=1
	v_lshrrev_b32_e32 v0, 23, v46
	v_add_u32_e32 v0, 0xffffff88, v0
	v_cmp_lt_u32_e32 vcc, 63, v0
	v_cndmask_b32_e32 v18, 0, v42, vcc
	v_add_u32_e32 v0, v18, v0
	v_cmp_lt_u32_e64 s[8:9], 31, v0
	v_cndmask_b32_e64 v18, 0, v43, s[8:9]
	v_add_u32_e32 v0, v18, v0
	v_cmp_lt_u32_e64 s[10:11], 31, v0
	v_cndmask_b32_e64 v18, 0, v43, s[10:11]
	v_add_u32_e32 v18, v18, v0
	v_and_b32_e32 v0, 0x7fffff, v46
	v_or_b32_e32 v20, 0x800000, v0
	v_mad_u64_u32 v[30:31], s[12:13], v20, s49, 0
	v_mov_b32_e32 v0, v31
	v_mad_u64_u32 v[48:49], s[12:13], v20, s50, v[0:1]
	v_mov_b32_e32 v0, v49
	;; [unrolled: 2-line block ×6, first 2 shown]
	v_mad_u64_u32 v[58:59], s[12:13], v20, s55, v[0:1]
	v_cndmask_b32_e32 v31, v56, v52, vcc
	v_cndmask_b32_e32 v0, v58, v54, vcc
	;; [unrolled: 1-line block ×3, first 2 shown]
	v_cndmask_b32_e64 v20, v0, v31, s[8:9]
	v_cndmask_b32_e64 v0, v47, v0, s[8:9]
	v_cndmask_b32_e32 v47, v54, v50, vcc
	v_cndmask_b32_e64 v31, v31, v47, s[8:9]
	v_sub_u32_e32 v49, 32, v18
	v_cmp_eq_u32_e64 s[12:13], 0, v18
	v_cndmask_b32_e32 v18, v52, v48, vcc
	v_cndmask_b32_e64 v0, v0, v20, s[10:11]
	v_cndmask_b32_e64 v20, v20, v31, s[10:11]
	;; [unrolled: 1-line block ×3, first 2 shown]
	v_alignbit_b32 v51, v0, v20, v49
	v_cndmask_b32_e64 v31, v31, v47, s[10:11]
	v_cndmask_b32_e64 v0, v51, v0, s[12:13]
	v_alignbit_b32 v48, v20, v31, v49
	v_cndmask_b32_e32 v30, v50, v30, vcc
	v_cndmask_b32_e64 v20, v48, v20, s[12:13]
	v_bfe_u32 v52, v0, 29, 1
	v_cndmask_b32_e64 v18, v18, v30, s[8:9]
	v_alignbit_b32 v48, v0, v20, 30
	v_sub_u32_e32 v53, 0, v52
	v_cndmask_b32_e64 v18, v47, v18, s[10:11]
	v_xor_b32_e32 v54, v48, v53
	v_alignbit_b32 v30, v31, v18, v49
	v_cndmask_b32_e64 v30, v30, v31, s[12:13]
	v_ffbh_u32_e32 v31, v54
	v_add_u32_e32 v31, 1, v31
	v_cmp_ne_u32_e32 vcc, v48, v53
	v_alignbit_b32 v20, v20, v30, 30
	v_cndmask_b32_e32 v31, 33, v31, vcc
	v_alignbit_b32 v18, v30, v18, 30
	v_xor_b32_e32 v20, v20, v53
	v_sub_u32_e32 v47, 32, v31
	v_xor_b32_e32 v18, v18, v53
	v_alignbit_b32 v48, v54, v20, v47
	v_alignbit_b32 v18, v20, v18, v47
	;; [unrolled: 1-line block ×3, first 2 shown]
	v_ffbh_u32_e32 v30, v20
	v_min_u32_e32 v30, 32, v30
	v_lshrrev_b32_e32 v51, 29, v0
	v_sub_u32_e32 v47, 31, v30
	v_alignbit_b32 v18, v20, v18, v47
	v_lshlrev_b32_e32 v20, 31, v51
	v_or_b32_e32 v47, 0x33800000, v20
	v_add_lshl_u32 v30, v30, v31, 23
	v_lshrrev_b32_e32 v18, 9, v18
	v_sub_u32_e32 v30, v47, v30
	v_or_b32_e32 v18, v30, v18
	v_alignbit_b32 v30, v31, v48, 9
	v_or_b32_e32 v20, v30, v20
	v_xor_b32_e32 v20, 1.0, v20
	v_mul_f32_e32 v30, 0x3fc90fda, v20
	v_fma_f32 v31, v20, s56, -v30
	v_fmac_f32_e32 v31, 0x33a22168, v20
	v_fmac_f32_e32 v31, 0x3fc90fda, v18
	v_lshrrev_b32_e32 v0, 30, v0
	v_add_f32_e32 v20, v30, v31
	v_add_u32_e32 v18, v52, v0
	s_andn2_saveexec_b64 s[8:9], s[36:37]
	s_branch .LBB95_219
.LBB95_218:                             ;   in Loop: Header=BB95_161 Depth=1
	s_andn2_saveexec_b64 s[8:9], s[36:37]
.LBB95_219:                             ;   in Loop: Header=BB95_161 Depth=1
	v_mul_f32_e64 v0, |v32|, s57
	v_rndne_f32_e32 v0, v0
	v_cvt_i32_f32_e32 v18, v0
	v_fma_f32 v20, v0, s58, |v32|
	v_fmac_f32_e32 v20, 0xb3a22168, v0
	v_fmac_f32_e32 v20, 0xa7c234c4, v0
; %bb.220:                              ;   in Loop: Header=BB95_161 Depth=1
	s_or_b64 exec, exec, s[8:9]
                                        ; implicit-def: $vgpr0
                                        ; implicit-def: $vgpr30
	s_and_saveexec_b64 s[8:9], s[34:35]
	s_xor_b64 s[34:35], exec, s[8:9]
	s_cbranch_execz .LBB95_222
; %bb.221:                              ;   in Loop: Header=BB95_161 Depth=1
	v_lshrrev_b32_e32 v0, 23, v46
	v_add_u32_e32 v0, 0xffffff88, v0
	v_cmp_lt_u32_e32 vcc, 63, v0
	v_cndmask_b32_e32 v30, 0, v42, vcc
	v_add_u32_e32 v0, v30, v0
	v_cmp_lt_u32_e64 s[8:9], 31, v0
	v_cndmask_b32_e64 v30, 0, v43, s[8:9]
	v_add_u32_e32 v0, v30, v0
	v_cmp_lt_u32_e64 s[10:11], 31, v0
	v_cndmask_b32_e64 v30, 0, v43, s[10:11]
	v_add_u32_e32 v47, v30, v0
	v_and_b32_e32 v0, 0x7fffff, v46
	v_or_b32_e32 v58, 0x800000, v0
	v_mad_u64_u32 v[30:31], s[12:13], v58, s49, 0
	v_mov_b32_e32 v0, v31
	v_mad_u64_u32 v[48:49], s[12:13], v58, s50, v[0:1]
	v_mov_b32_e32 v0, v49
	;; [unrolled: 2-line block ×6, first 2 shown]
	v_mad_u64_u32 v[58:59], s[12:13], v58, s55, v[0:1]
	v_cndmask_b32_e32 v31, v56, v52, vcc
	v_cndmask_b32_e32 v0, v58, v54, vcc
	;; [unrolled: 1-line block ×3, first 2 shown]
	v_cndmask_b32_e64 v49, v0, v31, s[8:9]
	v_cndmask_b32_e64 v0, v51, v0, s[8:9]
	v_cndmask_b32_e32 v51, v54, v50, vcc
	v_cndmask_b32_e64 v31, v31, v51, s[8:9]
	v_sub_u32_e32 v53, 32, v47
	v_cmp_eq_u32_e64 s[12:13], 0, v47
	v_cndmask_b32_e32 v47, v52, v48, vcc
	v_cndmask_b32_e64 v0, v0, v49, s[10:11]
	v_cndmask_b32_e64 v49, v49, v31, s[10:11]
	;; [unrolled: 1-line block ×3, first 2 shown]
	v_alignbit_b32 v54, v0, v49, v53
	v_cndmask_b32_e64 v31, v31, v48, s[10:11]
	v_cndmask_b32_e64 v0, v54, v0, s[12:13]
	v_alignbit_b32 v51, v49, v31, v53
	v_cndmask_b32_e64 v49, v51, v49, s[12:13]
	v_bfe_u32 v54, v0, 29, 1
	v_cndmask_b32_e32 v30, v50, v30, vcc
	v_alignbit_b32 v51, v0, v49, 30
	v_sub_u32_e32 v55, 0, v54
	v_cndmask_b32_e64 v30, v47, v30, s[8:9]
	v_xor_b32_e32 v56, v51, v55
	v_cndmask_b32_e64 v30, v48, v30, s[10:11]
	v_alignbit_b32 v47, v31, v30, v53
	v_ffbh_u32_e32 v48, v56
	v_cndmask_b32_e64 v31, v47, v31, s[12:13]
	v_add_u32_e32 v48, 1, v48
	v_cmp_ne_u32_e32 vcc, v51, v55
	v_alignbit_b32 v47, v49, v31, 30
	v_cndmask_b32_e32 v48, 33, v48, vcc
	v_alignbit_b32 v30, v31, v30, 30
	v_xor_b32_e32 v47, v47, v55
	v_sub_u32_e32 v49, 32, v48
	v_xor_b32_e32 v30, v30, v55
	v_alignbit_b32 v50, v56, v47, v49
	v_alignbit_b32 v30, v47, v30, v49
	;; [unrolled: 1-line block ×3, first 2 shown]
	v_ffbh_u32_e32 v47, v31
	v_min_u32_e32 v47, 32, v47
	v_lshrrev_b32_e32 v52, 29, v0
	v_sub_u32_e32 v49, 31, v47
	v_alignbit_b32 v30, v31, v30, v49
	v_lshlrev_b32_e32 v31, 31, v52
	v_or_b32_e32 v49, 0x33800000, v31
	v_add_lshl_u32 v47, v47, v48, 23
	v_lshrrev_b32_e32 v30, 9, v30
	v_sub_u32_e32 v47, v49, v47
	v_or_b32_e32 v30, v47, v30
	v_alignbit_b32 v47, v48, v50, 9
	v_or_b32_e32 v31, v47, v31
	v_xor_b32_e32 v31, 1.0, v31
	v_mul_f32_e32 v47, 0x3fc90fda, v31
	v_fma_f32 v48, v31, s56, -v47
	v_fmac_f32_e32 v48, 0x33a22168, v31
	v_fmac_f32_e32 v48, 0x3fc90fda, v30
	v_lshrrev_b32_e32 v0, 30, v0
	v_add_f32_e32 v30, v47, v48
	v_add_u32_e32 v0, v54, v0
	s_andn2_saveexec_b64 s[8:9], s[34:35]
	s_cbranch_execnz .LBB95_223
	s_branch .LBB95_224
.LBB95_222:                             ;   in Loop: Header=BB95_161 Depth=1
	s_andn2_saveexec_b64 s[8:9], s[34:35]
.LBB95_223:                             ;   in Loop: Header=BB95_161 Depth=1
	v_mul_f32_e64 v0, |v32|, s57
	v_rndne_f32_e32 v31, v0
	v_cvt_i32_f32_e32 v0, v31
	v_fma_f32 v30, v31, s58, |v32|
	v_fmac_f32_e32 v30, 0xb3a22168, v31
	v_fmac_f32_e32 v30, 0xa7c234c4, v31
.LBB95_224:                             ;   in Loop: Header=BB95_161 Depth=1
	s_or_b64 exec, exec, s[8:9]
	v_mul_f32_e32 v31, v20, v20
	v_mov_b32_e32 v47, 0x3c0881c4
	v_fmac_f32_e32 v47, 0xb94c1982, v31
	v_fma_f32 v47, v31, v47, v39
	v_mul_f32_e32 v47, v31, v47
	v_fmac_f32_e32 v20, v20, v47
	v_mov_b32_e32 v47, 0xbab64f3b
	v_fmac_f32_e32 v47, 0x37d75334, v31
	v_fma_f32 v47, v31, v47, v40
	v_fma_f32 v47, v31, v47, v41
	v_fma_f32 v31, v31, v47, 1.0
	v_and_b32_e32 v47, 1, v18
	v_cmp_eq_u32_e32 vcc, 0, v47
	v_lshlrev_b32_e32 v18, 30, v18
	v_cndmask_b32_e32 v20, v31, v20, vcc
	v_and_b32_e32 v18, 0x80000000, v18
	v_mul_f32_e64 v31, |v33|, s63
	v_xor_b32_e32 v18, v46, v18
	v_rndne_f32_e32 v46, v31
	v_sub_f32_e32 v47, v31, v46
	v_fma_f32 v31, |v33|, s63, -v31
	v_fma_f32 v31, |v33|, s64, v31
	v_add_f32_e32 v31, v47, v31
	v_exp_f32_e32 v31, v31
	v_cvt_i32_f32_e32 v46, v46
	v_xor_b32_e32 v18, v18, v20
	v_cmp_ngt_f32_e64 vcc, |v33|, s65
	v_xor_b32_e32 v18, v18, v32
	v_ldexp_f32 v20, v31, v46
	v_cndmask_b32_e32 v20, 0, v20, vcc
	v_cmp_nlt_f32_e64 vcc, |v33|, s66
	v_xor_b32_e32 v31, 0x80000000, v33
	v_mul_f32_e32 v32, v30, v30
	v_mov_b32_e32 v33, 0x3c0881c4
	v_fmac_f32_e32 v33, 0xb94c1982, v32
	v_fma_f32 v33, v32, v33, v39
	v_mul_f32_e32 v33, v32, v33
	v_fmac_f32_e32 v30, v30, v33
	v_mov_b32_e32 v33, 0xbab64f3b
	v_fmac_f32_e32 v33, 0x37d75334, v32
	v_fma_f32 v33, v32, v33, v40
	v_fma_f32 v33, v32, v33, v41
	v_fma_f32 v32, v32, v33, 1.0
	v_and_b32_e32 v33, 1, v0
	v_cndmask_b32_e32 v20, v44, v20, vcc
	v_cmp_eq_u32_e32 vcc, 0, v33
	v_lshlrev_b32_e32 v0, 30, v0
	v_cndmask_b32_e64 v30, -v30, v32, vcc
	v_and_b32_e32 v0, 0x80000000, v0
	v_mul_f32_e32 v18, 4.0, v18
	v_xor_b32_e32 v0, v0, v30
	v_mul_f32_e32 v0, v18, v0
	v_mul_f32_e32 v0, v20, v0
	v_bfi_b32 v31, s44, 1.0, v31
	v_mul_f32_e32 v30, v20, v0
.LBB95_225:                             ;   in Loop: Header=BB95_161 Depth=1
	s_or_b64 exec, exec, s[30:31]
                                        ; implicit-def: $vgpr32
.LBB95_226:                             ;   in Loop: Header=BB95_161 Depth=1
	s_andn2_saveexec_b64 s[8:9], s[28:29]
; %bb.227:                              ;   in Loop: Header=BB95_161 Depth=1
	v_sub_f32_e32 v30, v32, v32
	v_mov_b32_e32 v31, v30
; %bb.228:                              ;   in Loop: Header=BB95_161 Depth=1
	s_or_b64 exec, exec, s[8:9]
                                        ; implicit-def: $vgpr33
.LBB95_229:                             ;   in Loop: Header=BB95_161 Depth=1
	s_andn2_saveexec_b64 s[26:27], s[26:27]
	s_cbranch_execz .LBB95_245
; %bb.230:                              ;   in Loop: Header=BB95_161 Depth=1
	v_xor_b32_e32 v31, 0x80000000, v33
	v_and_b32_e32 v0, 0x7fffff, v31
	v_cmp_ne_u32_e32 vcc, 0, v0
                                        ; implicit-def: $vgpr30
	s_and_saveexec_b64 s[8:9], vcc
	s_xor_b64 s[8:9], exec, s[8:9]
; %bb.231:                              ;   in Loop: Header=BB95_161 Depth=1
	v_mul_f32_e64 v0, v32, -v33
	v_cmp_eq_f32_e32 vcc, 0, v32
	v_cndmask_b32_e32 v30, v0, v32, vcc
                                        ; implicit-def: $vgpr32
; %bb.232:                              ;   in Loop: Header=BB95_161 Depth=1
	s_andn2_saveexec_b64 s[28:29], s[8:9]
	s_cbranch_execz .LBB95_244
; %bb.233:                              ;   in Loop: Header=BB95_161 Depth=1
	v_cmp_neq_f32_e64 s[8:9], |v32|, s45
	s_and_saveexec_b64 s[30:31], s[8:9]
	s_cbranch_execz .LBB95_243
; %bb.234:                              ;   in Loop: Header=BB95_161 Depth=1
	v_and_b32_e32 v18, 0x7fffffff, v32
	v_cmp_nlt_f32_e64 s[34:35], |v32|, s48
                                        ; implicit-def: $vgpr20
                                        ; implicit-def: $vgpr30
	s_and_saveexec_b64 s[8:9], s[34:35]
	s_xor_b64 s[36:37], exec, s[8:9]
	s_cbranch_execz .LBB95_236
; %bb.235:                              ;   in Loop: Header=BB95_161 Depth=1
	v_lshrrev_b32_e32 v0, 23, v18
	v_add_u32_e32 v0, 0xffffff88, v0
	v_cmp_lt_u32_e32 vcc, 63, v0
	v_cndmask_b32_e32 v20, 0, v42, vcc
	v_add_u32_e32 v0, v20, v0
	v_cmp_lt_u32_e64 s[8:9], 31, v0
	v_cndmask_b32_e64 v20, 0, v43, s[8:9]
	v_add_u32_e32 v0, v20, v0
	v_cmp_lt_u32_e64 s[10:11], 31, v0
	v_cndmask_b32_e64 v20, 0, v43, s[10:11]
	v_add_u32_e32 v20, v20, v0
	v_and_b32_e32 v0, 0x7fffff, v18
	v_or_b32_e32 v30, 0x800000, v0
	v_mad_u64_u32 v[46:47], s[12:13], v30, s49, 0
	v_mov_b32_e32 v0, v47
	v_mad_u64_u32 v[48:49], s[12:13], v30, s50, v[0:1]
	v_mov_b32_e32 v0, v49
	;; [unrolled: 2-line block ×6, first 2 shown]
	v_mad_u64_u32 v[58:59], s[12:13], v30, s55, v[0:1]
	v_cndmask_b32_e32 v33, v56, v52, vcc
	v_cndmask_b32_e32 v0, v58, v54, vcc
	;; [unrolled: 1-line block ×3, first 2 shown]
	v_cndmask_b32_e64 v30, v0, v33, s[8:9]
	v_cndmask_b32_e64 v0, v47, v0, s[8:9]
	v_cndmask_b32_e32 v47, v54, v50, vcc
	v_cndmask_b32_e64 v33, v33, v47, s[8:9]
	v_sub_u32_e32 v49, 32, v20
	v_cmp_eq_u32_e64 s[12:13], 0, v20
	v_cndmask_b32_e32 v20, v52, v48, vcc
	v_cndmask_b32_e64 v0, v0, v30, s[10:11]
	v_cndmask_b32_e64 v30, v30, v33, s[10:11]
	;; [unrolled: 1-line block ×3, first 2 shown]
	v_alignbit_b32 v51, v0, v30, v49
	v_cndmask_b32_e64 v33, v33, v47, s[10:11]
	v_cndmask_b32_e64 v0, v51, v0, s[12:13]
	v_alignbit_b32 v48, v30, v33, v49
	v_cndmask_b32_e32 v46, v50, v46, vcc
	v_cndmask_b32_e64 v30, v48, v30, s[12:13]
	v_bfe_u32 v52, v0, 29, 1
	v_cndmask_b32_e64 v20, v20, v46, s[8:9]
	v_alignbit_b32 v48, v0, v30, 30
	v_sub_u32_e32 v53, 0, v52
	v_cndmask_b32_e64 v20, v47, v20, s[10:11]
	v_xor_b32_e32 v54, v48, v53
	v_alignbit_b32 v46, v33, v20, v49
	v_cndmask_b32_e64 v33, v46, v33, s[12:13]
	v_ffbh_u32_e32 v46, v54
	v_add_u32_e32 v46, 1, v46
	v_cmp_ne_u32_e32 vcc, v48, v53
	v_alignbit_b32 v30, v30, v33, 30
	v_cndmask_b32_e32 v46, 33, v46, vcc
	v_alignbit_b32 v20, v33, v20, 30
	v_xor_b32_e32 v30, v30, v53
	v_sub_u32_e32 v47, 32, v46
	v_xor_b32_e32 v20, v20, v53
	v_alignbit_b32 v48, v54, v30, v47
	v_alignbit_b32 v20, v30, v20, v47
	;; [unrolled: 1-line block ×3, first 2 shown]
	v_ffbh_u32_e32 v33, v30
	v_min_u32_e32 v33, 32, v33
	v_lshrrev_b32_e32 v51, 29, v0
	v_sub_u32_e32 v47, 31, v33
	v_alignbit_b32 v20, v30, v20, v47
	v_lshlrev_b32_e32 v30, 31, v51
	v_or_b32_e32 v47, 0x33800000, v30
	v_add_lshl_u32 v33, v33, v46, 23
	v_lshrrev_b32_e32 v20, 9, v20
	v_sub_u32_e32 v33, v47, v33
	v_or_b32_e32 v20, v33, v20
	v_alignbit_b32 v33, v46, v48, 9
	v_or_b32_e32 v30, v33, v30
	v_xor_b32_e32 v30, 1.0, v30
	v_mul_f32_e32 v33, 0x3fc90fda, v30
	v_fma_f32 v46, v30, s56, -v33
	v_fmac_f32_e32 v46, 0x33a22168, v30
	v_fmac_f32_e32 v46, 0x3fc90fda, v20
	v_lshrrev_b32_e32 v0, 30, v0
	v_add_f32_e32 v30, v33, v46
	v_add_u32_e32 v20, v52, v0
	s_andn2_saveexec_b64 s[8:9], s[36:37]
	s_branch .LBB95_237
.LBB95_236:                             ;   in Loop: Header=BB95_161 Depth=1
	s_andn2_saveexec_b64 s[8:9], s[36:37]
.LBB95_237:                             ;   in Loop: Header=BB95_161 Depth=1
	v_mul_f32_e64 v0, |v32|, s57
	v_rndne_f32_e32 v0, v0
	v_cvt_i32_f32_e32 v20, v0
	v_fma_f32 v30, v0, s58, |v32|
	v_fmac_f32_e32 v30, 0xb3a22168, v0
	v_fmac_f32_e32 v30, 0xa7c234c4, v0
; %bb.238:                              ;   in Loop: Header=BB95_161 Depth=1
	s_or_b64 exec, exec, s[8:9]
                                        ; implicit-def: $vgpr0
                                        ; implicit-def: $vgpr33
	s_and_saveexec_b64 s[8:9], s[34:35]
	s_xor_b64 s[34:35], exec, s[8:9]
	s_cbranch_execz .LBB95_240
; %bb.239:                              ;   in Loop: Header=BB95_161 Depth=1
	v_lshrrev_b32_e32 v0, 23, v18
	v_add_u32_e32 v0, 0xffffff88, v0
	v_cmp_lt_u32_e32 vcc, 63, v0
	v_cndmask_b32_e32 v33, 0, v42, vcc
	v_add_u32_e32 v0, v33, v0
	v_cmp_lt_u32_e64 s[8:9], 31, v0
	v_cndmask_b32_e64 v33, 0, v43, s[8:9]
	v_add_u32_e32 v0, v33, v0
	v_cmp_lt_u32_e64 s[10:11], 31, v0
	v_cndmask_b32_e64 v33, 0, v43, s[10:11]
	v_add_u32_e32 v33, v33, v0
	v_and_b32_e32 v0, 0x7fffff, v18
	v_or_b32_e32 v58, 0x800000, v0
	v_mad_u64_u32 v[46:47], s[12:13], v58, s49, 0
	v_mov_b32_e32 v0, v47
	v_mad_u64_u32 v[48:49], s[12:13], v58, s50, v[0:1]
	v_mov_b32_e32 v0, v49
	;; [unrolled: 2-line block ×6, first 2 shown]
	v_mad_u64_u32 v[58:59], s[12:13], v58, s55, v[0:1]
	v_cndmask_b32_e32 v47, v56, v52, vcc
	v_cndmask_b32_e32 v0, v58, v54, vcc
	;; [unrolled: 1-line block ×3, first 2 shown]
	v_cndmask_b32_e64 v49, v0, v47, s[8:9]
	v_cndmask_b32_e64 v0, v51, v0, s[8:9]
	v_cndmask_b32_e32 v51, v54, v50, vcc
	v_cndmask_b32_e64 v47, v47, v51, s[8:9]
	v_sub_u32_e32 v53, 32, v33
	v_cmp_eq_u32_e64 s[12:13], 0, v33
	v_cndmask_b32_e32 v33, v52, v48, vcc
	v_cndmask_b32_e64 v0, v0, v49, s[10:11]
	v_cndmask_b32_e64 v49, v49, v47, s[10:11]
	;; [unrolled: 1-line block ×3, first 2 shown]
	v_alignbit_b32 v54, v0, v49, v53
	v_cndmask_b32_e64 v47, v47, v48, s[10:11]
	v_cndmask_b32_e64 v0, v54, v0, s[12:13]
	v_alignbit_b32 v51, v49, v47, v53
	v_cndmask_b32_e64 v49, v51, v49, s[12:13]
	v_bfe_u32 v54, v0, 29, 1
	v_cndmask_b32_e32 v46, v50, v46, vcc
	v_alignbit_b32 v51, v0, v49, 30
	v_sub_u32_e32 v55, 0, v54
	v_cndmask_b32_e64 v33, v33, v46, s[8:9]
	v_xor_b32_e32 v56, v51, v55
	v_cndmask_b32_e64 v33, v48, v33, s[10:11]
	v_alignbit_b32 v46, v47, v33, v53
	v_ffbh_u32_e32 v48, v56
	v_cndmask_b32_e64 v46, v46, v47, s[12:13]
	v_add_u32_e32 v48, 1, v48
	v_cmp_ne_u32_e32 vcc, v51, v55
	v_alignbit_b32 v47, v49, v46, 30
	v_cndmask_b32_e32 v48, 33, v48, vcc
	v_alignbit_b32 v33, v46, v33, 30
	v_xor_b32_e32 v47, v47, v55
	v_sub_u32_e32 v49, 32, v48
	v_xor_b32_e32 v33, v33, v55
	v_alignbit_b32 v50, v56, v47, v49
	v_alignbit_b32 v33, v47, v33, v49
	;; [unrolled: 1-line block ×3, first 2 shown]
	v_ffbh_u32_e32 v47, v46
	v_min_u32_e32 v47, 32, v47
	v_lshrrev_b32_e32 v52, 29, v0
	v_sub_u32_e32 v49, 31, v47
	v_alignbit_b32 v33, v46, v33, v49
	v_lshlrev_b32_e32 v46, 31, v52
	v_or_b32_e32 v49, 0x33800000, v46
	v_add_lshl_u32 v47, v47, v48, 23
	v_lshrrev_b32_e32 v33, 9, v33
	v_sub_u32_e32 v47, v49, v47
	v_or_b32_e32 v33, v47, v33
	v_alignbit_b32 v47, v48, v50, 9
	v_or_b32_e32 v46, v47, v46
	v_xor_b32_e32 v46, 1.0, v46
	v_mul_f32_e32 v47, 0x3fc90fda, v46
	v_fma_f32 v48, v46, s56, -v47
	v_fmac_f32_e32 v48, 0x33a22168, v46
	v_fmac_f32_e32 v48, 0x3fc90fda, v33
	v_lshrrev_b32_e32 v0, 30, v0
	v_add_f32_e32 v33, v47, v48
	v_add_u32_e32 v0, v54, v0
	s_andn2_saveexec_b64 s[8:9], s[34:35]
	s_cbranch_execnz .LBB95_241
	s_branch .LBB95_242
.LBB95_240:                             ;   in Loop: Header=BB95_161 Depth=1
	s_andn2_saveexec_b64 s[8:9], s[34:35]
.LBB95_241:                             ;   in Loop: Header=BB95_161 Depth=1
	v_mul_f32_e64 v0, |v32|, s57
	v_rndne_f32_e32 v46, v0
	v_cvt_i32_f32_e32 v0, v46
	v_fma_f32 v33, v46, s58, |v32|
	v_fmac_f32_e32 v33, 0xb3a22168, v46
	v_fmac_f32_e32 v33, 0xa7c234c4, v46
.LBB95_242:                             ;   in Loop: Header=BB95_161 Depth=1
	s_or_b64 exec, exec, s[8:9]
	v_mul_f32_e32 v46, v30, v30
	v_mov_b32_e32 v47, 0x3c0881c4
	v_fmac_f32_e32 v47, 0xb94c1982, v46
	v_fma_f32 v47, v46, v47, v39
	v_mul_f32_e32 v47, v46, v47
	v_fmac_f32_e32 v30, v30, v47
	v_mov_b32_e32 v47, 0xbab64f3b
	v_fmac_f32_e32 v47, 0x37d75334, v46
	v_fma_f32 v47, v46, v47, v40
	v_fma_f32 v47, v46, v47, v41
	v_fma_f32 v46, v46, v47, 1.0
	v_and_b32_e32 v47, 1, v20
	v_lshlrev_b32_e32 v20, 30, v20
	v_cmp_eq_u32_e32 vcc, 0, v47
	v_and_b32_e32 v20, 0x80000000, v20
	v_cndmask_b32_e32 v30, v46, v30, vcc
	v_xor_b32_e32 v18, v18, v20
	v_xor_b32_e32 v18, v18, v30
	v_mul_f32_e32 v20, v33, v33
	v_mov_b32_e32 v30, 0x3c0881c4
	v_fmac_f32_e32 v30, 0xb94c1982, v20
	v_fma_f32 v30, v20, v30, v39
	v_mul_f32_e32 v30, v20, v30
	v_fmac_f32_e32 v33, v33, v30
	v_mov_b32_e32 v30, 0xbab64f3b
	v_fmac_f32_e32 v30, 0x37d75334, v20
	v_fma_f32 v30, v20, v30, v40
	v_fma_f32 v30, v20, v30, v41
	v_fma_f32 v20, v20, v30, 1.0
	v_and_b32_e32 v30, 1, v0
	v_cmp_eq_u32_e32 vcc, 0, v30
	v_lshlrev_b32_e32 v0, 30, v0
	v_cndmask_b32_e64 v20, -v33, v20, vcc
	v_and_b32_e32 v0, 0x80000000, v0
	v_xor_b32_e32 v18, v18, v32
	v_xor_b32_e32 v0, v0, v20
	v_mul_f32_e32 v0, v18, v0
	v_cmp_class_f32_e64 vcc, v32, s46
	v_cndmask_b32_e32 v32, v45, v0, vcc
.LBB95_243:                             ;   in Loop: Header=BB95_161 Depth=1
	s_or_b64 exec, exec, s[30:31]
	v_add_u32_e32 v31, -2.0, v31
	v_bfi_b32 v30, s44, 0, v32
.LBB95_244:                             ;   in Loop: Header=BB95_161 Depth=1
	s_or_b64 exec, exec, s[28:29]
.LBB95_245:                             ;   in Loop: Header=BB95_161 Depth=1
	s_or_b64 exec, exec, s[26:27]
	v_and_b32_e32 v18, 0x7fffffff, v29
	v_cmp_gt_u32_e32 vcc, s45, v18
                                        ; implicit-def: $vgpr32
                                        ; implicit-def: $vgpr33
	s_and_saveexec_b64 s[8:9], vcc
	s_xor_b64 s[26:27], exec, s[8:9]
	s_cbranch_execz .LBB95_267
; %bb.246:                              ;   in Loop: Header=BB95_161 Depth=1
	v_cmp_class_f32_e64 s[8:9], v28, s46
                                        ; implicit-def: $vgpr32
                                        ; implicit-def: $vgpr33
	s_and_saveexec_b64 s[10:11], s[8:9]
	s_xor_b64 s[28:29], exec, s[10:11]
	s_cbranch_execz .LBB95_264
; %bb.247:                              ;   in Loop: Header=BB95_161 Depth=1
	v_and_b32_e32 v46, 0x7fffffff, v28
	v_cmp_gt_u32_e32 vcc, s47, v18
                                        ; implicit-def: $vgpr32
                                        ; implicit-def: $vgpr33
	s_and_saveexec_b64 s[8:9], vcc
	s_xor_b64 s[30:31], exec, s[8:9]
	s_cbranch_execz .LBB95_253
; %bb.248:                              ;   in Loop: Header=BB95_161 Depth=1
	v_cmp_nlt_f32_e64 s[8:9], |v28|, s48
                                        ; implicit-def: $vgpr20
                                        ; implicit-def: $vgpr0
	s_and_saveexec_b64 s[10:11], s[8:9]
	s_xor_b64 s[34:35], exec, s[10:11]
	s_cbranch_execz .LBB95_250
; %bb.249:                              ;   in Loop: Header=BB95_161 Depth=1
	v_lshrrev_b32_e32 v0, 23, v46
	v_add_u32_e32 v0, 0xffffff88, v0
	v_cmp_lt_u32_e32 vcc, 63, v0
	v_cndmask_b32_e32 v20, 0, v42, vcc
	v_add_u32_e32 v0, v20, v0
	v_cmp_lt_u32_e64 s[8:9], 31, v0
	v_cndmask_b32_e64 v20, 0, v43, s[8:9]
	v_add_u32_e32 v0, v20, v0
	v_cmp_lt_u32_e64 s[10:11], 31, v0
	v_cndmask_b32_e64 v20, 0, v43, s[10:11]
	v_add_u32_e32 v20, v20, v0
	v_and_b32_e32 v0, 0x7fffff, v46
	v_or_b32_e32 v47, 0x800000, v0
	v_mad_u64_u32 v[32:33], s[12:13], v47, s49, 0
	v_mov_b32_e32 v0, v33
	v_mad_u64_u32 v[48:49], s[12:13], v47, s50, v[0:1]
	v_mov_b32_e32 v0, v49
	;; [unrolled: 2-line block ×6, first 2 shown]
	v_mad_u64_u32 v[58:59], s[12:13], v47, s55, v[0:1]
	v_cndmask_b32_e32 v33, v56, v52, vcc
	v_cndmask_b32_e32 v0, v58, v54, vcc
	;; [unrolled: 1-line block ×3, first 2 shown]
	v_cndmask_b32_e64 v47, v0, v33, s[8:9]
	v_cndmask_b32_e64 v0, v49, v0, s[8:9]
	v_cndmask_b32_e32 v49, v54, v50, vcc
	v_cndmask_b32_e64 v33, v33, v49, s[8:9]
	v_cndmask_b32_e64 v0, v0, v47, s[10:11]
	v_cndmask_b32_e64 v47, v47, v33, s[10:11]
	v_sub_u32_e32 v51, 32, v20
	v_alignbit_b32 v53, v0, v47, v51
	v_cmp_eq_u32_e64 s[12:13], 0, v20
	v_cndmask_b32_e64 v20, v53, v0, s[12:13]
	v_cndmask_b32_e32 v0, v52, v48, vcc
	v_cndmask_b32_e64 v48, v49, v0, s[8:9]
	v_cndmask_b32_e64 v33, v33, v48, s[10:11]
	v_cndmask_b32_e32 v32, v50, v32, vcc
	v_alignbit_b32 v49, v47, v33, v51
	v_cndmask_b32_e64 v0, v0, v32, s[8:9]
	v_cndmask_b32_e64 v47, v49, v47, s[12:13]
	v_bfe_u32 v53, v20, 29, 1
	v_cndmask_b32_e64 v0, v48, v0, s[10:11]
	v_alignbit_b32 v49, v20, v47, 30
	v_sub_u32_e32 v54, 0, v53
	v_alignbit_b32 v32, v33, v0, v51
	v_xor_b32_e32 v55, v49, v54
	v_cndmask_b32_e64 v32, v32, v33, s[12:13]
	v_alignbit_b32 v33, v47, v32, 30
	v_ffbh_u32_e32 v47, v55
	v_add_u32_e32 v47, 1, v47
	v_cmp_ne_u32_e32 vcc, v49, v54
	v_cndmask_b32_e32 v47, 33, v47, vcc
	v_alignbit_b32 v0, v32, v0, 30
	v_xor_b32_e32 v33, v33, v54
	v_sub_u32_e32 v48, 32, v47
	v_xor_b32_e32 v0, v0, v54
	v_alignbit_b32 v49, v55, v33, v48
	v_alignbit_b32 v0, v33, v0, v48
	v_alignbit_b32 v32, v49, v0, 9
	v_ffbh_u32_e32 v33, v32
	v_min_u32_e32 v33, 32, v33
	v_lshrrev_b32_e32 v52, 29, v20
	v_sub_u32_e32 v48, 31, v33
	v_alignbit_b32 v0, v32, v0, v48
	v_lshlrev_b32_e32 v32, 31, v52
	v_or_b32_e32 v48, 0x33800000, v32
	v_add_lshl_u32 v33, v33, v47, 23
	v_lshrrev_b32_e32 v0, 9, v0
	v_sub_u32_e32 v33, v48, v33
	v_or_b32_e32 v0, v33, v0
	v_alignbit_b32 v33, v47, v49, 9
	v_or_b32_e32 v32, v33, v32
	v_xor_b32_e32 v32, 1.0, v32
	v_mul_f32_e32 v33, 0x3fc90fda, v32
	v_fma_f32 v47, v32, s56, -v33
	v_fmac_f32_e32 v47, 0x33a22168, v32
	v_fmac_f32_e32 v47, 0x3fc90fda, v0
	v_lshrrev_b32_e32 v20, 30, v20
	v_add_f32_e32 v0, v33, v47
	v_add_u32_e32 v20, v53, v20
.LBB95_250:                             ;   in Loop: Header=BB95_161 Depth=1
	s_andn2_saveexec_b64 s[8:9], s[34:35]
; %bb.251:                              ;   in Loop: Header=BB95_161 Depth=1
	v_mul_f32_e64 v0, |v28|, s57
	v_rndne_f32_e32 v32, v0
	v_cvt_i32_f32_e32 v20, v32
	v_fma_f32 v0, v32, s58, |v28|
	v_fmac_f32_e32 v0, 0xb3a22168, v32
	v_fmac_f32_e32 v0, 0xa7c234c4, v32
; %bb.252:                              ;   in Loop: Header=BB95_161 Depth=1
	s_or_b64 exec, exec, s[8:9]
	v_mul_f32_e32 v32, v0, v0
	v_mov_b32_e32 v33, 0xbf039337
	v_fmac_f32_e32 v33, 0x3c971480, v32
	v_fma_f32 v33, v32, v33, v34
	v_rcp_f32_e32 v33, v33
	v_mov_b32_e32 v47, 0x3ec54587
	v_fmac_f32_e32 v47, 0xbc8cedd3, v32
	v_and_b32_e32 v20, 1, v20
	v_mul_f32_e32 v33, v47, v33
	v_mul_f32_e32 v32, v32, v33
	v_fma_f32 v33, v32, v0, v0
	v_rcp_f32_e32 v47, v33
	v_sub_f32_e32 v48, v33, v0
	v_fma_f32 v0, v32, v0, -v48
	v_cmp_eq_u32_e32 vcc, 0, v20
	v_fma_f32 v32, v33, -v47, 1.0
	v_fma_f32 v0, v0, -v47, v32
	v_fma_f32 v0, v0, -v47, -v47
	v_add_f32_e64 v20, |v29|, s59
	v_cndmask_b32_e32 v0, v0, v33, vcc
	v_sub_f32_e64 v33, v20, |v29|
	v_sub_f32_e32 v32, v33, v20
	v_pk_add_f32 v[32:33], v[18:19], v[32:33]
	v_sub_f32_e32 v18, v32, v33
	v_add_f32_e32 v18, 0x3102e308, v18
	v_add_f32_e32 v32, v20, v18
	v_sub_f32_e32 v20, v20, v32
	v_add_f32_e32 v18, v18, v20
	v_mul_f32_e32 v20, 0x3fb8aa3b, v32
	v_rndne_f32_e32 v47, v20
	v_fmac_f32_e32 v32, 0xbf317200, v47
	v_add_f32_e32 v20, v18, v32
	v_sub_f32_e32 v32, v32, v20
	v_add_f32_e32 v18, v18, v32
	v_mul_f32_e32 v32, 0x35bfbc00, v47
	v_sub_f32_e32 v48, v20, v32
	v_sub_f32_e32 v20, v20, v48
	;; [unrolled: 1-line block ×3, first 2 shown]
	v_add_f32_e32 v18, v18, v20
	v_add_f32_e32 v49, v48, v18
	v_mul_f32_e32 v33, 0x2ea39ef3, v47
	v_mov_b32_e32 v32, v49
	v_pk_add_f32 v[50:51], v[48:49], v[32:33] neg_lo:[0,1] neg_hi:[0,1]
	v_sub_f32_e32 v20, v49, v51
	v_sub_f32_e32 v20, v20, v33
	v_add_f32_e32 v18, v18, v50
	v_add_f32_e32 v18, v18, v20
	;; [unrolled: 1-line block ×3, first 2 shown]
	v_sub_f32_e32 v33, v51, v32
	v_mov_b32_e32 v20, 0x3c091de6
	v_add_f32_e32 v18, v18, v33
	v_mul_f32_e32 v48, v32, v32
	v_fmac_f32_e32 v20, 0x3ab42872, v32
	v_add_f32_e32 v33, v18, v18
	v_fma_f32 v49, v32, v32, -v48
	v_fma_f32 v20, v32, v20, v35
	v_fmac_f32_e32 v49, v32, v33
	v_fma_f32 v20, v32, v20, v36
	v_add_f32_e32 v33, v48, v49
	v_fma_f32 v20, v32, v20, v37
	v_sub_f32_e32 v48, v33, v48
	v_sub_f32_e32 v48, v49, v48
	v_mul_f32_e32 v49, v20, v33
	v_fma_f32 v33, v33, v20, -v49
	v_fmac_f32_e32 v33, v48, v20
	v_add_f32_e32 v48, v49, v33
	v_sub_f32_e32 v20, v48, v49
	v_sub_f32_e32 v33, v33, v20
	v_add_f32_e32 v20, v32, v48
	v_sub_f32_e32 v32, v20, v32
	v_sub_f32_e32 v32, v48, v32
	v_add_f32_e32 v18, v18, v33
	v_add_f32_e32 v32, v18, v32
	;; [unrolled: 1-line block ×3, first 2 shown]
	v_add_f32_e32 v49, 1.0, v48
	v_pk_add_f32 v[50:51], v[48:49], v[20:21] neg_lo:[0,1] neg_hi:[0,1]
	v_pk_add_f32 v[52:53], v[48:49], s[22:23]
	v_mov_b32_e32 v51, v53
	v_mov_b32_e32 v33, v48
	v_cvt_i32_f32_e32 v18, v47
	v_pk_add_f32 v[32:33], v[32:33], v[50:51] neg_lo:[0,1] neg_hi:[0,1]
	v_add_f32_e32 v20, v32, v33
	v_add_f32_e32 v32, v49, v20
	v_ldexp_f32 v33, v32, v18
	v_rcp_f32_e32 v47, v33
	v_sub_f32_e32 v32, v32, v49
	v_sub_f32_e32 v20, v20, v32
	v_ldexp_f32 v18, v20, v18
	v_mul_f32_e32 v20, v33, v47
	v_fma_f32 v32, v47, v33, -v20
	v_fmac_f32_e32 v32, v47, v18
	v_add_f32_e32 v48, v20, v32
	v_sub_f32_e32 v49, 1.0, v48
	v_sub_f32_e32 v50, 1.0, v49
	v_sub_f32_e32 v20, v48, v20
	v_sub_f32_e32 v50, v50, v48
	;; [unrolled: 1-line block ×3, first 2 shown]
	v_add_f32_e32 v20, v20, v50
	v_add_f32_e32 v32, v49, v20
	v_mul_f32_e32 v48, v47, v32
	v_mul_f32_e32 v50, v33, v48
	v_fma_f32 v51, v48, v33, -v50
	v_fmac_f32_e32 v51, v48, v18
	v_sub_f32_e32 v49, v49, v32
	v_add_f32_e32 v20, v20, v49
	v_add_f32_e32 v49, v50, v51
	v_sub_f32_e32 v52, v32, v49
	v_sub_f32_e32 v32, v32, v52
	;; [unrolled: 1-line block ×4, first 2 shown]
	v_add_f32_e32 v20, v20, v32
	v_sub_f32_e32 v32, v50, v51
	v_add_f32_e32 v20, v32, v20
	v_add_f32_e32 v20, v52, v20
	;; [unrolled: 1-line block ×3, first 2 shown]
	v_mul_f32_e32 v20, v47, v20
	v_sub_f32_e32 v47, v32, v47
	v_sub_f32_e32 v47, v48, v47
	v_add_f32_e32 v20, v47, v20
	v_add_f32_e32 v47, v32, v20
	v_sub_f32_e32 v32, v47, v32
	v_sub_f32_e32 v20, v20, v32
	v_ldexp_f32 v32, v47, -2
	v_sub_f32_e32 v47, v33, v32
	v_sub_f32_e32 v33, v33, v47
	;; [unrolled: 1-line block ×3, first 2 shown]
	v_ldexp_f32 v20, v20, -2
	v_add_f32_e32 v18, v18, v32
	v_sub_f32_e32 v18, v18, v20
	v_add_f32_e32 v18, v47, v18
	v_cmp_ngt_f32_e64 vcc, |v29|, s60
	v_cndmask_b32_e32 v18, v44, v18, vcc
	v_cmp_lt_f32_e64 s[8:9], |v29|, s61
	v_cndmask_b32_e64 v18, v18, |v29|, s[8:9]
	v_xor_b32_e32 v20, 0x80000000, v29
	v_bfi_b32 v18, s44, v18, v20
	v_fma_f32 v20, v18, v18, 1.0
	v_mul_f32_e32 v29, 0x4f800000, v20
	v_cmp_gt_f32_e32 vcc, s62, v20
	v_cndmask_b32_e32 v20, v20, v29, vcc
	v_sqrt_f32_e32 v29, v20
	v_xor_b32_e32 v0, v46, v0
	v_xor_b32_e32 v0, v0, v28
	v_fma_f32 v28, v0, v0, 1.0
	v_add_u32_e32 v32, -1, v29
	v_fma_f32 v33, -v32, v29, v20
	v_cmp_ge_f32_e64 s[8:9], 0, v33
	v_add_u32_e32 v33, 1, v29
	v_cndmask_b32_e64 v32, v29, v32, s[8:9]
	v_fma_f32 v29, -v33, v29, v20
	v_cmp_lt_f32_e64 s[8:9], 0, v29
	v_cndmask_b32_e64 v29, v32, v33, s[8:9]
	v_mul_f32_e32 v32, 0x37800000, v29
	v_cndmask_b32_e32 v29, v29, v32, vcc
	v_cmp_class_f32_e32 vcc, v20, v38
	v_cndmask_b32_e32 v20, v29, v20, vcc
	v_mul_f32_e32 v29, v18, v28
	v_mul_f32_e32 v20, v20, v28
	v_fma_f32 v29, v18, v29, 1.0
	v_mul_f32_e32 v18, v18, v20
	v_div_scale_f32 v20, s[8:9], v29, v29, v18
	v_rcp_f32_e32 v28, v20
	v_fma_f32 v32, -v20, v28, 1.0
	v_fmac_f32_e32 v28, v32, v28
	v_div_scale_f32 v32, vcc, v18, v29, v18
	v_mul_f32_e32 v33, v32, v28
	v_fma_f32 v46, -v20, v33, v32
	v_fmac_f32_e32 v33, v46, v28
	v_fma_f32 v20, -v20, v33, v32
	v_div_scale_f32 v32, s[8:9], v29, v29, v0
	v_rcp_f32_e32 v46, v32
	v_div_fmas_f32 v20, v20, v28, v33
	v_div_fixup_f32 v33, v20, v29, v18
	v_fma_f32 v18, -v32, v46, 1.0
	v_fmac_f32_e32 v46, v18, v46
	v_div_scale_f32 v18, vcc, v0, v29, v0
	v_mul_f32_e32 v20, v18, v46
	v_fma_f32 v28, -v32, v20, v18
	v_fmac_f32_e32 v20, v28, v46
	v_fma_f32 v18, -v32, v20, v18
	v_div_fmas_f32 v18, v18, v46, v20
	v_div_fixup_f32 v32, v18, v29, v0
                                        ; implicit-def: $vgpr28
                                        ; implicit-def: $vgpr46
.LBB95_253:                             ;   in Loop: Header=BB95_161 Depth=1
	s_andn2_saveexec_b64 s[30:31], s[30:31]
	s_cbranch_execz .LBB95_263
; %bb.254:                              ;   in Loop: Header=BB95_161 Depth=1
	v_cmp_nlt_f32_e64 s[34:35], |v28|, s48
                                        ; implicit-def: $vgpr18
                                        ; implicit-def: $vgpr20
	s_and_saveexec_b64 s[8:9], s[34:35]
	s_xor_b64 s[36:37], exec, s[8:9]
	s_cbranch_execz .LBB95_256
; %bb.255:                              ;   in Loop: Header=BB95_161 Depth=1
	v_lshrrev_b32_e32 v0, 23, v46
	v_add_u32_e32 v0, 0xffffff88, v0
	v_cmp_lt_u32_e32 vcc, 63, v0
	v_cndmask_b32_e32 v18, 0, v42, vcc
	v_add_u32_e32 v0, v18, v0
	v_cmp_lt_u32_e64 s[8:9], 31, v0
	v_cndmask_b32_e64 v18, 0, v43, s[8:9]
	v_add_u32_e32 v0, v18, v0
	v_cmp_lt_u32_e64 s[10:11], 31, v0
	v_cndmask_b32_e64 v18, 0, v43, s[10:11]
	v_add_u32_e32 v18, v18, v0
	v_and_b32_e32 v0, 0x7fffff, v46
	v_or_b32_e32 v20, 0x800000, v0
	v_mad_u64_u32 v[32:33], s[12:13], v20, s49, 0
	v_mov_b32_e32 v0, v33
	v_mad_u64_u32 v[48:49], s[12:13], v20, s50, v[0:1]
	v_mov_b32_e32 v0, v49
	v_mad_u64_u32 v[50:51], s[12:13], v20, s51, v[0:1]
	v_mov_b32_e32 v0, v51
	v_mad_u64_u32 v[52:53], s[12:13], v20, s52, v[0:1]
	v_mov_b32_e32 v0, v53
	v_mad_u64_u32 v[54:55], s[12:13], v20, s53, v[0:1]
	v_mov_b32_e32 v0, v55
	v_mad_u64_u32 v[56:57], s[12:13], v20, s54, v[0:1]
	v_mov_b32_e32 v0, v57
	v_mad_u64_u32 v[58:59], s[12:13], v20, s55, v[0:1]
	v_cndmask_b32_e32 v33, v56, v52, vcc
	v_cndmask_b32_e32 v0, v58, v54, vcc
	;; [unrolled: 1-line block ×3, first 2 shown]
	v_cndmask_b32_e64 v20, v0, v33, s[8:9]
	v_cndmask_b32_e64 v0, v47, v0, s[8:9]
	v_cndmask_b32_e32 v47, v54, v50, vcc
	v_cndmask_b32_e64 v33, v33, v47, s[8:9]
	v_sub_u32_e32 v49, 32, v18
	v_cmp_eq_u32_e64 s[12:13], 0, v18
	v_cndmask_b32_e32 v18, v52, v48, vcc
	v_cndmask_b32_e64 v0, v0, v20, s[10:11]
	v_cndmask_b32_e64 v20, v20, v33, s[10:11]
	;; [unrolled: 1-line block ×3, first 2 shown]
	v_alignbit_b32 v51, v0, v20, v49
	v_cndmask_b32_e64 v33, v33, v47, s[10:11]
	v_cndmask_b32_e64 v0, v51, v0, s[12:13]
	v_alignbit_b32 v48, v20, v33, v49
	v_cndmask_b32_e32 v32, v50, v32, vcc
	v_cndmask_b32_e64 v20, v48, v20, s[12:13]
	v_bfe_u32 v52, v0, 29, 1
	v_cndmask_b32_e64 v18, v18, v32, s[8:9]
	v_alignbit_b32 v48, v0, v20, 30
	v_sub_u32_e32 v53, 0, v52
	v_cndmask_b32_e64 v18, v47, v18, s[10:11]
	v_xor_b32_e32 v54, v48, v53
	v_alignbit_b32 v32, v33, v18, v49
	v_cndmask_b32_e64 v32, v32, v33, s[12:13]
	v_ffbh_u32_e32 v33, v54
	v_add_u32_e32 v33, 1, v33
	v_cmp_ne_u32_e32 vcc, v48, v53
	v_alignbit_b32 v20, v20, v32, 30
	v_cndmask_b32_e32 v33, 33, v33, vcc
	v_alignbit_b32 v18, v32, v18, 30
	v_xor_b32_e32 v20, v20, v53
	v_sub_u32_e32 v47, 32, v33
	v_xor_b32_e32 v18, v18, v53
	v_alignbit_b32 v48, v54, v20, v47
	v_alignbit_b32 v18, v20, v18, v47
	;; [unrolled: 1-line block ×3, first 2 shown]
	v_ffbh_u32_e32 v32, v20
	v_min_u32_e32 v32, 32, v32
	v_lshrrev_b32_e32 v51, 29, v0
	v_sub_u32_e32 v47, 31, v32
	v_alignbit_b32 v18, v20, v18, v47
	v_lshlrev_b32_e32 v20, 31, v51
	v_or_b32_e32 v47, 0x33800000, v20
	v_add_lshl_u32 v32, v32, v33, 23
	v_lshrrev_b32_e32 v18, 9, v18
	v_sub_u32_e32 v32, v47, v32
	v_or_b32_e32 v18, v32, v18
	v_alignbit_b32 v32, v33, v48, 9
	v_or_b32_e32 v20, v32, v20
	v_xor_b32_e32 v20, 1.0, v20
	v_mul_f32_e32 v32, 0x3fc90fda, v20
	v_fma_f32 v33, v20, s56, -v32
	v_fmac_f32_e32 v33, 0x33a22168, v20
	v_fmac_f32_e32 v33, 0x3fc90fda, v18
	v_lshrrev_b32_e32 v0, 30, v0
	v_add_f32_e32 v20, v32, v33
	v_add_u32_e32 v18, v52, v0
	s_andn2_saveexec_b64 s[8:9], s[36:37]
	s_branch .LBB95_257
.LBB95_256:                             ;   in Loop: Header=BB95_161 Depth=1
	s_andn2_saveexec_b64 s[8:9], s[36:37]
.LBB95_257:                             ;   in Loop: Header=BB95_161 Depth=1
	v_mul_f32_e64 v0, |v28|, s57
	v_rndne_f32_e32 v0, v0
	v_cvt_i32_f32_e32 v18, v0
	v_fma_f32 v20, v0, s58, |v28|
	v_fmac_f32_e32 v20, 0xb3a22168, v0
	v_fmac_f32_e32 v20, 0xa7c234c4, v0
; %bb.258:                              ;   in Loop: Header=BB95_161 Depth=1
	s_or_b64 exec, exec, s[8:9]
                                        ; implicit-def: $vgpr0
                                        ; implicit-def: $vgpr32
	s_and_saveexec_b64 s[8:9], s[34:35]
	s_xor_b64 s[34:35], exec, s[8:9]
	s_cbranch_execz .LBB95_260
; %bb.259:                              ;   in Loop: Header=BB95_161 Depth=1
	v_lshrrev_b32_e32 v0, 23, v46
	v_add_u32_e32 v0, 0xffffff88, v0
	v_cmp_lt_u32_e32 vcc, 63, v0
	v_cndmask_b32_e32 v32, 0, v42, vcc
	v_add_u32_e32 v0, v32, v0
	v_cmp_lt_u32_e64 s[8:9], 31, v0
	v_cndmask_b32_e64 v32, 0, v43, s[8:9]
	v_add_u32_e32 v0, v32, v0
	v_cmp_lt_u32_e64 s[10:11], 31, v0
	v_cndmask_b32_e64 v32, 0, v43, s[10:11]
	v_add_u32_e32 v47, v32, v0
	v_and_b32_e32 v0, 0x7fffff, v46
	v_or_b32_e32 v58, 0x800000, v0
	v_mad_u64_u32 v[32:33], s[12:13], v58, s49, 0
	v_mov_b32_e32 v0, v33
	v_mad_u64_u32 v[48:49], s[12:13], v58, s50, v[0:1]
	v_mov_b32_e32 v0, v49
	;; [unrolled: 2-line block ×6, first 2 shown]
	v_mad_u64_u32 v[58:59], s[12:13], v58, s55, v[0:1]
	v_cndmask_b32_e32 v33, v56, v52, vcc
	v_cndmask_b32_e32 v0, v58, v54, vcc
	;; [unrolled: 1-line block ×3, first 2 shown]
	v_cndmask_b32_e64 v49, v0, v33, s[8:9]
	v_cndmask_b32_e64 v0, v51, v0, s[8:9]
	v_cndmask_b32_e32 v51, v54, v50, vcc
	v_cndmask_b32_e64 v33, v33, v51, s[8:9]
	v_sub_u32_e32 v53, 32, v47
	v_cmp_eq_u32_e64 s[12:13], 0, v47
	v_cndmask_b32_e32 v47, v52, v48, vcc
	v_cndmask_b32_e64 v0, v0, v49, s[10:11]
	v_cndmask_b32_e64 v49, v49, v33, s[10:11]
	;; [unrolled: 1-line block ×3, first 2 shown]
	v_alignbit_b32 v54, v0, v49, v53
	v_cndmask_b32_e64 v33, v33, v48, s[10:11]
	v_cndmask_b32_e64 v0, v54, v0, s[12:13]
	v_alignbit_b32 v51, v49, v33, v53
	v_cndmask_b32_e64 v49, v51, v49, s[12:13]
	v_bfe_u32 v54, v0, 29, 1
	v_cndmask_b32_e32 v32, v50, v32, vcc
	v_alignbit_b32 v51, v0, v49, 30
	v_sub_u32_e32 v55, 0, v54
	v_cndmask_b32_e64 v32, v47, v32, s[8:9]
	v_xor_b32_e32 v56, v51, v55
	v_cndmask_b32_e64 v32, v48, v32, s[10:11]
	v_alignbit_b32 v47, v33, v32, v53
	v_ffbh_u32_e32 v48, v56
	v_cndmask_b32_e64 v33, v47, v33, s[12:13]
	v_add_u32_e32 v48, 1, v48
	v_cmp_ne_u32_e32 vcc, v51, v55
	v_alignbit_b32 v47, v49, v33, 30
	v_cndmask_b32_e32 v48, 33, v48, vcc
	v_alignbit_b32 v32, v33, v32, 30
	v_xor_b32_e32 v47, v47, v55
	v_sub_u32_e32 v49, 32, v48
	v_xor_b32_e32 v32, v32, v55
	v_alignbit_b32 v50, v56, v47, v49
	v_alignbit_b32 v32, v47, v32, v49
	v_alignbit_b32 v33, v50, v32, 9
	v_ffbh_u32_e32 v47, v33
	v_min_u32_e32 v47, 32, v47
	v_lshrrev_b32_e32 v52, 29, v0
	v_sub_u32_e32 v49, 31, v47
	v_alignbit_b32 v32, v33, v32, v49
	v_lshlrev_b32_e32 v33, 31, v52
	v_or_b32_e32 v49, 0x33800000, v33
	v_add_lshl_u32 v47, v47, v48, 23
	v_lshrrev_b32_e32 v32, 9, v32
	v_sub_u32_e32 v47, v49, v47
	v_or_b32_e32 v32, v47, v32
	v_alignbit_b32 v47, v48, v50, 9
	v_or_b32_e32 v33, v47, v33
	v_xor_b32_e32 v33, 1.0, v33
	v_mul_f32_e32 v47, 0x3fc90fda, v33
	v_fma_f32 v48, v33, s56, -v47
	v_fmac_f32_e32 v48, 0x33a22168, v33
	v_fmac_f32_e32 v48, 0x3fc90fda, v32
	v_lshrrev_b32_e32 v0, 30, v0
	v_add_f32_e32 v32, v47, v48
	v_add_u32_e32 v0, v54, v0
	s_andn2_saveexec_b64 s[8:9], s[34:35]
	s_cbranch_execnz .LBB95_261
	s_branch .LBB95_262
.LBB95_260:                             ;   in Loop: Header=BB95_161 Depth=1
	s_andn2_saveexec_b64 s[8:9], s[34:35]
.LBB95_261:                             ;   in Loop: Header=BB95_161 Depth=1
	v_mul_f32_e64 v0, |v28|, s57
	v_rndne_f32_e32 v33, v0
	v_cvt_i32_f32_e32 v0, v33
	v_fma_f32 v32, v33, s58, |v28|
	v_fmac_f32_e32 v32, 0xb3a22168, v33
	v_fmac_f32_e32 v32, 0xa7c234c4, v33
.LBB95_262:                             ;   in Loop: Header=BB95_161 Depth=1
	s_or_b64 exec, exec, s[8:9]
	v_mul_f32_e32 v33, v20, v20
	v_mov_b32_e32 v47, 0x3c0881c4
	v_fmac_f32_e32 v47, 0xb94c1982, v33
	v_fma_f32 v47, v33, v47, v39
	v_mul_f32_e32 v47, v33, v47
	v_fmac_f32_e32 v20, v20, v47
	v_mov_b32_e32 v47, 0xbab64f3b
	v_fmac_f32_e32 v47, 0x37d75334, v33
	v_fma_f32 v47, v33, v47, v40
	v_fma_f32 v47, v33, v47, v41
	v_fma_f32 v33, v33, v47, 1.0
	v_and_b32_e32 v47, 1, v18
	v_cmp_eq_u32_e32 vcc, 0, v47
	v_lshlrev_b32_e32 v18, 30, v18
	v_cndmask_b32_e32 v20, v33, v20, vcc
	v_and_b32_e32 v18, 0x80000000, v18
	v_mul_f32_e64 v33, |v29|, s63
	v_xor_b32_e32 v18, v46, v18
	v_rndne_f32_e32 v46, v33
	v_sub_f32_e32 v47, v33, v46
	v_fma_f32 v33, |v29|, s63, -v33
	v_fma_f32 v33, |v29|, s64, v33
	v_add_f32_e32 v33, v47, v33
	v_exp_f32_e32 v33, v33
	v_cvt_i32_f32_e32 v46, v46
	v_xor_b32_e32 v18, v18, v20
	v_xor_b32_e32 v18, v18, v28
	v_cmp_ngt_f32_e64 vcc, |v29|, s65
	v_ldexp_f32 v20, v33, v46
	v_xor_b32_e32 v28, 0x80000000, v29
	v_cndmask_b32_e32 v20, 0, v20, vcc
	v_cmp_nlt_f32_e64 vcc, |v29|, s66
	v_bfi_b32 v33, s44, 1.0, v28
	v_mul_f32_e32 v28, v32, v32
	v_mov_b32_e32 v29, 0x3c0881c4
	v_fmac_f32_e32 v29, 0xb94c1982, v28
	v_fma_f32 v29, v28, v29, v39
	v_mul_f32_e32 v29, v28, v29
	v_fmac_f32_e32 v32, v32, v29
	v_mov_b32_e32 v29, 0xbab64f3b
	v_fmac_f32_e32 v29, 0x37d75334, v28
	v_fma_f32 v29, v28, v29, v40
	v_fma_f32 v29, v28, v29, v41
	v_fma_f32 v28, v28, v29, 1.0
	v_and_b32_e32 v29, 1, v0
	v_cndmask_b32_e32 v20, v44, v20, vcc
	v_cmp_eq_u32_e32 vcc, 0, v29
	v_lshlrev_b32_e32 v0, 30, v0
	v_cndmask_b32_e64 v28, -v32, v28, vcc
	v_and_b32_e32 v0, 0x80000000, v0
	v_mul_f32_e32 v18, 4.0, v18
	v_xor_b32_e32 v0, v0, v28
	v_mul_f32_e32 v0, v18, v0
	v_mul_f32_e32 v0, v20, v0
	;; [unrolled: 1-line block ×3, first 2 shown]
.LBB95_263:                             ;   in Loop: Header=BB95_161 Depth=1
	s_or_b64 exec, exec, s[30:31]
                                        ; implicit-def: $vgpr28
.LBB95_264:                             ;   in Loop: Header=BB95_161 Depth=1
	s_andn2_saveexec_b64 s[8:9], s[28:29]
; %bb.265:                              ;   in Loop: Header=BB95_161 Depth=1
	v_sub_f32_e32 v32, v28, v28
	v_mov_b32_e32 v33, v32
; %bb.266:                              ;   in Loop: Header=BB95_161 Depth=1
	s_or_b64 exec, exec, s[8:9]
                                        ; implicit-def: $vgpr29
.LBB95_267:                             ;   in Loop: Header=BB95_161 Depth=1
	s_andn2_saveexec_b64 s[26:27], s[26:27]
	s_cbranch_execz .LBB95_283
; %bb.268:                              ;   in Loop: Header=BB95_161 Depth=1
	v_xor_b32_e32 v33, 0x80000000, v29
	v_and_b32_e32 v0, 0x7fffff, v33
	v_cmp_ne_u32_e32 vcc, 0, v0
                                        ; implicit-def: $vgpr32
	s_and_saveexec_b64 s[8:9], vcc
	s_xor_b64 s[8:9], exec, s[8:9]
; %bb.269:                              ;   in Loop: Header=BB95_161 Depth=1
	v_mul_f32_e64 v0, v28, -v29
	v_cmp_eq_f32_e32 vcc, 0, v28
	v_cndmask_b32_e32 v32, v0, v28, vcc
                                        ; implicit-def: $vgpr28
; %bb.270:                              ;   in Loop: Header=BB95_161 Depth=1
	s_andn2_saveexec_b64 s[28:29], s[8:9]
	s_cbranch_execz .LBB95_282
; %bb.271:                              ;   in Loop: Header=BB95_161 Depth=1
	v_cmp_neq_f32_e64 s[8:9], |v28|, s45
	s_and_saveexec_b64 s[30:31], s[8:9]
	s_cbranch_execz .LBB95_281
; %bb.272:                              ;   in Loop: Header=BB95_161 Depth=1
	v_and_b32_e32 v18, 0x7fffffff, v28
	v_cmp_nlt_f32_e64 s[34:35], |v28|, s48
                                        ; implicit-def: $vgpr20
                                        ; implicit-def: $vgpr29
	s_and_saveexec_b64 s[8:9], s[34:35]
	s_xor_b64 s[36:37], exec, s[8:9]
	s_cbranch_execz .LBB95_274
; %bb.273:                              ;   in Loop: Header=BB95_161 Depth=1
	v_lshrrev_b32_e32 v0, 23, v18
	v_add_u32_e32 v0, 0xffffff88, v0
	v_cmp_lt_u32_e32 vcc, 63, v0
	v_cndmask_b32_e32 v20, 0, v42, vcc
	v_add_u32_e32 v0, v20, v0
	v_cmp_lt_u32_e64 s[8:9], 31, v0
	v_cndmask_b32_e64 v20, 0, v43, s[8:9]
	v_add_u32_e32 v0, v20, v0
	v_cmp_lt_u32_e64 s[10:11], 31, v0
	v_cndmask_b32_e64 v20, 0, v43, s[10:11]
	v_add_u32_e32 v20, v20, v0
	v_and_b32_e32 v0, 0x7fffff, v18
	v_or_b32_e32 v29, 0x800000, v0
	v_mad_u64_u32 v[46:47], s[12:13], v29, s49, 0
	v_mov_b32_e32 v0, v47
	v_mad_u64_u32 v[48:49], s[12:13], v29, s50, v[0:1]
	v_mov_b32_e32 v0, v49
	v_mad_u64_u32 v[50:51], s[12:13], v29, s51, v[0:1]
	v_mov_b32_e32 v0, v51
	v_mad_u64_u32 v[52:53], s[12:13], v29, s52, v[0:1]
	v_mov_b32_e32 v0, v53
	v_mad_u64_u32 v[54:55], s[12:13], v29, s53, v[0:1]
	v_mov_b32_e32 v0, v55
	v_mad_u64_u32 v[56:57], s[12:13], v29, s54, v[0:1]
	v_mov_b32_e32 v0, v57
	v_mad_u64_u32 v[58:59], s[12:13], v29, s55, v[0:1]
	v_cndmask_b32_e32 v32, v56, v52, vcc
	v_cndmask_b32_e32 v0, v58, v54, vcc
	;; [unrolled: 1-line block ×3, first 2 shown]
	v_cndmask_b32_e64 v29, v0, v32, s[8:9]
	v_cndmask_b32_e64 v0, v47, v0, s[8:9]
	v_cndmask_b32_e32 v47, v54, v50, vcc
	v_cndmask_b32_e64 v32, v32, v47, s[8:9]
	v_sub_u32_e32 v49, 32, v20
	v_cmp_eq_u32_e64 s[12:13], 0, v20
	v_cndmask_b32_e32 v20, v52, v48, vcc
	v_cndmask_b32_e64 v0, v0, v29, s[10:11]
	v_cndmask_b32_e64 v29, v29, v32, s[10:11]
	;; [unrolled: 1-line block ×3, first 2 shown]
	v_alignbit_b32 v51, v0, v29, v49
	v_cndmask_b32_e64 v32, v32, v47, s[10:11]
	v_cndmask_b32_e64 v0, v51, v0, s[12:13]
	v_alignbit_b32 v48, v29, v32, v49
	v_cndmask_b32_e32 v46, v50, v46, vcc
	v_cndmask_b32_e64 v29, v48, v29, s[12:13]
	v_bfe_u32 v52, v0, 29, 1
	v_cndmask_b32_e64 v20, v20, v46, s[8:9]
	v_alignbit_b32 v48, v0, v29, 30
	v_sub_u32_e32 v53, 0, v52
	v_cndmask_b32_e64 v20, v47, v20, s[10:11]
	v_xor_b32_e32 v54, v48, v53
	v_alignbit_b32 v46, v32, v20, v49
	v_cndmask_b32_e64 v32, v46, v32, s[12:13]
	v_ffbh_u32_e32 v46, v54
	v_add_u32_e32 v46, 1, v46
	v_cmp_ne_u32_e32 vcc, v48, v53
	v_alignbit_b32 v29, v29, v32, 30
	v_cndmask_b32_e32 v46, 33, v46, vcc
	v_alignbit_b32 v20, v32, v20, 30
	v_xor_b32_e32 v29, v29, v53
	v_sub_u32_e32 v47, 32, v46
	v_xor_b32_e32 v20, v20, v53
	v_alignbit_b32 v48, v54, v29, v47
	v_alignbit_b32 v20, v29, v20, v47
	;; [unrolled: 1-line block ×3, first 2 shown]
	v_ffbh_u32_e32 v32, v29
	v_min_u32_e32 v32, 32, v32
	v_lshrrev_b32_e32 v51, 29, v0
	v_sub_u32_e32 v47, 31, v32
	v_alignbit_b32 v20, v29, v20, v47
	v_lshlrev_b32_e32 v29, 31, v51
	v_or_b32_e32 v47, 0x33800000, v29
	v_add_lshl_u32 v32, v32, v46, 23
	v_lshrrev_b32_e32 v20, 9, v20
	v_sub_u32_e32 v32, v47, v32
	v_or_b32_e32 v20, v32, v20
	v_alignbit_b32 v32, v46, v48, 9
	v_or_b32_e32 v29, v32, v29
	v_xor_b32_e32 v29, 1.0, v29
	v_mul_f32_e32 v32, 0x3fc90fda, v29
	v_fma_f32 v46, v29, s56, -v32
	v_fmac_f32_e32 v46, 0x33a22168, v29
	v_fmac_f32_e32 v46, 0x3fc90fda, v20
	v_lshrrev_b32_e32 v0, 30, v0
	v_add_f32_e32 v29, v32, v46
	v_add_u32_e32 v20, v52, v0
	s_andn2_saveexec_b64 s[8:9], s[36:37]
	s_branch .LBB95_275
.LBB95_274:                             ;   in Loop: Header=BB95_161 Depth=1
	s_andn2_saveexec_b64 s[8:9], s[36:37]
.LBB95_275:                             ;   in Loop: Header=BB95_161 Depth=1
	v_mul_f32_e64 v0, |v28|, s57
	v_rndne_f32_e32 v0, v0
	v_cvt_i32_f32_e32 v20, v0
	v_fma_f32 v29, v0, s58, |v28|
	v_fmac_f32_e32 v29, 0xb3a22168, v0
	v_fmac_f32_e32 v29, 0xa7c234c4, v0
; %bb.276:                              ;   in Loop: Header=BB95_161 Depth=1
	s_or_b64 exec, exec, s[8:9]
                                        ; implicit-def: $vgpr0
                                        ; implicit-def: $vgpr32
	s_and_saveexec_b64 s[8:9], s[34:35]
	s_xor_b64 s[34:35], exec, s[8:9]
	s_cbranch_execz .LBB95_278
; %bb.277:                              ;   in Loop: Header=BB95_161 Depth=1
	v_lshrrev_b32_e32 v0, 23, v18
	v_add_u32_e32 v0, 0xffffff88, v0
	v_cmp_lt_u32_e32 vcc, 63, v0
	v_cndmask_b32_e32 v32, 0, v42, vcc
	v_add_u32_e32 v0, v32, v0
	v_cmp_lt_u32_e64 s[8:9], 31, v0
	v_cndmask_b32_e64 v32, 0, v43, s[8:9]
	v_add_u32_e32 v0, v32, v0
	v_cmp_lt_u32_e64 s[10:11], 31, v0
	v_cndmask_b32_e64 v32, 0, v43, s[10:11]
	v_add_u32_e32 v32, v32, v0
	v_and_b32_e32 v0, 0x7fffff, v18
	v_or_b32_e32 v58, 0x800000, v0
	v_mad_u64_u32 v[46:47], s[12:13], v58, s49, 0
	v_mov_b32_e32 v0, v47
	v_mad_u64_u32 v[48:49], s[12:13], v58, s50, v[0:1]
	v_mov_b32_e32 v0, v49
	;; [unrolled: 2-line block ×6, first 2 shown]
	v_mad_u64_u32 v[58:59], s[12:13], v58, s55, v[0:1]
	v_cndmask_b32_e32 v47, v56, v52, vcc
	v_cndmask_b32_e32 v0, v58, v54, vcc
	;; [unrolled: 1-line block ×3, first 2 shown]
	v_cndmask_b32_e64 v49, v0, v47, s[8:9]
	v_cndmask_b32_e64 v0, v51, v0, s[8:9]
	v_cndmask_b32_e32 v51, v54, v50, vcc
	v_cndmask_b32_e64 v47, v47, v51, s[8:9]
	v_sub_u32_e32 v53, 32, v32
	v_cmp_eq_u32_e64 s[12:13], 0, v32
	v_cndmask_b32_e32 v32, v52, v48, vcc
	v_cndmask_b32_e64 v0, v0, v49, s[10:11]
	v_cndmask_b32_e64 v49, v49, v47, s[10:11]
	;; [unrolled: 1-line block ×3, first 2 shown]
	v_alignbit_b32 v54, v0, v49, v53
	v_cndmask_b32_e64 v47, v47, v48, s[10:11]
	v_cndmask_b32_e64 v0, v54, v0, s[12:13]
	v_alignbit_b32 v51, v49, v47, v53
	v_cndmask_b32_e64 v49, v51, v49, s[12:13]
	v_bfe_u32 v54, v0, 29, 1
	v_cndmask_b32_e32 v46, v50, v46, vcc
	v_alignbit_b32 v51, v0, v49, 30
	v_sub_u32_e32 v55, 0, v54
	v_cndmask_b32_e64 v32, v32, v46, s[8:9]
	v_xor_b32_e32 v56, v51, v55
	v_cndmask_b32_e64 v32, v48, v32, s[10:11]
	v_alignbit_b32 v46, v47, v32, v53
	v_ffbh_u32_e32 v48, v56
	v_cndmask_b32_e64 v46, v46, v47, s[12:13]
	v_add_u32_e32 v48, 1, v48
	v_cmp_ne_u32_e32 vcc, v51, v55
	v_alignbit_b32 v47, v49, v46, 30
	v_cndmask_b32_e32 v48, 33, v48, vcc
	v_alignbit_b32 v32, v46, v32, 30
	v_xor_b32_e32 v47, v47, v55
	v_sub_u32_e32 v49, 32, v48
	v_xor_b32_e32 v32, v32, v55
	v_alignbit_b32 v50, v56, v47, v49
	v_alignbit_b32 v32, v47, v32, v49
	;; [unrolled: 1-line block ×3, first 2 shown]
	v_ffbh_u32_e32 v47, v46
	v_min_u32_e32 v47, 32, v47
	v_lshrrev_b32_e32 v52, 29, v0
	v_sub_u32_e32 v49, 31, v47
	v_alignbit_b32 v32, v46, v32, v49
	v_lshlrev_b32_e32 v46, 31, v52
	v_or_b32_e32 v49, 0x33800000, v46
	v_add_lshl_u32 v47, v47, v48, 23
	v_lshrrev_b32_e32 v32, 9, v32
	v_sub_u32_e32 v47, v49, v47
	v_or_b32_e32 v32, v47, v32
	v_alignbit_b32 v47, v48, v50, 9
	v_or_b32_e32 v46, v47, v46
	v_xor_b32_e32 v46, 1.0, v46
	v_mul_f32_e32 v47, 0x3fc90fda, v46
	v_fma_f32 v48, v46, s56, -v47
	v_fmac_f32_e32 v48, 0x33a22168, v46
	v_fmac_f32_e32 v48, 0x3fc90fda, v32
	v_lshrrev_b32_e32 v0, 30, v0
	v_add_f32_e32 v32, v47, v48
	v_add_u32_e32 v0, v54, v0
	s_andn2_saveexec_b64 s[8:9], s[34:35]
	s_cbranch_execnz .LBB95_279
	s_branch .LBB95_280
.LBB95_278:                             ;   in Loop: Header=BB95_161 Depth=1
	s_andn2_saveexec_b64 s[8:9], s[34:35]
.LBB95_279:                             ;   in Loop: Header=BB95_161 Depth=1
	v_mul_f32_e64 v0, |v28|, s57
	v_rndne_f32_e32 v46, v0
	v_cvt_i32_f32_e32 v0, v46
	v_fma_f32 v32, v46, s58, |v28|
	v_fmac_f32_e32 v32, 0xb3a22168, v46
	v_fmac_f32_e32 v32, 0xa7c234c4, v46
.LBB95_280:                             ;   in Loop: Header=BB95_161 Depth=1
	s_or_b64 exec, exec, s[8:9]
	v_mul_f32_e32 v46, v29, v29
	v_mov_b32_e32 v47, 0x3c0881c4
	v_fmac_f32_e32 v47, 0xb94c1982, v46
	v_fma_f32 v47, v46, v47, v39
	v_mul_f32_e32 v47, v46, v47
	v_fmac_f32_e32 v29, v29, v47
	v_mov_b32_e32 v47, 0xbab64f3b
	v_fmac_f32_e32 v47, 0x37d75334, v46
	v_fma_f32 v47, v46, v47, v40
	v_fma_f32 v47, v46, v47, v41
	v_fma_f32 v46, v46, v47, 1.0
	v_and_b32_e32 v47, 1, v20
	v_lshlrev_b32_e32 v20, 30, v20
	v_cmp_eq_u32_e32 vcc, 0, v47
	v_and_b32_e32 v20, 0x80000000, v20
	v_cndmask_b32_e32 v29, v46, v29, vcc
	v_xor_b32_e32 v18, v18, v20
	v_xor_b32_e32 v18, v18, v29
	v_mul_f32_e32 v20, v32, v32
	v_mov_b32_e32 v29, 0x3c0881c4
	v_fmac_f32_e32 v29, 0xb94c1982, v20
	v_fma_f32 v29, v20, v29, v39
	v_mul_f32_e32 v29, v20, v29
	v_fmac_f32_e32 v32, v32, v29
	v_mov_b32_e32 v29, 0xbab64f3b
	v_fmac_f32_e32 v29, 0x37d75334, v20
	v_fma_f32 v29, v20, v29, v40
	v_fma_f32 v29, v20, v29, v41
	v_fma_f32 v20, v20, v29, 1.0
	v_and_b32_e32 v29, 1, v0
	v_cmp_eq_u32_e32 vcc, 0, v29
	v_lshlrev_b32_e32 v0, 30, v0
	v_cndmask_b32_e64 v20, -v32, v20, vcc
	v_and_b32_e32 v0, 0x80000000, v0
	v_xor_b32_e32 v18, v18, v28
	v_xor_b32_e32 v0, v0, v20
	v_mul_f32_e32 v0, v18, v0
	v_cmp_class_f32_e64 vcc, v28, s46
	v_cndmask_b32_e32 v28, v45, v0, vcc
.LBB95_281:                             ;   in Loop: Header=BB95_161 Depth=1
	s_or_b64 exec, exec, s[30:31]
	v_add_u32_e32 v33, -2.0, v33
	v_bfi_b32 v32, s44, 0, v28
.LBB95_282:                             ;   in Loop: Header=BB95_161 Depth=1
	s_or_b64 exec, exec, s[28:29]
.LBB95_283:                             ;   in Loop: Header=BB95_161 Depth=1
	s_or_b64 exec, exec, s[26:27]
	v_and_b32_e32 v18, 0x7fffffff, v25
	v_cmp_gt_u32_e32 vcc, s45, v18
                                        ; implicit-def: $vgpr28
                                        ; implicit-def: $vgpr20
	s_and_saveexec_b64 s[8:9], vcc
	s_xor_b64 s[26:27], exec, s[8:9]
	s_cbranch_execz .LBB95_294
; %bb.284:                              ;   in Loop: Header=BB95_161 Depth=1
	v_cmp_class_f32_e64 s[8:9], v24, s46
                                        ; implicit-def: $vgpr28
                                        ; implicit-def: $vgpr20
	s_and_saveexec_b64 s[10:11], s[8:9]
	s_xor_b64 s[28:29], exec, s[10:11]
	s_cbranch_execz .LBB95_313
; %bb.285:                              ;   in Loop: Header=BB95_161 Depth=1
	v_and_b32_e32 v29, 0x7fffffff, v24
	v_cmp_gt_u32_e32 vcc, s47, v18
                                        ; implicit-def: $vgpr28
                                        ; implicit-def: $vgpr20
	s_and_saveexec_b64 s[8:9], vcc
	s_xor_b64 s[30:31], exec, s[8:9]
	s_cbranch_execz .LBB95_291
; %bb.286:                              ;   in Loop: Header=BB95_161 Depth=1
	v_cmp_nlt_f32_e64 s[8:9], |v24|, s48
                                        ; implicit-def: $vgpr20
                                        ; implicit-def: $vgpr0
	s_and_saveexec_b64 s[10:11], s[8:9]
	s_xor_b64 s[34:35], exec, s[10:11]
	s_cbranch_execz .LBB95_288
; %bb.287:                              ;   in Loop: Header=BB95_161 Depth=1
	v_lshrrev_b32_e32 v0, 23, v29
	v_add_u32_e32 v0, 0xffffff88, v0
	v_cmp_lt_u32_e32 vcc, 63, v0
	v_cndmask_b32_e32 v20, 0, v42, vcc
	v_add_u32_e32 v0, v20, v0
	v_cmp_lt_u32_e64 s[8:9], 31, v0
	v_cndmask_b32_e64 v20, 0, v43, s[8:9]
	v_add_u32_e32 v0, v20, v0
	v_cmp_lt_u32_e64 s[10:11], 31, v0
	v_cndmask_b32_e64 v20, 0, v43, s[10:11]
	v_add_u32_e32 v20, v20, v0
	v_and_b32_e32 v0, 0x7fffff, v29
	v_or_b32_e32 v28, 0x800000, v0
	v_mad_u64_u32 v[46:47], s[12:13], v28, s49, 0
	v_mov_b32_e32 v0, v47
	v_mad_u64_u32 v[48:49], s[12:13], v28, s50, v[0:1]
	v_mov_b32_e32 v0, v49
	;; [unrolled: 2-line block ×6, first 2 shown]
	v_mad_u64_u32 v[58:59], s[12:13], v28, s55, v[0:1]
	v_cndmask_b32_e32 v47, v56, v52, vcc
	v_cndmask_b32_e32 v0, v58, v54, vcc
	;; [unrolled: 1-line block ×3, first 2 shown]
	v_cndmask_b32_e64 v28, v0, v47, s[8:9]
	v_cndmask_b32_e64 v0, v49, v0, s[8:9]
	v_cndmask_b32_e32 v49, v54, v50, vcc
	v_cndmask_b32_e64 v47, v47, v49, s[8:9]
	v_cndmask_b32_e64 v0, v0, v28, s[10:11]
	v_cndmask_b32_e64 v28, v28, v47, s[10:11]
	v_sub_u32_e32 v51, 32, v20
	v_alignbit_b32 v53, v0, v28, v51
	v_cmp_eq_u32_e64 s[12:13], 0, v20
	v_cndmask_b32_e64 v20, v53, v0, s[12:13]
	v_cndmask_b32_e32 v0, v52, v48, vcc
	v_cndmask_b32_e64 v48, v49, v0, s[8:9]
	v_cndmask_b32_e64 v47, v47, v48, s[10:11]
	v_alignbit_b32 v49, v28, v47, v51
	v_cndmask_b32_e32 v46, v50, v46, vcc
	v_cndmask_b32_e64 v28, v49, v28, s[12:13]
	v_bfe_u32 v53, v20, 29, 1
	v_cndmask_b32_e64 v0, v0, v46, s[8:9]
	v_alignbit_b32 v49, v20, v28, 30
	v_sub_u32_e32 v54, 0, v53
	v_cndmask_b32_e64 v0, v48, v0, s[10:11]
	v_xor_b32_e32 v55, v49, v54
	v_alignbit_b32 v46, v47, v0, v51
	v_cndmask_b32_e64 v46, v46, v47, s[12:13]
	v_ffbh_u32_e32 v47, v55
	v_add_u32_e32 v47, 1, v47
	v_cmp_ne_u32_e32 vcc, v49, v54
	v_alignbit_b32 v28, v28, v46, 30
	v_cndmask_b32_e32 v47, 33, v47, vcc
	v_alignbit_b32 v0, v46, v0, 30
	v_xor_b32_e32 v28, v28, v54
	v_sub_u32_e32 v48, 32, v47
	v_xor_b32_e32 v0, v0, v54
	v_alignbit_b32 v49, v55, v28, v48
	v_alignbit_b32 v0, v28, v0, v48
	;; [unrolled: 1-line block ×3, first 2 shown]
	v_ffbh_u32_e32 v46, v28
	v_min_u32_e32 v46, 32, v46
	v_lshrrev_b32_e32 v52, 29, v20
	v_sub_u32_e32 v48, 31, v46
	v_alignbit_b32 v0, v28, v0, v48
	v_lshlrev_b32_e32 v28, 31, v52
	v_or_b32_e32 v48, 0x33800000, v28
	v_add_lshl_u32 v46, v46, v47, 23
	v_lshrrev_b32_e32 v0, 9, v0
	v_sub_u32_e32 v46, v48, v46
	v_or_b32_e32 v0, v46, v0
	v_alignbit_b32 v46, v47, v49, 9
	v_or_b32_e32 v28, v46, v28
	v_xor_b32_e32 v28, 1.0, v28
	v_mul_f32_e32 v46, 0x3fc90fda, v28
	v_fma_f32 v47, v28, s56, -v46
	v_fmac_f32_e32 v47, 0x33a22168, v28
	v_fmac_f32_e32 v47, 0x3fc90fda, v0
	v_lshrrev_b32_e32 v20, 30, v20
	v_add_f32_e32 v0, v46, v47
	v_add_u32_e32 v20, v53, v20
.LBB95_288:                             ;   in Loop: Header=BB95_161 Depth=1
	s_andn2_saveexec_b64 s[8:9], s[34:35]
; %bb.289:                              ;   in Loop: Header=BB95_161 Depth=1
	v_mul_f32_e64 v0, |v24|, s57
	v_rndne_f32_e32 v28, v0
	v_cvt_i32_f32_e32 v20, v28
	v_fma_f32 v0, v28, s58, |v24|
	v_fmac_f32_e32 v0, 0xb3a22168, v28
	v_fmac_f32_e32 v0, 0xa7c234c4, v28
; %bb.290:                              ;   in Loop: Header=BB95_161 Depth=1
	s_or_b64 exec, exec, s[8:9]
	v_mul_f32_e32 v28, v0, v0
	v_mov_b32_e32 v46, 0xbf039337
	v_fmac_f32_e32 v46, 0x3c971480, v28
	v_fma_f32 v46, v28, v46, v34
	v_rcp_f32_e32 v46, v46
	v_mov_b32_e32 v47, 0x3ec54587
	v_fmac_f32_e32 v47, 0xbc8cedd3, v28
	v_and_b32_e32 v20, 1, v20
	v_mul_f32_e32 v46, v47, v46
	v_mul_f32_e32 v28, v28, v46
	v_fma_f32 v46, v28, v0, v0
	v_rcp_f32_e32 v47, v46
	v_sub_f32_e32 v48, v46, v0
	v_fma_f32 v0, v28, v0, -v48
	v_cmp_eq_u32_e32 vcc, 0, v20
	v_fma_f32 v28, v46, -v47, 1.0
	v_fma_f32 v0, v0, -v47, v28
	v_add_f32_e64 v20, |v25|, s59
	v_fma_f32 v0, v0, -v47, -v47
	v_sub_f32_e64 v47, v20, |v25|
	v_cndmask_b32_e32 v0, v0, v46, vcc
	v_sub_f32_e32 v46, v47, v20
	v_pk_add_f32 v[46:47], v[18:19], v[46:47]
	v_sub_f32_e32 v18, v46, v47
	v_add_f32_e32 v18, 0x3102e308, v18
	v_add_f32_e32 v28, v20, v18
	v_sub_f32_e32 v20, v20, v28
	v_add_f32_e32 v18, v18, v20
	v_mul_f32_e32 v20, 0x3fb8aa3b, v28
	v_rndne_f32_e32 v54, v20
	v_fmac_f32_e32 v28, 0xbf317200, v54
	v_add_f32_e32 v20, v18, v28
	v_sub_f32_e32 v28, v28, v20
	v_add_f32_e32 v18, v18, v28
	v_mul_f32_e32 v28, 0x35bfbc00, v54
	v_sub_f32_e32 v48, v20, v28
	v_sub_f32_e32 v20, v20, v48
	v_sub_f32_e32 v20, v20, v28
	v_add_f32_e32 v18, v18, v20
	v_add_f32_e32 v49, v48, v18
	v_mul_f32_e32 v47, 0x2ea39ef3, v54
	v_mov_b32_e32 v46, v49
	v_pk_add_f32 v[50:51], v[48:49], v[46:47] neg_lo:[0,1] neg_hi:[0,1]
	v_sub_f32_e32 v20, v49, v51
	v_sub_f32_e32 v20, v20, v47
	v_add_f32_e32 v18, v18, v50
	v_add_f32_e32 v18, v18, v20
	;; [unrolled: 1-line block ×3, first 2 shown]
	v_sub_f32_e32 v46, v51, v28
	v_mov_b32_e32 v20, 0x3c091de6
	v_add_f32_e32 v18, v18, v46
	v_mul_f32_e32 v47, v28, v28
	v_fmac_f32_e32 v20, 0x3ab42872, v28
	v_add_f32_e32 v46, v18, v18
	v_fma_f32 v48, v28, v28, -v47
	v_fma_f32 v20, v28, v20, v35
	v_fmac_f32_e32 v48, v28, v46
	v_fma_f32 v20, v28, v20, v36
	v_add_f32_e32 v46, v47, v48
	v_fma_f32 v20, v28, v20, v37
	v_sub_f32_e32 v47, v46, v47
	v_sub_f32_e32 v47, v48, v47
	v_mul_f32_e32 v48, v20, v46
	v_fma_f32 v46, v46, v20, -v48
	v_fmac_f32_e32 v46, v47, v20
	v_add_f32_e32 v47, v48, v46
	v_sub_f32_e32 v20, v47, v48
	v_sub_f32_e32 v46, v46, v20
	v_add_f32_e32 v20, v28, v47
	v_sub_f32_e32 v28, v20, v28
	v_sub_f32_e32 v28, v47, v28
	v_add_f32_e32 v18, v18, v46
	v_add_f32_e32 v46, v18, v28
	v_add_f32_e32 v48, v20, v46
	v_add_f32_e32 v49, 1.0, v48
	v_pk_add_f32 v[50:51], v[48:49], v[20:21] neg_lo:[0,1] neg_hi:[0,1]
	v_pk_add_f32 v[52:53], v[48:49], s[22:23]
	v_mov_b32_e32 v51, v53
	v_mov_b32_e32 v47, v48
	v_cvt_i32_f32_e32 v18, v54
	v_pk_add_f32 v[46:47], v[46:47], v[50:51] neg_lo:[0,1] neg_hi:[0,1]
	v_add_f32_e32 v20, v46, v47
	v_add_f32_e32 v28, v49, v20
	v_ldexp_f32 v46, v28, v18
	v_rcp_f32_e32 v47, v46
	v_sub_f32_e32 v28, v28, v49
	v_sub_f32_e32 v20, v20, v28
	v_ldexp_f32 v18, v20, v18
	v_mul_f32_e32 v20, v46, v47
	v_fma_f32 v28, v47, v46, -v20
	v_fmac_f32_e32 v28, v47, v18
	v_add_f32_e32 v48, v20, v28
	v_sub_f32_e32 v49, 1.0, v48
	v_sub_f32_e32 v50, 1.0, v49
	v_sub_f32_e32 v20, v48, v20
	v_sub_f32_e32 v50, v50, v48
	;; [unrolled: 1-line block ×3, first 2 shown]
	v_add_f32_e32 v20, v20, v50
	v_add_f32_e32 v28, v49, v20
	v_mul_f32_e32 v48, v47, v28
	v_mul_f32_e32 v50, v46, v48
	v_fma_f32 v51, v48, v46, -v50
	v_fmac_f32_e32 v51, v48, v18
	v_sub_f32_e32 v49, v49, v28
	v_add_f32_e32 v20, v20, v49
	v_add_f32_e32 v49, v50, v51
	v_sub_f32_e32 v52, v28, v49
	v_sub_f32_e32 v28, v28, v52
	;; [unrolled: 1-line block ×4, first 2 shown]
	v_add_f32_e32 v20, v20, v28
	v_sub_f32_e32 v28, v50, v51
	v_add_f32_e32 v20, v28, v20
	v_add_f32_e32 v20, v52, v20
	;; [unrolled: 1-line block ×3, first 2 shown]
	v_mul_f32_e32 v20, v47, v20
	v_sub_f32_e32 v47, v28, v47
	v_sub_f32_e32 v47, v48, v47
	v_add_f32_e32 v20, v47, v20
	v_add_f32_e32 v47, v28, v20
	v_sub_f32_e32 v28, v47, v28
	v_sub_f32_e32 v20, v20, v28
	v_ldexp_f32 v28, v47, -2
	v_sub_f32_e32 v47, v46, v28
	v_sub_f32_e32 v46, v46, v47
	;; [unrolled: 1-line block ×3, first 2 shown]
	v_ldexp_f32 v20, v20, -2
	v_add_f32_e32 v18, v18, v28
	v_sub_f32_e32 v18, v18, v20
	v_add_f32_e32 v18, v47, v18
	v_cmp_ngt_f32_e64 vcc, |v25|, s60
	v_cndmask_b32_e32 v18, v44, v18, vcc
	v_cmp_lt_f32_e64 s[8:9], |v25|, s61
	v_cndmask_b32_e64 v18, v18, |v25|, s[8:9]
	v_xor_b32_e32 v20, 0x80000000, v25
	v_bfi_b32 v18, s44, v18, v20
	v_fma_f32 v20, v18, v18, 1.0
	v_mul_f32_e32 v25, 0x4f800000, v20
	v_cmp_gt_f32_e32 vcc, s62, v20
	v_cndmask_b32_e32 v20, v20, v25, vcc
	v_sqrt_f32_e32 v25, v20
	v_xor_b32_e32 v0, v29, v0
	v_xor_b32_e32 v0, v0, v24
	v_fma_f32 v24, v0, v0, 1.0
	v_add_u32_e32 v28, -1, v25
	v_fma_f32 v29, -v28, v25, v20
	v_cmp_ge_f32_e64 s[8:9], 0, v29
	v_add_u32_e32 v29, 1, v25
	v_cndmask_b32_e64 v28, v25, v28, s[8:9]
	v_fma_f32 v25, -v29, v25, v20
	v_cmp_lt_f32_e64 s[8:9], 0, v25
	v_cndmask_b32_e64 v25, v28, v29, s[8:9]
	v_mul_f32_e32 v28, 0x37800000, v25
	v_cndmask_b32_e32 v25, v25, v28, vcc
	v_cmp_class_f32_e32 vcc, v20, v38
	v_cndmask_b32_e32 v20, v25, v20, vcc
	v_mul_f32_e32 v25, v18, v24
	v_mul_f32_e32 v20, v20, v24
	v_fma_f32 v25, v18, v25, 1.0
	v_mul_f32_e32 v18, v18, v20
	v_div_scale_f32 v20, s[8:9], v25, v25, v18
	v_rcp_f32_e32 v24, v20
	v_fma_f32 v28, -v20, v24, 1.0
	v_fmac_f32_e32 v24, v28, v24
	v_div_scale_f32 v28, vcc, v18, v25, v18
	v_mul_f32_e32 v29, v28, v24
	v_fma_f32 v46, -v20, v29, v28
	v_fmac_f32_e32 v29, v46, v24
	v_fma_f32 v20, -v20, v29, v28
	v_div_scale_f32 v28, s[8:9], v25, v25, v0
	v_rcp_f32_e32 v46, v28
	v_div_fmas_f32 v20, v20, v24, v29
	v_div_fixup_f32 v20, v20, v25, v18
	v_fma_f32 v18, -v28, v46, 1.0
	v_fmac_f32_e32 v46, v18, v46
	v_div_scale_f32 v18, vcc, v0, v25, v0
	v_mul_f32_e32 v24, v18, v46
	v_fma_f32 v29, -v28, v24, v18
	v_fmac_f32_e32 v24, v29, v46
	v_fma_f32 v18, -v28, v24, v18
	v_div_fmas_f32 v18, v18, v46, v24
	v_div_fixup_f32 v28, v18, v25, v0
                                        ; implicit-def: $vgpr24
                                        ; implicit-def: $vgpr29
.LBB95_291:                             ;   in Loop: Header=BB95_161 Depth=1
	s_andn2_saveexec_b64 s[30:31], s[30:31]
	s_cbranch_execz .LBB95_312
; %bb.292:                              ;   in Loop: Header=BB95_161 Depth=1
	v_cmp_nlt_f32_e64 s[34:35], |v24|, s48
                                        ; implicit-def: $vgpr18
                                        ; implicit-def: $vgpr20
	s_and_saveexec_b64 s[8:9], s[34:35]
	s_xor_b64 s[36:37], exec, s[8:9]
	s_cbranch_execz .LBB95_301
; %bb.293:                              ;   in Loop: Header=BB95_161 Depth=1
	v_lshrrev_b32_e32 v0, 23, v29
	v_add_u32_e32 v0, 0xffffff88, v0
	v_cmp_lt_u32_e32 vcc, 63, v0
	v_cndmask_b32_e32 v18, 0, v42, vcc
	v_add_u32_e32 v0, v18, v0
	v_cmp_lt_u32_e64 s[8:9], 31, v0
	v_cndmask_b32_e64 v18, 0, v43, s[8:9]
	v_add_u32_e32 v0, v18, v0
	v_cmp_lt_u32_e64 s[10:11], 31, v0
	v_cndmask_b32_e64 v18, 0, v43, s[10:11]
	v_add_u32_e32 v18, v18, v0
	v_and_b32_e32 v0, 0x7fffff, v29
	v_or_b32_e32 v20, 0x800000, v0
	v_mad_u64_u32 v[46:47], s[12:13], v20, s49, 0
	v_mov_b32_e32 v0, v47
	v_mad_u64_u32 v[48:49], s[12:13], v20, s50, v[0:1]
	v_mov_b32_e32 v0, v49
	;; [unrolled: 2-line block ×6, first 2 shown]
	v_mad_u64_u32 v[58:59], s[12:13], v20, s55, v[0:1]
	v_cndmask_b32_e32 v28, v56, v52, vcc
	v_cndmask_b32_e32 v0, v58, v54, vcc
	;; [unrolled: 1-line block ×3, first 2 shown]
	v_cndmask_b32_e64 v20, v0, v28, s[8:9]
	v_cndmask_b32_e64 v0, v47, v0, s[8:9]
	v_cndmask_b32_e32 v47, v54, v50, vcc
	v_cndmask_b32_e64 v28, v28, v47, s[8:9]
	v_sub_u32_e32 v49, 32, v18
	v_cmp_eq_u32_e64 s[12:13], 0, v18
	v_cndmask_b32_e32 v18, v52, v48, vcc
	v_cndmask_b32_e64 v0, v0, v20, s[10:11]
	v_cndmask_b32_e64 v20, v20, v28, s[10:11]
	;; [unrolled: 1-line block ×3, first 2 shown]
	v_alignbit_b32 v51, v0, v20, v49
	v_cndmask_b32_e64 v28, v28, v47, s[10:11]
	v_cndmask_b32_e64 v0, v51, v0, s[12:13]
	v_alignbit_b32 v48, v20, v28, v49
	v_cndmask_b32_e32 v46, v50, v46, vcc
	v_cndmask_b32_e64 v20, v48, v20, s[12:13]
	v_bfe_u32 v52, v0, 29, 1
	v_cndmask_b32_e64 v18, v18, v46, s[8:9]
	v_alignbit_b32 v48, v0, v20, 30
	v_sub_u32_e32 v53, 0, v52
	v_cndmask_b32_e64 v18, v47, v18, s[10:11]
	v_xor_b32_e32 v54, v48, v53
	v_alignbit_b32 v46, v28, v18, v49
	v_cndmask_b32_e64 v28, v46, v28, s[12:13]
	v_ffbh_u32_e32 v46, v54
	v_add_u32_e32 v46, 1, v46
	v_cmp_ne_u32_e32 vcc, v48, v53
	v_alignbit_b32 v20, v20, v28, 30
	v_cndmask_b32_e32 v46, 33, v46, vcc
	v_alignbit_b32 v18, v28, v18, 30
	v_xor_b32_e32 v20, v20, v53
	v_sub_u32_e32 v47, 32, v46
	v_xor_b32_e32 v18, v18, v53
	v_alignbit_b32 v48, v54, v20, v47
	v_alignbit_b32 v18, v20, v18, v47
	;; [unrolled: 1-line block ×3, first 2 shown]
	v_ffbh_u32_e32 v28, v20
	v_min_u32_e32 v28, 32, v28
	v_lshrrev_b32_e32 v51, 29, v0
	v_sub_u32_e32 v47, 31, v28
	v_alignbit_b32 v18, v20, v18, v47
	v_lshlrev_b32_e32 v20, 31, v51
	v_or_b32_e32 v47, 0x33800000, v20
	v_add_lshl_u32 v28, v28, v46, 23
	v_lshrrev_b32_e32 v18, 9, v18
	v_sub_u32_e32 v28, v47, v28
	v_or_b32_e32 v18, v28, v18
	v_alignbit_b32 v28, v46, v48, 9
	v_or_b32_e32 v20, v28, v20
	v_xor_b32_e32 v20, 1.0, v20
	v_mul_f32_e32 v28, 0x3fc90fda, v20
	v_fma_f32 v46, v20, s56, -v28
	v_fmac_f32_e32 v46, 0x33a22168, v20
	v_fmac_f32_e32 v46, 0x3fc90fda, v18
	v_lshrrev_b32_e32 v0, 30, v0
	v_add_f32_e32 v20, v28, v46
	v_add_u32_e32 v18, v52, v0
	s_andn2_saveexec_b64 s[8:9], s[36:37]
	s_branch .LBB95_302
.LBB95_294:                             ;   in Loop: Header=BB95_161 Depth=1
	s_andn2_saveexec_b64 s[26:27], s[26:27]
	s_cbranch_execz .LBB95_316
.LBB95_295:                             ;   in Loop: Header=BB95_161 Depth=1
	v_xor_b32_e32 v20, 0x80000000, v25
	v_and_b32_e32 v0, 0x7fffff, v20
	v_cmp_ne_u32_e32 vcc, 0, v0
                                        ; implicit-def: $vgpr28
	s_and_saveexec_b64 s[8:9], vcc
	s_xor_b64 s[8:9], exec, s[8:9]
; %bb.296:                              ;   in Loop: Header=BB95_161 Depth=1
	v_mul_f32_e64 v0, v24, -v25
	v_cmp_eq_f32_e32 vcc, 0, v24
	v_cndmask_b32_e32 v28, v0, v24, vcc
                                        ; implicit-def: $vgpr24
; %bb.297:                              ;   in Loop: Header=BB95_161 Depth=1
	s_andn2_saveexec_b64 s[28:29], s[8:9]
	s_cbranch_execz .LBB95_324
; %bb.298:                              ;   in Loop: Header=BB95_161 Depth=1
	v_cmp_neq_f32_e64 s[8:9], |v24|, s45
	s_and_saveexec_b64 s[30:31], s[8:9]
	s_cbranch_execz .LBB95_323
; %bb.299:                              ;   in Loop: Header=BB95_161 Depth=1
	v_and_b32_e32 v18, 0x7fffffff, v24
	v_cmp_nlt_f32_e64 s[34:35], |v24|, s48
                                        ; implicit-def: $vgpr25
                                        ; implicit-def: $vgpr28
	s_and_saveexec_b64 s[8:9], s[34:35]
	s_xor_b64 s[36:37], exec, s[8:9]
	s_cbranch_execz .LBB95_305
; %bb.300:                              ;   in Loop: Header=BB95_161 Depth=1
	v_lshrrev_b32_e32 v0, 23, v18
	v_add_u32_e32 v0, 0xffffff88, v0
	v_cmp_lt_u32_e32 vcc, 63, v0
	v_cndmask_b32_e32 v25, 0, v42, vcc
	v_add_u32_e32 v0, v25, v0
	v_cmp_lt_u32_e64 s[8:9], 31, v0
	v_cndmask_b32_e64 v25, 0, v43, s[8:9]
	v_add_u32_e32 v0, v25, v0
	v_cmp_lt_u32_e64 s[10:11], 31, v0
	v_cndmask_b32_e64 v25, 0, v43, s[10:11]
	v_add_u32_e32 v25, v25, v0
	v_and_b32_e32 v0, 0x7fffff, v18
	v_or_b32_e32 v56, 0x800000, v0
	v_mad_u64_u32 v[28:29], s[12:13], v56, s49, 0
	v_mov_b32_e32 v0, v29
	v_mad_u64_u32 v[46:47], s[12:13], v56, s50, v[0:1]
	v_mov_b32_e32 v0, v47
	;; [unrolled: 2-line block ×6, first 2 shown]
	v_mad_u64_u32 v[56:57], s[12:13], v56, s55, v[0:1]
	v_cndmask_b32_e32 v29, v54, v50, vcc
	v_cndmask_b32_e32 v0, v56, v52, vcc
	;; [unrolled: 1-line block ×3, first 2 shown]
	v_cndmask_b32_e64 v47, v0, v29, s[8:9]
	v_cndmask_b32_e64 v0, v49, v0, s[8:9]
	v_cndmask_b32_e32 v49, v52, v48, vcc
	v_cndmask_b32_e64 v29, v29, v49, s[8:9]
	v_sub_u32_e32 v51, 32, v25
	v_cmp_eq_u32_e64 s[12:13], 0, v25
	v_cndmask_b32_e32 v25, v50, v46, vcc
	v_cndmask_b32_e64 v0, v0, v47, s[10:11]
	v_cndmask_b32_e64 v47, v47, v29, s[10:11]
	;; [unrolled: 1-line block ×3, first 2 shown]
	v_alignbit_b32 v52, v0, v47, v51
	v_cndmask_b32_e64 v29, v29, v46, s[10:11]
	v_cndmask_b32_e64 v0, v52, v0, s[12:13]
	v_alignbit_b32 v49, v47, v29, v51
	v_cndmask_b32_e64 v47, v49, v47, s[12:13]
	v_bfe_u32 v52, v0, 29, 1
	v_cndmask_b32_e32 v28, v48, v28, vcc
	v_alignbit_b32 v49, v0, v47, 30
	v_sub_u32_e32 v53, 0, v52
	v_cndmask_b32_e64 v25, v25, v28, s[8:9]
	v_xor_b32_e32 v54, v49, v53
	v_cndmask_b32_e64 v25, v46, v25, s[10:11]
	v_alignbit_b32 v28, v29, v25, v51
	v_ffbh_u32_e32 v46, v54
	v_cndmask_b32_e64 v28, v28, v29, s[12:13]
	v_add_u32_e32 v46, 1, v46
	v_cmp_ne_u32_e32 vcc, v49, v53
	v_alignbit_b32 v29, v47, v28, 30
	v_cndmask_b32_e32 v46, 33, v46, vcc
	v_alignbit_b32 v25, v28, v25, 30
	v_xor_b32_e32 v29, v29, v53
	v_sub_u32_e32 v47, 32, v46
	v_xor_b32_e32 v25, v25, v53
	v_alignbit_b32 v48, v54, v29, v47
	v_alignbit_b32 v25, v29, v25, v47
	;; [unrolled: 1-line block ×3, first 2 shown]
	v_ffbh_u32_e32 v29, v28
	v_min_u32_e32 v29, 32, v29
	v_lshrrev_b32_e32 v50, 29, v0
	v_sub_u32_e32 v47, 31, v29
	v_alignbit_b32 v25, v28, v25, v47
	v_lshlrev_b32_e32 v28, 31, v50
	v_or_b32_e32 v47, 0x33800000, v28
	v_add_lshl_u32 v29, v29, v46, 23
	v_lshrrev_b32_e32 v25, 9, v25
	v_sub_u32_e32 v29, v47, v29
	v_or_b32_e32 v25, v29, v25
	v_alignbit_b32 v29, v46, v48, 9
	v_or_b32_e32 v28, v29, v28
	v_xor_b32_e32 v28, 1.0, v28
	v_mul_f32_e32 v29, 0x3fc90fda, v28
	v_fma_f32 v46, v28, s56, -v29
	v_fmac_f32_e32 v46, 0x33a22168, v28
	v_fmac_f32_e32 v46, 0x3fc90fda, v25
	v_lshrrev_b32_e32 v0, 30, v0
	v_add_f32_e32 v28, v29, v46
	v_add_u32_e32 v25, v52, v0
	s_andn2_saveexec_b64 s[8:9], s[36:37]
	s_branch .LBB95_306
.LBB95_301:                             ;   in Loop: Header=BB95_161 Depth=1
	s_andn2_saveexec_b64 s[8:9], s[36:37]
.LBB95_302:                             ;   in Loop: Header=BB95_161 Depth=1
	v_mul_f32_e64 v0, |v24|, s57
	v_rndne_f32_e32 v0, v0
	v_cvt_i32_f32_e32 v18, v0
	v_fma_f32 v20, v0, s58, |v24|
	v_fmac_f32_e32 v20, 0xb3a22168, v0
	v_fmac_f32_e32 v20, 0xa7c234c4, v0
; %bb.303:                              ;   in Loop: Header=BB95_161 Depth=1
	s_or_b64 exec, exec, s[8:9]
                                        ; implicit-def: $vgpr0
                                        ; implicit-def: $vgpr28
	s_and_saveexec_b64 s[8:9], s[34:35]
	s_xor_b64 s[34:35], exec, s[8:9]
	s_cbranch_execz .LBB95_309
; %bb.304:                              ;   in Loop: Header=BB95_161 Depth=1
	v_lshrrev_b32_e32 v0, 23, v29
	v_add_u32_e32 v0, 0xffffff88, v0
	v_cmp_lt_u32_e32 vcc, 63, v0
	v_cndmask_b32_e32 v28, 0, v42, vcc
	v_add_u32_e32 v0, v28, v0
	v_cmp_lt_u32_e64 s[8:9], 31, v0
	v_cndmask_b32_e64 v28, 0, v43, s[8:9]
	v_add_u32_e32 v0, v28, v0
	v_cmp_lt_u32_e64 s[10:11], 31, v0
	v_cndmask_b32_e64 v28, 0, v43, s[10:11]
	v_add_u32_e32 v28, v28, v0
	v_and_b32_e32 v0, 0x7fffff, v29
	v_or_b32_e32 v58, 0x800000, v0
	v_mad_u64_u32 v[46:47], s[12:13], v58, s49, 0
	v_mov_b32_e32 v0, v47
	v_mad_u64_u32 v[48:49], s[12:13], v58, s50, v[0:1]
	v_mov_b32_e32 v0, v49
	;; [unrolled: 2-line block ×6, first 2 shown]
	v_mad_u64_u32 v[58:59], s[12:13], v58, s55, v[0:1]
	v_cndmask_b32_e32 v47, v56, v52, vcc
	v_cndmask_b32_e32 v0, v58, v54, vcc
	;; [unrolled: 1-line block ×3, first 2 shown]
	v_cndmask_b32_e64 v49, v0, v47, s[8:9]
	v_cndmask_b32_e64 v0, v51, v0, s[8:9]
	v_cndmask_b32_e32 v51, v54, v50, vcc
	v_cndmask_b32_e64 v47, v47, v51, s[8:9]
	v_sub_u32_e32 v53, 32, v28
	v_cmp_eq_u32_e64 s[12:13], 0, v28
	v_cndmask_b32_e32 v28, v52, v48, vcc
	v_cndmask_b32_e64 v0, v0, v49, s[10:11]
	v_cndmask_b32_e64 v49, v49, v47, s[10:11]
	;; [unrolled: 1-line block ×3, first 2 shown]
	v_alignbit_b32 v54, v0, v49, v53
	v_cndmask_b32_e64 v47, v47, v48, s[10:11]
	v_cndmask_b32_e64 v0, v54, v0, s[12:13]
	v_alignbit_b32 v51, v49, v47, v53
	v_cndmask_b32_e64 v49, v51, v49, s[12:13]
	v_bfe_u32 v54, v0, 29, 1
	v_cndmask_b32_e32 v46, v50, v46, vcc
	v_alignbit_b32 v51, v0, v49, 30
	v_sub_u32_e32 v55, 0, v54
	v_cndmask_b32_e64 v28, v28, v46, s[8:9]
	v_xor_b32_e32 v56, v51, v55
	v_cndmask_b32_e64 v28, v48, v28, s[10:11]
	v_alignbit_b32 v46, v47, v28, v53
	v_ffbh_u32_e32 v48, v56
	v_cndmask_b32_e64 v46, v46, v47, s[12:13]
	v_add_u32_e32 v48, 1, v48
	v_cmp_ne_u32_e32 vcc, v51, v55
	v_alignbit_b32 v47, v49, v46, 30
	v_cndmask_b32_e32 v48, 33, v48, vcc
	v_alignbit_b32 v28, v46, v28, 30
	v_xor_b32_e32 v47, v47, v55
	v_sub_u32_e32 v49, 32, v48
	v_xor_b32_e32 v28, v28, v55
	v_alignbit_b32 v50, v56, v47, v49
	v_alignbit_b32 v28, v47, v28, v49
	;; [unrolled: 1-line block ×3, first 2 shown]
	v_ffbh_u32_e32 v47, v46
	v_min_u32_e32 v47, 32, v47
	v_lshrrev_b32_e32 v52, 29, v0
	v_sub_u32_e32 v49, 31, v47
	v_alignbit_b32 v28, v46, v28, v49
	v_lshlrev_b32_e32 v46, 31, v52
	v_or_b32_e32 v49, 0x33800000, v46
	v_add_lshl_u32 v47, v47, v48, 23
	v_lshrrev_b32_e32 v28, 9, v28
	v_sub_u32_e32 v47, v49, v47
	v_or_b32_e32 v28, v47, v28
	v_alignbit_b32 v47, v48, v50, 9
	v_or_b32_e32 v46, v47, v46
	v_xor_b32_e32 v46, 1.0, v46
	v_mul_f32_e32 v47, 0x3fc90fda, v46
	v_fma_f32 v48, v46, s56, -v47
	v_fmac_f32_e32 v48, 0x33a22168, v46
	v_fmac_f32_e32 v48, 0x3fc90fda, v28
	v_lshrrev_b32_e32 v0, 30, v0
	v_add_f32_e32 v28, v47, v48
	v_add_u32_e32 v0, v54, v0
	s_andn2_saveexec_b64 s[8:9], s[34:35]
	s_cbranch_execnz .LBB95_310
	s_branch .LBB95_311
.LBB95_305:                             ;   in Loop: Header=BB95_161 Depth=1
	s_andn2_saveexec_b64 s[8:9], s[36:37]
.LBB95_306:                             ;   in Loop: Header=BB95_161 Depth=1
	v_mul_f32_e64 v0, |v24|, s57
	v_rndne_f32_e32 v0, v0
	v_cvt_i32_f32_e32 v25, v0
	v_fma_f32 v28, v0, s58, |v24|
	v_fmac_f32_e32 v28, 0xb3a22168, v0
	v_fmac_f32_e32 v28, 0xa7c234c4, v0
; %bb.307:                              ;   in Loop: Header=BB95_161 Depth=1
	s_or_b64 exec, exec, s[8:9]
                                        ; implicit-def: $vgpr0
                                        ; implicit-def: $vgpr29
	s_and_saveexec_b64 s[8:9], s[34:35]
	s_xor_b64 s[34:35], exec, s[8:9]
	s_cbranch_execz .LBB95_320
; %bb.308:                              ;   in Loop: Header=BB95_161 Depth=1
	v_lshrrev_b32_e32 v0, 23, v18
	v_add_u32_e32 v0, 0xffffff88, v0
	v_cmp_lt_u32_e32 vcc, 63, v0
	v_cndmask_b32_e32 v29, 0, v42, vcc
	v_add_u32_e32 v0, v29, v0
	v_cmp_lt_u32_e64 s[8:9], 31, v0
	v_cndmask_b32_e64 v29, 0, v43, s[8:9]
	v_add_u32_e32 v0, v29, v0
	v_cmp_lt_u32_e64 s[10:11], 31, v0
	v_cndmask_b32_e64 v29, 0, v43, s[10:11]
	v_add_u32_e32 v29, v29, v0
	v_and_b32_e32 v0, 0x7fffff, v18
	v_or_b32_e32 v58, 0x800000, v0
	v_mad_u64_u32 v[46:47], s[12:13], v58, s49, 0
	v_mov_b32_e32 v0, v47
	v_mad_u64_u32 v[48:49], s[12:13], v58, s50, v[0:1]
	v_mov_b32_e32 v0, v49
	;; [unrolled: 2-line block ×6, first 2 shown]
	v_mad_u64_u32 v[58:59], s[12:13], v58, s55, v[0:1]
	v_cndmask_b32_e32 v47, v56, v52, vcc
	v_cndmask_b32_e32 v0, v58, v54, vcc
	;; [unrolled: 1-line block ×3, first 2 shown]
	v_cndmask_b32_e64 v49, v0, v47, s[8:9]
	v_cndmask_b32_e64 v0, v51, v0, s[8:9]
	v_cndmask_b32_e32 v51, v54, v50, vcc
	v_cndmask_b32_e64 v47, v47, v51, s[8:9]
	v_sub_u32_e32 v53, 32, v29
	v_cmp_eq_u32_e64 s[12:13], 0, v29
	v_cndmask_b32_e32 v29, v52, v48, vcc
	v_cndmask_b32_e64 v0, v0, v49, s[10:11]
	v_cndmask_b32_e64 v49, v49, v47, s[10:11]
	;; [unrolled: 1-line block ×3, first 2 shown]
	v_alignbit_b32 v54, v0, v49, v53
	v_cndmask_b32_e64 v47, v47, v48, s[10:11]
	v_cndmask_b32_e64 v0, v54, v0, s[12:13]
	v_alignbit_b32 v51, v49, v47, v53
	v_cndmask_b32_e64 v49, v51, v49, s[12:13]
	v_bfe_u32 v54, v0, 29, 1
	v_cndmask_b32_e32 v46, v50, v46, vcc
	v_alignbit_b32 v51, v0, v49, 30
	v_sub_u32_e32 v55, 0, v54
	v_cndmask_b32_e64 v29, v29, v46, s[8:9]
	v_xor_b32_e32 v56, v51, v55
	v_cndmask_b32_e64 v29, v48, v29, s[10:11]
	v_alignbit_b32 v46, v47, v29, v53
	v_ffbh_u32_e32 v48, v56
	v_cndmask_b32_e64 v46, v46, v47, s[12:13]
	v_add_u32_e32 v48, 1, v48
	v_cmp_ne_u32_e32 vcc, v51, v55
	v_alignbit_b32 v47, v49, v46, 30
	v_cndmask_b32_e32 v48, 33, v48, vcc
	v_alignbit_b32 v29, v46, v29, 30
	v_xor_b32_e32 v47, v47, v55
	v_sub_u32_e32 v49, 32, v48
	v_xor_b32_e32 v29, v29, v55
	v_alignbit_b32 v50, v56, v47, v49
	v_alignbit_b32 v29, v47, v29, v49
	;; [unrolled: 1-line block ×3, first 2 shown]
	v_ffbh_u32_e32 v47, v46
	v_min_u32_e32 v47, 32, v47
	v_lshrrev_b32_e32 v52, 29, v0
	v_sub_u32_e32 v49, 31, v47
	v_alignbit_b32 v29, v46, v29, v49
	v_lshlrev_b32_e32 v46, 31, v52
	v_or_b32_e32 v49, 0x33800000, v46
	v_add_lshl_u32 v47, v47, v48, 23
	v_lshrrev_b32_e32 v29, 9, v29
	v_sub_u32_e32 v47, v49, v47
	v_or_b32_e32 v29, v47, v29
	v_alignbit_b32 v47, v48, v50, 9
	v_or_b32_e32 v46, v47, v46
	v_xor_b32_e32 v46, 1.0, v46
	v_mul_f32_e32 v47, 0x3fc90fda, v46
	v_fma_f32 v48, v46, s56, -v47
	v_fmac_f32_e32 v48, 0x33a22168, v46
	v_fmac_f32_e32 v48, 0x3fc90fda, v29
	v_lshrrev_b32_e32 v0, 30, v0
	v_add_f32_e32 v29, v47, v48
	v_add_u32_e32 v0, v54, v0
	s_andn2_saveexec_b64 s[8:9], s[34:35]
	s_cbranch_execnz .LBB95_321
	s_branch .LBB95_322
.LBB95_309:                             ;   in Loop: Header=BB95_161 Depth=1
	s_andn2_saveexec_b64 s[8:9], s[34:35]
.LBB95_310:                             ;   in Loop: Header=BB95_161 Depth=1
	v_mul_f32_e64 v0, |v24|, s57
	v_rndne_f32_e32 v46, v0
	v_cvt_i32_f32_e32 v0, v46
	v_fma_f32 v28, v46, s58, |v24|
	v_fmac_f32_e32 v28, 0xb3a22168, v46
	v_fmac_f32_e32 v28, 0xa7c234c4, v46
.LBB95_311:                             ;   in Loop: Header=BB95_161 Depth=1
	s_or_b64 exec, exec, s[8:9]
	v_mul_f32_e32 v46, v20, v20
	v_mov_b32_e32 v47, 0x3c0881c4
	v_fmac_f32_e32 v47, 0xb94c1982, v46
	v_fma_f32 v47, v46, v47, v39
	v_mul_f32_e32 v47, v46, v47
	v_fmac_f32_e32 v20, v20, v47
	v_mov_b32_e32 v47, 0xbab64f3b
	v_fmac_f32_e32 v47, 0x37d75334, v46
	v_fma_f32 v47, v46, v47, v40
	v_fma_f32 v47, v46, v47, v41
	v_fma_f32 v46, v46, v47, 1.0
	v_and_b32_e32 v47, 1, v18
	v_lshlrev_b32_e32 v18, 30, v18
	v_and_b32_e32 v18, 0x80000000, v18
	v_cmp_eq_u32_e32 vcc, 0, v47
	v_xor_b32_e32 v18, v29, v18
	v_mul_f32_e64 v29, |v25|, s63
	v_cndmask_b32_e32 v20, v46, v20, vcc
	v_rndne_f32_e32 v46, v29
	v_sub_f32_e32 v47, v29, v46
	v_fma_f32 v29, |v25|, s63, -v29
	v_fma_f32 v29, |v25|, s64, v29
	v_add_f32_e32 v29, v47, v29
	v_exp_f32_e32 v29, v29
	v_cvt_i32_f32_e32 v46, v46
	v_xor_b32_e32 v18, v18, v20
	v_cmp_ngt_f32_e64 vcc, |v25|, s65
	v_xor_b32_e32 v18, v18, v24
	v_ldexp_f32 v20, v29, v46
	v_cndmask_b32_e32 v20, 0, v20, vcc
	v_cmp_nlt_f32_e64 vcc, |v25|, s66
	v_cndmask_b32_e32 v24, v44, v20, vcc
	v_xor_b32_e32 v20, 0x80000000, v25
	v_mul_f32_e32 v25, v28, v28
	v_mov_b32_e32 v29, 0x3c0881c4
	v_fmac_f32_e32 v29, 0xb94c1982, v25
	v_fma_f32 v29, v25, v29, v39
	v_mul_f32_e32 v29, v25, v29
	v_fmac_f32_e32 v28, v28, v29
	v_mov_b32_e32 v29, 0xbab64f3b
	v_fmac_f32_e32 v29, 0x37d75334, v25
	v_fma_f32 v29, v25, v29, v40
	v_fma_f32 v29, v25, v29, v41
	v_fma_f32 v25, v25, v29, 1.0
	v_and_b32_e32 v29, 1, v0
	v_cmp_eq_u32_e32 vcc, 0, v29
	v_lshlrev_b32_e32 v0, 30, v0
	v_cndmask_b32_e64 v25, -v28, v25, vcc
	v_and_b32_e32 v0, 0x80000000, v0
	v_mul_f32_e32 v18, 4.0, v18
	v_xor_b32_e32 v0, v0, v25
	v_mul_f32_e32 v0, v18, v0
	v_mul_f32_e32 v0, v24, v0
	v_bfi_b32 v20, s44, 1.0, v20
	v_mul_f32_e32 v28, v24, v0
.LBB95_312:                             ;   in Loop: Header=BB95_161 Depth=1
	s_or_b64 exec, exec, s[30:31]
                                        ; implicit-def: $vgpr24
.LBB95_313:                             ;   in Loop: Header=BB95_161 Depth=1
	s_andn2_saveexec_b64 s[8:9], s[28:29]
; %bb.314:                              ;   in Loop: Header=BB95_161 Depth=1
	v_sub_f32_e32 v28, v24, v24
	v_mov_b32_e32 v20, v28
; %bb.315:                              ;   in Loop: Header=BB95_161 Depth=1
	s_or_b64 exec, exec, s[8:9]
                                        ; implicit-def: $vgpr25
	s_andn2_saveexec_b64 s[26:27], s[26:27]
	s_cbranch_execnz .LBB95_295
.LBB95_316:                             ;   in Loop: Header=BB95_161 Depth=1
	s_or_b64 exec, exec, s[26:27]
	s_and_saveexec_b64 s[8:9], s[0:1]
	s_xor_b64 s[0:1], exec, s[8:9]
	s_cbranch_execz .LBB95_325
.LBB95_317:                             ;   in Loop: Header=BB95_161 Depth=1
	v_mov_b32_e32 v0, s15
	v_add_co_u32_e32 v24, vcc, s14, v4
	v_xor_b32_e32 v27, 0x80000000, v27
	v_addc_co_u32_e32 v25, vcc, v5, v0, vcc
	global_store_dwordx2 v[24:25], v[26:27], off offset:-4
	s_or_b64 exec, exec, s[0:1]
	s_and_saveexec_b64 s[0:1], s[2:3]
	s_cbranch_execnz .LBB95_326
.LBB95_318:                             ;   in Loop: Header=BB95_161 Depth=1
	s_or_b64 exec, exec, s[0:1]
	s_and_saveexec_b64 s[0:1], s[4:5]
	s_cbranch_execz .LBB95_327
.LBB95_319:                             ;   in Loop: Header=BB95_161 Depth=1
	v_mov_b32_e32 v0, s15
	v_add_co_u32_e32 v24, vcc, s14, v14
	v_xor_b32_e32 v33, 0x80000000, v33
	v_addc_co_u32_e32 v25, vcc, v15, v0, vcc
	global_store_dwordx2 v[24:25], v[32:33], off offset:-4
	s_or_b64 exec, exec, s[0:1]
	s_and_saveexec_b64 s[0:1], s[6:7]
	s_cbranch_execz .LBB95_160
	s_branch .LBB95_328
.LBB95_320:                             ;   in Loop: Header=BB95_161 Depth=1
	s_andn2_saveexec_b64 s[8:9], s[34:35]
.LBB95_321:                             ;   in Loop: Header=BB95_161 Depth=1
	v_mul_f32_e64 v0, |v24|, s57
	v_rndne_f32_e32 v46, v0
	v_cvt_i32_f32_e32 v0, v46
	v_fma_f32 v29, v46, s58, |v24|
	v_fmac_f32_e32 v29, 0xb3a22168, v46
	v_fmac_f32_e32 v29, 0xa7c234c4, v46
.LBB95_322:                             ;   in Loop: Header=BB95_161 Depth=1
	s_or_b64 exec, exec, s[8:9]
	v_mul_f32_e32 v46, v28, v28
	v_mov_b32_e32 v47, 0x3c0881c4
	v_fmac_f32_e32 v47, 0xb94c1982, v46
	v_fma_f32 v47, v46, v47, v39
	v_mul_f32_e32 v47, v46, v47
	v_fmac_f32_e32 v28, v28, v47
	v_mov_b32_e32 v47, 0xbab64f3b
	v_fmac_f32_e32 v47, 0x37d75334, v46
	v_fma_f32 v47, v46, v47, v40
	v_fma_f32 v47, v46, v47, v41
	v_fma_f32 v46, v46, v47, 1.0
	v_and_b32_e32 v47, 1, v25
	v_lshlrev_b32_e32 v25, 30, v25
	v_cmp_eq_u32_e32 vcc, 0, v47
	v_and_b32_e32 v25, 0x80000000, v25
	v_cndmask_b32_e32 v28, v46, v28, vcc
	v_xor_b32_e32 v18, v18, v25
	v_xor_b32_e32 v18, v18, v28
	v_mul_f32_e32 v25, v29, v29
	v_mov_b32_e32 v28, 0x3c0881c4
	v_fmac_f32_e32 v28, 0xb94c1982, v25
	v_fma_f32 v28, v25, v28, v39
	v_mul_f32_e32 v28, v25, v28
	v_fmac_f32_e32 v29, v29, v28
	v_mov_b32_e32 v28, 0xbab64f3b
	v_fmac_f32_e32 v28, 0x37d75334, v25
	v_fma_f32 v28, v25, v28, v40
	v_fma_f32 v28, v25, v28, v41
	v_fma_f32 v25, v25, v28, 1.0
	v_and_b32_e32 v28, 1, v0
	v_cmp_eq_u32_e32 vcc, 0, v28
	v_lshlrev_b32_e32 v0, 30, v0
	v_cndmask_b32_e64 v25, -v29, v25, vcc
	v_and_b32_e32 v0, 0x80000000, v0
	v_xor_b32_e32 v18, v18, v24
	v_xor_b32_e32 v0, v0, v25
	v_mul_f32_e32 v0, v18, v0
	v_cmp_class_f32_e64 vcc, v24, s46
	v_cndmask_b32_e32 v24, v45, v0, vcc
.LBB95_323:                             ;   in Loop: Header=BB95_161 Depth=1
	s_or_b64 exec, exec, s[30:31]
	v_add_u32_e32 v20, -2.0, v20
	v_bfi_b32 v28, s44, 0, v24
.LBB95_324:                             ;   in Loop: Header=BB95_161 Depth=1
	s_or_b64 exec, exec, s[28:29]
	s_or_b64 exec, exec, s[26:27]
	s_and_saveexec_b64 s[8:9], s[0:1]
	s_xor_b64 s[0:1], exec, s[8:9]
	s_cbranch_execnz .LBB95_317
.LBB95_325:                             ;   in Loop: Header=BB95_161 Depth=1
	s_or_b64 exec, exec, s[0:1]
	s_and_saveexec_b64 s[0:1], s[2:3]
	s_cbranch_execz .LBB95_318
.LBB95_326:                             ;   in Loop: Header=BB95_161 Depth=1
	v_mov_b32_e32 v0, s15
	v_add_co_u32_e32 v24, vcc, s14, v12
	v_xor_b32_e32 v31, 0x80000000, v31
	v_addc_co_u32_e32 v25, vcc, v13, v0, vcc
	global_store_dwordx2 v[24:25], v[30:31], off
	s_or_b64 exec, exec, s[0:1]
	s_and_saveexec_b64 s[0:1], s[4:5]
	s_cbranch_execnz .LBB95_319
.LBB95_327:                             ;   in Loop: Header=BB95_161 Depth=1
	s_or_b64 exec, exec, s[0:1]
	s_and_saveexec_b64 s[0:1], s[6:7]
	s_cbranch_execz .LBB95_160
.LBB95_328:                             ;   in Loop: Header=BB95_161 Depth=1
	v_mov_b32_e32 v0, s15
	v_add_co_u32_e32 v24, vcc, s14, v8
	v_xor_b32_e32 v29, 0x80000000, v20
	v_addc_co_u32_e32 v25, vcc, v9, v0, vcc
	global_store_dwordx2 v[24:25], v[28:29], off offset:-4
	s_branch .LBB95_160
.LBB95_329:
	s_endpgm
	.section	.rodata,"a",@progbits
	.p2align	6, 0x0
	.amdhsa_kernel _ZN2at6native12_GLOBAL__N_125multi_tensor_apply_kernelINS1_18TensorListMetadataILi2EEENS1_14UnaryOpFunctorIN3c107complexIfEELi2ELi1ELi1EEEJNS0_3TanIS8_EEEEEvT_T0_DpT1_
		.amdhsa_group_segment_fixed_size 0
		.amdhsa_private_segment_fixed_size 0
		.amdhsa_kernarg_size 3408
		.amdhsa_user_sgpr_count 6
		.amdhsa_user_sgpr_private_segment_buffer 1
		.amdhsa_user_sgpr_dispatch_ptr 0
		.amdhsa_user_sgpr_queue_ptr 0
		.amdhsa_user_sgpr_kernarg_segment_ptr 1
		.amdhsa_user_sgpr_dispatch_id 0
		.amdhsa_user_sgpr_flat_scratch_init 0
		.amdhsa_user_sgpr_kernarg_preload_length 0
		.amdhsa_user_sgpr_kernarg_preload_offset 0
		.amdhsa_user_sgpr_private_segment_size 0
		.amdhsa_uses_dynamic_stack 0
		.amdhsa_system_sgpr_private_segment_wavefront_offset 0
		.amdhsa_system_sgpr_workgroup_id_x 1
		.amdhsa_system_sgpr_workgroup_id_y 0
		.amdhsa_system_sgpr_workgroup_id_z 0
		.amdhsa_system_sgpr_workgroup_info 0
		.amdhsa_system_vgpr_workitem_id 0
		.amdhsa_next_free_vgpr 60
		.amdhsa_next_free_sgpr 67
		.amdhsa_accum_offset 60
		.amdhsa_reserve_vcc 1
		.amdhsa_reserve_flat_scratch 0
		.amdhsa_float_round_mode_32 0
		.amdhsa_float_round_mode_16_64 0
		.amdhsa_float_denorm_mode_32 3
		.amdhsa_float_denorm_mode_16_64 3
		.amdhsa_dx10_clamp 1
		.amdhsa_ieee_mode 1
		.amdhsa_fp16_overflow 0
		.amdhsa_tg_split 0
		.amdhsa_exception_fp_ieee_invalid_op 0
		.amdhsa_exception_fp_denorm_src 0
		.amdhsa_exception_fp_ieee_div_zero 0
		.amdhsa_exception_fp_ieee_overflow 0
		.amdhsa_exception_fp_ieee_underflow 0
		.amdhsa_exception_fp_ieee_inexact 0
		.amdhsa_exception_int_div_zero 0
	.end_amdhsa_kernel
	.section	.text._ZN2at6native12_GLOBAL__N_125multi_tensor_apply_kernelINS1_18TensorListMetadataILi2EEENS1_14UnaryOpFunctorIN3c107complexIfEELi2ELi1ELi1EEEJNS0_3TanIS8_EEEEEvT_T0_DpT1_,"axG",@progbits,_ZN2at6native12_GLOBAL__N_125multi_tensor_apply_kernelINS1_18TensorListMetadataILi2EEENS1_14UnaryOpFunctorIN3c107complexIfEELi2ELi1ELi1EEEJNS0_3TanIS8_EEEEEvT_T0_DpT1_,comdat
.Lfunc_end95:
	.size	_ZN2at6native12_GLOBAL__N_125multi_tensor_apply_kernelINS1_18TensorListMetadataILi2EEENS1_14UnaryOpFunctorIN3c107complexIfEELi2ELi1ELi1EEEJNS0_3TanIS8_EEEEEvT_T0_DpT1_, .Lfunc_end95-_ZN2at6native12_GLOBAL__N_125multi_tensor_apply_kernelINS1_18TensorListMetadataILi2EEENS1_14UnaryOpFunctorIN3c107complexIfEELi2ELi1ELi1EEEJNS0_3TanIS8_EEEEEvT_T0_DpT1_
                                        ; -- End function
	.section	.AMDGPU.csdata,"",@progbits
; Kernel info:
; codeLenInByte = 39512
; NumSgprs: 71
; NumVgprs: 60
; NumAgprs: 0
; TotalNumVgprs: 60
; ScratchSize: 0
; MemoryBound: 0
; FloatMode: 240
; IeeeMode: 1
; LDSByteSize: 0 bytes/workgroup (compile time only)
; SGPRBlocks: 8
; VGPRBlocks: 7
; NumSGPRsForWavesPerEU: 71
; NumVGPRsForWavesPerEU: 60
; AccumOffset: 60
; Occupancy: 8
; WaveLimiterHint : 0
; COMPUTE_PGM_RSRC2:SCRATCH_EN: 0
; COMPUTE_PGM_RSRC2:USER_SGPR: 6
; COMPUTE_PGM_RSRC2:TRAP_HANDLER: 0
; COMPUTE_PGM_RSRC2:TGID_X_EN: 1
; COMPUTE_PGM_RSRC2:TGID_Y_EN: 0
; COMPUTE_PGM_RSRC2:TGID_Z_EN: 0
; COMPUTE_PGM_RSRC2:TIDIG_COMP_CNT: 0
; COMPUTE_PGM_RSRC3_GFX90A:ACCUM_OFFSET: 14
; COMPUTE_PGM_RSRC3_GFX90A:TG_SPLIT: 0
	.section	.text._ZN2at6native12_GLOBAL__N_125multi_tensor_apply_kernelINS1_18TensorListMetadataILi2EEENS1_14UnaryOpFunctorIN3c104HalfELi2ELi1ELi1EEEJNS0_3TanIfEEEEEvT_T0_DpT1_,"axG",@progbits,_ZN2at6native12_GLOBAL__N_125multi_tensor_apply_kernelINS1_18TensorListMetadataILi2EEENS1_14UnaryOpFunctorIN3c104HalfELi2ELi1ELi1EEEJNS0_3TanIfEEEEEvT_T0_DpT1_,comdat
	.globl	_ZN2at6native12_GLOBAL__N_125multi_tensor_apply_kernelINS1_18TensorListMetadataILi2EEENS1_14UnaryOpFunctorIN3c104HalfELi2ELi1ELi1EEEJNS0_3TanIfEEEEEvT_T0_DpT1_ ; -- Begin function _ZN2at6native12_GLOBAL__N_125multi_tensor_apply_kernelINS1_18TensorListMetadataILi2EEENS1_14UnaryOpFunctorIN3c104HalfELi2ELi1ELi1EEEJNS0_3TanIfEEEEEvT_T0_DpT1_
	.p2align	8
	.type	_ZN2at6native12_GLOBAL__N_125multi_tensor_apply_kernelINS1_18TensorListMetadataILi2EEENS1_14UnaryOpFunctorIN3c104HalfELi2ELi1ELi1EEEJNS0_3TanIfEEEEEvT_T0_DpT1_,@function
_ZN2at6native12_GLOBAL__N_125multi_tensor_apply_kernelINS1_18TensorListMetadataILi2EEENS1_14UnaryOpFunctorIN3c104HalfELi2ELi1ELi1EEEJNS0_3TanIfEEEEEvT_T0_DpT1_: ; @_ZN2at6native12_GLOBAL__N_125multi_tensor_apply_kernelINS1_18TensorListMetadataILi2EEENS1_14UnaryOpFunctorIN3c104HalfELi2ELi1ELi1EEEJNS0_3TanIfEEEEEvT_T0_DpT1_
; %bb.0:
	v_mov_b32_e32 v1, s6
	global_load_ubyte v1, v1, s[4:5] offset:1536
	s_add_u32 s0, s4, s6
	s_mul_hi_u32 s2, s6, 3
	s_mul_i32 s6, s6, 3
	s_addc_u32 s7, s5, 0
	s_add_u32 s6, s0, s6
	s_addc_u32 s7, s7, s2
	s_load_dword s6, s[6:7], 0x740
	s_mov_b32 s13, 0
	s_mov_b32 s3, s13
	;; [unrolled: 1-line block ×3, first 2 shown]
	s_waitcnt lgkmcnt(0)
	s_ashr_i32 s7, s6, 31
	s_lshl_b64 s[14:15], s[6:7], 17
	s_waitcnt vmcnt(0)
	v_readfirstlane_b32 s0, v1
	s_lshl_b32 s0, s0, 3
	s_load_dwordx2 s[10:11], s[4:5], s0 offset:0x0
	s_load_dwordx2 s[16:17], s[4:5], s0 offset:0x400
	;; [unrolled: 1-line block ×3, first 2 shown]
	s_waitcnt lgkmcnt(0)
	s_add_u32 s26, s10, s14
	s_addc_u32 s27, s11, s15
	s_and_b32 s12, s26, 7
	s_add_u32 s28, s8, s14
	s_addc_u32 s29, s9, s15
	s_and_b32 s2, s16, 3
	s_and_b32 s0, s28, 7
	s_or_b64 s[2:3], s[12:13], s[2:3]
	s_or_b64 s[0:1], s[0:1], s[2:3]
	s_lshl_b64 s[2:3], s[6:7], 16
	s_sub_u32 s16, s16, s2
	s_subb_u32 s17, s17, s3
	s_cmp_eq_u64 s[0:1], 0
	s_mov_b64 s[0:1], -1
	s_cbranch_scc0 .LBB96_21
; %bb.1:
	v_mov_b32_e32 v3, 0
	v_lshlrev_b32_e32 v2, 2, v0
	v_cmp_gt_i64_e32 vcc, s[16:17], v[2:3]
	s_and_saveexec_b64 s[18:19], vcc
	s_cbranch_execz .LBB96_20
; %bb.2:
	s_load_dword s0, s[4:5], 0xc5c
	v_lshlrev_b32_e32 v4, 3, v0
	s_mov_b64 s[20:21], 0
	s_brev_b32 s31, 18
	s_mov_b32 s33, 0xfe5163ab
	s_waitcnt lgkmcnt(0)
	s_and_b32 s0, s0, 0xffff
	v_add_lshl_u32 v2, v0, s0, 2
	s_lshl_b32 s12, s0, 2
	s_lshl_b32 s30, s0, 3
	s_mov_b32 s34, 0x3c439041
	s_mov_b32 s35, 0xdb629599
	;; [unrolled: 1-line block ×9, first 2 shown]
	v_mov_b32_e32 v1, 0x3f93f425
	s_movk_i32 s43, 0x1f8
	s_mov_b64 s[22:23], 0xffff
	v_not_b32_e32 v5, 63
	v_not_b32_e32 v10, 31
	v_mov_b32_e32 v11, 0x7fc00000
	v_pk_mov_b32 v[6:7], v[2:3], v[2:3] op_sel:[0,1]
	s_branch .LBB96_4
.LBB96_3:                               ;   in Loop: Header=BB96_4 Depth=1
	s_or_b64 exec, exec, s[0:1]
	v_mul_f32_e32 v25, v22, v22
	v_mov_b32_e32 v26, 0xbf039337
	v_fmac_f32_e32 v26, 0x3c971480, v25
	v_fma_f32 v26, v25, v26, v1
	v_rcp_f32_e32 v26, v26
	v_mov_b32_e32 v27, 0x3ec54587
	v_fmac_f32_e32 v27, 0xbc8cedd3, v25
	v_and_b32_e32 v23, 1, v23
	v_mul_f32_e32 v26, v27, v26
	v_mul_f32_e32 v25, v25, v26
	v_fma_f32 v26, v25, v22, v22
	v_rcp_f32_e32 v27, v26
	v_sub_f32_e32 v28, v26, v22
	v_fma_f32 v22, v25, v22, -v28
	v_cmp_eq_u32_e32 vcc, 0, v23
	v_fma_f32 v25, v26, -v27, 1.0
	v_fma_f32 v22, v22, -v27, v25
	v_fma_f32 v22, v22, -v27, -v27
	v_cndmask_b32_e32 v22, v22, v26, vcc
	v_xor_b32_e32 v20, v20, v19
	v_xor_b32_e32 v20, v20, v22
	v_cmp_class_f32_e64 vcc, v19, s43
	v_cndmask_b32_e32 v19, v11, v20, vcc
	v_mul_f32_e32 v20, v17, v17
	v_mov_b32_e32 v22, 0xbf039337
	v_fmac_f32_e32 v22, 0x3c971480, v20
	v_fma_f32 v22, v20, v22, v1
	v_rcp_f32_e32 v22, v22
	v_mov_b32_e32 v23, 0x3ec54587
	v_fmac_f32_e32 v23, 0xbc8cedd3, v20
	v_and_b32_e32 v18, 1, v18
	v_mul_f32_e32 v22, v23, v22
	v_mul_f32_e32 v20, v20, v22
	v_fma_f32 v22, v20, v17, v17
	v_rcp_f32_e32 v23, v22
	v_sub_f32_e32 v25, v22, v17
	v_fma_f32 v17, v20, v17, -v25
	v_cmp_eq_u32_e32 vcc, 0, v18
	v_fma_f32 v20, v22, -v23, 1.0
	v_fma_f32 v17, v17, -v23, v20
	v_fma_f32 v17, v17, -v23, -v23
	v_cndmask_b32_e32 v17, v17, v22, vcc
	v_xor_b32_e32 v16, v16, v8
	v_xor_b32_e32 v16, v16, v17
	v_cmp_class_f32_e64 vcc, v8, s43
	v_cndmask_b32_e32 v8, v11, v16, vcc
	v_mul_f32_e32 v16, v14, v14
	v_mov_b32_e32 v17, 0xbf039337
	v_fmac_f32_e32 v17, 0x3c971480, v16
	v_fma_f32 v17, v16, v17, v1
	v_rcp_f32_e32 v17, v17
	v_cvt_f16_f32_e32 v18, v8
	v_mov_b32_e32 v8, 0x3ec54587
	v_fmac_f32_e32 v8, 0xbc8cedd3, v16
	v_mul_f32_e32 v8, v8, v17
	v_mul_f32_e32 v8, v16, v8
	v_fma_f32 v16, v8, v14, v14
	v_rcp_f32_e32 v17, v16
	v_sub_f32_e32 v20, v16, v14
	v_fma_f32 v8, v8, v14, -v20
	v_and_b32_e32 v15, 1, v15
	v_fma_f32 v14, v16, -v17, 1.0
	v_fma_f32 v8, v8, -v17, v14
	v_fma_f32 v8, v8, -v17, -v17
	v_cmp_eq_u32_e32 vcc, 0, v15
	v_cndmask_b32_e32 v8, v8, v16, vcc
	v_xor_b32_e32 v13, v13, v12
	v_xor_b32_e32 v8, v13, v8
	v_cmp_class_f32_e64 vcc, v12, s43
	v_mul_f32_e32 v12, v2, v2
	v_mov_b32_e32 v13, 0xbf039337
	v_fmac_f32_e32 v13, 0x3c971480, v12
	v_fma_f32 v13, v12, v13, v1
	v_rcp_f32_e32 v13, v13
	v_cndmask_b32_e32 v8, v11, v8, vcc
	v_cvt_f16_f32_e32 v14, v8
	v_mov_b32_e32 v8, 0x3ec54587
	v_fmac_f32_e32 v8, 0xbc8cedd3, v12
	v_mul_f32_e32 v8, v8, v13
	v_mul_f32_e32 v8, v12, v8
	v_fma_f32 v12, v8, v2, v2
	v_rcp_f32_e32 v13, v12
	v_sub_f32_e32 v16, v12, v2
	v_fma_f32 v2, v8, v2, -v16
	v_and_b32_e32 v15, 1, v24
	v_fma_f32 v8, v12, -v13, 1.0
	v_fma_f32 v2, v2, -v13, v8
	v_fma_f32 v2, v2, -v13, -v13
	v_cmp_eq_u32_e32 vcc, 0, v15
	v_cndmask_b32_e32 v2, v2, v12, vcc
	v_xor_b32_e32 v8, v21, v9
	v_xor_b32_e32 v2, v8, v2
	v_cmp_class_f32_e64 vcc, v9, s43
	v_cndmask_b32_e32 v2, v11, v2, vcc
	v_mov_b32_e32 v9, s29
	v_add_co_u32_e32 v8, vcc, s28, v4
	v_addc_co_u32_e32 v9, vcc, 0, v9, vcc
	v_cmp_le_i64_e32 vcc, s[16:17], v[6:7]
	v_cmp_lt_u64_e64 s[0:1], s[22:23], v[6:7]
	s_or_b64 s[0:1], vcc, s[0:1]
	v_cvt_f16_f32_e32 v19, v19
	v_cvt_f16_f32_e32 v2, v2
	s_add_u32 s26, s26, s30
	s_addc_u32 s27, s27, 0
	s_add_u32 s28, s28, s30
	s_addc_u32 s29, s29, 0
	v_pack_b32_f16 v13, v19, v2
	v_mov_b32_e32 v2, s13
	s_and_b64 s[0:1], exec, s[0:1]
	v_add_co_u32_e32 v6, vcc, s12, v6
	v_pack_b32_f16 v12, v14, v18
	s_or_b64 s[20:21], s[0:1], s[20:21]
	v_addc_co_u32_e32 v7, vcc, v7, v2, vcc
	global_store_dwordx2 v[8:9], v[12:13], off
	s_andn2_b64 exec, exec, s[20:21]
	s_cbranch_execz .LBB96_20
.LBB96_4:                               ; =>This Inner Loop Header: Depth=1
	v_mov_b32_e32 v2, s27
	v_add_co_u32_e32 v8, vcc, s26, v4
	v_addc_co_u32_e32 v9, vcc, 0, v2, vcc
	global_load_dwordx2 v[8:9], v[8:9], off
                                        ; implicit-def: $vgpr15
                                        ; implicit-def: $vgpr14
	s_waitcnt vmcnt(0)
	v_cvt_f32_f16_e32 v12, v8
	v_and_b32_e32 v13, 0x7fffffff, v12
	v_cmp_nlt_f32_e64 s[0:1], |v12|, s31
	s_and_saveexec_b64 s[2:3], s[0:1]
	s_xor_b64 s[24:25], exec, s[2:3]
	s_cbranch_execz .LBB96_6
; %bb.5:                                ;   in Loop: Header=BB96_4 Depth=1
	v_lshrrev_b32_e32 v2, 23, v13
	v_add_u32_e32 v2, 0xffffff88, v2
	v_cmp_lt_u32_e32 vcc, 63, v2
	v_cndmask_b32_e32 v14, 0, v5, vcc
	v_add_u32_e32 v2, v14, v2
	v_cmp_lt_u32_e64 s[0:1], 31, v2
	v_cndmask_b32_e64 v14, 0, v10, s[0:1]
	v_add_u32_e32 v2, v14, v2
	v_cmp_lt_u32_e64 s[2:3], 31, v2
	v_cndmask_b32_e64 v14, 0, v10, s[2:3]
	v_add_u32_e32 v28, v14, v2
	v_and_b32_e32 v2, 0x7fffff, v13
	v_or_b32_e32 v26, 0x800000, v2
	v_mad_u64_u32 v[14:15], s[6:7], v26, s33, 0
	v_mov_b32_e32 v2, v15
	v_mad_u64_u32 v[16:17], s[6:7], v26, s34, v[2:3]
	v_mov_b32_e32 v2, v17
	;; [unrolled: 2-line block ×6, first 2 shown]
	v_mad_u64_u32 v[26:27], s[6:7], v26, s39, v[2:3]
	v_cndmask_b32_e32 v15, v24, v20, vcc
	v_cndmask_b32_e32 v2, v26, v22, vcc
	;; [unrolled: 1-line block ×3, first 2 shown]
	v_cndmask_b32_e64 v17, v2, v15, s[0:1]
	v_cndmask_b32_e64 v2, v19, v2, s[0:1]
	v_cndmask_b32_e32 v19, v22, v18, vcc
	v_cndmask_b32_e64 v15, v15, v19, s[0:1]
	v_cndmask_b32_e32 v16, v20, v16, vcc
	v_cndmask_b32_e64 v2, v2, v17, s[2:3]
	v_cndmask_b32_e64 v17, v17, v15, s[2:3]
	v_sub_u32_e32 v21, 32, v28
	v_cndmask_b32_e64 v19, v19, v16, s[0:1]
	v_alignbit_b32 v22, v2, v17, v21
	v_cmp_eq_u32_e64 s[6:7], 0, v28
	v_cndmask_b32_e64 v15, v15, v19, s[2:3]
	v_cndmask_b32_e32 v14, v18, v14, vcc
	v_cndmask_b32_e64 v2, v22, v2, s[6:7]
	v_alignbit_b32 v20, v17, v15, v21
	v_cndmask_b32_e64 v14, v16, v14, s[0:1]
	v_cndmask_b32_e64 v17, v20, v17, s[6:7]
	v_bfe_u32 v23, v2, 29, 1
	v_cndmask_b32_e64 v14, v19, v14, s[2:3]
	v_alignbit_b32 v20, v2, v17, 30
	v_sub_u32_e32 v24, 0, v23
	v_alignbit_b32 v16, v15, v14, v21
	v_xor_b32_e32 v25, v20, v24
	v_cndmask_b32_e64 v15, v16, v15, s[6:7]
	v_alignbit_b32 v16, v17, v15, 30
	v_ffbh_u32_e32 v17, v25
	v_add_u32_e32 v17, 1, v17
	v_cmp_ne_u32_e32 vcc, v20, v24
	v_cndmask_b32_e32 v17, 33, v17, vcc
	v_alignbit_b32 v14, v15, v14, 30
	v_xor_b32_e32 v16, v16, v24
	v_sub_u32_e32 v18, 32, v17
	v_xor_b32_e32 v14, v14, v24
	v_alignbit_b32 v19, v25, v16, v18
	v_alignbit_b32 v14, v16, v14, v18
	;; [unrolled: 1-line block ×3, first 2 shown]
	v_ffbh_u32_e32 v16, v15
	v_min_u32_e32 v16, 32, v16
	v_lshrrev_b32_e32 v22, 29, v2
	v_sub_u32_e32 v18, 31, v16
	v_alignbit_b32 v14, v15, v14, v18
	v_lshlrev_b32_e32 v15, 31, v22
	v_or_b32_e32 v18, 0x33800000, v15
	v_add_lshl_u32 v16, v16, v17, 23
	v_lshrrev_b32_e32 v14, 9, v14
	v_sub_u32_e32 v16, v18, v16
	v_or_b32_e32 v14, v16, v14
	v_alignbit_b32 v16, v17, v19, 9
	v_or_b32_e32 v15, v16, v15
	v_xor_b32_e32 v15, 1.0, v15
	v_mul_f32_e32 v16, 0x3fc90fda, v15
	v_fma_f32 v17, v15, s40, -v16
	v_fmac_f32_e32 v17, 0x33a22168, v15
	v_fmac_f32_e32 v17, 0x3fc90fda, v14
	v_lshrrev_b32_e32 v2, 30, v2
	v_add_f32_e32 v14, v16, v17
	v_add_u32_e32 v15, v23, v2
.LBB96_6:                               ;   in Loop: Header=BB96_4 Depth=1
	s_andn2_saveexec_b64 s[0:1], s[24:25]
; %bb.7:                                ;   in Loop: Header=BB96_4 Depth=1
	v_mul_f32_e64 v2, |v12|, s41
	v_rndne_f32_e32 v2, v2
	v_cvt_i32_f32_e32 v15, v2
	v_fma_f32 v14, v2, s42, |v12|
	v_fmac_f32_e32 v14, 0xb3a22168, v2
	v_fmac_f32_e32 v14, 0xa7c234c4, v2
; %bb.8:                                ;   in Loop: Header=BB96_4 Depth=1
	s_or_b64 exec, exec, s[0:1]
	v_cvt_f32_f16_sdwa v8, v8 dst_sel:DWORD dst_unused:UNUSED_PAD src0_sel:WORD_1
                                        ; implicit-def: $vgpr18
                                        ; implicit-def: $vgpr17
	v_and_b32_e32 v16, 0x7fffffff, v8
	v_cmp_nlt_f32_e64 s[0:1], |v8|, s31
	s_and_saveexec_b64 s[2:3], s[0:1]
	s_xor_b64 s[24:25], exec, s[2:3]
	s_cbranch_execz .LBB96_10
; %bb.9:                                ;   in Loop: Header=BB96_4 Depth=1
	v_lshrrev_b32_e32 v2, 23, v16
	v_add_u32_e32 v2, 0xffffff88, v2
	v_cmp_lt_u32_e32 vcc, 63, v2
	v_cndmask_b32_e32 v17, 0, v5, vcc
	v_add_u32_e32 v2, v17, v2
	v_cmp_lt_u32_e64 s[0:1], 31, v2
	v_cndmask_b32_e64 v17, 0, v10, s[0:1]
	v_add_u32_e32 v2, v17, v2
	v_cmp_lt_u32_e64 s[2:3], 31, v2
	v_cndmask_b32_e64 v17, 0, v10, s[2:3]
	v_add_u32_e32 v17, v17, v2
	v_and_b32_e32 v2, 0x7fffff, v16
	v_or_b32_e32 v30, 0x800000, v2
	v_mad_u64_u32 v[18:19], s[6:7], v30, s33, 0
	v_mov_b32_e32 v2, v19
	v_mad_u64_u32 v[20:21], s[6:7], v30, s34, v[2:3]
	v_mov_b32_e32 v2, v21
	;; [unrolled: 2-line block ×6, first 2 shown]
	v_mad_u64_u32 v[30:31], s[6:7], v30, s39, v[2:3]
	v_cndmask_b32_e32 v19, v28, v24, vcc
	v_cndmask_b32_e32 v2, v30, v26, vcc
	;; [unrolled: 1-line block ×3, first 2 shown]
	v_cndmask_b32_e64 v21, v2, v19, s[0:1]
	v_cndmask_b32_e64 v2, v23, v2, s[0:1]
	v_cndmask_b32_e32 v23, v26, v22, vcc
	v_cndmask_b32_e64 v19, v19, v23, s[0:1]
	v_sub_u32_e32 v25, 32, v17
	v_cmp_eq_u32_e64 s[6:7], 0, v17
	v_cndmask_b32_e32 v17, v24, v20, vcc
	v_cndmask_b32_e64 v2, v2, v21, s[2:3]
	v_cndmask_b32_e64 v21, v21, v19, s[2:3]
	;; [unrolled: 1-line block ×3, first 2 shown]
	v_alignbit_b32 v26, v2, v21, v25
	v_cndmask_b32_e64 v19, v19, v20, s[2:3]
	v_cndmask_b32_e64 v2, v26, v2, s[6:7]
	v_alignbit_b32 v23, v21, v19, v25
	v_cndmask_b32_e64 v21, v23, v21, s[6:7]
	v_bfe_u32 v26, v2, 29, 1
	v_cndmask_b32_e32 v18, v22, v18, vcc
	v_alignbit_b32 v23, v2, v21, 30
	v_sub_u32_e32 v27, 0, v26
	v_cndmask_b32_e64 v17, v17, v18, s[0:1]
	v_xor_b32_e32 v28, v23, v27
	v_cndmask_b32_e64 v17, v20, v17, s[2:3]
	v_alignbit_b32 v18, v19, v17, v25
	v_ffbh_u32_e32 v20, v28
	v_cndmask_b32_e64 v18, v18, v19, s[6:7]
	v_add_u32_e32 v20, 1, v20
	v_cmp_ne_u32_e32 vcc, v23, v27
	v_alignbit_b32 v19, v21, v18, 30
	v_cndmask_b32_e32 v20, 33, v20, vcc
	v_alignbit_b32 v17, v18, v17, 30
	v_xor_b32_e32 v19, v19, v27
	v_sub_u32_e32 v21, 32, v20
	v_xor_b32_e32 v17, v17, v27
	v_alignbit_b32 v22, v28, v19, v21
	v_alignbit_b32 v17, v19, v17, v21
	;; [unrolled: 1-line block ×3, first 2 shown]
	v_ffbh_u32_e32 v19, v18
	v_min_u32_e32 v19, 32, v19
	v_lshrrev_b32_e32 v24, 29, v2
	v_sub_u32_e32 v21, 31, v19
	v_alignbit_b32 v17, v18, v17, v21
	v_lshlrev_b32_e32 v18, 31, v24
	v_or_b32_e32 v21, 0x33800000, v18
	v_add_lshl_u32 v19, v19, v20, 23
	v_lshrrev_b32_e32 v17, 9, v17
	v_sub_u32_e32 v19, v21, v19
	v_or_b32_e32 v17, v19, v17
	v_alignbit_b32 v19, v20, v22, 9
	v_or_b32_e32 v18, v19, v18
	v_xor_b32_e32 v18, 1.0, v18
	v_mul_f32_e32 v19, 0x3fc90fda, v18
	v_fma_f32 v20, v18, s40, -v19
	v_fmac_f32_e32 v20, 0x33a22168, v18
	v_fmac_f32_e32 v20, 0x3fc90fda, v17
	v_lshrrev_b32_e32 v2, 30, v2
	v_add_f32_e32 v17, v19, v20
	v_add_u32_e32 v18, v26, v2
.LBB96_10:                              ;   in Loop: Header=BB96_4 Depth=1
	s_andn2_saveexec_b64 s[0:1], s[24:25]
; %bb.11:                               ;   in Loop: Header=BB96_4 Depth=1
	v_mul_f32_e64 v2, |v8|, s41
	v_rndne_f32_e32 v2, v2
	v_cvt_i32_f32_e32 v18, v2
	v_fma_f32 v17, v2, s42, |v8|
	v_fmac_f32_e32 v17, 0xb3a22168, v2
	v_fmac_f32_e32 v17, 0xa7c234c4, v2
; %bb.12:                               ;   in Loop: Header=BB96_4 Depth=1
	s_or_b64 exec, exec, s[0:1]
	v_cvt_f32_f16_e32 v19, v9
                                        ; implicit-def: $vgpr23
                                        ; implicit-def: $vgpr22
	v_and_b32_e32 v20, 0x7fffffff, v19
	v_cmp_nlt_f32_e64 s[0:1], |v19|, s31
	s_and_saveexec_b64 s[2:3], s[0:1]
	s_xor_b64 s[24:25], exec, s[2:3]
	s_cbranch_execz .LBB96_14
; %bb.13:                               ;   in Loop: Header=BB96_4 Depth=1
	v_lshrrev_b32_e32 v2, 23, v20
	v_add_u32_e32 v2, 0xffffff88, v2
	v_cmp_lt_u32_e32 vcc, 63, v2
	v_cndmask_b32_e32 v21, 0, v5, vcc
	v_add_u32_e32 v2, v21, v2
	v_cmp_lt_u32_e64 s[0:1], 31, v2
	v_cndmask_b32_e64 v21, 0, v10, s[0:1]
	v_add_u32_e32 v2, v21, v2
	v_cmp_lt_u32_e64 s[2:3], 31, v2
	v_cndmask_b32_e64 v21, 0, v10, s[2:3]
	v_add_u32_e32 v21, v21, v2
	v_and_b32_e32 v2, 0x7fffff, v20
	v_or_b32_e32 v34, 0x800000, v2
	v_mad_u64_u32 v[22:23], s[6:7], v34, s33, 0
	v_mov_b32_e32 v2, v23
	v_mad_u64_u32 v[24:25], s[6:7], v34, s34, v[2:3]
	v_mov_b32_e32 v2, v25
	;; [unrolled: 2-line block ×6, first 2 shown]
	v_mad_u64_u32 v[34:35], s[6:7], v34, s39, v[2:3]
	v_cndmask_b32_e32 v23, v32, v28, vcc
	v_cndmask_b32_e32 v2, v34, v30, vcc
	;; [unrolled: 1-line block ×3, first 2 shown]
	v_cndmask_b32_e64 v25, v2, v23, s[0:1]
	v_cndmask_b32_e64 v2, v27, v2, s[0:1]
	v_cndmask_b32_e32 v27, v30, v26, vcc
	v_cndmask_b32_e64 v23, v23, v27, s[0:1]
	v_sub_u32_e32 v29, 32, v21
	v_cmp_eq_u32_e64 s[6:7], 0, v21
	v_cndmask_b32_e32 v21, v28, v24, vcc
	v_cndmask_b32_e64 v2, v2, v25, s[2:3]
	v_cndmask_b32_e64 v25, v25, v23, s[2:3]
	;; [unrolled: 1-line block ×3, first 2 shown]
	v_alignbit_b32 v30, v2, v25, v29
	v_cndmask_b32_e64 v23, v23, v24, s[2:3]
	v_cndmask_b32_e64 v2, v30, v2, s[6:7]
	v_alignbit_b32 v27, v25, v23, v29
	v_cndmask_b32_e64 v25, v27, v25, s[6:7]
	v_bfe_u32 v30, v2, 29, 1
	v_cndmask_b32_e32 v22, v26, v22, vcc
	v_alignbit_b32 v27, v2, v25, 30
	v_sub_u32_e32 v31, 0, v30
	v_cndmask_b32_e64 v21, v21, v22, s[0:1]
	v_xor_b32_e32 v32, v27, v31
	v_cndmask_b32_e64 v21, v24, v21, s[2:3]
	v_alignbit_b32 v22, v23, v21, v29
	v_ffbh_u32_e32 v24, v32
	v_cndmask_b32_e64 v22, v22, v23, s[6:7]
	v_add_u32_e32 v24, 1, v24
	v_cmp_ne_u32_e32 vcc, v27, v31
	v_alignbit_b32 v23, v25, v22, 30
	v_cndmask_b32_e32 v24, 33, v24, vcc
	v_alignbit_b32 v21, v22, v21, 30
	v_xor_b32_e32 v23, v23, v31
	v_sub_u32_e32 v25, 32, v24
	v_xor_b32_e32 v21, v21, v31
	v_alignbit_b32 v26, v32, v23, v25
	v_alignbit_b32 v21, v23, v21, v25
	;; [unrolled: 1-line block ×3, first 2 shown]
	v_ffbh_u32_e32 v23, v22
	v_min_u32_e32 v23, 32, v23
	v_lshrrev_b32_e32 v28, 29, v2
	v_sub_u32_e32 v25, 31, v23
	v_alignbit_b32 v21, v22, v21, v25
	v_lshlrev_b32_e32 v22, 31, v28
	v_or_b32_e32 v25, 0x33800000, v22
	v_add_lshl_u32 v23, v23, v24, 23
	v_lshrrev_b32_e32 v21, 9, v21
	v_sub_u32_e32 v23, v25, v23
	v_or_b32_e32 v21, v23, v21
	v_alignbit_b32 v23, v24, v26, 9
	v_or_b32_e32 v22, v23, v22
	v_xor_b32_e32 v22, 1.0, v22
	v_mul_f32_e32 v23, 0x3fc90fda, v22
	v_fma_f32 v24, v22, s40, -v23
	v_fmac_f32_e32 v24, 0x33a22168, v22
	v_fmac_f32_e32 v24, 0x3fc90fda, v21
	v_lshrrev_b32_e32 v2, 30, v2
	v_add_f32_e32 v22, v23, v24
	v_add_u32_e32 v23, v30, v2
.LBB96_14:                              ;   in Loop: Header=BB96_4 Depth=1
	s_andn2_saveexec_b64 s[0:1], s[24:25]
; %bb.15:                               ;   in Loop: Header=BB96_4 Depth=1
	v_mul_f32_e64 v2, |v19|, s41
	v_rndne_f32_e32 v2, v2
	v_cvt_i32_f32_e32 v23, v2
	v_fma_f32 v22, v2, s42, |v19|
	v_fmac_f32_e32 v22, 0xb3a22168, v2
	v_fmac_f32_e32 v22, 0xa7c234c4, v2
; %bb.16:                               ;   in Loop: Header=BB96_4 Depth=1
	s_or_b64 exec, exec, s[0:1]
	v_cvt_f32_f16_sdwa v9, v9 dst_sel:DWORD dst_unused:UNUSED_PAD src0_sel:WORD_1
                                        ; implicit-def: $vgpr24
                                        ; implicit-def: $vgpr2
	v_and_b32_e32 v21, 0x7fffffff, v9
	v_cmp_nlt_f32_e64 s[0:1], |v9|, s31
	s_and_saveexec_b64 s[2:3], s[0:1]
	s_xor_b64 s[24:25], exec, s[2:3]
	s_cbranch_execz .LBB96_18
; %bb.17:                               ;   in Loop: Header=BB96_4 Depth=1
	v_lshrrev_b32_e32 v2, 23, v21
	v_add_u32_e32 v2, 0xffffff88, v2
	v_cmp_lt_u32_e32 vcc, 63, v2
	v_cndmask_b32_e32 v24, 0, v5, vcc
	v_add_u32_e32 v2, v24, v2
	v_cmp_lt_u32_e64 s[0:1], 31, v2
	v_cndmask_b32_e64 v24, 0, v10, s[0:1]
	v_add_u32_e32 v2, v24, v2
	v_cmp_lt_u32_e64 s[2:3], 31, v2
	v_cndmask_b32_e64 v24, 0, v10, s[2:3]
	v_add_u32_e32 v38, v24, v2
	v_and_b32_e32 v2, 0x7fffff, v21
	v_or_b32_e32 v36, 0x800000, v2
	v_mad_u64_u32 v[24:25], s[6:7], v36, s33, 0
	v_mov_b32_e32 v2, v25
	v_mad_u64_u32 v[26:27], s[6:7], v36, s34, v[2:3]
	v_mov_b32_e32 v2, v27
	;; [unrolled: 2-line block ×6, first 2 shown]
	v_mad_u64_u32 v[36:37], s[6:7], v36, s39, v[2:3]
	v_cndmask_b32_e32 v25, v34, v30, vcc
	v_cndmask_b32_e32 v2, v36, v32, vcc
	;; [unrolled: 1-line block ×3, first 2 shown]
	v_cndmask_b32_e64 v27, v2, v25, s[0:1]
	v_cndmask_b32_e64 v2, v29, v2, s[0:1]
	v_cndmask_b32_e32 v29, v32, v28, vcc
	v_cndmask_b32_e64 v25, v25, v29, s[0:1]
	v_cndmask_b32_e64 v2, v2, v27, s[2:3]
	;; [unrolled: 1-line block ×3, first 2 shown]
	v_sub_u32_e32 v31, 32, v38
	v_alignbit_b32 v32, v2, v27, v31
	v_cmp_eq_u32_e64 s[6:7], 0, v38
	v_cndmask_b32_e64 v32, v32, v2, s[6:7]
	v_cndmask_b32_e32 v2, v30, v26, vcc
	v_cndmask_b32_e64 v26, v29, v2, s[0:1]
	v_cndmask_b32_e64 v25, v25, v26, s[2:3]
	v_alignbit_b32 v29, v27, v25, v31
	v_cndmask_b32_e64 v27, v29, v27, s[6:7]
	v_bfe_u32 v33, v32, 29, 1
	v_cndmask_b32_e32 v24, v28, v24, vcc
	v_alignbit_b32 v29, v32, v27, 30
	v_sub_u32_e32 v34, 0, v33
	v_cndmask_b32_e64 v2, v2, v24, s[0:1]
	v_xor_b32_e32 v35, v29, v34
	v_cndmask_b32_e64 v2, v26, v2, s[2:3]
	v_alignbit_b32 v24, v25, v2, v31
	v_ffbh_u32_e32 v26, v35
	v_cndmask_b32_e64 v24, v24, v25, s[6:7]
	v_add_u32_e32 v26, 1, v26
	v_cmp_ne_u32_e32 vcc, v29, v34
	v_alignbit_b32 v25, v27, v24, 30
	v_cndmask_b32_e32 v26, 33, v26, vcc
	v_alignbit_b32 v2, v24, v2, 30
	v_xor_b32_e32 v25, v25, v34
	v_sub_u32_e32 v27, 32, v26
	v_xor_b32_e32 v2, v2, v34
	v_alignbit_b32 v28, v35, v25, v27
	v_alignbit_b32 v2, v25, v2, v27
	;; [unrolled: 1-line block ×3, first 2 shown]
	v_ffbh_u32_e32 v25, v24
	v_min_u32_e32 v25, 32, v25
	v_lshrrev_b32_e32 v30, 29, v32
	v_sub_u32_e32 v27, 31, v25
	v_alignbit_b32 v2, v24, v2, v27
	v_lshlrev_b32_e32 v24, 31, v30
	v_or_b32_e32 v27, 0x33800000, v24
	v_add_lshl_u32 v25, v25, v26, 23
	v_lshrrev_b32_e32 v2, 9, v2
	v_sub_u32_e32 v25, v27, v25
	v_or_b32_e32 v2, v25, v2
	v_alignbit_b32 v25, v26, v28, 9
	v_or_b32_e32 v24, v25, v24
	v_xor_b32_e32 v24, 1.0, v24
	v_mul_f32_e32 v25, 0x3fc90fda, v24
	v_fma_f32 v26, v24, s40, -v25
	v_fmac_f32_e32 v26, 0x33a22168, v24
	v_fmac_f32_e32 v26, 0x3fc90fda, v2
	v_lshrrev_b32_e32 v24, 30, v32
	v_add_f32_e32 v2, v25, v26
	v_add_u32_e32 v24, v33, v24
.LBB96_18:                              ;   in Loop: Header=BB96_4 Depth=1
	s_andn2_saveexec_b64 s[0:1], s[24:25]
	s_cbranch_execz .LBB96_3
; %bb.19:                               ;   in Loop: Header=BB96_4 Depth=1
	v_mul_f32_e64 v2, |v9|, s41
	v_rndne_f32_e32 v25, v2
	v_cvt_i32_f32_e32 v24, v25
	v_fma_f32 v2, v25, s42, |v9|
	v_fmac_f32_e32 v2, 0xb3a22168, v25
	v_fmac_f32_e32 v2, 0xa7c234c4, v25
	s_branch .LBB96_3
.LBB96_20:
	s_or_b64 exec, exec, s[18:19]
	s_mov_b64 s[0:1], 0
.LBB96_21:
	s_andn2_b64 vcc, exec, s[0:1]
	s_cbranch_vccnz .LBB96_57
; %bb.22:
	v_cmp_lt_i64_e64 s[0:1], s[16:17], 1
	s_and_b64 vcc, exec, s[0:1]
	s_cbranch_vccnz .LBB96_57
; %bb.23:
	s_load_dword s0, s[4:5], 0xc5c
	v_mov_b32_e32 v4, 0x10000
	v_mov_b32_e32 v5, 0
	v_cmp_lt_u64_e32 vcc, s[16:17], v[4:5]
	v_lshlrev_b32_e32 v2, 1, v0
	s_waitcnt lgkmcnt(0)
	s_and_b32 s2, s0, 0xffff
	s_and_b64 s[0:1], vcc, exec
	v_mov_b32_e32 v15, s11
	v_add_co_u32_e32 v4, vcc, s10, v2
	v_addc_co_u32_e32 v1, vcc, 0, v15, vcc
	v_mov_b32_e32 v3, 0
	v_mov_b32_e32 v17, s9
	v_add_co_u32_e32 v6, vcc, s8, v2
	v_addc_co_u32_e32 v5, vcc, 0, v17, vcc
	v_mad_u64_u32 v[10:11], s[0:1], s2, 6, v[2:3]
	v_add_co_u32_e32 v8, vcc, s10, v10
	v_addc_co_u32_e32 v7, vcc, v15, v11, vcc
	v_add_co_u32_e32 v10, vcc, s8, v10
	s_mul_i32 s4, s2, 3
	v_addc_co_u32_e32 v9, vcc, v17, v11, vcc
	s_cselect_b32 s19, s17, 0
	s_cselect_b32 s18, s16, 0x10000
	s_lshl_b32 s25, s2, 2
	v_add_co_u32_e32 v19, vcc, s4, v0
	v_addc_co_u32_e64 v20, s[0:1], 0, 0, vcc
	v_add_co_u32_e32 v2, vcc, s25, v2
	v_addc_co_u32_e64 v13, s[0:1], 0, 0, vcc
	v_add_co_u32_e32 v12, vcc, s10, v2
	v_addc_co_u32_e32 v11, vcc, v15, v13, vcc
	v_add_co_u32_e32 v14, vcc, s8, v2
	s_lshl_b32 s3, s2, 1
	v_addc_co_u32_e32 v13, vcc, v17, v13, vcc
	v_add_co_u32_e32 v21, vcc, s3, v0
	v_addc_co_u32_e64 v22, s[0:1], 0, 0, vcc
	v_add_co_u32_e32 v23, vcc, s2, v0
	v_lshlrev_b32_e32 v2, 1, v23
	v_addc_co_u32_e64 v24, s[0:1], 0, 0, vcc
	v_add_co_u32_e32 v16, vcc, s10, v2
	v_addc_co_u32_e32 v15, vcc, 0, v15, vcc
	v_add_co_u32_e32 v18, vcc, s8, v2
	s_mov_b32 s24, 0
	s_lshl_b32 s26, s2, 3
	v_addc_co_u32_e32 v17, vcc, 0, v17, vcc
	s_mov_b64 s[20:21], 0
	s_brev_b32 s27, 18
	s_mov_b32 s28, 0xfe5163ab
	s_mov_b32 s29, 0x3c439041
	;; [unrolled: 1-line block ×10, first 2 shown]
	v_mov_b32_e32 v25, 0x3f93f425
	s_movk_i32 s39, 0x1f8
	v_not_b32_e32 v26, 63
	v_not_b32_e32 v27, 31
	v_mov_b32_e32 v28, 0x7fc00000
	s_branch .LBB96_25
.LBB96_24:                              ;   in Loop: Header=BB96_25 Depth=1
	s_or_b64 exec, exec, s[0:1]
	s_add_u32 s20, s20, s25
	s_addc_u32 s21, s21, 0
	v_pk_mov_b32 v[30:31], s[16:17], s[16:17] op_sel:[0,1]
	v_cmp_ge_i64_e32 vcc, s[20:21], v[30:31]
	v_mov_b32_e32 v30, 0xffff
	v_mov_b32_e32 v31, 0
	v_cmp_gt_u64_e64 s[0:1], s[20:21], v[30:31]
	s_or_b64 s[0:1], vcc, s[0:1]
	v_mov_b32_e32 v2, s24
	v_add_co_u32_e32 v4, vcc, s26, v4
	v_addc_co_u32_e32 v1, vcc, v1, v2, vcc
	v_add_co_u32_e32 v6, vcc, s26, v6
	v_addc_co_u32_e32 v5, vcc, v5, v2, vcc
	;; [unrolled: 2-line block ×8, first 2 shown]
	s_and_b64 vcc, exec, s[0:1]
	s_cbranch_vccnz .LBB96_57
.LBB96_25:                              ; =>This Inner Loop Header: Depth=1
	v_mov_b32_e32 v2, s21
	v_add_co_u32_e32 v30, vcc, s20, v0
	v_addc_co_u32_e32 v31, vcc, 0, v2, vcc
	v_cmp_gt_u64_e64 s[4:5], s[18:19], v[30:31]
	v_mov_b32_e32 v2, 0
	s_and_saveexec_b64 s[0:1], s[4:5]
	s_cbranch_execz .LBB96_27
; %bb.26:                               ;   in Loop: Header=BB96_25 Depth=1
	v_mov_b32_e32 v2, s15
	v_add_co_u32_e32 v30, vcc, s14, v4
	v_addc_co_u32_e32 v31, vcc, v1, v2, vcc
	global_load_ushort v2, v[30:31], off
.LBB96_27:                              ;   in Loop: Header=BB96_25 Depth=1
	s_or_b64 exec, exec, s[0:1]
	v_mov_b32_e32 v29, s21
	v_add_co_u32_e32 v30, vcc, s20, v23
	v_addc_co_u32_e32 v31, vcc, v24, v29, vcc
	v_cmp_gt_u64_e64 s[2:3], s[18:19], v[30:31]
	v_mov_b32_e32 v31, 0
	s_and_saveexec_b64 s[0:1], s[2:3]
	s_cbranch_execz .LBB96_29
; %bb.28:                               ;   in Loop: Header=BB96_25 Depth=1
	v_mov_b32_e32 v29, s15
	v_add_co_u32_e32 v30, vcc, s14, v16
	v_addc_co_u32_e32 v31, vcc, v15, v29, vcc
	global_load_ushort v31, v[30:31], off
.LBB96_29:                              ;   in Loop: Header=BB96_25 Depth=1
	s_or_b64 exec, exec, s[0:1]
	v_mov_b32_e32 v29, s21
	v_add_co_u32_e32 v32, vcc, s20, v21
	v_addc_co_u32_e32 v33, vcc, v22, v29, vcc
	v_cmp_gt_u64_e64 s[0:1], s[18:19], v[32:33]
	v_mov_b32_e32 v35, 0
	v_mov_b32_e32 v36, 0
	s_and_saveexec_b64 s[6:7], s[0:1]
	s_cbranch_execz .LBB96_31
; %bb.30:                               ;   in Loop: Header=BB96_25 Depth=1
	v_mov_b32_e32 v29, s15
	v_add_co_u32_e32 v32, vcc, s14, v12
	v_addc_co_u32_e32 v33, vcc, v11, v29, vcc
	global_load_ushort v36, v[32:33], off
.LBB96_31:                              ;   in Loop: Header=BB96_25 Depth=1
	s_or_b64 exec, exec, s[6:7]
	v_mov_b32_e32 v29, s21
	v_add_co_u32_e32 v32, vcc, s20, v19
	v_addc_co_u32_e32 v33, vcc, v20, v29, vcc
	v_cmp_gt_u64_e32 vcc, s[18:19], v[32:33]
	s_and_saveexec_b64 s[8:9], vcc
	s_cbranch_execz .LBB96_33
; %bb.32:                               ;   in Loop: Header=BB96_25 Depth=1
	v_mov_b32_e32 v29, s15
	v_add_co_u32_e64 v32, s[6:7], s14, v8
	v_addc_co_u32_e64 v33, s[6:7], v7, v29, s[6:7]
	global_load_ushort v35, v[32:33], off
.LBB96_33:                              ;   in Loop: Header=BB96_25 Depth=1
	s_or_b64 exec, exec, s[8:9]
	s_waitcnt vmcnt(0)
	v_cvt_f32_f16_e32 v29, v2
                                        ; implicit-def: $vgpr34
                                        ; implicit-def: $vgpr33
	v_and_b32_e32 v30, 0x7fffffff, v29
	v_cmp_nlt_f32_e64 s[6:7], |v29|, s27
	s_and_saveexec_b64 s[8:9], s[6:7]
	s_xor_b64 s[22:23], exec, s[8:9]
	s_cbranch_execz .LBB96_35
; %bb.34:                               ;   in Loop: Header=BB96_25 Depth=1
	v_lshrrev_b32_e32 v2, 23, v30
	v_add_u32_e32 v2, 0xffffff88, v2
	v_cmp_lt_u32_e64 s[6:7], 63, v2
	v_cndmask_b32_e64 v32, 0, v26, s[6:7]
	v_add_u32_e32 v2, v32, v2
	v_cmp_lt_u32_e64 s[8:9], 31, v2
	v_cndmask_b32_e64 v32, 0, v27, s[8:9]
	;; [unrolled: 3-line block ×3, first 2 shown]
	v_add_u32_e32 v34, v32, v2
	v_and_b32_e32 v2, 0x7fffff, v30
	v_or_b32_e32 v37, 0x800000, v2
	v_mad_u64_u32 v[32:33], s[12:13], v37, s28, 0
	v_mov_b32_e32 v2, v33
	v_mad_u64_u32 v[38:39], s[12:13], v37, s29, v[2:3]
	v_mov_b32_e32 v2, v39
	;; [unrolled: 2-line block ×6, first 2 shown]
	v_mad_u64_u32 v[48:49], s[12:13], v37, s35, v[2:3]
	v_cndmask_b32_e64 v33, v46, v42, s[6:7]
	v_cndmask_b32_e64 v2, v48, v44, s[6:7]
	;; [unrolled: 1-line block ×7, first 2 shown]
	v_sub_u32_e32 v41, 32, v34
	v_cmp_eq_u32_e64 s[12:13], 0, v34
	v_cndmask_b32_e64 v34, v42, v38, s[6:7]
	v_cndmask_b32_e64 v2, v2, v37, s[10:11]
	;; [unrolled: 1-line block ×4, first 2 shown]
	v_alignbit_b32 v43, v2, v37, v41
	v_cndmask_b32_e64 v33, v33, v38, s[10:11]
	v_cndmask_b32_e64 v32, v40, v32, s[6:7]
	;; [unrolled: 1-line block ×3, first 2 shown]
	v_alignbit_b32 v39, v37, v33, v41
	v_cndmask_b32_e64 v32, v34, v32, s[8:9]
	v_cndmask_b32_e64 v37, v39, v37, s[12:13]
	v_bfe_u32 v43, v2, 29, 1
	v_cndmask_b32_e64 v32, v38, v32, s[10:11]
	v_alignbit_b32 v39, v2, v37, 30
	v_sub_u32_e32 v44, 0, v43
	v_alignbit_b32 v34, v33, v32, v41
	v_xor_b32_e32 v45, v39, v44
	v_cndmask_b32_e64 v33, v34, v33, s[12:13]
	v_alignbit_b32 v34, v37, v33, 30
	v_ffbh_u32_e32 v37, v45
	v_add_u32_e32 v37, 1, v37
	v_cmp_ne_u32_e64 s[6:7], v39, v44
	v_cndmask_b32_e64 v37, 33, v37, s[6:7]
	v_alignbit_b32 v32, v33, v32, 30
	v_xor_b32_e32 v34, v34, v44
	v_sub_u32_e32 v38, 32, v37
	v_xor_b32_e32 v32, v32, v44
	v_alignbit_b32 v39, v45, v34, v38
	v_alignbit_b32 v32, v34, v32, v38
	;; [unrolled: 1-line block ×3, first 2 shown]
	v_ffbh_u32_e32 v34, v33
	v_min_u32_e32 v34, 32, v34
	v_lshrrev_b32_e32 v42, 29, v2
	v_sub_u32_e32 v38, 31, v34
	v_alignbit_b32 v32, v33, v32, v38
	v_lshlrev_b32_e32 v33, 31, v42
	v_or_b32_e32 v38, 0x33800000, v33
	v_add_lshl_u32 v34, v34, v37, 23
	v_lshrrev_b32_e32 v32, 9, v32
	v_sub_u32_e32 v34, v38, v34
	v_or_b32_e32 v32, v34, v32
	v_alignbit_b32 v34, v37, v39, 9
	v_or_b32_e32 v33, v34, v33
	v_xor_b32_e32 v33, 1.0, v33
	v_mul_f32_e32 v34, 0x3fc90fda, v33
	v_fma_f32 v37, v33, s36, -v34
	v_fmac_f32_e32 v37, 0x33a22168, v33
	v_fmac_f32_e32 v37, 0x3fc90fda, v32
	v_lshrrev_b32_e32 v2, 30, v2
	v_add_f32_e32 v33, v34, v37
	v_add_u32_e32 v34, v43, v2
.LBB96_35:                              ;   in Loop: Header=BB96_25 Depth=1
	s_andn2_saveexec_b64 s[6:7], s[22:23]
; %bb.36:                               ;   in Loop: Header=BB96_25 Depth=1
	v_mul_f32_e64 v2, |v29|, s37
	v_rndne_f32_e32 v2, v2
	v_cvt_i32_f32_e32 v34, v2
	v_fma_f32 v33, v2, s38, |v29|
	v_fmac_f32_e32 v33, 0xb3a22168, v2
	v_fmac_f32_e32 v33, 0xa7c234c4, v2
; %bb.37:                               ;   in Loop: Header=BB96_25 Depth=1
	s_or_b64 exec, exec, s[6:7]
	v_cvt_f32_f16_e32 v31, v31
                                        ; implicit-def: $vgpr39
                                        ; implicit-def: $vgpr38
	v_and_b32_e32 v32, 0x7fffffff, v31
	v_cmp_nlt_f32_e64 s[6:7], |v31|, s27
	s_and_saveexec_b64 s[8:9], s[6:7]
	s_xor_b64 s[22:23], exec, s[8:9]
	s_cbranch_execz .LBB96_39
; %bb.38:                               ;   in Loop: Header=BB96_25 Depth=1
	v_lshrrev_b32_e32 v2, 23, v32
	v_add_u32_e32 v2, 0xffffff88, v2
	v_cmp_lt_u32_e64 s[6:7], 63, v2
	v_cndmask_b32_e64 v37, 0, v26, s[6:7]
	v_add_u32_e32 v2, v37, v2
	v_cmp_lt_u32_e64 s[8:9], 31, v2
	v_cndmask_b32_e64 v37, 0, v27, s[8:9]
	;; [unrolled: 3-line block ×3, first 2 shown]
	v_add_u32_e32 v37, v37, v2
	v_and_b32_e32 v2, 0x7fffff, v32
	v_or_b32_e32 v50, 0x800000, v2
	v_mad_u64_u32 v[38:39], s[12:13], v50, s28, 0
	v_mov_b32_e32 v2, v39
	v_mad_u64_u32 v[40:41], s[12:13], v50, s29, v[2:3]
	v_mov_b32_e32 v2, v41
	;; [unrolled: 2-line block ×6, first 2 shown]
	v_mad_u64_u32 v[50:51], s[12:13], v50, s35, v[2:3]
	v_cndmask_b32_e64 v39, v48, v44, s[6:7]
	v_cndmask_b32_e64 v2, v50, v46, s[6:7]
	;; [unrolled: 1-line block ×7, first 2 shown]
	v_sub_u32_e32 v45, 32, v37
	v_cmp_eq_u32_e64 s[12:13], 0, v37
	v_cndmask_b32_e64 v37, v44, v40, s[6:7]
	v_cndmask_b32_e64 v2, v2, v41, s[10:11]
	;; [unrolled: 1-line block ×4, first 2 shown]
	v_alignbit_b32 v46, v2, v41, v45
	v_cndmask_b32_e64 v39, v39, v40, s[10:11]
	v_cndmask_b32_e64 v2, v46, v2, s[12:13]
	v_alignbit_b32 v43, v41, v39, v45
	v_cndmask_b32_e64 v41, v43, v41, s[12:13]
	v_bfe_u32 v46, v2, 29, 1
	v_cndmask_b32_e64 v38, v42, v38, s[6:7]
	v_alignbit_b32 v43, v2, v41, 30
	v_sub_u32_e32 v47, 0, v46
	v_cndmask_b32_e64 v37, v37, v38, s[8:9]
	v_xor_b32_e32 v48, v43, v47
	v_cndmask_b32_e64 v37, v40, v37, s[10:11]
	v_alignbit_b32 v38, v39, v37, v45
	v_ffbh_u32_e32 v40, v48
	v_cndmask_b32_e64 v38, v38, v39, s[12:13]
	v_add_u32_e32 v40, 1, v40
	v_cmp_ne_u32_e64 s[6:7], v43, v47
	v_alignbit_b32 v39, v41, v38, 30
	v_cndmask_b32_e64 v40, 33, v40, s[6:7]
	v_alignbit_b32 v37, v38, v37, 30
	v_xor_b32_e32 v39, v39, v47
	v_sub_u32_e32 v41, 32, v40
	v_xor_b32_e32 v37, v37, v47
	v_alignbit_b32 v42, v48, v39, v41
	v_alignbit_b32 v37, v39, v37, v41
	;; [unrolled: 1-line block ×3, first 2 shown]
	v_ffbh_u32_e32 v39, v38
	v_min_u32_e32 v39, 32, v39
	v_lshrrev_b32_e32 v44, 29, v2
	v_sub_u32_e32 v41, 31, v39
	v_alignbit_b32 v37, v38, v37, v41
	v_lshlrev_b32_e32 v38, 31, v44
	v_or_b32_e32 v41, 0x33800000, v38
	v_add_lshl_u32 v39, v39, v40, 23
	v_lshrrev_b32_e32 v37, 9, v37
	v_sub_u32_e32 v39, v41, v39
	v_or_b32_e32 v37, v39, v37
	v_alignbit_b32 v39, v40, v42, 9
	v_or_b32_e32 v38, v39, v38
	v_xor_b32_e32 v38, 1.0, v38
	v_mul_f32_e32 v39, 0x3fc90fda, v38
	v_fma_f32 v40, v38, s36, -v39
	v_fmac_f32_e32 v40, 0x33a22168, v38
	v_fmac_f32_e32 v40, 0x3fc90fda, v37
	v_lshrrev_b32_e32 v2, 30, v2
	v_add_f32_e32 v38, v39, v40
	v_add_u32_e32 v39, v46, v2
.LBB96_39:                              ;   in Loop: Header=BB96_25 Depth=1
	s_andn2_saveexec_b64 s[6:7], s[22:23]
; %bb.40:                               ;   in Loop: Header=BB96_25 Depth=1
	v_mul_f32_e64 v2, |v31|, s37
	v_rndne_f32_e32 v2, v2
	v_cvt_i32_f32_e32 v39, v2
	v_fma_f32 v38, v2, s38, |v31|
	v_fmac_f32_e32 v38, 0xb3a22168, v2
	v_fmac_f32_e32 v38, 0xa7c234c4, v2
; %bb.41:                               ;   in Loop: Header=BB96_25 Depth=1
	s_or_b64 exec, exec, s[6:7]
	v_cvt_f32_f16_e32 v36, v36
                                        ; implicit-def: $vgpr42
                                        ; implicit-def: $vgpr41
	v_and_b32_e32 v37, 0x7fffffff, v36
	v_cmp_nlt_f32_e64 s[6:7], |v36|, s27
	s_and_saveexec_b64 s[8:9], s[6:7]
	s_xor_b64 s[22:23], exec, s[8:9]
	s_cbranch_execz .LBB96_43
; %bb.42:                               ;   in Loop: Header=BB96_25 Depth=1
	v_lshrrev_b32_e32 v2, 23, v37
	v_add_u32_e32 v2, 0xffffff88, v2
	v_cmp_lt_u32_e64 s[6:7], 63, v2
	v_cndmask_b32_e64 v40, 0, v26, s[6:7]
	v_add_u32_e32 v2, v40, v2
	v_cmp_lt_u32_e64 s[8:9], 31, v2
	v_cndmask_b32_e64 v40, 0, v27, s[8:9]
	;; [unrolled: 3-line block ×3, first 2 shown]
	v_add_u32_e32 v54, v40, v2
	v_and_b32_e32 v2, 0x7fffff, v37
	v_or_b32_e32 v52, 0x800000, v2
	v_mad_u64_u32 v[40:41], s[12:13], v52, s28, 0
	v_mov_b32_e32 v2, v41
	v_mad_u64_u32 v[42:43], s[12:13], v52, s29, v[2:3]
	v_mov_b32_e32 v2, v43
	;; [unrolled: 2-line block ×6, first 2 shown]
	v_mad_u64_u32 v[52:53], s[12:13], v52, s35, v[2:3]
	v_cndmask_b32_e64 v41, v50, v46, s[6:7]
	v_cndmask_b32_e64 v2, v52, v48, s[6:7]
	;; [unrolled: 1-line block ×10, first 2 shown]
	v_sub_u32_e32 v47, 32, v54
	v_cndmask_b32_e64 v45, v45, v42, s[8:9]
	v_alignbit_b32 v48, v2, v43, v47
	v_cmp_eq_u32_e64 s[12:13], 0, v54
	v_cndmask_b32_e64 v41, v41, v45, s[10:11]
	v_cndmask_b32_e64 v40, v44, v40, s[6:7]
	;; [unrolled: 1-line block ×3, first 2 shown]
	v_alignbit_b32 v46, v43, v41, v47
	v_cndmask_b32_e64 v40, v42, v40, s[8:9]
	v_cndmask_b32_e64 v43, v46, v43, s[12:13]
	v_bfe_u32 v49, v2, 29, 1
	v_cndmask_b32_e64 v40, v45, v40, s[10:11]
	v_alignbit_b32 v46, v2, v43, 30
	v_sub_u32_e32 v50, 0, v49
	v_alignbit_b32 v42, v41, v40, v47
	v_xor_b32_e32 v51, v46, v50
	v_cndmask_b32_e64 v41, v42, v41, s[12:13]
	v_alignbit_b32 v42, v43, v41, 30
	v_ffbh_u32_e32 v43, v51
	v_add_u32_e32 v43, 1, v43
	v_cmp_ne_u32_e64 s[6:7], v46, v50
	v_cndmask_b32_e64 v43, 33, v43, s[6:7]
	v_alignbit_b32 v40, v41, v40, 30
	v_xor_b32_e32 v42, v42, v50
	v_sub_u32_e32 v44, 32, v43
	v_xor_b32_e32 v40, v40, v50
	v_alignbit_b32 v45, v51, v42, v44
	v_alignbit_b32 v40, v42, v40, v44
	;; [unrolled: 1-line block ×3, first 2 shown]
	v_ffbh_u32_e32 v42, v41
	v_min_u32_e32 v42, 32, v42
	v_lshrrev_b32_e32 v48, 29, v2
	v_sub_u32_e32 v44, 31, v42
	v_alignbit_b32 v40, v41, v40, v44
	v_lshlrev_b32_e32 v41, 31, v48
	v_or_b32_e32 v44, 0x33800000, v41
	v_add_lshl_u32 v42, v42, v43, 23
	v_lshrrev_b32_e32 v40, 9, v40
	v_sub_u32_e32 v42, v44, v42
	v_or_b32_e32 v40, v42, v40
	v_alignbit_b32 v42, v43, v45, 9
	v_or_b32_e32 v41, v42, v41
	v_xor_b32_e32 v41, 1.0, v41
	v_mul_f32_e32 v42, 0x3fc90fda, v41
	v_fma_f32 v43, v41, s36, -v42
	v_fmac_f32_e32 v43, 0x33a22168, v41
	v_fmac_f32_e32 v43, 0x3fc90fda, v40
	v_lshrrev_b32_e32 v2, 30, v2
	v_add_f32_e32 v41, v42, v43
	v_add_u32_e32 v42, v49, v2
.LBB96_43:                              ;   in Loop: Header=BB96_25 Depth=1
	s_andn2_saveexec_b64 s[6:7], s[22:23]
; %bb.44:                               ;   in Loop: Header=BB96_25 Depth=1
	v_mul_f32_e64 v2, |v36|, s37
	v_rndne_f32_e32 v2, v2
	v_cvt_i32_f32_e32 v42, v2
	v_fma_f32 v41, v2, s38, |v36|
	v_fmac_f32_e32 v41, 0xb3a22168, v2
	v_fmac_f32_e32 v41, 0xa7c234c4, v2
; %bb.45:                               ;   in Loop: Header=BB96_25 Depth=1
	s_or_b64 exec, exec, s[6:7]
	v_cvt_f32_f16_e32 v35, v35
                                        ; implicit-def: $vgpr43
                                        ; implicit-def: $vgpr2
	v_and_b32_e32 v40, 0x7fffffff, v35
	v_cmp_nlt_f32_e64 s[6:7], |v35|, s27
	s_and_saveexec_b64 s[8:9], s[6:7]
	s_xor_b64 s[22:23], exec, s[8:9]
	s_cbranch_execnz .LBB96_51
; %bb.46:                               ;   in Loop: Header=BB96_25 Depth=1
	s_andn2_saveexec_b64 s[6:7], s[22:23]
	s_cbranch_execnz .LBB96_52
.LBB96_47:                              ;   in Loop: Header=BB96_25 Depth=1
	s_or_b64 exec, exec, s[6:7]
	s_and_saveexec_b64 s[6:7], s[4:5]
	s_xor_b64 s[6:7], exec, s[6:7]
	s_cbranch_execnz .LBB96_53
.LBB96_48:                              ;   in Loop: Header=BB96_25 Depth=1
	s_or_b64 exec, exec, s[6:7]
	s_and_saveexec_b64 s[4:5], s[2:3]
	s_cbranch_execnz .LBB96_54
.LBB96_49:                              ;   in Loop: Header=BB96_25 Depth=1
	s_or_b64 exec, exec, s[4:5]
	s_and_saveexec_b64 s[2:3], s[0:1]
	s_cbranch_execnz .LBB96_55
.LBB96_50:                              ;   in Loop: Header=BB96_25 Depth=1
	s_or_b64 exec, exec, s[2:3]
	s_and_saveexec_b64 s[0:1], vcc
	s_cbranch_execz .LBB96_24
	s_branch .LBB96_56
.LBB96_51:                              ;   in Loop: Header=BB96_25 Depth=1
	v_lshrrev_b32_e32 v2, 23, v40
	v_add_u32_e32 v2, 0xffffff88, v2
	v_cmp_lt_u32_e64 s[6:7], 63, v2
	v_cndmask_b32_e64 v43, 0, v26, s[6:7]
	v_add_u32_e32 v2, v43, v2
	v_cmp_lt_u32_e64 s[8:9], 31, v2
	v_cndmask_b32_e64 v43, 0, v27, s[8:9]
	;; [unrolled: 3-line block ×3, first 2 shown]
	v_add_u32_e32 v43, v43, v2
	v_and_b32_e32 v2, 0x7fffff, v40
	v_or_b32_e32 v56, 0x800000, v2
	v_mad_u64_u32 v[44:45], s[12:13], v56, s28, 0
	v_mov_b32_e32 v2, v45
	v_mad_u64_u32 v[46:47], s[12:13], v56, s29, v[2:3]
	v_mov_b32_e32 v2, v47
	;; [unrolled: 2-line block ×6, first 2 shown]
	v_mad_u64_u32 v[56:57], s[12:13], v56, s35, v[2:3]
	v_cndmask_b32_e64 v45, v54, v50, s[6:7]
	v_cndmask_b32_e64 v2, v56, v52, s[6:7]
	;; [unrolled: 1-line block ×9, first 2 shown]
	v_sub_u32_e32 v51, 32, v43
	v_alignbit_b32 v52, v2, v47, v51
	v_cmp_eq_u32_e64 s[12:13], 0, v43
	v_cndmask_b32_e64 v43, v52, v2, s[12:13]
	v_cndmask_b32_e64 v2, v50, v46, s[6:7]
	;; [unrolled: 1-line block ×4, first 2 shown]
	v_alignbit_b32 v49, v47, v45, v51
	v_cndmask_b32_e64 v47, v49, v47, s[12:13]
	v_bfe_u32 v52, v43, 29, 1
	v_cndmask_b32_e64 v44, v48, v44, s[6:7]
	v_alignbit_b32 v49, v43, v47, 30
	v_sub_u32_e32 v53, 0, v52
	v_cndmask_b32_e64 v2, v2, v44, s[8:9]
	v_xor_b32_e32 v54, v49, v53
	v_cndmask_b32_e64 v2, v46, v2, s[10:11]
	v_alignbit_b32 v44, v45, v2, v51
	v_ffbh_u32_e32 v46, v54
	v_cndmask_b32_e64 v44, v44, v45, s[12:13]
	v_add_u32_e32 v46, 1, v46
	v_cmp_ne_u32_e64 s[6:7], v49, v53
	v_alignbit_b32 v45, v47, v44, 30
	v_cndmask_b32_e64 v46, 33, v46, s[6:7]
	v_alignbit_b32 v2, v44, v2, 30
	v_xor_b32_e32 v45, v45, v53
	v_sub_u32_e32 v47, 32, v46
	v_xor_b32_e32 v2, v2, v53
	v_alignbit_b32 v48, v54, v45, v47
	v_alignbit_b32 v2, v45, v2, v47
	;; [unrolled: 1-line block ×3, first 2 shown]
	v_ffbh_u32_e32 v45, v44
	v_min_u32_e32 v45, 32, v45
	v_lshrrev_b32_e32 v50, 29, v43
	v_sub_u32_e32 v47, 31, v45
	v_alignbit_b32 v2, v44, v2, v47
	v_lshlrev_b32_e32 v44, 31, v50
	v_or_b32_e32 v47, 0x33800000, v44
	v_add_lshl_u32 v45, v45, v46, 23
	v_lshrrev_b32_e32 v2, 9, v2
	v_sub_u32_e32 v45, v47, v45
	v_or_b32_e32 v2, v45, v2
	v_alignbit_b32 v45, v46, v48, 9
	v_or_b32_e32 v44, v45, v44
	v_xor_b32_e32 v44, 1.0, v44
	v_mul_f32_e32 v45, 0x3fc90fda, v44
	v_fma_f32 v46, v44, s36, -v45
	v_fmac_f32_e32 v46, 0x33a22168, v44
	v_fmac_f32_e32 v46, 0x3fc90fda, v2
	v_lshrrev_b32_e32 v43, 30, v43
	v_add_f32_e32 v2, v45, v46
	v_add_u32_e32 v43, v52, v43
	s_andn2_saveexec_b64 s[6:7], s[22:23]
	s_cbranch_execz .LBB96_47
.LBB96_52:                              ;   in Loop: Header=BB96_25 Depth=1
	v_mul_f32_e64 v2, |v35|, s37
	v_rndne_f32_e32 v44, v2
	v_cvt_i32_f32_e32 v43, v44
	v_fma_f32 v2, v44, s38, |v35|
	v_fmac_f32_e32 v2, 0xb3a22168, v44
	v_fmac_f32_e32 v2, 0xa7c234c4, v44
	s_or_b64 exec, exec, s[6:7]
	s_and_saveexec_b64 s[6:7], s[4:5]
	s_xor_b64 s[6:7], exec, s[6:7]
	s_cbranch_execz .LBB96_48
.LBB96_53:                              ;   in Loop: Header=BB96_25 Depth=1
	v_mul_f32_e32 v44, v33, v33
	v_mov_b32_e32 v45, 0xbf039337
	v_fmac_f32_e32 v45, 0x3c971480, v44
	v_fma_f32 v45, v44, v45, v25
	v_rcp_f32_e32 v45, v45
	v_mov_b32_e32 v46, 0x3ec54587
	v_fmac_f32_e32 v46, 0xbc8cedd3, v44
	v_and_b32_e32 v34, 1, v34
	v_mul_f32_e32 v45, v46, v45
	v_mul_f32_e32 v44, v44, v45
	v_fma_f32 v45, v44, v33, v33
	v_rcp_f32_e32 v46, v45
	v_sub_f32_e32 v47, v45, v33
	v_fma_f32 v33, v44, v33, -v47
	v_cmp_eq_u32_e64 s[4:5], 0, v34
	v_fma_f32 v44, v45, -v46, 1.0
	v_fma_f32 v33, v33, -v46, v44
	v_fma_f32 v33, v33, -v46, -v46
	v_cndmask_b32_e64 v33, v33, v45, s[4:5]
	v_xor_b32_e32 v30, v30, v29
	v_xor_b32_e32 v30, v30, v33
	v_cmp_class_f32_e64 s[4:5], v29, s39
	v_cndmask_b32_e64 v29, v28, v30, s[4:5]
	v_cvt_f16_f32_e32 v29, v29
	v_mov_b32_e32 v30, s15
	v_add_co_u32_e64 v44, s[4:5], s14, v6
	v_addc_co_u32_e64 v45, s[4:5], v5, v30, s[4:5]
	global_store_short v[44:45], v29, off
	s_or_b64 exec, exec, s[6:7]
	s_and_saveexec_b64 s[4:5], s[2:3]
	s_cbranch_execz .LBB96_49
.LBB96_54:                              ;   in Loop: Header=BB96_25 Depth=1
	v_mul_f32_e32 v29, v38, v38
	v_mov_b32_e32 v30, 0xbf039337
	v_fmac_f32_e32 v30, 0x3c971480, v29
	v_fma_f32 v30, v29, v30, v25
	v_rcp_f32_e32 v30, v30
	v_mov_b32_e32 v33, 0x3ec54587
	v_fmac_f32_e32 v33, 0xbc8cedd3, v29
	v_and_b32_e32 v34, 1, v39
	v_mul_f32_e32 v30, v33, v30
	v_mul_f32_e32 v29, v29, v30
	v_fma_f32 v30, v29, v38, v38
	v_rcp_f32_e32 v33, v30
	v_sub_f32_e32 v39, v30, v38
	v_fma_f32 v29, v29, v38, -v39
	v_cmp_eq_u32_e64 s[2:3], 0, v34
	v_fma_f32 v38, v30, -v33, 1.0
	v_fma_f32 v29, v29, -v33, v38
	v_fma_f32 v29, v29, -v33, -v33
	v_cndmask_b32_e64 v29, v29, v30, s[2:3]
	v_xor_b32_e32 v30, v32, v31
	v_xor_b32_e32 v29, v30, v29
	v_cmp_class_f32_e64 s[2:3], v31, s39
	v_cndmask_b32_e64 v29, v28, v29, s[2:3]
	v_cvt_f16_f32_e32 v29, v29
	v_mov_b32_e32 v31, s15
	v_add_co_u32_e64 v30, s[2:3], s14, v18
	v_addc_co_u32_e64 v31, s[2:3], v17, v31, s[2:3]
	global_store_short v[30:31], v29, off
	s_or_b64 exec, exec, s[4:5]
	s_and_saveexec_b64 s[2:3], s[0:1]
	s_cbranch_execz .LBB96_50
.LBB96_55:                              ;   in Loop: Header=BB96_25 Depth=1
	v_mul_f32_e32 v29, v41, v41
	v_mov_b32_e32 v30, 0xbf039337
	v_fmac_f32_e32 v30, 0x3c971480, v29
	v_fma_f32 v30, v29, v30, v25
	v_rcp_f32_e32 v30, v30
	v_mov_b32_e32 v31, 0x3ec54587
	v_fmac_f32_e32 v31, 0xbc8cedd3, v29
	v_and_b32_e32 v32, 1, v42
	v_mul_f32_e32 v30, v31, v30
	v_mul_f32_e32 v29, v29, v30
	v_fma_f32 v30, v29, v41, v41
	v_rcp_f32_e32 v31, v30
	v_sub_f32_e32 v33, v30, v41
	v_fma_f32 v29, v29, v41, -v33
	v_cmp_eq_u32_e64 s[0:1], 0, v32
	v_fma_f32 v33, v30, -v31, 1.0
	v_fma_f32 v29, v29, -v31, v33
	v_fma_f32 v29, v29, -v31, -v31
	v_cndmask_b32_e64 v29, v29, v30, s[0:1]
	v_xor_b32_e32 v30, v37, v36
	v_xor_b32_e32 v29, v30, v29
	v_cmp_class_f32_e64 s[0:1], v36, s39
	v_cndmask_b32_e64 v29, v28, v29, s[0:1]
	v_cvt_f16_f32_e32 v29, v29
	v_mov_b32_e32 v31, s15
	v_add_co_u32_e64 v30, s[0:1], s14, v14
	v_addc_co_u32_e64 v31, s[0:1], v13, v31, s[0:1]
	global_store_short v[30:31], v29, off
	s_or_b64 exec, exec, s[2:3]
	s_and_saveexec_b64 s[0:1], vcc
	s_cbranch_execz .LBB96_24
.LBB96_56:                              ;   in Loop: Header=BB96_25 Depth=1
	v_mul_f32_e32 v29, v2, v2
	v_mov_b32_e32 v30, 0xbf039337
	v_fmac_f32_e32 v30, 0x3c971480, v29
	v_fma_f32 v30, v29, v30, v25
	v_rcp_f32_e32 v30, v30
	v_mov_b32_e32 v31, 0x3ec54587
	v_fmac_f32_e32 v31, 0xbc8cedd3, v29
	v_and_b32_e32 v32, 1, v43
	v_mul_f32_e32 v30, v31, v30
	v_mul_f32_e32 v29, v29, v30
	v_fma_f32 v30, v29, v2, v2
	v_rcp_f32_e32 v31, v30
	v_sub_f32_e32 v33, v30, v2
	v_fma_f32 v2, v29, v2, -v33
	v_cmp_eq_u32_e32 vcc, 0, v32
	v_fma_f32 v29, v30, -v31, 1.0
	v_fma_f32 v2, v2, -v31, v29
	v_fma_f32 v2, v2, -v31, -v31
	v_cndmask_b32_e32 v2, v2, v30, vcc
	v_xor_b32_e32 v29, v40, v35
	v_xor_b32_e32 v2, v29, v2
	v_cmp_class_f32_e64 vcc, v35, s39
	v_cndmask_b32_e32 v2, v28, v2, vcc
	v_cvt_f16_f32_e32 v2, v2
	v_mov_b32_e32 v29, s15
	v_add_co_u32_e32 v30, vcc, s14, v10
	v_addc_co_u32_e32 v31, vcc, v9, v29, vcc
	global_store_short v[30:31], v2, off
	s_branch .LBB96_24
.LBB96_57:
	s_endpgm
	.section	.rodata,"a",@progbits
	.p2align	6, 0x0
	.amdhsa_kernel _ZN2at6native12_GLOBAL__N_125multi_tensor_apply_kernelINS1_18TensorListMetadataILi2EEENS1_14UnaryOpFunctorIN3c104HalfELi2ELi1ELi1EEEJNS0_3TanIfEEEEEvT_T0_DpT1_
		.amdhsa_group_segment_fixed_size 0
		.amdhsa_private_segment_fixed_size 0
		.amdhsa_kernarg_size 3408
		.amdhsa_user_sgpr_count 6
		.amdhsa_user_sgpr_private_segment_buffer 1
		.amdhsa_user_sgpr_dispatch_ptr 0
		.amdhsa_user_sgpr_queue_ptr 0
		.amdhsa_user_sgpr_kernarg_segment_ptr 1
		.amdhsa_user_sgpr_dispatch_id 0
		.amdhsa_user_sgpr_flat_scratch_init 0
		.amdhsa_user_sgpr_kernarg_preload_length 0
		.amdhsa_user_sgpr_kernarg_preload_offset 0
		.amdhsa_user_sgpr_private_segment_size 0
		.amdhsa_uses_dynamic_stack 0
		.amdhsa_system_sgpr_private_segment_wavefront_offset 0
		.amdhsa_system_sgpr_workgroup_id_x 1
		.amdhsa_system_sgpr_workgroup_id_y 0
		.amdhsa_system_sgpr_workgroup_id_z 0
		.amdhsa_system_sgpr_workgroup_info 0
		.amdhsa_system_vgpr_workitem_id 0
		.amdhsa_next_free_vgpr 58
		.amdhsa_next_free_sgpr 44
		.amdhsa_accum_offset 60
		.amdhsa_reserve_vcc 1
		.amdhsa_reserve_flat_scratch 0
		.amdhsa_float_round_mode_32 0
		.amdhsa_float_round_mode_16_64 0
		.amdhsa_float_denorm_mode_32 3
		.amdhsa_float_denorm_mode_16_64 3
		.amdhsa_dx10_clamp 1
		.amdhsa_ieee_mode 1
		.amdhsa_fp16_overflow 0
		.amdhsa_tg_split 0
		.amdhsa_exception_fp_ieee_invalid_op 0
		.amdhsa_exception_fp_denorm_src 0
		.amdhsa_exception_fp_ieee_div_zero 0
		.amdhsa_exception_fp_ieee_overflow 0
		.amdhsa_exception_fp_ieee_underflow 0
		.amdhsa_exception_fp_ieee_inexact 0
		.amdhsa_exception_int_div_zero 0
	.end_amdhsa_kernel
	.section	.text._ZN2at6native12_GLOBAL__N_125multi_tensor_apply_kernelINS1_18TensorListMetadataILi2EEENS1_14UnaryOpFunctorIN3c104HalfELi2ELi1ELi1EEEJNS0_3TanIfEEEEEvT_T0_DpT1_,"axG",@progbits,_ZN2at6native12_GLOBAL__N_125multi_tensor_apply_kernelINS1_18TensorListMetadataILi2EEENS1_14UnaryOpFunctorIN3c104HalfELi2ELi1ELi1EEEJNS0_3TanIfEEEEEvT_T0_DpT1_,comdat
.Lfunc_end96:
	.size	_ZN2at6native12_GLOBAL__N_125multi_tensor_apply_kernelINS1_18TensorListMetadataILi2EEENS1_14UnaryOpFunctorIN3c104HalfELi2ELi1ELi1EEEJNS0_3TanIfEEEEEvT_T0_DpT1_, .Lfunc_end96-_ZN2at6native12_GLOBAL__N_125multi_tensor_apply_kernelINS1_18TensorListMetadataILi2EEENS1_14UnaryOpFunctorIN3c104HalfELi2ELi1ELi1EEEJNS0_3TanIfEEEEEvT_T0_DpT1_
                                        ; -- End function
	.section	.AMDGPU.csdata,"",@progbits
; Kernel info:
; codeLenInByte = 7596
; NumSgprs: 48
; NumVgprs: 58
; NumAgprs: 0
; TotalNumVgprs: 58
; ScratchSize: 0
; MemoryBound: 0
; FloatMode: 240
; IeeeMode: 1
; LDSByteSize: 0 bytes/workgroup (compile time only)
; SGPRBlocks: 5
; VGPRBlocks: 7
; NumSGPRsForWavesPerEU: 48
; NumVGPRsForWavesPerEU: 58
; AccumOffset: 60
; Occupancy: 8
; WaveLimiterHint : 0
; COMPUTE_PGM_RSRC2:SCRATCH_EN: 0
; COMPUTE_PGM_RSRC2:USER_SGPR: 6
; COMPUTE_PGM_RSRC2:TRAP_HANDLER: 0
; COMPUTE_PGM_RSRC2:TGID_X_EN: 1
; COMPUTE_PGM_RSRC2:TGID_Y_EN: 0
; COMPUTE_PGM_RSRC2:TGID_Z_EN: 0
; COMPUTE_PGM_RSRC2:TIDIG_COMP_CNT: 0
; COMPUTE_PGM_RSRC3_GFX90A:ACCUM_OFFSET: 14
; COMPUTE_PGM_RSRC3_GFX90A:TG_SPLIT: 0
	.section	.text._ZN2at6native12_GLOBAL__N_125multi_tensor_apply_kernelINS1_18TensorListMetadataILi2EEENS1_14UnaryOpFunctorIN3c108BFloat16ELi2ELi1ELi1EEEJNS0_3TanIfEEEEEvT_T0_DpT1_,"axG",@progbits,_ZN2at6native12_GLOBAL__N_125multi_tensor_apply_kernelINS1_18TensorListMetadataILi2EEENS1_14UnaryOpFunctorIN3c108BFloat16ELi2ELi1ELi1EEEJNS0_3TanIfEEEEEvT_T0_DpT1_,comdat
	.globl	_ZN2at6native12_GLOBAL__N_125multi_tensor_apply_kernelINS1_18TensorListMetadataILi2EEENS1_14UnaryOpFunctorIN3c108BFloat16ELi2ELi1ELi1EEEJNS0_3TanIfEEEEEvT_T0_DpT1_ ; -- Begin function _ZN2at6native12_GLOBAL__N_125multi_tensor_apply_kernelINS1_18TensorListMetadataILi2EEENS1_14UnaryOpFunctorIN3c108BFloat16ELi2ELi1ELi1EEEJNS0_3TanIfEEEEEvT_T0_DpT1_
	.p2align	8
	.type	_ZN2at6native12_GLOBAL__N_125multi_tensor_apply_kernelINS1_18TensorListMetadataILi2EEENS1_14UnaryOpFunctorIN3c108BFloat16ELi2ELi1ELi1EEEJNS0_3TanIfEEEEEvT_T0_DpT1_,@function
_ZN2at6native12_GLOBAL__N_125multi_tensor_apply_kernelINS1_18TensorListMetadataILi2EEENS1_14UnaryOpFunctorIN3c108BFloat16ELi2ELi1ELi1EEEJNS0_3TanIfEEEEEvT_T0_DpT1_: ; @_ZN2at6native12_GLOBAL__N_125multi_tensor_apply_kernelINS1_18TensorListMetadataILi2EEENS1_14UnaryOpFunctorIN3c108BFloat16ELi2ELi1ELi1EEEJNS0_3TanIfEEEEEvT_T0_DpT1_
; %bb.0:
	v_mov_b32_e32 v1, s6
	global_load_ubyte v1, v1, s[4:5] offset:1536
	s_add_u32 s0, s4, s6
	s_mul_hi_u32 s3, s6, 3
	s_mul_i32 s6, s6, 3
	s_addc_u32 s7, s5, 0
	s_add_u32 s2, s0, s6
	s_addc_u32 s3, s7, s3
	s_mov_b32 s13, 0
	s_mov_b32 s1, s13
	s_waitcnt vmcnt(0)
	v_readfirstlane_b32 s0, v1
	s_lshl_b32 s0, s0, 3
	s_load_dword s6, s[2:3], 0x740
	s_load_dwordx2 s[10:11], s[4:5], s0 offset:0x0
	s_load_dwordx2 s[16:17], s[4:5], s0 offset:0x400
	;; [unrolled: 1-line block ×3, first 2 shown]
	s_mov_b32 s3, s13
	s_waitcnt lgkmcnt(0)
	s_ashr_i32 s7, s6, 31
	s_and_b32 s12, s10, 7
	s_and_b32 s2, s16, 3
	;; [unrolled: 1-line block ×3, first 2 shown]
	s_or_b64 s[2:3], s[12:13], s[2:3]
	s_lshl_b64 s[14:15], s[6:7], 17
	s_or_b64 s[0:1], s[0:1], s[2:3]
	s_lshl_b64 s[2:3], s[6:7], 16
	s_sub_u32 s16, s16, s2
	s_subb_u32 s17, s17, s3
	s_cmp_eq_u64 s[0:1], 0
	s_mov_b64 s[0:1], -1
	s_cbranch_scc0 .LBB97_21
; %bb.1:
	v_mov_b32_e32 v3, 0
	v_lshlrev_b32_e32 v2, 2, v0
	v_cmp_gt_i64_e32 vcc, s[16:17], v[2:3]
	s_and_saveexec_b64 s[18:19], vcc
	s_cbranch_execz .LBB97_20
; %bb.2:
	s_load_dword s0, s[4:5], 0xc5c
	v_lshlrev_b32_e32 v1, 3, v0
	v_mov_b32_e32 v2, s15
	v_add_co_u32_e32 v4, vcc, s14, v1
	s_waitcnt lgkmcnt(0)
	s_and_b32 s0, s0, 0xffff
	v_addc_co_u32_e32 v1, vcc, 0, v2, vcc
	v_add_lshl_u32 v2, v0, s0, 2
	s_lshl_b32 s12, s0, 3
	s_lshl_b32 s26, s0, 2
	s_mov_b32 s27, s13
	s_mov_b64 s[20:21], 0
	v_mov_b32_e32 v5, s11
	s_brev_b32 s28, 18
	s_mov_b32 s29, 0xfe5163ab
	s_mov_b32 s30, 0x3c439041
	;; [unrolled: 1-line block ×10, first 2 shown]
	v_mov_b32_e32 v10, 0x3f93f425
	s_movk_i32 s40, 0x1f8
	s_movk_i32 s41, 0x7fff
	s_mov_b64 s[22:23], 0xffff
	v_not_b32_e32 v11, 63
	v_not_b32_e32 v12, 31
	v_mov_b32_e32 v13, 0x7fc00000
	v_mov_b32_e32 v14, 0x7fc0
	v_pk_mov_b32 v[6:7], v[2:3], v[2:3] op_sel:[0,1]
	s_branch .LBB97_4
.LBB97_3:                               ;   in Loop: Header=BB97_4 Depth=1
	s_or_b64 exec, exec, s[0:1]
	v_mul_f32_e32 v28, v25, v25
	v_mov_b32_e32 v29, 0xbf039337
	v_fmac_f32_e32 v29, 0x3c971480, v28
	v_fma_f32 v29, v28, v29, v10
	v_rcp_f32_e32 v29, v29
	v_mov_b32_e32 v30, 0x3ec54587
	v_fmac_f32_e32 v30, 0xbc8cedd3, v28
	v_and_b32_e32 v26, 1, v26
	v_mul_f32_e32 v29, v30, v29
	v_mul_f32_e32 v28, v28, v29
	v_fma_f32 v29, v28, v25, v25
	v_rcp_f32_e32 v30, v29
	v_sub_f32_e32 v31, v29, v25
	v_fma_f32 v25, v28, v25, -v31
	v_cmp_eq_u32_e32 vcc, 0, v26
	v_fma_f32 v28, v29, -v30, 1.0
	v_fma_f32 v25, v25, -v30, v28
	v_fma_f32 v25, v25, -v30, -v30
	v_cndmask_b32_e32 v25, v25, v29, vcc
	v_xor_b32_e32 v23, v23, v25
	v_mul_f32_e32 v25, v21, v21
	v_mov_b32_e32 v26, 0xbf039337
	v_xor_b32_e32 v23, v23, v8
	v_cmp_class_f32_e64 vcc, v8, s40
	v_fmac_f32_e32 v26, 0x3c971480, v25
	v_cndmask_b32_e32 v23, v13, v23, vcc
	v_fma_f32 v26, v25, v26, v10
	v_bfe_u32 v8, v23, 16, 1
	v_rcp_f32_e32 v26, v26
	v_add3_u32 v8, v23, v8, s41
	v_lshrrev_b32_e32 v28, 16, v8
	v_mov_b32_e32 v8, 0x3ec54587
	v_fmac_f32_e32 v8, 0xbc8cedd3, v25
	v_mul_f32_e32 v8, v8, v26
	v_mul_f32_e32 v8, v25, v8
	v_fma_f32 v25, v8, v21, v21
	v_rcp_f32_e32 v26, v25
	v_sub_f32_e32 v29, v25, v21
	v_fma_f32 v8, v8, v21, -v29
	v_and_b32_e32 v22, 1, v22
	v_fma_f32 v21, v25, -v26, 1.0
	v_fma_f32 v8, v8, -v26, v21
	v_fma_f32 v8, v8, -v26, -v26
	v_cmp_eq_u32_e32 vcc, 0, v22
	v_cndmask_b32_e32 v8, v8, v25, vcc
	v_xor_b32_e32 v8, v20, v8
	v_mul_f32_e32 v20, v17, v17
	v_mov_b32_e32 v21, 0xbf039337
	v_xor_b32_e32 v8, v8, v19
	v_cmp_class_f32_e64 vcc, v19, s40
	v_fmac_f32_e32 v21, 0x3c971480, v20
	v_cndmask_b32_e32 v19, v13, v8, vcc
	v_fma_f32 v21, v20, v21, v10
	v_bfe_u32 v8, v19, 16, 1
	v_rcp_f32_e32 v21, v21
	v_add3_u32 v8, v19, v8, s41
	v_and_b32_e32 v22, 0xffff0000, v8
	v_mov_b32_e32 v8, 0x3ec54587
	v_fmac_f32_e32 v8, 0xbc8cedd3, v20
	v_mul_f32_e32 v8, v8, v21
	v_mul_f32_e32 v8, v20, v8
	v_fma_f32 v20, v8, v17, v17
	v_rcp_f32_e32 v21, v20
	v_sub_f32_e32 v25, v20, v17
	v_fma_f32 v8, v8, v17, -v25
	v_and_b32_e32 v18, 1, v18
	v_fma_f32 v17, v20, -v21, 1.0
	v_fma_f32 v8, v8, -v21, v17
	v_fma_f32 v8, v8, -v21, -v21
	v_cmp_eq_u32_e32 vcc, 0, v18
	v_cndmask_b32_e32 v8, v8, v20, vcc
	v_xor_b32_e32 v8, v16, v8
	v_mul_f32_e32 v16, v2, v2
	v_mov_b32_e32 v17, 0xbf039337
	v_xor_b32_e32 v8, v8, v15
	v_cmp_class_f32_e64 vcc, v15, s40
	v_fmac_f32_e32 v17, 0x3c971480, v16
	v_cndmask_b32_e32 v15, v13, v8, vcc
	v_fma_f32 v17, v16, v17, v10
	v_bfe_u32 v8, v15, 16, 1
	v_rcp_f32_e32 v17, v17
	v_add3_u32 v8, v15, v8, s41
	v_lshrrev_b32_e32 v18, 16, v8
	v_mov_b32_e32 v8, 0x3ec54587
	v_fmac_f32_e32 v8, 0xbc8cedd3, v16
	v_mul_f32_e32 v8, v8, v17
	v_mul_f32_e32 v8, v16, v8
	v_fma_f32 v16, v8, v2, v2
	v_rcp_f32_e32 v17, v16
	v_sub_f32_e32 v21, v16, v2
	v_fma_f32 v2, v8, v2, -v21
	v_and_b32_e32 v20, 1, v27
	v_fma_f32 v8, v16, -v17, 1.0
	v_fma_f32 v2, v2, -v17, v8
	v_fma_f32 v2, v2, -v17, -v17
	v_cmp_eq_u32_e32 vcc, 0, v20
	v_cndmask_b32_e32 v2, v2, v16, vcc
	v_xor_b32_e32 v2, v24, v2
	v_xor_b32_e32 v2, v2, v9
	v_cmp_class_f32_e64 vcc, v9, s40
	v_cndmask_b32_e32 v2, v13, v2, vcc
	v_bfe_u32 v8, v2, 16, 1
	v_add3_u32 v16, v2, v8, s41
	v_mov_b32_e32 v9, s9
	v_add_co_u32_e32 v8, vcc, s8, v4
	v_addc_co_u32_e32 v9, vcc, v9, v1, vcc
	v_and_b32_e32 v16, 0xffff0000, v16
	v_cmp_o_f32_e32 vcc, v2, v2
	v_cndmask_b32_e32 v2, v13, v16, vcc
	v_cmp_o_f32_e32 vcc, v23, v23
	v_cndmask_b32_e32 v16, v14, v28, vcc
	;; [unrolled: 2-line block ×4, first 2 shown]
	v_cmp_le_i64_e32 vcc, s[16:17], v[6:7]
	v_cmp_lt_u64_e64 s[0:1], s[22:23], v[6:7]
	v_or_b32_e32 v15, v17, v15
	v_or3_b32 v17, 0, v16, v2
	s_or_b64 s[0:1], vcc, s[0:1]
	v_mov_b32_e32 v2, s13
	v_add_co_u32_e32 v4, vcc, s12, v4
	v_addc_co_u32_e32 v1, vcc, v1, v2, vcc
	v_mov_b32_e32 v2, s27
	s_and_b64 s[0:1], exec, s[0:1]
	v_add_co_u32_e32 v6, vcc, s26, v6
	v_or3_b32 v16, v15, 0, 0
	s_or_b64 s[20:21], s[0:1], s[20:21]
	v_addc_co_u32_e32 v7, vcc, v7, v2, vcc
	global_store_dwordx2 v[8:9], v[16:17], off
	s_andn2_b64 exec, exec, s[20:21]
	s_cbranch_execz .LBB97_20
.LBB97_4:                               ; =>This Inner Loop Header: Depth=1
	v_add_co_u32_e32 v8, vcc, s10, v4
	v_addc_co_u32_e32 v9, vcc, v5, v1, vcc
	global_load_dwordx2 v[8:9], v[8:9], off
                                        ; implicit-def: $vgpr18
                                        ; implicit-def: $vgpr17
	s_waitcnt vmcnt(0)
	v_lshlrev_b32_e32 v15, 16, v8
	v_and_b32_e32 v16, 0x7fffffff, v15
	v_cmp_nlt_f32_e64 s[0:1], |v15|, s28
	s_and_saveexec_b64 s[2:3], s[0:1]
	s_xor_b64 s[24:25], exec, s[2:3]
	s_cbranch_execz .LBB97_6
; %bb.5:                                ;   in Loop: Header=BB97_4 Depth=1
	v_lshrrev_b32_e32 v2, 23, v16
	v_add_u32_e32 v2, 0xffffff88, v2
	v_cmp_lt_u32_e32 vcc, 63, v2
	v_cndmask_b32_e32 v17, 0, v11, vcc
	v_add_u32_e32 v2, v17, v2
	v_cmp_lt_u32_e64 s[0:1], 31, v2
	v_cndmask_b32_e64 v17, 0, v12, s[0:1]
	v_add_u32_e32 v2, v17, v2
	v_cmp_lt_u32_e64 s[2:3], 31, v2
	v_cndmask_b32_e64 v17, 0, v12, s[2:3]
	v_add_u32_e32 v17, v17, v2
	v_and_b32_e32 v2, 0x7fffff, v16
	v_or_b32_e32 v30, 0x800000, v2
	v_mad_u64_u32 v[18:19], s[6:7], v30, s29, 0
	v_mov_b32_e32 v2, v19
	v_mad_u64_u32 v[20:21], s[6:7], v30, s30, v[2:3]
	v_mov_b32_e32 v2, v21
	;; [unrolled: 2-line block ×6, first 2 shown]
	v_mad_u64_u32 v[30:31], s[6:7], v30, s36, v[2:3]
	v_cndmask_b32_e32 v19, v28, v24, vcc
	v_cndmask_b32_e32 v2, v30, v26, vcc
	;; [unrolled: 1-line block ×3, first 2 shown]
	v_cndmask_b32_e64 v21, v2, v19, s[0:1]
	v_cndmask_b32_e64 v2, v23, v2, s[0:1]
	v_cndmask_b32_e32 v23, v26, v22, vcc
	v_cndmask_b32_e64 v19, v19, v23, s[0:1]
	v_sub_u32_e32 v25, 32, v17
	v_cmp_eq_u32_e64 s[6:7], 0, v17
	v_cndmask_b32_e32 v17, v24, v20, vcc
	v_cndmask_b32_e64 v2, v2, v21, s[2:3]
	v_cndmask_b32_e64 v21, v21, v19, s[2:3]
	;; [unrolled: 1-line block ×3, first 2 shown]
	v_alignbit_b32 v26, v2, v21, v25
	v_cndmask_b32_e64 v19, v19, v20, s[2:3]
	v_cndmask_b32_e64 v2, v26, v2, s[6:7]
	v_alignbit_b32 v23, v21, v19, v25
	v_cndmask_b32_e64 v21, v23, v21, s[6:7]
	v_bfe_u32 v26, v2, 29, 1
	v_cndmask_b32_e32 v18, v22, v18, vcc
	v_alignbit_b32 v23, v2, v21, 30
	v_sub_u32_e32 v27, 0, v26
	v_cndmask_b32_e64 v17, v17, v18, s[0:1]
	v_xor_b32_e32 v28, v23, v27
	v_cndmask_b32_e64 v17, v20, v17, s[2:3]
	v_alignbit_b32 v18, v19, v17, v25
	v_ffbh_u32_e32 v20, v28
	v_cndmask_b32_e64 v18, v18, v19, s[6:7]
	v_add_u32_e32 v20, 1, v20
	v_cmp_ne_u32_e32 vcc, v23, v27
	v_alignbit_b32 v19, v21, v18, 30
	v_cndmask_b32_e32 v20, 33, v20, vcc
	v_alignbit_b32 v17, v18, v17, 30
	v_xor_b32_e32 v19, v19, v27
	v_sub_u32_e32 v21, 32, v20
	v_xor_b32_e32 v17, v17, v27
	v_alignbit_b32 v22, v28, v19, v21
	v_alignbit_b32 v17, v19, v17, v21
	;; [unrolled: 1-line block ×3, first 2 shown]
	v_ffbh_u32_e32 v19, v18
	v_min_u32_e32 v19, 32, v19
	v_lshrrev_b32_e32 v24, 29, v2
	v_sub_u32_e32 v21, 31, v19
	v_alignbit_b32 v17, v18, v17, v21
	v_lshlrev_b32_e32 v18, 31, v24
	v_or_b32_e32 v21, 0x33800000, v18
	v_add_lshl_u32 v19, v19, v20, 23
	v_lshrrev_b32_e32 v17, 9, v17
	v_sub_u32_e32 v19, v21, v19
	v_or_b32_e32 v17, v19, v17
	v_alignbit_b32 v19, v20, v22, 9
	v_or_b32_e32 v18, v19, v18
	v_xor_b32_e32 v18, 1.0, v18
	v_mul_f32_e32 v19, 0x3fc90fda, v18
	v_fma_f32 v20, v18, s37, -v19
	v_fmac_f32_e32 v20, 0x33a22168, v18
	v_fmac_f32_e32 v20, 0x3fc90fda, v17
	v_lshrrev_b32_e32 v2, 30, v2
	v_add_f32_e32 v17, v19, v20
	v_add_u32_e32 v18, v26, v2
.LBB97_6:                               ;   in Loop: Header=BB97_4 Depth=1
	s_andn2_saveexec_b64 s[0:1], s[24:25]
; %bb.7:                                ;   in Loop: Header=BB97_4 Depth=1
	v_mul_f32_e64 v2, |v15|, s38
	v_rndne_f32_e32 v2, v2
	v_cvt_i32_f32_e32 v18, v2
	v_fma_f32 v17, v2, s39, |v15|
	v_fmac_f32_e32 v17, 0xb3a22168, v2
	v_fmac_f32_e32 v17, 0xa7c234c4, v2
; %bb.8:                                ;   in Loop: Header=BB97_4 Depth=1
	s_or_b64 exec, exec, s[0:1]
	v_and_b32_e32 v19, 0xffff0000, v8
	v_and_b32_e32 v20, 0x7fffffff, v19
	v_cmp_nlt_f32_e64 s[0:1], |v19|, s28
                                        ; implicit-def: $vgpr22
                                        ; implicit-def: $vgpr21
	s_and_saveexec_b64 s[2:3], s[0:1]
	s_xor_b64 s[24:25], exec, s[2:3]
	s_cbranch_execz .LBB97_10
; %bb.9:                                ;   in Loop: Header=BB97_4 Depth=1
	v_lshrrev_b32_e32 v2, 23, v20
	v_add_u32_e32 v2, 0xffffff88, v2
	v_cmp_lt_u32_e32 vcc, 63, v2
	v_cndmask_b32_e32 v21, 0, v11, vcc
	v_add_u32_e32 v2, v21, v2
	v_cmp_lt_u32_e64 s[0:1], 31, v2
	v_cndmask_b32_e64 v21, 0, v12, s[0:1]
	v_add_u32_e32 v2, v21, v2
	v_cmp_lt_u32_e64 s[2:3], 31, v2
	v_cndmask_b32_e64 v21, 0, v12, s[2:3]
	v_add_u32_e32 v21, v21, v2
	v_and_b32_e32 v2, 0x7fffff, v20
	v_or_b32_e32 v34, 0x800000, v2
	v_mad_u64_u32 v[22:23], s[6:7], v34, s29, 0
	v_mov_b32_e32 v2, v23
	v_mad_u64_u32 v[24:25], s[6:7], v34, s30, v[2:3]
	v_mov_b32_e32 v2, v25
	;; [unrolled: 2-line block ×6, first 2 shown]
	v_mad_u64_u32 v[34:35], s[6:7], v34, s36, v[2:3]
	v_cndmask_b32_e32 v23, v32, v28, vcc
	v_cndmask_b32_e32 v2, v34, v30, vcc
	;; [unrolled: 1-line block ×3, first 2 shown]
	v_cndmask_b32_e64 v25, v2, v23, s[0:1]
	v_cndmask_b32_e64 v2, v27, v2, s[0:1]
	v_cndmask_b32_e32 v27, v30, v26, vcc
	v_cndmask_b32_e64 v23, v23, v27, s[0:1]
	v_sub_u32_e32 v29, 32, v21
	v_cmp_eq_u32_e64 s[6:7], 0, v21
	v_cndmask_b32_e32 v21, v28, v24, vcc
	v_cndmask_b32_e64 v2, v2, v25, s[2:3]
	v_cndmask_b32_e64 v25, v25, v23, s[2:3]
	;; [unrolled: 1-line block ×3, first 2 shown]
	v_alignbit_b32 v30, v2, v25, v29
	v_cndmask_b32_e64 v23, v23, v24, s[2:3]
	v_cndmask_b32_e64 v2, v30, v2, s[6:7]
	v_alignbit_b32 v27, v25, v23, v29
	v_cndmask_b32_e64 v25, v27, v25, s[6:7]
	v_bfe_u32 v30, v2, 29, 1
	v_cndmask_b32_e32 v22, v26, v22, vcc
	v_alignbit_b32 v27, v2, v25, 30
	v_sub_u32_e32 v31, 0, v30
	v_cndmask_b32_e64 v21, v21, v22, s[0:1]
	v_xor_b32_e32 v32, v27, v31
	v_cndmask_b32_e64 v21, v24, v21, s[2:3]
	v_alignbit_b32 v22, v23, v21, v29
	v_ffbh_u32_e32 v24, v32
	v_cndmask_b32_e64 v22, v22, v23, s[6:7]
	v_add_u32_e32 v24, 1, v24
	v_cmp_ne_u32_e32 vcc, v27, v31
	v_alignbit_b32 v23, v25, v22, 30
	v_cndmask_b32_e32 v24, 33, v24, vcc
	v_alignbit_b32 v21, v22, v21, 30
	v_xor_b32_e32 v23, v23, v31
	v_sub_u32_e32 v25, 32, v24
	v_xor_b32_e32 v21, v21, v31
	v_alignbit_b32 v26, v32, v23, v25
	v_alignbit_b32 v21, v23, v21, v25
	;; [unrolled: 1-line block ×3, first 2 shown]
	v_ffbh_u32_e32 v23, v22
	v_min_u32_e32 v23, 32, v23
	v_lshrrev_b32_e32 v28, 29, v2
	v_sub_u32_e32 v25, 31, v23
	v_alignbit_b32 v21, v22, v21, v25
	v_lshlrev_b32_e32 v22, 31, v28
	v_or_b32_e32 v25, 0x33800000, v22
	v_add_lshl_u32 v23, v23, v24, 23
	v_lshrrev_b32_e32 v21, 9, v21
	v_sub_u32_e32 v23, v25, v23
	v_or_b32_e32 v21, v23, v21
	v_alignbit_b32 v23, v24, v26, 9
	v_or_b32_e32 v22, v23, v22
	v_xor_b32_e32 v22, 1.0, v22
	v_mul_f32_e32 v23, 0x3fc90fda, v22
	v_fma_f32 v24, v22, s37, -v23
	v_fmac_f32_e32 v24, 0x33a22168, v22
	v_fmac_f32_e32 v24, 0x3fc90fda, v21
	v_lshrrev_b32_e32 v2, 30, v2
	v_add_f32_e32 v21, v23, v24
	v_add_u32_e32 v22, v30, v2
.LBB97_10:                              ;   in Loop: Header=BB97_4 Depth=1
	s_andn2_saveexec_b64 s[0:1], s[24:25]
; %bb.11:                               ;   in Loop: Header=BB97_4 Depth=1
	v_mul_f32_e64 v2, |v19|, s38
	v_rndne_f32_e32 v2, v2
	v_cvt_i32_f32_e32 v22, v2
	v_fma_f32 v21, v2, s39, |v19|
	v_fmac_f32_e32 v21, 0xb3a22168, v2
	v_fmac_f32_e32 v21, 0xa7c234c4, v2
; %bb.12:                               ;   in Loop: Header=BB97_4 Depth=1
	s_or_b64 exec, exec, s[0:1]
	v_alignbit_b32 v2, v9, v8, 16
	v_and_b32_e32 v8, 0xffff0000, v2
	v_and_b32_e32 v23, 0x7fffffff, v8
	v_cmp_nlt_f32_e64 s[0:1], |v8|, s28
                                        ; implicit-def: $vgpr26
                                        ; implicit-def: $vgpr25
	s_and_saveexec_b64 s[2:3], s[0:1]
	s_xor_b64 s[24:25], exec, s[2:3]
	s_cbranch_execz .LBB97_14
; %bb.13:                               ;   in Loop: Header=BB97_4 Depth=1
	v_lshrrev_b32_e32 v2, 23, v23
	v_add_u32_e32 v2, 0xffffff88, v2
	v_cmp_lt_u32_e32 vcc, 63, v2
	v_cndmask_b32_e32 v24, 0, v11, vcc
	v_add_u32_e32 v2, v24, v2
	v_cmp_lt_u32_e64 s[0:1], 31, v2
	v_cndmask_b32_e64 v24, 0, v12, s[0:1]
	v_add_u32_e32 v2, v24, v2
	v_cmp_lt_u32_e64 s[2:3], 31, v2
	v_cndmask_b32_e64 v24, 0, v12, s[2:3]
	v_add_u32_e32 v38, v24, v2
	v_and_b32_e32 v2, 0x7fffff, v23
	v_or_b32_e32 v36, 0x800000, v2
	v_mad_u64_u32 v[24:25], s[6:7], v36, s29, 0
	v_mov_b32_e32 v2, v25
	v_mad_u64_u32 v[26:27], s[6:7], v36, s30, v[2:3]
	v_mov_b32_e32 v2, v27
	v_mad_u64_u32 v[28:29], s[6:7], v36, s31, v[2:3]
	v_mov_b32_e32 v2, v29
	v_mad_u64_u32 v[30:31], s[6:7], v36, s33, v[2:3]
	v_mov_b32_e32 v2, v31
	v_mad_u64_u32 v[32:33], s[6:7], v36, s34, v[2:3]
	v_mov_b32_e32 v2, v33
	v_mad_u64_u32 v[34:35], s[6:7], v36, s35, v[2:3]
	v_mov_b32_e32 v2, v35
	v_mad_u64_u32 v[36:37], s[6:7], v36, s36, v[2:3]
	v_cndmask_b32_e32 v25, v34, v30, vcc
	v_cndmask_b32_e32 v2, v36, v32, vcc
	;; [unrolled: 1-line block ×3, first 2 shown]
	v_cndmask_b32_e64 v27, v2, v25, s[0:1]
	v_cndmask_b32_e64 v2, v29, v2, s[0:1]
	v_cndmask_b32_e32 v29, v32, v28, vcc
	v_cndmask_b32_e64 v25, v25, v29, s[0:1]
	v_cndmask_b32_e32 v26, v30, v26, vcc
	v_cndmask_b32_e64 v2, v2, v27, s[2:3]
	v_cndmask_b32_e64 v27, v27, v25, s[2:3]
	v_sub_u32_e32 v31, 32, v38
	v_cndmask_b32_e64 v29, v29, v26, s[0:1]
	v_alignbit_b32 v32, v2, v27, v31
	v_cmp_eq_u32_e64 s[6:7], 0, v38
	v_cndmask_b32_e64 v25, v25, v29, s[2:3]
	v_cndmask_b32_e32 v24, v28, v24, vcc
	v_cndmask_b32_e64 v2, v32, v2, s[6:7]
	v_alignbit_b32 v30, v27, v25, v31
	v_cndmask_b32_e64 v24, v26, v24, s[0:1]
	v_cndmask_b32_e64 v27, v30, v27, s[6:7]
	v_bfe_u32 v33, v2, 29, 1
	v_cndmask_b32_e64 v24, v29, v24, s[2:3]
	v_alignbit_b32 v30, v2, v27, 30
	v_sub_u32_e32 v34, 0, v33
	v_alignbit_b32 v26, v25, v24, v31
	v_xor_b32_e32 v35, v30, v34
	v_cndmask_b32_e64 v25, v26, v25, s[6:7]
	v_alignbit_b32 v26, v27, v25, 30
	v_ffbh_u32_e32 v27, v35
	v_add_u32_e32 v27, 1, v27
	v_cmp_ne_u32_e32 vcc, v30, v34
	v_cndmask_b32_e32 v27, 33, v27, vcc
	v_alignbit_b32 v24, v25, v24, 30
	v_xor_b32_e32 v26, v26, v34
	v_sub_u32_e32 v28, 32, v27
	v_xor_b32_e32 v24, v24, v34
	v_alignbit_b32 v29, v35, v26, v28
	v_alignbit_b32 v24, v26, v24, v28
	;; [unrolled: 1-line block ×3, first 2 shown]
	v_ffbh_u32_e32 v26, v25
	v_min_u32_e32 v26, 32, v26
	v_lshrrev_b32_e32 v32, 29, v2
	v_sub_u32_e32 v28, 31, v26
	v_alignbit_b32 v24, v25, v24, v28
	v_lshlrev_b32_e32 v25, 31, v32
	v_or_b32_e32 v28, 0x33800000, v25
	v_add_lshl_u32 v26, v26, v27, 23
	v_lshrrev_b32_e32 v24, 9, v24
	v_sub_u32_e32 v26, v28, v26
	v_or_b32_e32 v24, v26, v24
	v_alignbit_b32 v26, v27, v29, 9
	v_or_b32_e32 v25, v26, v25
	v_xor_b32_e32 v25, 1.0, v25
	v_mul_f32_e32 v26, 0x3fc90fda, v25
	v_fma_f32 v27, v25, s37, -v26
	v_fmac_f32_e32 v27, 0x33a22168, v25
	v_fmac_f32_e32 v27, 0x3fc90fda, v24
	v_lshrrev_b32_e32 v2, 30, v2
	v_add_f32_e32 v25, v26, v27
	v_add_u32_e32 v26, v33, v2
.LBB97_14:                              ;   in Loop: Header=BB97_4 Depth=1
	s_andn2_saveexec_b64 s[0:1], s[24:25]
; %bb.15:                               ;   in Loop: Header=BB97_4 Depth=1
	v_mul_f32_e64 v2, |v8|, s38
	v_rndne_f32_e32 v2, v2
	v_cvt_i32_f32_e32 v26, v2
	v_fma_f32 v25, v2, s39, |v8|
	v_fmac_f32_e32 v25, 0xb3a22168, v2
	v_fmac_f32_e32 v25, 0xa7c234c4, v2
; %bb.16:                               ;   in Loop: Header=BB97_4 Depth=1
	s_or_b64 exec, exec, s[0:1]
	v_and_b32_e32 v9, 0xffff0000, v9
	v_and_b32_e32 v24, 0x7fffffff, v9
	v_cmp_nlt_f32_e64 s[0:1], |v9|, s28
                                        ; implicit-def: $vgpr27
                                        ; implicit-def: $vgpr2
	s_and_saveexec_b64 s[2:3], s[0:1]
	s_xor_b64 s[24:25], exec, s[2:3]
	s_cbranch_execz .LBB97_18
; %bb.17:                               ;   in Loop: Header=BB97_4 Depth=1
	v_lshrrev_b32_e32 v2, 23, v24
	v_add_u32_e32 v2, 0xffffff88, v2
	v_cmp_lt_u32_e32 vcc, 63, v2
	v_cndmask_b32_e32 v27, 0, v11, vcc
	v_add_u32_e32 v2, v27, v2
	v_cmp_lt_u32_e64 s[0:1], 31, v2
	v_cndmask_b32_e64 v27, 0, v12, s[0:1]
	v_add_u32_e32 v2, v27, v2
	v_cmp_lt_u32_e64 s[2:3], 31, v2
	v_cndmask_b32_e64 v27, 0, v12, s[2:3]
	v_add_u32_e32 v27, v27, v2
	v_and_b32_e32 v2, 0x7fffff, v24
	v_or_b32_e32 v40, 0x800000, v2
	v_mad_u64_u32 v[28:29], s[6:7], v40, s29, 0
	v_mov_b32_e32 v2, v29
	v_mad_u64_u32 v[30:31], s[6:7], v40, s30, v[2:3]
	v_mov_b32_e32 v2, v31
	;; [unrolled: 2-line block ×6, first 2 shown]
	v_mad_u64_u32 v[40:41], s[6:7], v40, s36, v[2:3]
	v_cndmask_b32_e32 v29, v38, v34, vcc
	v_cndmask_b32_e32 v2, v40, v36, vcc
	;; [unrolled: 1-line block ×3, first 2 shown]
	v_cndmask_b32_e64 v31, v2, v29, s[0:1]
	v_cndmask_b32_e64 v2, v33, v2, s[0:1]
	v_cndmask_b32_e32 v33, v36, v32, vcc
	v_cndmask_b32_e64 v29, v29, v33, s[0:1]
	v_cndmask_b32_e64 v2, v2, v31, s[2:3]
	;; [unrolled: 1-line block ×3, first 2 shown]
	v_sub_u32_e32 v35, 32, v27
	v_alignbit_b32 v36, v2, v31, v35
	v_cmp_eq_u32_e64 s[6:7], 0, v27
	v_cndmask_b32_e64 v27, v36, v2, s[6:7]
	v_cndmask_b32_e32 v2, v34, v30, vcc
	v_cndmask_b32_e64 v30, v33, v2, s[0:1]
	v_cndmask_b32_e64 v29, v29, v30, s[2:3]
	v_alignbit_b32 v33, v31, v29, v35
	v_cndmask_b32_e64 v31, v33, v31, s[6:7]
	v_bfe_u32 v36, v27, 29, 1
	v_cndmask_b32_e32 v28, v32, v28, vcc
	v_alignbit_b32 v33, v27, v31, 30
	v_sub_u32_e32 v37, 0, v36
	v_cndmask_b32_e64 v2, v2, v28, s[0:1]
	v_xor_b32_e32 v38, v33, v37
	v_cndmask_b32_e64 v2, v30, v2, s[2:3]
	v_alignbit_b32 v28, v29, v2, v35
	v_ffbh_u32_e32 v30, v38
	v_cndmask_b32_e64 v28, v28, v29, s[6:7]
	v_add_u32_e32 v30, 1, v30
	v_cmp_ne_u32_e32 vcc, v33, v37
	v_alignbit_b32 v29, v31, v28, 30
	v_cndmask_b32_e32 v30, 33, v30, vcc
	v_alignbit_b32 v2, v28, v2, 30
	v_xor_b32_e32 v29, v29, v37
	v_sub_u32_e32 v31, 32, v30
	v_xor_b32_e32 v2, v2, v37
	v_alignbit_b32 v32, v38, v29, v31
	v_alignbit_b32 v2, v29, v2, v31
	v_alignbit_b32 v28, v32, v2, 9
	v_ffbh_u32_e32 v29, v28
	v_min_u32_e32 v29, 32, v29
	v_lshrrev_b32_e32 v34, 29, v27
	v_sub_u32_e32 v31, 31, v29
	v_alignbit_b32 v2, v28, v2, v31
	v_lshlrev_b32_e32 v28, 31, v34
	v_or_b32_e32 v31, 0x33800000, v28
	v_add_lshl_u32 v29, v29, v30, 23
	v_lshrrev_b32_e32 v2, 9, v2
	v_sub_u32_e32 v29, v31, v29
	v_or_b32_e32 v2, v29, v2
	v_alignbit_b32 v29, v30, v32, 9
	v_or_b32_e32 v28, v29, v28
	v_xor_b32_e32 v28, 1.0, v28
	v_mul_f32_e32 v29, 0x3fc90fda, v28
	v_fma_f32 v30, v28, s37, -v29
	v_fmac_f32_e32 v30, 0x33a22168, v28
	v_fmac_f32_e32 v30, 0x3fc90fda, v2
	v_lshrrev_b32_e32 v27, 30, v27
	v_add_f32_e32 v2, v29, v30
	v_add_u32_e32 v27, v36, v27
.LBB97_18:                              ;   in Loop: Header=BB97_4 Depth=1
	s_andn2_saveexec_b64 s[0:1], s[24:25]
	s_cbranch_execz .LBB97_3
; %bb.19:                               ;   in Loop: Header=BB97_4 Depth=1
	v_mul_f32_e64 v2, |v9|, s38
	v_rndne_f32_e32 v28, v2
	v_cvt_i32_f32_e32 v27, v28
	v_fma_f32 v2, v28, s39, |v9|
	v_fmac_f32_e32 v2, 0xb3a22168, v28
	v_fmac_f32_e32 v2, 0xa7c234c4, v28
	s_branch .LBB97_3
.LBB97_20:
	s_or_b64 exec, exec, s[18:19]
	s_mov_b64 s[0:1], 0
.LBB97_21:
	s_andn2_b64 vcc, exec, s[0:1]
	s_cbranch_vccnz .LBB97_57
; %bb.22:
	v_cmp_lt_i64_e64 s[0:1], s[16:17], 1
	s_and_b64 vcc, exec, s[0:1]
	s_cbranch_vccnz .LBB97_57
; %bb.23:
	s_load_dword s0, s[4:5], 0xc5c
	v_mov_b32_e32 v4, 0x10000
	v_mov_b32_e32 v5, 0
	v_cmp_lt_u64_e32 vcc, s[16:17], v[4:5]
	v_lshlrev_b32_e32 v2, 1, v0
	s_waitcnt lgkmcnt(0)
	s_and_b32 s2, s0, 0xffff
	s_and_b64 s[0:1], vcc, exec
	v_mov_b32_e32 v15, s11
	v_add_co_u32_e32 v4, vcc, s10, v2
	v_addc_co_u32_e32 v1, vcc, 0, v15, vcc
	v_mov_b32_e32 v3, 0
	v_mov_b32_e32 v17, s9
	v_add_co_u32_e32 v6, vcc, s8, v2
	v_addc_co_u32_e32 v5, vcc, 0, v17, vcc
	v_mad_u64_u32 v[10:11], s[0:1], s2, 6, v[2:3]
	v_add_co_u32_e32 v8, vcc, s10, v10
	v_addc_co_u32_e32 v7, vcc, v15, v11, vcc
	v_add_co_u32_e32 v10, vcc, s8, v10
	s_mul_i32 s4, s2, 3
	v_addc_co_u32_e32 v9, vcc, v17, v11, vcc
	s_cselect_b32 s19, s17, 0
	s_cselect_b32 s18, s16, 0x10000
	s_lshl_b32 s25, s2, 2
	v_add_co_u32_e32 v19, vcc, s4, v0
	v_addc_co_u32_e64 v20, s[0:1], 0, 0, vcc
	v_add_co_u32_e32 v2, vcc, s25, v2
	v_addc_co_u32_e64 v13, s[0:1], 0, 0, vcc
	v_add_co_u32_e32 v12, vcc, s10, v2
	v_addc_co_u32_e32 v11, vcc, v15, v13, vcc
	v_add_co_u32_e32 v14, vcc, s8, v2
	s_lshl_b32 s3, s2, 1
	v_addc_co_u32_e32 v13, vcc, v17, v13, vcc
	v_add_co_u32_e32 v21, vcc, s3, v0
	v_addc_co_u32_e64 v22, s[0:1], 0, 0, vcc
	v_add_co_u32_e32 v23, vcc, s2, v0
	v_lshlrev_b32_e32 v2, 1, v23
	v_addc_co_u32_e64 v24, s[0:1], 0, 0, vcc
	v_add_co_u32_e32 v16, vcc, s10, v2
	v_addc_co_u32_e32 v15, vcc, 0, v15, vcc
	v_add_co_u32_e32 v18, vcc, s8, v2
	s_mov_b32 s24, 0
	s_lshl_b32 s26, s2, 3
	v_addc_co_u32_e32 v17, vcc, 0, v17, vcc
	s_mov_b64 s[20:21], 0
	s_brev_b32 s27, 18
	s_mov_b32 s28, 0xfe5163ab
	s_mov_b32 s29, 0x3c439041
	;; [unrolled: 1-line block ×10, first 2 shown]
	v_mov_b32_e32 v25, 0x3f93f425
	s_movk_i32 s39, 0x1f8
	s_movk_i32 s40, 0x7fff
	v_not_b32_e32 v26, 63
	v_not_b32_e32 v27, 31
	v_mov_b32_e32 v28, 0x7fc00000
	v_mov_b32_e32 v29, 0x7fc0
	s_branch .LBB97_25
.LBB97_24:                              ;   in Loop: Header=BB97_25 Depth=1
	s_or_b64 exec, exec, s[0:1]
	s_add_u32 s20, s20, s25
	s_addc_u32 s21, s21, 0
	v_pk_mov_b32 v[30:31], s[16:17], s[16:17] op_sel:[0,1]
	v_cmp_ge_i64_e32 vcc, s[20:21], v[30:31]
	v_mov_b32_e32 v30, 0xffff
	v_mov_b32_e32 v31, 0
	v_cmp_gt_u64_e64 s[0:1], s[20:21], v[30:31]
	s_or_b64 s[0:1], vcc, s[0:1]
	v_mov_b32_e32 v2, s24
	v_add_co_u32_e32 v4, vcc, s26, v4
	v_addc_co_u32_e32 v1, vcc, v1, v2, vcc
	v_add_co_u32_e32 v6, vcc, s26, v6
	v_addc_co_u32_e32 v5, vcc, v5, v2, vcc
	;; [unrolled: 2-line block ×8, first 2 shown]
	s_and_b64 vcc, exec, s[0:1]
	s_cbranch_vccnz .LBB97_57
.LBB97_25:                              ; =>This Inner Loop Header: Depth=1
	v_mov_b32_e32 v2, s21
	v_add_co_u32_e32 v30, vcc, s20, v0
	v_addc_co_u32_e32 v31, vcc, 0, v2, vcc
	v_cmp_gt_u64_e64 s[4:5], s[18:19], v[30:31]
	v_mov_b32_e32 v2, 0
	s_and_saveexec_b64 s[0:1], s[4:5]
	s_cbranch_execz .LBB97_27
; %bb.26:                               ;   in Loop: Header=BB97_25 Depth=1
	v_mov_b32_e32 v2, s15
	v_add_co_u32_e32 v30, vcc, s14, v4
	v_addc_co_u32_e32 v31, vcc, v1, v2, vcc
	global_load_ushort v2, v[30:31], off
.LBB97_27:                              ;   in Loop: Header=BB97_25 Depth=1
	s_or_b64 exec, exec, s[0:1]
	v_mov_b32_e32 v31, s21
	v_add_co_u32_e32 v30, vcc, s20, v23
	v_addc_co_u32_e32 v31, vcc, v24, v31, vcc
	v_cmp_gt_u64_e64 s[2:3], s[18:19], v[30:31]
	v_mov_b32_e32 v32, 0
	s_and_saveexec_b64 s[0:1], s[2:3]
	s_cbranch_execz .LBB97_29
; %bb.28:                               ;   in Loop: Header=BB97_25 Depth=1
	v_mov_b32_e32 v31, s15
	v_add_co_u32_e32 v30, vcc, s14, v16
	v_addc_co_u32_e32 v31, vcc, v15, v31, vcc
	global_load_ushort v32, v[30:31], off
.LBB97_29:                              ;   in Loop: Header=BB97_25 Depth=1
	s_or_b64 exec, exec, s[0:1]
	v_mov_b32_e32 v31, s21
	v_add_co_u32_e32 v30, vcc, s20, v21
	v_addc_co_u32_e32 v31, vcc, v22, v31, vcc
	v_cmp_gt_u64_e64 s[0:1], s[18:19], v[30:31]
	v_mov_b32_e32 v36, 0
	v_mov_b32_e32 v37, 0
	s_and_saveexec_b64 s[6:7], s[0:1]
	s_cbranch_execz .LBB97_31
; %bb.30:                               ;   in Loop: Header=BB97_25 Depth=1
	v_mov_b32_e32 v31, s15
	v_add_co_u32_e32 v30, vcc, s14, v12
	v_addc_co_u32_e32 v31, vcc, v11, v31, vcc
	global_load_ushort v37, v[30:31], off
.LBB97_31:                              ;   in Loop: Header=BB97_25 Depth=1
	s_or_b64 exec, exec, s[6:7]
	v_mov_b32_e32 v31, s21
	v_add_co_u32_e32 v30, vcc, s20, v19
	v_addc_co_u32_e32 v31, vcc, v20, v31, vcc
	v_cmp_gt_u64_e32 vcc, s[18:19], v[30:31]
	s_and_saveexec_b64 s[8:9], vcc
	s_cbranch_execz .LBB97_33
; %bb.32:                               ;   in Loop: Header=BB97_25 Depth=1
	v_mov_b32_e32 v31, s15
	v_add_co_u32_e64 v30, s[6:7], s14, v8
	v_addc_co_u32_e64 v31, s[6:7], v7, v31, s[6:7]
	global_load_ushort v36, v[30:31], off
.LBB97_33:                              ;   in Loop: Header=BB97_25 Depth=1
	s_or_b64 exec, exec, s[8:9]
	s_waitcnt vmcnt(0)
	v_lshlrev_b32_e32 v30, 16, v2
	v_and_b32_e32 v31, 0x7fffffff, v30
	v_cmp_nlt_f32_e64 s[6:7], |v30|, s27
                                        ; implicit-def: $vgpr35
                                        ; implicit-def: $vgpr34
	s_and_saveexec_b64 s[8:9], s[6:7]
	s_xor_b64 s[22:23], exec, s[8:9]
	s_cbranch_execz .LBB97_35
; %bb.34:                               ;   in Loop: Header=BB97_25 Depth=1
	v_lshrrev_b32_e32 v2, 23, v31
	v_add_u32_e32 v2, 0xffffff88, v2
	v_cmp_lt_u32_e64 s[6:7], 63, v2
	v_cndmask_b32_e64 v33, 0, v26, s[6:7]
	v_add_u32_e32 v2, v33, v2
	v_cmp_lt_u32_e64 s[8:9], 31, v2
	v_cndmask_b32_e64 v33, 0, v27, s[8:9]
	;; [unrolled: 3-line block ×3, first 2 shown]
	v_add_u32_e32 v33, v33, v2
	v_and_b32_e32 v2, 0x7fffff, v31
	v_or_b32_e32 v48, 0x800000, v2
	v_mad_u64_u32 v[34:35], s[12:13], v48, s28, 0
	v_mov_b32_e32 v2, v35
	v_mad_u64_u32 v[38:39], s[12:13], v48, s29, v[2:3]
	v_mov_b32_e32 v2, v39
	;; [unrolled: 2-line block ×6, first 2 shown]
	v_mad_u64_u32 v[48:49], s[12:13], v48, s35, v[2:3]
	v_cndmask_b32_e64 v35, v46, v42, s[6:7]
	v_cndmask_b32_e64 v2, v48, v44, s[6:7]
	;; [unrolled: 1-line block ×7, first 2 shown]
	v_sub_u32_e32 v43, 32, v33
	v_cmp_eq_u32_e64 s[12:13], 0, v33
	v_cndmask_b32_e64 v33, v42, v38, s[6:7]
	v_cndmask_b32_e64 v2, v2, v39, s[10:11]
	;; [unrolled: 1-line block ×4, first 2 shown]
	v_alignbit_b32 v44, v2, v39, v43
	v_cndmask_b32_e64 v35, v35, v38, s[10:11]
	v_cndmask_b32_e64 v2, v44, v2, s[12:13]
	v_alignbit_b32 v41, v39, v35, v43
	v_cndmask_b32_e64 v39, v41, v39, s[12:13]
	v_bfe_u32 v44, v2, 29, 1
	v_cndmask_b32_e64 v34, v40, v34, s[6:7]
	v_alignbit_b32 v41, v2, v39, 30
	v_sub_u32_e32 v45, 0, v44
	v_cndmask_b32_e64 v33, v33, v34, s[8:9]
	v_xor_b32_e32 v46, v41, v45
	v_cndmask_b32_e64 v33, v38, v33, s[10:11]
	v_alignbit_b32 v34, v35, v33, v43
	v_ffbh_u32_e32 v38, v46
	v_cndmask_b32_e64 v34, v34, v35, s[12:13]
	v_add_u32_e32 v38, 1, v38
	v_cmp_ne_u32_e64 s[6:7], v41, v45
	v_alignbit_b32 v35, v39, v34, 30
	v_cndmask_b32_e64 v38, 33, v38, s[6:7]
	v_alignbit_b32 v33, v34, v33, 30
	v_xor_b32_e32 v35, v35, v45
	v_sub_u32_e32 v39, 32, v38
	v_xor_b32_e32 v33, v33, v45
	v_alignbit_b32 v40, v46, v35, v39
	v_alignbit_b32 v33, v35, v33, v39
	;; [unrolled: 1-line block ×3, first 2 shown]
	v_ffbh_u32_e32 v35, v34
	v_min_u32_e32 v35, 32, v35
	v_lshrrev_b32_e32 v42, 29, v2
	v_sub_u32_e32 v39, 31, v35
	v_alignbit_b32 v33, v34, v33, v39
	v_lshlrev_b32_e32 v34, 31, v42
	v_or_b32_e32 v39, 0x33800000, v34
	v_add_lshl_u32 v35, v35, v38, 23
	v_lshrrev_b32_e32 v33, 9, v33
	v_sub_u32_e32 v35, v39, v35
	v_or_b32_e32 v33, v35, v33
	v_alignbit_b32 v35, v38, v40, 9
	v_or_b32_e32 v34, v35, v34
	v_xor_b32_e32 v34, 1.0, v34
	v_mul_f32_e32 v35, 0x3fc90fda, v34
	v_fma_f32 v38, v34, s36, -v35
	v_fmac_f32_e32 v38, 0x33a22168, v34
	v_fmac_f32_e32 v38, 0x3fc90fda, v33
	v_lshrrev_b32_e32 v2, 30, v2
	v_add_f32_e32 v34, v35, v38
	v_add_u32_e32 v35, v44, v2
.LBB97_35:                              ;   in Loop: Header=BB97_25 Depth=1
	s_andn2_saveexec_b64 s[6:7], s[22:23]
; %bb.36:                               ;   in Loop: Header=BB97_25 Depth=1
	v_mul_f32_e64 v2, |v30|, s37
	v_rndne_f32_e32 v2, v2
	v_cvt_i32_f32_e32 v35, v2
	v_fma_f32 v34, v2, s38, |v30|
	v_fmac_f32_e32 v34, 0xb3a22168, v2
	v_fmac_f32_e32 v34, 0xa7c234c4, v2
; %bb.37:                               ;   in Loop: Header=BB97_25 Depth=1
	s_or_b64 exec, exec, s[6:7]
	v_lshlrev_b32_e32 v32, 16, v32
	v_and_b32_e32 v33, 0x7fffffff, v32
	v_cmp_nlt_f32_e64 s[6:7], |v32|, s27
                                        ; implicit-def: $vgpr40
                                        ; implicit-def: $vgpr39
	s_and_saveexec_b64 s[8:9], s[6:7]
	s_xor_b64 s[22:23], exec, s[8:9]
	s_cbranch_execz .LBB97_39
; %bb.38:                               ;   in Loop: Header=BB97_25 Depth=1
	v_lshrrev_b32_e32 v2, 23, v33
	v_add_u32_e32 v2, 0xffffff88, v2
	v_cmp_lt_u32_e64 s[6:7], 63, v2
	v_cndmask_b32_e64 v38, 0, v26, s[6:7]
	v_add_u32_e32 v2, v38, v2
	v_cmp_lt_u32_e64 s[8:9], 31, v2
	v_cndmask_b32_e64 v38, 0, v27, s[8:9]
	;; [unrolled: 3-line block ×3, first 2 shown]
	v_add_u32_e32 v52, v38, v2
	v_and_b32_e32 v2, 0x7fffff, v33
	v_or_b32_e32 v50, 0x800000, v2
	v_mad_u64_u32 v[38:39], s[12:13], v50, s28, 0
	v_mov_b32_e32 v2, v39
	v_mad_u64_u32 v[40:41], s[12:13], v50, s29, v[2:3]
	v_mov_b32_e32 v2, v41
	;; [unrolled: 2-line block ×6, first 2 shown]
	v_mad_u64_u32 v[50:51], s[12:13], v50, s35, v[2:3]
	v_cndmask_b32_e64 v39, v48, v44, s[6:7]
	v_cndmask_b32_e64 v2, v50, v46, s[6:7]
	;; [unrolled: 1-line block ×10, first 2 shown]
	v_sub_u32_e32 v45, 32, v52
	v_cndmask_b32_e64 v43, v43, v40, s[8:9]
	v_alignbit_b32 v46, v2, v41, v45
	v_cmp_eq_u32_e64 s[12:13], 0, v52
	v_cndmask_b32_e64 v39, v39, v43, s[10:11]
	v_cndmask_b32_e64 v38, v42, v38, s[6:7]
	;; [unrolled: 1-line block ×3, first 2 shown]
	v_alignbit_b32 v44, v41, v39, v45
	v_cndmask_b32_e64 v38, v40, v38, s[8:9]
	v_cndmask_b32_e64 v41, v44, v41, s[12:13]
	v_bfe_u32 v47, v2, 29, 1
	v_cndmask_b32_e64 v38, v43, v38, s[10:11]
	v_alignbit_b32 v44, v2, v41, 30
	v_sub_u32_e32 v48, 0, v47
	v_alignbit_b32 v40, v39, v38, v45
	v_xor_b32_e32 v49, v44, v48
	v_cndmask_b32_e64 v39, v40, v39, s[12:13]
	v_alignbit_b32 v40, v41, v39, 30
	v_ffbh_u32_e32 v41, v49
	v_add_u32_e32 v41, 1, v41
	v_cmp_ne_u32_e64 s[6:7], v44, v48
	v_cndmask_b32_e64 v41, 33, v41, s[6:7]
	v_alignbit_b32 v38, v39, v38, 30
	v_xor_b32_e32 v40, v40, v48
	v_sub_u32_e32 v42, 32, v41
	v_xor_b32_e32 v38, v38, v48
	v_alignbit_b32 v43, v49, v40, v42
	v_alignbit_b32 v38, v40, v38, v42
	;; [unrolled: 1-line block ×3, first 2 shown]
	v_ffbh_u32_e32 v40, v39
	v_min_u32_e32 v40, 32, v40
	v_lshrrev_b32_e32 v46, 29, v2
	v_sub_u32_e32 v42, 31, v40
	v_alignbit_b32 v38, v39, v38, v42
	v_lshlrev_b32_e32 v39, 31, v46
	v_or_b32_e32 v42, 0x33800000, v39
	v_add_lshl_u32 v40, v40, v41, 23
	v_lshrrev_b32_e32 v38, 9, v38
	v_sub_u32_e32 v40, v42, v40
	v_or_b32_e32 v38, v40, v38
	v_alignbit_b32 v40, v41, v43, 9
	v_or_b32_e32 v39, v40, v39
	v_xor_b32_e32 v39, 1.0, v39
	v_mul_f32_e32 v40, 0x3fc90fda, v39
	v_fma_f32 v41, v39, s36, -v40
	v_fmac_f32_e32 v41, 0x33a22168, v39
	v_fmac_f32_e32 v41, 0x3fc90fda, v38
	v_lshrrev_b32_e32 v2, 30, v2
	v_add_f32_e32 v39, v40, v41
	v_add_u32_e32 v40, v47, v2
.LBB97_39:                              ;   in Loop: Header=BB97_25 Depth=1
	s_andn2_saveexec_b64 s[6:7], s[22:23]
; %bb.40:                               ;   in Loop: Header=BB97_25 Depth=1
	v_mul_f32_e64 v2, |v32|, s37
	v_rndne_f32_e32 v2, v2
	v_cvt_i32_f32_e32 v40, v2
	v_fma_f32 v39, v2, s38, |v32|
	v_fmac_f32_e32 v39, 0xb3a22168, v2
	v_fmac_f32_e32 v39, 0xa7c234c4, v2
; %bb.41:                               ;   in Loop: Header=BB97_25 Depth=1
	s_or_b64 exec, exec, s[6:7]
	v_lshlrev_b32_e32 v37, 16, v37
	v_and_b32_e32 v38, 0x7fffffff, v37
	v_cmp_nlt_f32_e64 s[6:7], |v37|, s27
                                        ; implicit-def: $vgpr43
                                        ; implicit-def: $vgpr42
	s_and_saveexec_b64 s[8:9], s[6:7]
	s_xor_b64 s[22:23], exec, s[8:9]
	s_cbranch_execz .LBB97_43
; %bb.42:                               ;   in Loop: Header=BB97_25 Depth=1
	v_lshrrev_b32_e32 v2, 23, v38
	v_add_u32_e32 v2, 0xffffff88, v2
	v_cmp_lt_u32_e64 s[6:7], 63, v2
	v_cndmask_b32_e64 v41, 0, v26, s[6:7]
	v_add_u32_e32 v2, v41, v2
	v_cmp_lt_u32_e64 s[8:9], 31, v2
	v_cndmask_b32_e64 v41, 0, v27, s[8:9]
	;; [unrolled: 3-line block ×3, first 2 shown]
	v_add_u32_e32 v41, v41, v2
	v_and_b32_e32 v2, 0x7fffff, v38
	v_or_b32_e32 v54, 0x800000, v2
	v_mad_u64_u32 v[42:43], s[12:13], v54, s28, 0
	v_mov_b32_e32 v2, v43
	v_mad_u64_u32 v[44:45], s[12:13], v54, s29, v[2:3]
	v_mov_b32_e32 v2, v45
	;; [unrolled: 2-line block ×6, first 2 shown]
	v_mad_u64_u32 v[54:55], s[12:13], v54, s35, v[2:3]
	v_cndmask_b32_e64 v43, v52, v48, s[6:7]
	v_cndmask_b32_e64 v2, v54, v50, s[6:7]
	;; [unrolled: 1-line block ×7, first 2 shown]
	v_sub_u32_e32 v49, 32, v41
	v_cmp_eq_u32_e64 s[12:13], 0, v41
	v_cndmask_b32_e64 v41, v48, v44, s[6:7]
	v_cndmask_b32_e64 v2, v2, v45, s[10:11]
	;; [unrolled: 1-line block ×4, first 2 shown]
	v_alignbit_b32 v50, v2, v45, v49
	v_cndmask_b32_e64 v43, v43, v44, s[10:11]
	v_cndmask_b32_e64 v2, v50, v2, s[12:13]
	v_alignbit_b32 v47, v45, v43, v49
	v_cndmask_b32_e64 v45, v47, v45, s[12:13]
	v_bfe_u32 v50, v2, 29, 1
	v_cndmask_b32_e64 v42, v46, v42, s[6:7]
	v_alignbit_b32 v47, v2, v45, 30
	v_sub_u32_e32 v51, 0, v50
	v_cndmask_b32_e64 v41, v41, v42, s[8:9]
	v_xor_b32_e32 v52, v47, v51
	v_cndmask_b32_e64 v41, v44, v41, s[10:11]
	v_alignbit_b32 v42, v43, v41, v49
	v_ffbh_u32_e32 v44, v52
	v_cndmask_b32_e64 v42, v42, v43, s[12:13]
	v_add_u32_e32 v44, 1, v44
	v_cmp_ne_u32_e64 s[6:7], v47, v51
	v_alignbit_b32 v43, v45, v42, 30
	v_cndmask_b32_e64 v44, 33, v44, s[6:7]
	v_alignbit_b32 v41, v42, v41, 30
	v_xor_b32_e32 v43, v43, v51
	v_sub_u32_e32 v45, 32, v44
	v_xor_b32_e32 v41, v41, v51
	v_alignbit_b32 v46, v52, v43, v45
	v_alignbit_b32 v41, v43, v41, v45
	;; [unrolled: 1-line block ×3, first 2 shown]
	v_ffbh_u32_e32 v43, v42
	v_min_u32_e32 v43, 32, v43
	v_lshrrev_b32_e32 v48, 29, v2
	v_sub_u32_e32 v45, 31, v43
	v_alignbit_b32 v41, v42, v41, v45
	v_lshlrev_b32_e32 v42, 31, v48
	v_or_b32_e32 v45, 0x33800000, v42
	v_add_lshl_u32 v43, v43, v44, 23
	v_lshrrev_b32_e32 v41, 9, v41
	v_sub_u32_e32 v43, v45, v43
	v_or_b32_e32 v41, v43, v41
	v_alignbit_b32 v43, v44, v46, 9
	v_or_b32_e32 v42, v43, v42
	v_xor_b32_e32 v42, 1.0, v42
	v_mul_f32_e32 v43, 0x3fc90fda, v42
	v_fma_f32 v44, v42, s36, -v43
	v_fmac_f32_e32 v44, 0x33a22168, v42
	v_fmac_f32_e32 v44, 0x3fc90fda, v41
	v_lshrrev_b32_e32 v2, 30, v2
	v_add_f32_e32 v42, v43, v44
	v_add_u32_e32 v43, v50, v2
.LBB97_43:                              ;   in Loop: Header=BB97_25 Depth=1
	s_andn2_saveexec_b64 s[6:7], s[22:23]
; %bb.44:                               ;   in Loop: Header=BB97_25 Depth=1
	v_mul_f32_e64 v2, |v37|, s37
	v_rndne_f32_e32 v2, v2
	v_cvt_i32_f32_e32 v43, v2
	v_fma_f32 v42, v2, s38, |v37|
	v_fmac_f32_e32 v42, 0xb3a22168, v2
	v_fmac_f32_e32 v42, 0xa7c234c4, v2
; %bb.45:                               ;   in Loop: Header=BB97_25 Depth=1
	s_or_b64 exec, exec, s[6:7]
	v_lshlrev_b32_e32 v36, 16, v36
	v_and_b32_e32 v41, 0x7fffffff, v36
	v_cmp_nlt_f32_e64 s[6:7], |v36|, s27
                                        ; implicit-def: $vgpr44
                                        ; implicit-def: $vgpr2
	s_and_saveexec_b64 s[8:9], s[6:7]
	s_xor_b64 s[22:23], exec, s[8:9]
	s_cbranch_execnz .LBB97_51
; %bb.46:                               ;   in Loop: Header=BB97_25 Depth=1
	s_andn2_saveexec_b64 s[6:7], s[22:23]
	s_cbranch_execnz .LBB97_52
.LBB97_47:                              ;   in Loop: Header=BB97_25 Depth=1
	s_or_b64 exec, exec, s[6:7]
	s_and_saveexec_b64 s[6:7], s[4:5]
	s_xor_b64 s[6:7], exec, s[6:7]
	s_cbranch_execnz .LBB97_53
.LBB97_48:                              ;   in Loop: Header=BB97_25 Depth=1
	s_or_b64 exec, exec, s[6:7]
	s_and_saveexec_b64 s[4:5], s[2:3]
	s_cbranch_execnz .LBB97_54
.LBB97_49:                              ;   in Loop: Header=BB97_25 Depth=1
	s_or_b64 exec, exec, s[4:5]
	s_and_saveexec_b64 s[2:3], s[0:1]
	s_cbranch_execnz .LBB97_55
.LBB97_50:                              ;   in Loop: Header=BB97_25 Depth=1
	s_or_b64 exec, exec, s[2:3]
	s_and_saveexec_b64 s[0:1], vcc
	s_cbranch_execz .LBB97_24
	s_branch .LBB97_56
.LBB97_51:                              ;   in Loop: Header=BB97_25 Depth=1
	v_lshrrev_b32_e32 v2, 23, v41
	v_add_u32_e32 v2, 0xffffff88, v2
	v_cmp_lt_u32_e64 s[6:7], 63, v2
	v_cndmask_b32_e64 v44, 0, v26, s[6:7]
	v_add_u32_e32 v2, v44, v2
	v_cmp_lt_u32_e64 s[8:9], 31, v2
	v_cndmask_b32_e64 v44, 0, v27, s[8:9]
	;; [unrolled: 3-line block ×3, first 2 shown]
	v_add_u32_e32 v58, v44, v2
	v_and_b32_e32 v2, 0x7fffff, v41
	v_or_b32_e32 v56, 0x800000, v2
	v_mad_u64_u32 v[44:45], s[12:13], v56, s28, 0
	v_mov_b32_e32 v2, v45
	v_mad_u64_u32 v[46:47], s[12:13], v56, s29, v[2:3]
	v_mov_b32_e32 v2, v47
	;; [unrolled: 2-line block ×6, first 2 shown]
	v_mad_u64_u32 v[56:57], s[12:13], v56, s35, v[2:3]
	v_cndmask_b32_e64 v45, v54, v50, s[6:7]
	v_cndmask_b32_e64 v2, v56, v52, s[6:7]
	;; [unrolled: 1-line block ×9, first 2 shown]
	v_sub_u32_e32 v51, 32, v58
	v_alignbit_b32 v52, v2, v47, v51
	v_cmp_eq_u32_e64 s[12:13], 0, v58
	v_cndmask_b32_e64 v52, v52, v2, s[12:13]
	v_cndmask_b32_e64 v2, v50, v46, s[6:7]
	;; [unrolled: 1-line block ×4, first 2 shown]
	v_alignbit_b32 v49, v47, v45, v51
	v_cndmask_b32_e64 v47, v49, v47, s[12:13]
	v_bfe_u32 v53, v52, 29, 1
	v_cndmask_b32_e64 v44, v48, v44, s[6:7]
	v_alignbit_b32 v49, v52, v47, 30
	v_sub_u32_e32 v54, 0, v53
	v_cndmask_b32_e64 v2, v2, v44, s[8:9]
	v_xor_b32_e32 v55, v49, v54
	v_cndmask_b32_e64 v2, v46, v2, s[10:11]
	v_alignbit_b32 v44, v45, v2, v51
	v_ffbh_u32_e32 v46, v55
	v_cndmask_b32_e64 v44, v44, v45, s[12:13]
	v_add_u32_e32 v46, 1, v46
	v_cmp_ne_u32_e64 s[6:7], v49, v54
	v_alignbit_b32 v45, v47, v44, 30
	v_cndmask_b32_e64 v46, 33, v46, s[6:7]
	v_alignbit_b32 v2, v44, v2, 30
	v_xor_b32_e32 v45, v45, v54
	v_sub_u32_e32 v47, 32, v46
	v_xor_b32_e32 v2, v2, v54
	v_alignbit_b32 v48, v55, v45, v47
	v_alignbit_b32 v2, v45, v2, v47
	;; [unrolled: 1-line block ×3, first 2 shown]
	v_ffbh_u32_e32 v45, v44
	v_min_u32_e32 v45, 32, v45
	v_lshrrev_b32_e32 v50, 29, v52
	v_sub_u32_e32 v47, 31, v45
	v_alignbit_b32 v2, v44, v2, v47
	v_lshlrev_b32_e32 v44, 31, v50
	v_or_b32_e32 v47, 0x33800000, v44
	v_add_lshl_u32 v45, v45, v46, 23
	v_lshrrev_b32_e32 v2, 9, v2
	v_sub_u32_e32 v45, v47, v45
	v_or_b32_e32 v2, v45, v2
	v_alignbit_b32 v45, v46, v48, 9
	v_or_b32_e32 v44, v45, v44
	v_xor_b32_e32 v44, 1.0, v44
	v_mul_f32_e32 v45, 0x3fc90fda, v44
	v_fma_f32 v46, v44, s36, -v45
	v_fmac_f32_e32 v46, 0x33a22168, v44
	v_fmac_f32_e32 v46, 0x3fc90fda, v2
	v_lshrrev_b32_e32 v44, 30, v52
	v_add_f32_e32 v2, v45, v46
	v_add_u32_e32 v44, v53, v44
	s_andn2_saveexec_b64 s[6:7], s[22:23]
	s_cbranch_execz .LBB97_47
.LBB97_52:                              ;   in Loop: Header=BB97_25 Depth=1
	v_mul_f32_e64 v2, |v36|, s37
	v_rndne_f32_e32 v45, v2
	v_cvt_i32_f32_e32 v44, v45
	v_fma_f32 v2, v45, s38, |v36|
	v_fmac_f32_e32 v2, 0xb3a22168, v45
	v_fmac_f32_e32 v2, 0xa7c234c4, v45
	s_or_b64 exec, exec, s[6:7]
	s_and_saveexec_b64 s[6:7], s[4:5]
	s_xor_b64 s[6:7], exec, s[6:7]
	s_cbranch_execz .LBB97_48
.LBB97_53:                              ;   in Loop: Header=BB97_25 Depth=1
	v_mul_f32_e32 v45, v34, v34
	v_mov_b32_e32 v46, 0xbf039337
	v_fmac_f32_e32 v46, 0x3c971480, v45
	v_fma_f32 v46, v45, v46, v25
	v_rcp_f32_e32 v46, v46
	v_mov_b32_e32 v47, 0x3ec54587
	v_fmac_f32_e32 v47, 0xbc8cedd3, v45
	v_and_b32_e32 v35, 1, v35
	v_mul_f32_e32 v46, v47, v46
	v_mul_f32_e32 v45, v45, v46
	v_fma_f32 v46, v45, v34, v34
	v_rcp_f32_e32 v47, v46
	v_sub_f32_e32 v48, v46, v34
	v_fma_f32 v34, v45, v34, -v48
	v_cmp_eq_u32_e64 s[4:5], 0, v35
	v_fma_f32 v45, v46, -v47, 1.0
	v_fma_f32 v34, v34, -v47, v45
	v_fma_f32 v34, v34, -v47, -v47
	v_cndmask_b32_e64 v34, v34, v46, s[4:5]
	v_xor_b32_e32 v31, v31, v34
	v_xor_b32_e32 v31, v31, v30
	v_cmp_class_f32_e64 s[4:5], v30, s39
	v_cndmask_b32_e64 v30, v28, v31, s[4:5]
	v_bfe_u32 v31, v30, 16, 1
	v_add3_u32 v31, v30, v31, s40
	v_lshrrev_b32_e32 v31, 16, v31
	v_cmp_o_f32_e64 s[4:5], v30, v30
	v_cndmask_b32_e64 v34, v29, v31, s[4:5]
	v_mov_b32_e32 v31, s15
	v_add_co_u32_e64 v30, s[4:5], s14, v6
	v_addc_co_u32_e64 v31, s[4:5], v5, v31, s[4:5]
	global_store_short v[30:31], v34, off
	s_or_b64 exec, exec, s[6:7]
	s_and_saveexec_b64 s[4:5], s[2:3]
	s_cbranch_execz .LBB97_49
.LBB97_54:                              ;   in Loop: Header=BB97_25 Depth=1
	v_mul_f32_e32 v30, v39, v39
	v_mov_b32_e32 v31, 0xbf039337
	v_fmac_f32_e32 v31, 0x3c971480, v30
	v_fma_f32 v31, v30, v31, v25
	v_rcp_f32_e32 v31, v31
	v_mov_b32_e32 v34, 0x3ec54587
	v_fmac_f32_e32 v34, 0xbc8cedd3, v30
	v_and_b32_e32 v35, 1, v40
	v_mul_f32_e32 v31, v34, v31
	v_mul_f32_e32 v30, v30, v31
	v_fma_f32 v31, v30, v39, v39
	v_rcp_f32_e32 v34, v31
	v_sub_f32_e32 v40, v31, v39
	v_fma_f32 v30, v30, v39, -v40
	v_cmp_eq_u32_e64 s[2:3], 0, v35
	v_fma_f32 v39, v31, -v34, 1.0
	v_fma_f32 v30, v30, -v34, v39
	v_fma_f32 v30, v30, -v34, -v34
	v_cndmask_b32_e64 v30, v30, v31, s[2:3]
	v_xor_b32_e32 v30, v33, v30
	v_xor_b32_e32 v30, v30, v32
	v_cmp_class_f32_e64 s[2:3], v32, s39
	v_cndmask_b32_e64 v30, v28, v30, s[2:3]
	v_bfe_u32 v31, v30, 16, 1
	v_add3_u32 v31, v30, v31, s40
	v_lshrrev_b32_e32 v31, 16, v31
	v_cmp_o_f32_e64 s[2:3], v30, v30
	v_cndmask_b32_e64 v32, v29, v31, s[2:3]
	v_mov_b32_e32 v31, s15
	v_add_co_u32_e64 v30, s[2:3], s14, v18
	v_addc_co_u32_e64 v31, s[2:3], v17, v31, s[2:3]
	global_store_short v[30:31], v32, off
	s_or_b64 exec, exec, s[4:5]
	s_and_saveexec_b64 s[2:3], s[0:1]
	s_cbranch_execz .LBB97_50
.LBB97_55:                              ;   in Loop: Header=BB97_25 Depth=1
	v_mul_f32_e32 v30, v42, v42
	v_mov_b32_e32 v31, 0xbf039337
	v_fmac_f32_e32 v31, 0x3c971480, v30
	v_fma_f32 v31, v30, v31, v25
	v_rcp_f32_e32 v31, v31
	v_mov_b32_e32 v32, 0x3ec54587
	v_fmac_f32_e32 v32, 0xbc8cedd3, v30
	v_and_b32_e32 v33, 1, v43
	v_mul_f32_e32 v31, v32, v31
	v_mul_f32_e32 v30, v30, v31
	v_fma_f32 v31, v30, v42, v42
	v_rcp_f32_e32 v32, v31
	v_sub_f32_e32 v34, v31, v42
	v_fma_f32 v30, v30, v42, -v34
	v_cmp_eq_u32_e64 s[0:1], 0, v33
	v_fma_f32 v34, v31, -v32, 1.0
	v_fma_f32 v30, v30, -v32, v34
	v_fma_f32 v30, v30, -v32, -v32
	v_cndmask_b32_e64 v30, v30, v31, s[0:1]
	v_xor_b32_e32 v30, v38, v30
	v_xor_b32_e32 v30, v30, v37
	v_cmp_class_f32_e64 s[0:1], v37, s39
	v_cndmask_b32_e64 v30, v28, v30, s[0:1]
	v_bfe_u32 v31, v30, 16, 1
	v_add3_u32 v31, v30, v31, s40
	v_lshrrev_b32_e32 v31, 16, v31
	v_cmp_o_f32_e64 s[0:1], v30, v30
	v_cndmask_b32_e64 v32, v29, v31, s[0:1]
	v_mov_b32_e32 v31, s15
	v_add_co_u32_e64 v30, s[0:1], s14, v14
	v_addc_co_u32_e64 v31, s[0:1], v13, v31, s[0:1]
	global_store_short v[30:31], v32, off
	s_or_b64 exec, exec, s[2:3]
	s_and_saveexec_b64 s[0:1], vcc
	s_cbranch_execz .LBB97_24
.LBB97_56:                              ;   in Loop: Header=BB97_25 Depth=1
	v_mul_f32_e32 v30, v2, v2
	v_mov_b32_e32 v31, 0xbf039337
	v_fmac_f32_e32 v31, 0x3c971480, v30
	v_fma_f32 v31, v30, v31, v25
	v_rcp_f32_e32 v31, v31
	v_mov_b32_e32 v32, 0x3ec54587
	v_fmac_f32_e32 v32, 0xbc8cedd3, v30
	v_and_b32_e32 v33, 1, v44
	v_mul_f32_e32 v31, v32, v31
	v_mul_f32_e32 v30, v30, v31
	v_fma_f32 v31, v30, v2, v2
	v_rcp_f32_e32 v32, v31
	v_sub_f32_e32 v34, v31, v2
	v_fma_f32 v2, v30, v2, -v34
	v_cmp_eq_u32_e32 vcc, 0, v33
	v_fma_f32 v30, v31, -v32, 1.0
	v_fma_f32 v2, v2, -v32, v30
	v_fma_f32 v2, v2, -v32, -v32
	v_cndmask_b32_e32 v2, v2, v31, vcc
	v_xor_b32_e32 v2, v41, v2
	v_xor_b32_e32 v2, v2, v36
	v_cmp_class_f32_e64 vcc, v36, s39
	v_cndmask_b32_e32 v2, v28, v2, vcc
	v_bfe_u32 v30, v2, 16, 1
	v_add3_u32 v30, v2, v30, s40
	v_lshrrev_b32_e32 v30, 16, v30
	v_cmp_o_f32_e32 vcc, v2, v2
	v_cndmask_b32_e32 v2, v29, v30, vcc
	v_mov_b32_e32 v31, s15
	v_add_co_u32_e32 v30, vcc, s14, v10
	v_addc_co_u32_e32 v31, vcc, v9, v31, vcc
	global_store_short v[30:31], v2, off
	s_branch .LBB97_24
.LBB97_57:
	s_endpgm
	.section	.rodata,"a",@progbits
	.p2align	6, 0x0
	.amdhsa_kernel _ZN2at6native12_GLOBAL__N_125multi_tensor_apply_kernelINS1_18TensorListMetadataILi2EEENS1_14UnaryOpFunctorIN3c108BFloat16ELi2ELi1ELi1EEEJNS0_3TanIfEEEEEvT_T0_DpT1_
		.amdhsa_group_segment_fixed_size 0
		.amdhsa_private_segment_fixed_size 0
		.amdhsa_kernarg_size 3408
		.amdhsa_user_sgpr_count 6
		.amdhsa_user_sgpr_private_segment_buffer 1
		.amdhsa_user_sgpr_dispatch_ptr 0
		.amdhsa_user_sgpr_queue_ptr 0
		.amdhsa_user_sgpr_kernarg_segment_ptr 1
		.amdhsa_user_sgpr_dispatch_id 0
		.amdhsa_user_sgpr_flat_scratch_init 0
		.amdhsa_user_sgpr_kernarg_preload_length 0
		.amdhsa_user_sgpr_kernarg_preload_offset 0
		.amdhsa_user_sgpr_private_segment_size 0
		.amdhsa_uses_dynamic_stack 0
		.amdhsa_system_sgpr_private_segment_wavefront_offset 0
		.amdhsa_system_sgpr_workgroup_id_x 1
		.amdhsa_system_sgpr_workgroup_id_y 0
		.amdhsa_system_sgpr_workgroup_id_z 0
		.amdhsa_system_sgpr_workgroup_info 0
		.amdhsa_system_vgpr_workitem_id 0
		.amdhsa_next_free_vgpr 59
		.amdhsa_next_free_sgpr 42
		.amdhsa_accum_offset 60
		.amdhsa_reserve_vcc 1
		.amdhsa_reserve_flat_scratch 0
		.amdhsa_float_round_mode_32 0
		.amdhsa_float_round_mode_16_64 0
		.amdhsa_float_denorm_mode_32 3
		.amdhsa_float_denorm_mode_16_64 3
		.amdhsa_dx10_clamp 1
		.amdhsa_ieee_mode 1
		.amdhsa_fp16_overflow 0
		.amdhsa_tg_split 0
		.amdhsa_exception_fp_ieee_invalid_op 0
		.amdhsa_exception_fp_denorm_src 0
		.amdhsa_exception_fp_ieee_div_zero 0
		.amdhsa_exception_fp_ieee_overflow 0
		.amdhsa_exception_fp_ieee_underflow 0
		.amdhsa_exception_fp_ieee_inexact 0
		.amdhsa_exception_int_div_zero 0
	.end_amdhsa_kernel
	.section	.text._ZN2at6native12_GLOBAL__N_125multi_tensor_apply_kernelINS1_18TensorListMetadataILi2EEENS1_14UnaryOpFunctorIN3c108BFloat16ELi2ELi1ELi1EEEJNS0_3TanIfEEEEEvT_T0_DpT1_,"axG",@progbits,_ZN2at6native12_GLOBAL__N_125multi_tensor_apply_kernelINS1_18TensorListMetadataILi2EEENS1_14UnaryOpFunctorIN3c108BFloat16ELi2ELi1ELi1EEEJNS0_3TanIfEEEEEvT_T0_DpT1_,comdat
.Lfunc_end97:
	.size	_ZN2at6native12_GLOBAL__N_125multi_tensor_apply_kernelINS1_18TensorListMetadataILi2EEENS1_14UnaryOpFunctorIN3c108BFloat16ELi2ELi1ELi1EEEJNS0_3TanIfEEEEEvT_T0_DpT1_, .Lfunc_end97-_ZN2at6native12_GLOBAL__N_125multi_tensor_apply_kernelINS1_18TensorListMetadataILi2EEENS1_14UnaryOpFunctorIN3c108BFloat16ELi2ELi1ELi1EEEJNS0_3TanIfEEEEEvT_T0_DpT1_
                                        ; -- End function
	.section	.AMDGPU.csdata,"",@progbits
; Kernel info:
; codeLenInByte = 7852
; NumSgprs: 46
; NumVgprs: 59
; NumAgprs: 0
; TotalNumVgprs: 59
; ScratchSize: 0
; MemoryBound: 0
; FloatMode: 240
; IeeeMode: 1
; LDSByteSize: 0 bytes/workgroup (compile time only)
; SGPRBlocks: 5
; VGPRBlocks: 7
; NumSGPRsForWavesPerEU: 46
; NumVGPRsForWavesPerEU: 59
; AccumOffset: 60
; Occupancy: 8
; WaveLimiterHint : 0
; COMPUTE_PGM_RSRC2:SCRATCH_EN: 0
; COMPUTE_PGM_RSRC2:USER_SGPR: 6
; COMPUTE_PGM_RSRC2:TRAP_HANDLER: 0
; COMPUTE_PGM_RSRC2:TGID_X_EN: 1
; COMPUTE_PGM_RSRC2:TGID_Y_EN: 0
; COMPUTE_PGM_RSRC2:TGID_Z_EN: 0
; COMPUTE_PGM_RSRC2:TIDIG_COMP_CNT: 0
; COMPUTE_PGM_RSRC3_GFX90A:ACCUM_OFFSET: 14
; COMPUTE_PGM_RSRC3_GFX90A:TG_SPLIT: 0
	.section	.text._ZN2at6native12_GLOBAL__N_125multi_tensor_apply_kernelINS1_18TensorListMetadataILi1EEENS1_14UnaryOpFunctorIdLi1ELi1ELi0EEEJNS0_3TanIdEEEEEvT_T0_DpT1_,"axG",@progbits,_ZN2at6native12_GLOBAL__N_125multi_tensor_apply_kernelINS1_18TensorListMetadataILi1EEENS1_14UnaryOpFunctorIdLi1ELi1ELi0EEEJNS0_3TanIdEEEEEvT_T0_DpT1_,comdat
	.globl	_ZN2at6native12_GLOBAL__N_125multi_tensor_apply_kernelINS1_18TensorListMetadataILi1EEENS1_14UnaryOpFunctorIdLi1ELi1ELi0EEEJNS0_3TanIdEEEEEvT_T0_DpT1_ ; -- Begin function _ZN2at6native12_GLOBAL__N_125multi_tensor_apply_kernelINS1_18TensorListMetadataILi1EEENS1_14UnaryOpFunctorIdLi1ELi1ELi0EEEJNS0_3TanIdEEEEEvT_T0_DpT1_
	.p2align	8
	.type	_ZN2at6native12_GLOBAL__N_125multi_tensor_apply_kernelINS1_18TensorListMetadataILi1EEENS1_14UnaryOpFunctorIdLi1ELi1ELi0EEEJNS0_3TanIdEEEEEvT_T0_DpT1_,@function
_ZN2at6native12_GLOBAL__N_125multi_tensor_apply_kernelINS1_18TensorListMetadataILi1EEENS1_14UnaryOpFunctorIdLi1ELi1ELi0EEEJNS0_3TanIdEEEEEvT_T0_DpT1_: ; @_ZN2at6native12_GLOBAL__N_125multi_tensor_apply_kernelINS1_18TensorListMetadataILi1EEENS1_14UnaryOpFunctorIdLi1ELi1ELi0EEEJNS0_3TanIdEEEEEvT_T0_DpT1_
; %bb.0:
	v_mov_b32_e32 v1, s6
	global_load_ubyte v1, v1, s[4:5] offset:1760
	s_add_u32 s0, s4, s6
	s_mul_hi_u32 s1, s6, 3
	s_mul_i32 s6, s6, 3
	s_addc_u32 s2, s5, 0
	s_add_u32 s0, s0, s6
	s_addc_u32 s1, s2, s1
	s_load_dword s0, s[0:1], 0x820
	s_mov_b32 s7, 0
	s_waitcnt vmcnt(0)
	v_readfirstlane_b32 s2, v1
	s_lshl_b32 s1, s2, 3
	s_load_dwordx2 s[2:3], s[4:5], s1 offset:0x370
	s_load_dwordx2 s[14:15], s[4:5], s1 offset:0x0
	s_waitcnt lgkmcnt(0)
	s_ashr_i32 s1, s0, 31
	s_lshl_b64 s[16:17], s[0:1], 19
	s_lshl_b64 s[0:1], s[0:1], 16
	s_and_b32 s6, s14, 31
	s_sub_u32 s12, s2, s0
	s_subb_u32 s13, s3, s1
	s_and_b32 s0, s2, 3
	s_mov_b32 s1, s7
	s_or_b64 s[0:1], s[6:7], s[0:1]
	s_cmp_eq_u64 s[0:1], 0
	s_cbranch_scc1 .LBB98_37
; %bb.1:
	v_cmp_lt_i64_e64 s[0:1], s[12:13], 1
	s_and_b64 vcc, exec, s[0:1]
	s_cbranch_vccnz .LBB98_36
; %bb.2:
	s_load_dword s0, s[4:5], 0xd3c
	v_mov_b32_e32 v4, 0x10000
	v_mov_b32_e32 v5, 0
	v_cmp_lt_u64_e32 vcc, s[12:13], v[4:5]
	v_lshlrev_b32_e32 v1, 3, v0
	s_waitcnt lgkmcnt(0)
	s_and_b32 s2, s0, 0xffff
	s_and_b64 s[0:1], vcc, exec
	s_cselect_b32 s19, s13, 0
	s_cselect_b32 s18, s12, 0x10000
	s_lshl_b32 s3, s2, 1
	s_lshl_b32 s48, s2, 2
	s_add_u32 s6, s14, s16
	s_addc_u32 s7, s15, s17
	v_mov_b32_e32 v3, s7
	v_add_co_u32_e32 v4, vcc, s6, v1
	s_mul_i32 s0, s2, 3
	v_addc_co_u32_e32 v5, vcc, 0, v3, vcc
	v_add_co_u32_e32 v1, vcc, s0, v0
	v_addc_co_u32_e64 v58, s[0:1], 0, 0, vcc
	v_add_co_u32_e32 v59, vcc, s3, v0
	v_addc_co_u32_e64 v60, s[0:1], 0, 0, vcc
	v_add_co_u32_e32 v61, vcc, s2, v0
	v_lshlrev_b32_e32 v3, 3, v61
	s_mov_b32 s33, 0
	v_addc_co_u32_e64 v62, s[0:1], 0, 0, vcc
	v_mov_b32_e32 v7, s7
	v_add_co_u32_e32 v6, vcc, s6, v3
	s_mov_b32 s22, 0
	s_mov_b32 s24, 0
	;; [unrolled: 1-line block ×8, first 2 shown]
	v_mov_b32_e32 v2, 0
	s_lshl_b32 s49, s2, 5
	s_mul_i32 s50, s2, 24
	s_mov_b32 s51, s33
	s_lshl_b32 s52, s2, 4
	s_mov_b32 s53, s33
	v_addc_co_u32_e32 v7, vcc, 0, v7, vcc
	s_mov_b64 s[20:21], 0
	s_mov_b32 s23, 0x41d00000
	s_mov_b32 s25, 0x7b000000
	s_movk_i32 s54, 0xff80
	s_mov_b32 s27, 0x7ff00000
	s_mov_b32 s29, 0x3ff921fb
	;; [unrolled: 1-line block ×9, first 2 shown]
	s_movk_i32 s55, 0x1f8
	v_mov_b32_e32 v63, 0x40100000
	v_mov_b32_e32 v64, 0x3ff00000
	;; [unrolled: 1-line block ×29, first 2 shown]
	s_branch .LBB98_4
.LBB98_3:                               ;   in Loop: Header=BB98_4 Depth=1
	s_or_b64 exec, exec, s[0:1]
	s_add_u32 s20, s20, s48
	s_addc_u32 s21, s21, 0
	v_pk_mov_b32 v[34:35], s[12:13], s[12:13] op_sel:[0,1]
	v_cmp_ge_i64_e32 vcc, s[20:21], v[34:35]
	v_mov_b32_e32 v34, 0xffff
	v_mov_b32_e32 v35, 0
	v_cmp_gt_u64_e64 s[0:1], s[20:21], v[34:35]
	s_or_b64 s[0:1], vcc, s[0:1]
	v_mov_b32_e32 v3, s33
	v_add_co_u32_e32 v4, vcc, s49, v4
	v_addc_co_u32_e32 v5, vcc, v5, v3, vcc
	v_add_co_u32_e32 v6, vcc, s49, v6
	v_addc_co_u32_e32 v7, vcc, v7, v3, vcc
	s_and_b64 vcc, exec, s[0:1]
	s_cbranch_vccnz .LBB98_36
.LBB98_4:                               ; =>This Inner Loop Header: Depth=1
	v_mov_b32_e32 v3, s21
	v_add_co_u32_e32 v34, vcc, s20, v0
	v_addc_co_u32_e32 v35, vcc, 0, v3, vcc
	v_cmp_gt_u64_e64 s[6:7], s[18:19], v[34:35]
	v_mov_b32_e32 v40, 0
	v_mov_b32_e32 v41, 0
	s_and_saveexec_b64 s[0:1], s[6:7]
	s_cbranch_execz .LBB98_6
; %bb.5:                                ;   in Loop: Header=BB98_4 Depth=1
	global_load_dwordx2 v[40:41], v[4:5], off
.LBB98_6:                               ;   in Loop: Header=BB98_4 Depth=1
	s_or_b64 exec, exec, s[0:1]
	v_mov_b32_e32 v3, s21
	v_add_co_u32_e32 v34, vcc, s20, v61
	v_addc_co_u32_e32 v35, vcc, v62, v3, vcc
	v_cmp_gt_u64_e64 s[2:3], s[18:19], v[34:35]
	v_mov_b32_e32 v36, 0
	v_mov_b32_e32 v38, 0
	;; [unrolled: 1-line block ×3, first 2 shown]
	s_and_saveexec_b64 s[0:1], s[2:3]
	s_cbranch_execz .LBB98_8
; %bb.7:                                ;   in Loop: Header=BB98_4 Depth=1
	global_load_dwordx2 v[38:39], v[6:7], off
.LBB98_8:                               ;   in Loop: Header=BB98_4 Depth=1
	s_or_b64 exec, exec, s[0:1]
	v_mov_b32_e32 v3, s21
	v_add_co_u32_e32 v34, vcc, s20, v59
	v_addc_co_u32_e32 v35, vcc, v60, v3, vcc
	v_cmp_gt_u64_e64 s[0:1], s[18:19], v[34:35]
	v_mov_b32_e32 v37, 0
	s_and_saveexec_b64 s[8:9], s[0:1]
	s_cbranch_execz .LBB98_10
; %bb.9:                                ;   in Loop: Header=BB98_4 Depth=1
	v_mov_b32_e32 v3, s53
	v_add_co_u32_e32 v34, vcc, s52, v4
	v_addc_co_u32_e32 v35, vcc, v5, v3, vcc
	global_load_dwordx2 v[36:37], v[34:35], off
.LBB98_10:                              ;   in Loop: Header=BB98_4 Depth=1
	s_or_b64 exec, exec, s[8:9]
	v_mov_b32_e32 v3, s21
	v_add_co_u32_e32 v34, vcc, s20, v1
	v_addc_co_u32_e32 v35, vcc, v58, v3, vcc
	v_cmp_gt_u64_e32 vcc, s[18:19], v[34:35]
	v_pk_mov_b32 v[34:35], 0, 0
	s_and_saveexec_b64 s[10:11], vcc
	s_cbranch_execz .LBB98_12
; %bb.11:                               ;   in Loop: Header=BB98_4 Depth=1
	v_mov_b32_e32 v3, s51
	v_add_co_u32_e64 v34, s[8:9], s50, v4
	v_addc_co_u32_e64 v35, s[8:9], v5, v3, s[8:9]
	global_load_dwordx2 v[34:35], v[34:35], off
.LBB98_12:                              ;   in Loop: Header=BB98_4 Depth=1
	s_or_b64 exec, exec, s[10:11]
	s_waitcnt vmcnt(0)
	v_cmp_nlt_f64_e64 s[8:9], |v[40:41]|, s[22:23]
                                        ; implicit-def: $vgpr66
                                        ; implicit-def: $vgpr42_vgpr43
                                        ; implicit-def: $vgpr44_vgpr45
	s_and_saveexec_b64 s[10:11], s[8:9]
	s_xor_b64 s[46:47], exec, s[10:11]
	s_cbranch_execz .LBB98_14
; %bb.13:                               ;   in Loop: Header=BB98_4 Depth=1
	v_and_b32_e32 v3, 0x7fffffff, v41
	v_ldexp_f64 v[46:47], |v[40:41]|, s54
	v_cmp_ge_f64_e64 s[8:9], |v[40:41]|, s[24:25]
	v_trig_preop_f64 v[42:43], |v[40:41]|, 0
	v_cndmask_b32_e64 v47, v3, v47, s[8:9]
	v_cndmask_b32_e64 v46, v40, v46, s[8:9]
	v_trig_preop_f64 v[44:45], |v[40:41]|, 1
	v_mul_f64 v[50:51], v[42:43], v[46:47]
	v_mul_f64 v[48:49], v[44:45], v[46:47]
	v_fma_f64 v[42:43], v[42:43], v[46:47], -v[50:51]
	v_add_f64 v[52:53], v[48:49], v[42:43]
	v_add_f64 v[54:55], v[50:51], v[52:53]
	v_ldexp_f64 v[56:57], v[54:55], -2
	v_fract_f64_e32 v[66:67], v[56:57]
	v_cmp_neq_f64_e64 s[8:9], |v[56:57]|, s[26:27]
	v_cndmask_b32_e64 v57, 0, v67, s[8:9]
	v_cndmask_b32_e64 v56, 0, v66, s[8:9]
	v_add_f64 v[66:67], v[52:53], -v[48:49]
	v_add_f64 v[42:43], v[42:43], -v[66:67]
	;; [unrolled: 1-line block ×4, first 2 shown]
	v_fma_f64 v[44:45], v[44:45], v[46:47], -v[48:49]
	v_trig_preop_f64 v[48:49], |v[40:41]|, 2
	v_add_f64 v[42:43], v[42:43], v[66:67]
	v_mul_f64 v[66:67], v[48:49], v[46:47]
	v_add_f64 v[68:69], v[66:67], v[44:45]
	v_add_f64 v[70:71], v[68:69], v[42:43]
	v_add_f64 v[50:51], v[54:55], -v[50:51]
	v_add_f64 v[54:55], v[70:71], -v[68:69]
	;; [unrolled: 1-line block ×5, first 2 shown]
	v_add_f64 v[42:43], v[42:43], v[54:55]
	v_add_f64 v[54:55], v[68:69], -v[66:67]
	v_add_f64 v[44:45], v[44:45], -v[54:55]
	;; [unrolled: 1-line block ×4, first 2 shown]
	v_add_f64 v[44:45], v[44:45], v[54:55]
	v_add_f64 v[50:51], v[52:53], -v[50:51]
	v_add_f64 v[42:43], v[44:45], v[42:43]
	v_fma_f64 v[44:45], v[48:49], v[46:47], -v[66:67]
	v_add_f64 v[52:53], v[50:51], v[70:71]
	v_add_f64 v[42:43], v[44:45], v[42:43]
	v_ldexp_f64 v[44:45], v[56:57], 2
	v_add_f64 v[46:47], v[52:53], v[44:45]
	v_cmp_gt_f64_e64 s[8:9], 0, v[46:47]
	v_cndmask_b32_e64 v3, 0, v63, s[8:9]
	v_add_f64 v[44:45], v[44:45], v[2:3]
	v_add_f64 v[46:47], v[52:53], v[44:45]
	v_cvt_i32_f64_e32 v3, v[46:47]
	v_cvt_f64_i32_e32 v[46:47], v3
	v_add_f64 v[44:45], v[44:45], -v[46:47]
	v_add_f64 v[50:51], v[52:53], -v[50:51]
	v_add_f64 v[46:47], v[52:53], v[44:45]
	v_add_f64 v[50:51], v[70:71], -v[50:51]
	v_add_f64 v[44:45], v[46:47], -v[44:45]
	v_cmp_le_f64_e64 s[8:9], 0.5, v[46:47]
	v_add_f64 v[42:43], v[50:51], v[42:43]
	v_add_f64 v[44:45], v[52:53], -v[44:45]
	v_addc_co_u32_e64 v66, s[10:11], 0, v3, s[8:9]
	v_cndmask_b32_e64 v3, 0, v64, s[8:9]
	v_add_f64 v[42:43], v[42:43], v[44:45]
	v_add_f64 v[44:45], v[46:47], -v[2:3]
	v_add_f64 v[46:47], v[44:45], v[42:43]
	v_add_f64 v[44:45], v[46:47], -v[44:45]
	s_mov_b32 s28, s30
	v_add_f64 v[42:43], v[42:43], -v[44:45]
	v_mul_f64 v[44:45], v[46:47], s[28:29]
	v_fma_f64 v[48:49], v[46:47], s[28:29], -v[44:45]
	s_mov_b32 s37, s35
	v_fmac_f64_e32 v[48:49], s[36:37], v[46:47]
	v_fmac_f64_e32 v[48:49], s[28:29], v[42:43]
	v_add_f64 v[42:43], v[44:45], v[48:49]
	v_add_f64 v[44:45], v[42:43], -v[44:45]
	v_add_f64 v[44:45], v[48:49], -v[44:45]
.LBB98_14:                              ;   in Loop: Header=BB98_4 Depth=1
	s_andn2_saveexec_b64 s[8:9], s[46:47]
	s_cbranch_execz .LBB98_16
; %bb.15:                               ;   in Loop: Header=BB98_4 Depth=1
	v_mul_f64 v[42:43], |v[40:41]|, s[38:39]
	v_rndne_f64_e32 v[46:47], v[42:43]
	v_fma_f64 v[42:43], v[46:47], s[30:31], |v[40:41]|
	v_mul_f64 v[48:49], v[46:47], s[40:41]
	v_add_f64 v[52:53], v[42:43], v[48:49]
	v_fma_f64 v[44:45], s[40:41], v[46:47], v[42:43]
	s_mov_b32 s34, s40
	v_add_f64 v[42:43], v[42:43], -v[52:53]
	v_fma_f64 v[50:51], s[34:35], v[46:47], v[48:49]
	v_add_f64 v[42:43], v[42:43], v[48:49]
	v_add_f64 v[48:49], v[52:53], -v[44:45]
	v_add_f64 v[42:43], v[48:49], v[42:43]
	v_add_f64 v[48:49], v[42:43], -v[50:51]
	v_fmac_f64_e32 v[48:49], s[42:43], v[46:47]
	v_add_f64 v[42:43], v[44:45], v[48:49]
	v_add_f64 v[44:45], v[42:43], -v[44:45]
	v_add_f64 v[44:45], v[48:49], -v[44:45]
	v_cvt_i32_f64_e32 v66, v[46:47]
.LBB98_16:                              ;   in Loop: Header=BB98_4 Depth=1
	s_or_b64 exec, exec, s[8:9]
	v_cmp_nlt_f64_e64 s[8:9], |v[38:39]|, s[22:23]
                                        ; implicit-def: $vgpr67
                                        ; implicit-def: $vgpr46_vgpr47
                                        ; implicit-def: $vgpr48_vgpr49
	s_and_saveexec_b64 s[10:11], s[8:9]
	s_xor_b64 s[46:47], exec, s[10:11]
	s_cbranch_execz .LBB98_18
; %bb.17:                               ;   in Loop: Header=BB98_4 Depth=1
	v_and_b32_e32 v3, 0x7fffffff, v39
	v_ldexp_f64 v[50:51], |v[38:39]|, s54
	v_cmp_ge_f64_e64 s[8:9], |v[38:39]|, s[24:25]
	v_trig_preop_f64 v[46:47], |v[38:39]|, 0
	v_cndmask_b32_e64 v51, v3, v51, s[8:9]
	v_cndmask_b32_e64 v50, v38, v50, s[8:9]
	v_trig_preop_f64 v[48:49], |v[38:39]|, 1
	v_mul_f64 v[54:55], v[46:47], v[50:51]
	v_mul_f64 v[52:53], v[48:49], v[50:51]
	v_fma_f64 v[46:47], v[46:47], v[50:51], -v[54:55]
	v_add_f64 v[56:57], v[52:53], v[46:47]
	v_add_f64 v[68:69], v[54:55], v[56:57]
	v_ldexp_f64 v[70:71], v[68:69], -2
	v_fract_f64_e32 v[72:73], v[70:71]
	v_cmp_neq_f64_e64 s[8:9], |v[70:71]|, s[26:27]
	v_cndmask_b32_e64 v71, 0, v73, s[8:9]
	v_cndmask_b32_e64 v70, 0, v72, s[8:9]
	v_add_f64 v[72:73], v[56:57], -v[52:53]
	v_add_f64 v[46:47], v[46:47], -v[72:73]
	v_add_f64 v[72:73], v[56:57], -v[72:73]
	v_add_f64 v[72:73], v[52:53], -v[72:73]
	v_fma_f64 v[48:49], v[48:49], v[50:51], -v[52:53]
	v_trig_preop_f64 v[52:53], |v[38:39]|, 2
	v_add_f64 v[46:47], v[46:47], v[72:73]
	v_mul_f64 v[72:73], v[52:53], v[50:51]
	v_add_f64 v[74:75], v[72:73], v[48:49]
	v_add_f64 v[76:77], v[74:75], v[46:47]
	v_add_f64 v[54:55], v[68:69], -v[54:55]
	v_add_f64 v[68:69], v[76:77], -v[74:75]
	;; [unrolled: 1-line block ×5, first 2 shown]
	v_add_f64 v[46:47], v[46:47], v[68:69]
	v_add_f64 v[68:69], v[74:75], -v[72:73]
	v_add_f64 v[48:49], v[48:49], -v[68:69]
	;; [unrolled: 1-line block ×4, first 2 shown]
	v_add_f64 v[48:49], v[48:49], v[68:69]
	v_add_f64 v[54:55], v[56:57], -v[54:55]
	v_add_f64 v[46:47], v[48:49], v[46:47]
	v_fma_f64 v[48:49], v[52:53], v[50:51], -v[72:73]
	v_add_f64 v[56:57], v[54:55], v[76:77]
	v_add_f64 v[46:47], v[48:49], v[46:47]
	v_ldexp_f64 v[48:49], v[70:71], 2
	v_add_f64 v[50:51], v[56:57], v[48:49]
	v_cmp_gt_f64_e64 s[8:9], 0, v[50:51]
	v_cndmask_b32_e64 v3, 0, v63, s[8:9]
	v_add_f64 v[48:49], v[48:49], v[2:3]
	v_add_f64 v[50:51], v[56:57], v[48:49]
	v_cvt_i32_f64_e32 v3, v[50:51]
	v_cvt_f64_i32_e32 v[50:51], v3
	v_add_f64 v[48:49], v[48:49], -v[50:51]
	v_add_f64 v[54:55], v[56:57], -v[54:55]
	v_add_f64 v[50:51], v[56:57], v[48:49]
	v_add_f64 v[54:55], v[76:77], -v[54:55]
	v_add_f64 v[48:49], v[50:51], -v[48:49]
	v_cmp_le_f64_e64 s[8:9], 0.5, v[50:51]
	v_add_f64 v[46:47], v[54:55], v[46:47]
	v_add_f64 v[48:49], v[56:57], -v[48:49]
	v_addc_co_u32_e64 v67, s[10:11], 0, v3, s[8:9]
	v_cndmask_b32_e64 v3, 0, v64, s[8:9]
	v_add_f64 v[46:47], v[46:47], v[48:49]
	v_add_f64 v[48:49], v[50:51], -v[2:3]
	v_add_f64 v[50:51], v[48:49], v[46:47]
	v_add_f64 v[48:49], v[50:51], -v[48:49]
	s_mov_b32 s28, s30
	v_add_f64 v[46:47], v[46:47], -v[48:49]
	v_mul_f64 v[48:49], v[50:51], s[28:29]
	v_fma_f64 v[52:53], v[50:51], s[28:29], -v[48:49]
	s_mov_b32 s37, s35
	v_fmac_f64_e32 v[52:53], s[36:37], v[50:51]
	v_fmac_f64_e32 v[52:53], s[28:29], v[46:47]
	v_add_f64 v[46:47], v[48:49], v[52:53]
	v_add_f64 v[48:49], v[46:47], -v[48:49]
	v_add_f64 v[48:49], v[52:53], -v[48:49]
.LBB98_18:                              ;   in Loop: Header=BB98_4 Depth=1
	s_andn2_saveexec_b64 s[8:9], s[46:47]
	s_cbranch_execz .LBB98_20
; %bb.19:                               ;   in Loop: Header=BB98_4 Depth=1
	v_mul_f64 v[46:47], |v[38:39]|, s[38:39]
	v_rndne_f64_e32 v[50:51], v[46:47]
	v_fma_f64 v[46:47], v[50:51], s[30:31], |v[38:39]|
	v_mul_f64 v[52:53], v[50:51], s[40:41]
	v_add_f64 v[56:57], v[46:47], v[52:53]
	v_fma_f64 v[48:49], s[40:41], v[50:51], v[46:47]
	s_mov_b32 s34, s40
	v_add_f64 v[46:47], v[46:47], -v[56:57]
	v_fma_f64 v[54:55], s[34:35], v[50:51], v[52:53]
	v_add_f64 v[46:47], v[46:47], v[52:53]
	v_add_f64 v[52:53], v[56:57], -v[48:49]
	v_add_f64 v[46:47], v[52:53], v[46:47]
	v_add_f64 v[52:53], v[46:47], -v[54:55]
	v_fmac_f64_e32 v[52:53], s[42:43], v[50:51]
	v_add_f64 v[46:47], v[48:49], v[52:53]
	v_add_f64 v[48:49], v[46:47], -v[48:49]
	v_add_f64 v[48:49], v[52:53], -v[48:49]
	v_cvt_i32_f64_e32 v67, v[50:51]
.LBB98_20:                              ;   in Loop: Header=BB98_4 Depth=1
	s_or_b64 exec, exec, s[8:9]
	v_cmp_nlt_f64_e64 s[8:9], |v[36:37]|, s[22:23]
                                        ; implicit-def: $vgpr68
                                        ; implicit-def: $vgpr50_vgpr51
                                        ; implicit-def: $vgpr52_vgpr53
	s_and_saveexec_b64 s[10:11], s[8:9]
	s_xor_b64 s[46:47], exec, s[10:11]
	s_cbranch_execz .LBB98_22
; %bb.21:                               ;   in Loop: Header=BB98_4 Depth=1
	v_and_b32_e32 v3, 0x7fffffff, v37
	v_ldexp_f64 v[54:55], |v[36:37]|, s54
	v_cmp_ge_f64_e64 s[8:9], |v[36:37]|, s[24:25]
	v_trig_preop_f64 v[50:51], |v[36:37]|, 0
	v_cndmask_b32_e64 v55, v3, v55, s[8:9]
	v_cndmask_b32_e64 v54, v36, v54, s[8:9]
	v_trig_preop_f64 v[52:53], |v[36:37]|, 1
	v_mul_f64 v[68:69], v[50:51], v[54:55]
	v_mul_f64 v[56:57], v[52:53], v[54:55]
	v_fma_f64 v[50:51], v[50:51], v[54:55], -v[68:69]
	v_add_f64 v[70:71], v[56:57], v[50:51]
	v_add_f64 v[72:73], v[68:69], v[70:71]
	v_ldexp_f64 v[74:75], v[72:73], -2
	v_fract_f64_e32 v[76:77], v[74:75]
	v_cmp_neq_f64_e64 s[8:9], |v[74:75]|, s[26:27]
	v_cndmask_b32_e64 v75, 0, v77, s[8:9]
	v_cndmask_b32_e64 v74, 0, v76, s[8:9]
	v_add_f64 v[76:77], v[70:71], -v[56:57]
	v_add_f64 v[50:51], v[50:51], -v[76:77]
	;; [unrolled: 1-line block ×4, first 2 shown]
	v_fma_f64 v[52:53], v[52:53], v[54:55], -v[56:57]
	v_trig_preop_f64 v[56:57], |v[36:37]|, 2
	v_add_f64 v[50:51], v[50:51], v[76:77]
	v_mul_f64 v[76:77], v[56:57], v[54:55]
	v_add_f64 v[78:79], v[76:77], v[52:53]
	v_add_f64 v[80:81], v[78:79], v[50:51]
	v_add_f64 v[68:69], v[72:73], -v[68:69]
	v_add_f64 v[72:73], v[80:81], -v[78:79]
	;; [unrolled: 1-line block ×5, first 2 shown]
	v_add_f64 v[50:51], v[50:51], v[72:73]
	v_add_f64 v[72:73], v[78:79], -v[76:77]
	v_add_f64 v[52:53], v[52:53], -v[72:73]
	;; [unrolled: 1-line block ×4, first 2 shown]
	v_add_f64 v[52:53], v[52:53], v[72:73]
	v_add_f64 v[68:69], v[70:71], -v[68:69]
	v_add_f64 v[50:51], v[52:53], v[50:51]
	v_fma_f64 v[52:53], v[56:57], v[54:55], -v[76:77]
	v_add_f64 v[70:71], v[68:69], v[80:81]
	v_add_f64 v[50:51], v[52:53], v[50:51]
	v_ldexp_f64 v[52:53], v[74:75], 2
	v_add_f64 v[54:55], v[70:71], v[52:53]
	v_cmp_gt_f64_e64 s[8:9], 0, v[54:55]
	v_cndmask_b32_e64 v3, 0, v63, s[8:9]
	v_add_f64 v[52:53], v[52:53], v[2:3]
	v_add_f64 v[54:55], v[70:71], v[52:53]
	v_cvt_i32_f64_e32 v3, v[54:55]
	v_cvt_f64_i32_e32 v[54:55], v3
	v_add_f64 v[52:53], v[52:53], -v[54:55]
	v_add_f64 v[68:69], v[70:71], -v[68:69]
	v_add_f64 v[54:55], v[70:71], v[52:53]
	v_add_f64 v[68:69], v[80:81], -v[68:69]
	v_add_f64 v[52:53], v[54:55], -v[52:53]
	v_cmp_le_f64_e64 s[8:9], 0.5, v[54:55]
	v_add_f64 v[50:51], v[68:69], v[50:51]
	v_add_f64 v[52:53], v[70:71], -v[52:53]
	v_addc_co_u32_e64 v68, s[10:11], 0, v3, s[8:9]
	v_cndmask_b32_e64 v3, 0, v64, s[8:9]
	v_add_f64 v[50:51], v[50:51], v[52:53]
	v_add_f64 v[52:53], v[54:55], -v[2:3]
	v_add_f64 v[54:55], v[52:53], v[50:51]
	v_add_f64 v[52:53], v[54:55], -v[52:53]
	s_mov_b32 s28, s30
	v_add_f64 v[50:51], v[50:51], -v[52:53]
	v_mul_f64 v[52:53], v[54:55], s[28:29]
	v_fma_f64 v[56:57], v[54:55], s[28:29], -v[52:53]
	s_mov_b32 s37, s35
	v_fmac_f64_e32 v[56:57], s[36:37], v[54:55]
	v_fmac_f64_e32 v[56:57], s[28:29], v[50:51]
	v_add_f64 v[50:51], v[52:53], v[56:57]
	v_add_f64 v[52:53], v[50:51], -v[52:53]
	v_add_f64 v[52:53], v[56:57], -v[52:53]
.LBB98_22:                              ;   in Loop: Header=BB98_4 Depth=1
	s_andn2_saveexec_b64 s[8:9], s[46:47]
	s_cbranch_execz .LBB98_24
; %bb.23:                               ;   in Loop: Header=BB98_4 Depth=1
	v_mul_f64 v[50:51], |v[36:37]|, s[38:39]
	v_rndne_f64_e32 v[54:55], v[50:51]
	v_fma_f64 v[50:51], v[54:55], s[30:31], |v[36:37]|
	v_mul_f64 v[56:57], v[54:55], s[40:41]
	v_add_f64 v[70:71], v[50:51], v[56:57]
	v_fma_f64 v[52:53], s[40:41], v[54:55], v[50:51]
	s_mov_b32 s34, s40
	v_add_f64 v[50:51], v[50:51], -v[70:71]
	v_fma_f64 v[68:69], s[34:35], v[54:55], v[56:57]
	v_add_f64 v[50:51], v[50:51], v[56:57]
	v_add_f64 v[56:57], v[70:71], -v[52:53]
	v_add_f64 v[50:51], v[56:57], v[50:51]
	v_add_f64 v[56:57], v[50:51], -v[68:69]
	v_fmac_f64_e32 v[56:57], s[42:43], v[54:55]
	v_add_f64 v[50:51], v[52:53], v[56:57]
	v_add_f64 v[52:53], v[50:51], -v[52:53]
	v_add_f64 v[52:53], v[56:57], -v[52:53]
	v_cvt_i32_f64_e32 v68, v[54:55]
.LBB98_24:                              ;   in Loop: Header=BB98_4 Depth=1
	s_or_b64 exec, exec, s[8:9]
	v_cmp_nlt_f64_e64 s[8:9], |v[34:35]|, s[22:23]
                                        ; implicit-def: $vgpr69
                                        ; implicit-def: $vgpr54_vgpr55
                                        ; implicit-def: $vgpr56_vgpr57
	s_and_saveexec_b64 s[10:11], s[8:9]
	s_xor_b64 s[46:47], exec, s[10:11]
	s_cbranch_execnz .LBB98_30
; %bb.25:                               ;   in Loop: Header=BB98_4 Depth=1
	s_andn2_saveexec_b64 s[8:9], s[46:47]
	s_cbranch_execnz .LBB98_31
.LBB98_26:                              ;   in Loop: Header=BB98_4 Depth=1
	s_or_b64 exec, exec, s[8:9]
	s_and_saveexec_b64 s[8:9], s[6:7]
	s_xor_b64 s[8:9], exec, s[8:9]
	s_cbranch_execnz .LBB98_32
.LBB98_27:                              ;   in Loop: Header=BB98_4 Depth=1
	s_or_b64 exec, exec, s[8:9]
	s_and_saveexec_b64 s[6:7], s[2:3]
	s_cbranch_execnz .LBB98_33
.LBB98_28:                              ;   in Loop: Header=BB98_4 Depth=1
	s_or_b64 exec, exec, s[6:7]
	s_and_saveexec_b64 s[2:3], s[0:1]
	s_cbranch_execnz .LBB98_34
.LBB98_29:                              ;   in Loop: Header=BB98_4 Depth=1
	s_or_b64 exec, exec, s[2:3]
	s_and_saveexec_b64 s[0:1], vcc
	s_cbranch_execz .LBB98_3
	s_branch .LBB98_35
.LBB98_30:                              ;   in Loop: Header=BB98_4 Depth=1
	v_and_b32_e32 v3, 0x7fffffff, v35
	v_ldexp_f64 v[70:71], |v[34:35]|, s54
	v_cmp_ge_f64_e64 s[8:9], |v[34:35]|, s[24:25]
	v_trig_preop_f64 v[54:55], |v[34:35]|, 0
	v_cndmask_b32_e64 v71, v3, v71, s[8:9]
	v_cndmask_b32_e64 v70, v34, v70, s[8:9]
	v_trig_preop_f64 v[56:57], |v[34:35]|, 1
	v_mul_f64 v[74:75], v[54:55], v[70:71]
	v_mul_f64 v[72:73], v[56:57], v[70:71]
	v_fma_f64 v[54:55], v[54:55], v[70:71], -v[74:75]
	v_add_f64 v[76:77], v[72:73], v[54:55]
	v_add_f64 v[78:79], v[74:75], v[76:77]
	v_ldexp_f64 v[80:81], v[78:79], -2
	v_fract_f64_e32 v[82:83], v[80:81]
	v_cmp_neq_f64_e64 s[8:9], |v[80:81]|, s[26:27]
	v_cndmask_b32_e64 v81, 0, v83, s[8:9]
	v_cndmask_b32_e64 v80, 0, v82, s[8:9]
	v_add_f64 v[82:83], v[76:77], -v[72:73]
	v_add_f64 v[54:55], v[54:55], -v[82:83]
	;; [unrolled: 1-line block ×4, first 2 shown]
	v_fma_f64 v[56:57], v[56:57], v[70:71], -v[72:73]
	v_trig_preop_f64 v[72:73], |v[34:35]|, 2
	v_add_f64 v[54:55], v[54:55], v[82:83]
	v_mul_f64 v[82:83], v[72:73], v[70:71]
	v_add_f64 v[84:85], v[82:83], v[56:57]
	v_add_f64 v[86:87], v[84:85], v[54:55]
	v_add_f64 v[74:75], v[78:79], -v[74:75]
	v_add_f64 v[78:79], v[86:87], -v[84:85]
	;; [unrolled: 1-line block ×5, first 2 shown]
	v_add_f64 v[54:55], v[54:55], v[78:79]
	v_add_f64 v[78:79], v[84:85], -v[82:83]
	v_add_f64 v[56:57], v[56:57], -v[78:79]
	;; [unrolled: 1-line block ×4, first 2 shown]
	v_add_f64 v[56:57], v[56:57], v[78:79]
	v_add_f64 v[74:75], v[76:77], -v[74:75]
	v_add_f64 v[54:55], v[56:57], v[54:55]
	v_fma_f64 v[56:57], v[72:73], v[70:71], -v[82:83]
	v_add_f64 v[76:77], v[74:75], v[86:87]
	v_add_f64 v[54:55], v[56:57], v[54:55]
	v_ldexp_f64 v[56:57], v[80:81], 2
	v_add_f64 v[70:71], v[76:77], v[56:57]
	v_cmp_gt_f64_e64 s[8:9], 0, v[70:71]
	v_cndmask_b32_e64 v3, 0, v63, s[8:9]
	v_add_f64 v[56:57], v[56:57], v[2:3]
	v_add_f64 v[70:71], v[76:77], v[56:57]
	v_cvt_i32_f64_e32 v3, v[70:71]
	v_cvt_f64_i32_e32 v[70:71], v3
	v_add_f64 v[56:57], v[56:57], -v[70:71]
	v_add_f64 v[74:75], v[76:77], -v[74:75]
	v_add_f64 v[70:71], v[76:77], v[56:57]
	v_add_f64 v[74:75], v[86:87], -v[74:75]
	v_add_f64 v[56:57], v[70:71], -v[56:57]
	v_cmp_le_f64_e64 s[8:9], 0.5, v[70:71]
	v_add_f64 v[54:55], v[74:75], v[54:55]
	v_add_f64 v[56:57], v[76:77], -v[56:57]
	v_addc_co_u32_e64 v69, s[10:11], 0, v3, s[8:9]
	v_cndmask_b32_e64 v3, 0, v64, s[8:9]
	v_add_f64 v[54:55], v[54:55], v[56:57]
	v_add_f64 v[56:57], v[70:71], -v[2:3]
	v_add_f64 v[70:71], v[56:57], v[54:55]
	v_add_f64 v[56:57], v[70:71], -v[56:57]
	s_mov_b32 s28, s30
	v_add_f64 v[54:55], v[54:55], -v[56:57]
	v_mul_f64 v[56:57], v[70:71], s[28:29]
	v_fma_f64 v[72:73], v[70:71], s[28:29], -v[56:57]
	s_mov_b32 s37, s35
	v_fmac_f64_e32 v[72:73], s[36:37], v[70:71]
	v_fmac_f64_e32 v[72:73], s[28:29], v[54:55]
	v_add_f64 v[54:55], v[56:57], v[72:73]
	v_add_f64 v[56:57], v[54:55], -v[56:57]
	v_add_f64 v[56:57], v[72:73], -v[56:57]
	s_andn2_saveexec_b64 s[8:9], s[46:47]
	s_cbranch_execz .LBB98_26
.LBB98_31:                              ;   in Loop: Header=BB98_4 Depth=1
	v_mul_f64 v[54:55], |v[34:35]|, s[38:39]
	v_rndne_f64_e32 v[70:71], v[54:55]
	v_fma_f64 v[54:55], v[70:71], s[30:31], |v[34:35]|
	v_mul_f64 v[72:73], v[70:71], s[40:41]
	v_add_f64 v[76:77], v[54:55], v[72:73]
	v_fma_f64 v[56:57], s[40:41], v[70:71], v[54:55]
	s_mov_b32 s34, s40
	v_add_f64 v[54:55], v[54:55], -v[76:77]
	v_fma_f64 v[74:75], s[34:35], v[70:71], v[72:73]
	v_add_f64 v[54:55], v[54:55], v[72:73]
	v_add_f64 v[72:73], v[76:77], -v[56:57]
	v_add_f64 v[54:55], v[72:73], v[54:55]
	v_add_f64 v[72:73], v[54:55], -v[74:75]
	v_fmac_f64_e32 v[72:73], s[42:43], v[70:71]
	v_add_f64 v[54:55], v[56:57], v[72:73]
	v_add_f64 v[56:57], v[54:55], -v[56:57]
	v_add_f64 v[56:57], v[72:73], -v[56:57]
	v_cvt_i32_f64_e32 v69, v[70:71]
	s_or_b64 exec, exec, s[8:9]
	s_and_saveexec_b64 s[8:9], s[6:7]
	s_xor_b64 s[8:9], exec, s[8:9]
	s_cbranch_execz .LBB98_27
.LBB98_32:                              ;   in Loop: Header=BB98_4 Depth=1
	v_mul_f64 v[70:71], v[42:43], v[42:43]
	v_fma_f64 v[72:73], v[42:43], v[42:43], -v[70:71]
	v_add_f64 v[74:75], v[44:45], v[44:45]
	v_fmac_f64_e32 v[72:73], v[42:43], v[74:75]
	v_add_f64 v[70:71], v[70:71], v[72:73]
	v_pk_mov_b32 v[72:73], v[8:9], v[8:9] op_sel:[0,1]
	v_fmac_f64_e32 v[72:73], s[44:45], v[70:71]
	v_pk_mov_b32 v[74:75], v[10:11], v[10:11] op_sel:[0,1]
	v_fmac_f64_e32 v[74:75], v[70:71], v[72:73]
	;; [unrolled: 2-line block ×13, first 2 shown]
	v_mul_f64 v[70:71], v[70:71], v[72:73]
	v_mul_f64 v[72:73], v[42:43], v[70:71]
	v_add_f64 v[74:75], v[42:43], v[72:73]
	v_fma_f64 v[70:71], v[42:43], v[70:71], -v[72:73]
	v_add_f64 v[42:43], v[74:75], -v[42:43]
	v_add_f64 v[42:43], v[72:73], -v[42:43]
	v_add_f64 v[44:45], v[44:45], v[70:71]
	v_add_f64 v[42:43], v[44:45], v[42:43]
	;; [unrolled: 1-line block ×3, first 2 shown]
	v_rcp_f64_e32 v[70:71], v[44:45]
	v_add_f64 v[72:73], v[44:45], -v[74:75]
	v_add_f64 v[42:43], v[42:43], -v[72:73]
	v_and_b32_e32 v3, 1, v66
	v_fma_f64 v[72:73], -v[44:45], v[70:71], 1.0
	v_fmac_f64_e32 v[70:71], v[72:73], v[70:71]
	v_fma_f64 v[72:73], -v[44:45], v[70:71], 1.0
	v_fmac_f64_e32 v[70:71], v[72:73], v[70:71]
	v_mul_f64 v[72:73], v[44:45], v[70:71]
	v_fma_f64 v[74:75], v[70:71], v[44:45], -v[72:73]
	v_fmac_f64_e32 v[74:75], v[70:71], v[42:43]
	v_add_f64 v[42:43], v[72:73], v[74:75]
	v_add_f64 v[76:77], -v[42:43], 1.0
	v_add_f64 v[72:73], v[42:43], -v[72:73]
	v_add_f64 v[78:79], -v[76:77], 1.0
	v_add_f64 v[42:43], v[78:79], -v[42:43]
	v_add_f64 v[72:73], v[72:73], -v[74:75]
	v_add_f64 v[42:43], v[72:73], v[42:43]
	v_add_f64 v[42:43], v[76:77], v[42:43]
	v_mul_f64 v[42:43], v[70:71], v[42:43]
	v_add_f64 v[42:43], v[70:71], v[42:43]
	v_xor_b32_e32 v43, 0x80000000, v43
	v_cmp_eq_u32_e64 s[6:7], 0, v3
	v_cndmask_b32_e64 v3, v42, v44, s[6:7]
	v_cndmask_b32_e64 v42, v43, v45, s[6:7]
	v_and_b32_e32 v43, 0x80000000, v41
	v_xor_b32_e32 v42, v42, v43
	v_cmp_class_f64_e64 s[6:7], v[40:41], s55
	v_cndmask_b32_e64 v40, 0, v3, s[6:7]
	v_cndmask_b32_e64 v41, v65, v42, s[6:7]
	global_store_dwordx2 v[4:5], v[40:41], off
	s_or_b64 exec, exec, s[8:9]
	s_and_saveexec_b64 s[6:7], s[2:3]
	s_cbranch_execz .LBB98_28
.LBB98_33:                              ;   in Loop: Header=BB98_4 Depth=1
	v_mul_f64 v[40:41], v[46:47], v[46:47]
	v_fma_f64 v[42:43], v[46:47], v[46:47], -v[40:41]
	v_add_f64 v[44:45], v[48:49], v[48:49]
	v_fmac_f64_e32 v[42:43], v[46:47], v[44:45]
	v_add_f64 v[40:41], v[40:41], v[42:43]
	v_pk_mov_b32 v[42:43], v[8:9], v[8:9] op_sel:[0,1]
	v_fmac_f64_e32 v[42:43], s[44:45], v[40:41]
	v_pk_mov_b32 v[44:45], v[10:11], v[10:11] op_sel:[0,1]
	v_fmac_f64_e32 v[44:45], v[40:41], v[42:43]
	;; [unrolled: 2-line block ×13, first 2 shown]
	v_mul_f64 v[40:41], v[40:41], v[42:43]
	v_mul_f64 v[42:43], v[46:47], v[40:41]
	v_add_f64 v[44:45], v[46:47], v[42:43]
	v_fma_f64 v[40:41], v[46:47], v[40:41], -v[42:43]
	v_add_f64 v[46:47], v[44:45], -v[46:47]
	v_add_f64 v[42:43], v[42:43], -v[46:47]
	v_add_f64 v[40:41], v[48:49], v[40:41]
	v_add_f64 v[40:41], v[40:41], v[42:43]
	;; [unrolled: 1-line block ×3, first 2 shown]
	v_rcp_f64_e32 v[46:47], v[42:43]
	v_add_f64 v[44:45], v[42:43], -v[44:45]
	v_add_f64 v[40:41], v[40:41], -v[44:45]
	v_and_b32_e32 v3, 1, v67
	v_fma_f64 v[44:45], -v[42:43], v[46:47], 1.0
	v_fmac_f64_e32 v[46:47], v[44:45], v[46:47]
	v_fma_f64 v[44:45], -v[42:43], v[46:47], 1.0
	v_fmac_f64_e32 v[46:47], v[44:45], v[46:47]
	v_mul_f64 v[44:45], v[42:43], v[46:47]
	v_fma_f64 v[48:49], v[46:47], v[42:43], -v[44:45]
	v_fmac_f64_e32 v[48:49], v[46:47], v[40:41]
	v_add_f64 v[40:41], v[44:45], v[48:49]
	v_add_f64 v[66:67], -v[40:41], 1.0
	v_add_f64 v[44:45], v[40:41], -v[44:45]
	v_add_f64 v[70:71], -v[66:67], 1.0
	v_add_f64 v[40:41], v[70:71], -v[40:41]
	v_add_f64 v[44:45], v[44:45], -v[48:49]
	v_add_f64 v[40:41], v[44:45], v[40:41]
	v_add_f64 v[40:41], v[66:67], v[40:41]
	v_mul_f64 v[40:41], v[46:47], v[40:41]
	v_add_f64 v[40:41], v[46:47], v[40:41]
	v_xor_b32_e32 v41, 0x80000000, v41
	v_cmp_eq_u32_e64 s[2:3], 0, v3
	v_cndmask_b32_e64 v3, v40, v42, s[2:3]
	v_cndmask_b32_e64 v40, v41, v43, s[2:3]
	v_and_b32_e32 v41, 0x80000000, v39
	v_xor_b32_e32 v40, v40, v41
	v_cmp_class_f64_e64 s[2:3], v[38:39], s55
	v_cndmask_b32_e64 v38, 0, v3, s[2:3]
	v_cndmask_b32_e64 v39, v65, v40, s[2:3]
	global_store_dwordx2 v[6:7], v[38:39], off
	s_or_b64 exec, exec, s[6:7]
	s_and_saveexec_b64 s[2:3], s[0:1]
	s_cbranch_execz .LBB98_29
.LBB98_34:                              ;   in Loop: Header=BB98_4 Depth=1
	v_mul_f64 v[38:39], v[50:51], v[50:51]
	v_fma_f64 v[40:41], v[50:51], v[50:51], -v[38:39]
	v_add_f64 v[42:43], v[52:53], v[52:53]
	v_fmac_f64_e32 v[40:41], v[50:51], v[42:43]
	v_add_f64 v[38:39], v[38:39], v[40:41]
	v_pk_mov_b32 v[40:41], v[8:9], v[8:9] op_sel:[0,1]
	v_fmac_f64_e32 v[40:41], s[44:45], v[38:39]
	v_pk_mov_b32 v[42:43], v[10:11], v[10:11] op_sel:[0,1]
	v_fmac_f64_e32 v[42:43], v[38:39], v[40:41]
	;; [unrolled: 2-line block ×13, first 2 shown]
	v_mul_f64 v[38:39], v[38:39], v[40:41]
	v_mul_f64 v[40:41], v[50:51], v[38:39]
	v_add_f64 v[42:43], v[50:51], v[40:41]
	v_fma_f64 v[38:39], v[50:51], v[38:39], -v[40:41]
	v_add_f64 v[44:45], v[42:43], -v[50:51]
	v_add_f64 v[40:41], v[40:41], -v[44:45]
	v_add_f64 v[38:39], v[52:53], v[38:39]
	v_add_f64 v[38:39], v[38:39], v[40:41]
	;; [unrolled: 1-line block ×3, first 2 shown]
	v_rcp_f64_e32 v[44:45], v[40:41]
	v_add_f64 v[42:43], v[40:41], -v[42:43]
	v_add_f64 v[38:39], v[38:39], -v[42:43]
	v_and_b32_e32 v3, 1, v68
	v_fma_f64 v[42:43], -v[40:41], v[44:45], 1.0
	v_fmac_f64_e32 v[44:45], v[42:43], v[44:45]
	v_fma_f64 v[42:43], -v[40:41], v[44:45], 1.0
	v_fmac_f64_e32 v[44:45], v[42:43], v[44:45]
	v_mul_f64 v[42:43], v[40:41], v[44:45]
	v_fma_f64 v[46:47], v[44:45], v[40:41], -v[42:43]
	v_fmac_f64_e32 v[46:47], v[44:45], v[38:39]
	v_add_f64 v[38:39], v[42:43], v[46:47]
	v_add_f64 v[48:49], -v[38:39], 1.0
	v_add_f64 v[42:43], v[38:39], -v[42:43]
	v_add_f64 v[50:51], -v[48:49], 1.0
	v_add_f64 v[38:39], v[50:51], -v[38:39]
	v_add_f64 v[42:43], v[42:43], -v[46:47]
	v_add_f64 v[38:39], v[42:43], v[38:39]
	v_add_f64 v[38:39], v[48:49], v[38:39]
	v_mul_f64 v[38:39], v[44:45], v[38:39]
	v_add_f64 v[38:39], v[44:45], v[38:39]
	v_xor_b32_e32 v39, 0x80000000, v39
	v_cmp_eq_u32_e64 s[0:1], 0, v3
	v_cndmask_b32_e64 v3, v38, v40, s[0:1]
	v_cndmask_b32_e64 v38, v39, v41, s[0:1]
	v_and_b32_e32 v39, 0x80000000, v37
	v_xor_b32_e32 v38, v38, v39
	v_cmp_class_f64_e64 s[0:1], v[36:37], s55
	v_cndmask_b32_e64 v36, 0, v3, s[0:1]
	v_cndmask_b32_e64 v37, v65, v38, s[0:1]
	v_mov_b32_e32 v3, s53
	v_add_co_u32_e64 v38, s[0:1], s52, v4
	v_addc_co_u32_e64 v39, s[0:1], v5, v3, s[0:1]
	global_store_dwordx2 v[38:39], v[36:37], off
	s_or_b64 exec, exec, s[2:3]
	s_and_saveexec_b64 s[0:1], vcc
	s_cbranch_execz .LBB98_3
.LBB98_35:                              ;   in Loop: Header=BB98_4 Depth=1
	v_mul_f64 v[36:37], v[54:55], v[54:55]
	v_fma_f64 v[38:39], v[54:55], v[54:55], -v[36:37]
	v_add_f64 v[40:41], v[56:57], v[56:57]
	v_fmac_f64_e32 v[38:39], v[54:55], v[40:41]
	v_add_f64 v[36:37], v[36:37], v[38:39]
	v_pk_mov_b32 v[38:39], v[8:9], v[8:9] op_sel:[0,1]
	v_fmac_f64_e32 v[38:39], s[44:45], v[36:37]
	v_pk_mov_b32 v[40:41], v[10:11], v[10:11] op_sel:[0,1]
	v_fmac_f64_e32 v[40:41], v[36:37], v[38:39]
	;; [unrolled: 2-line block ×13, first 2 shown]
	v_mul_f64 v[36:37], v[36:37], v[38:39]
	v_mul_f64 v[38:39], v[54:55], v[36:37]
	v_add_f64 v[40:41], v[54:55], v[38:39]
	v_fma_f64 v[36:37], v[54:55], v[36:37], -v[38:39]
	v_add_f64 v[42:43], v[40:41], -v[54:55]
	v_add_f64 v[38:39], v[38:39], -v[42:43]
	v_add_f64 v[36:37], v[56:57], v[36:37]
	v_add_f64 v[36:37], v[36:37], v[38:39]
	;; [unrolled: 1-line block ×3, first 2 shown]
	v_rcp_f64_e32 v[42:43], v[38:39]
	v_add_f64 v[40:41], v[38:39], -v[40:41]
	v_add_f64 v[36:37], v[36:37], -v[40:41]
	v_and_b32_e32 v3, 1, v69
	v_fma_f64 v[40:41], -v[38:39], v[42:43], 1.0
	v_fmac_f64_e32 v[42:43], v[40:41], v[42:43]
	v_fma_f64 v[40:41], -v[38:39], v[42:43], 1.0
	v_fmac_f64_e32 v[42:43], v[40:41], v[42:43]
	v_mul_f64 v[40:41], v[38:39], v[42:43]
	v_fma_f64 v[44:45], v[42:43], v[38:39], -v[40:41]
	v_fmac_f64_e32 v[44:45], v[42:43], v[36:37]
	v_add_f64 v[36:37], v[40:41], v[44:45]
	v_add_f64 v[46:47], -v[36:37], 1.0
	v_add_f64 v[40:41], v[36:37], -v[40:41]
	v_add_f64 v[48:49], -v[46:47], 1.0
	v_add_f64 v[36:37], v[48:49], -v[36:37]
	v_add_f64 v[40:41], v[40:41], -v[44:45]
	v_add_f64 v[36:37], v[40:41], v[36:37]
	v_add_f64 v[36:37], v[46:47], v[36:37]
	v_mul_f64 v[36:37], v[42:43], v[36:37]
	v_add_f64 v[36:37], v[42:43], v[36:37]
	v_xor_b32_e32 v37, 0x80000000, v37
	v_cmp_eq_u32_e32 vcc, 0, v3
	v_cndmask_b32_e32 v3, v36, v38, vcc
	v_cndmask_b32_e32 v36, v37, v39, vcc
	v_and_b32_e32 v37, 0x80000000, v35
	v_xor_b32_e32 v36, v36, v37
	v_cmp_class_f64_e64 vcc, v[34:35], s55
	v_cndmask_b32_e32 v34, 0, v3, vcc
	v_cndmask_b32_e32 v35, v65, v36, vcc
	v_mov_b32_e32 v3, s51
	v_add_co_u32_e32 v36, vcc, s50, v4
	v_addc_co_u32_e32 v37, vcc, v5, v3, vcc
	global_store_dwordx2 v[36:37], v[34:35], off
	s_branch .LBB98_3
.LBB98_36:
	s_cbranch_execz .LBB98_38
	s_branch .LBB98_57
.LBB98_37:
.LBB98_38:
	v_mov_b32_e32 v8, 0
	v_lshlrev_b32_e32 v2, 2, v0
	v_mov_b32_e32 v3, v8
	s_mov_b32 s33, 0
	v_cmp_gt_i64_e32 vcc, s[12:13], v[2:3]
	s_and_saveexec_b64 s[0:1], vcc
	s_cbranch_execz .LBB98_57
; %bb.39:
	s_load_dword s0, s[4:5], 0xd3c
	v_lshlrev_b32_e32 v1, 5, v0
	s_mov_b32 s4, 0
	s_mov_b32 s6, 0
	;; [unrolled: 1-line block ×3, first 2 shown]
	s_waitcnt lgkmcnt(0)
	s_and_b32 s0, s0, 0xffff
	s_lshl_b32 s60, s0, 2
	s_add_u32 s1, s14, s16
	s_addc_u32 s2, s15, s17
	v_add_lshl_u32 v10, v0, s0, 2
	v_mov_b32_e32 v0, s2
	v_add_co_u32_e32 v1, vcc, s1, v1
	v_addc_co_u32_e32 v0, vcc, 0, v0, vcc
	v_add_co_u32_e32 v12, vcc, 16, v1
	s_mov_b32 s14, 0x54442d18
	s_mov_b32 s20, 0x6dc9c883
	;; [unrolled: 1-line block ×18, first 2 shown]
	v_mov_b32_e32 v11, v8
	v_addc_co_u32_e32 v13, vcc, 0, v0, vcc
	s_lshl_b32 s61, s0, 5
	s_mov_b32 s62, s33
	s_mov_b64 s[2:3], 0
	s_mov_b32 s5, 0x41d00000
	s_mov_b32 s7, 0x7b000000
	s_movk_i32 s63, 0xff80
	s_mov_b32 s9, 0x7ff00000
	s_mov_b32 s11, 0x3ff921fb
	;; [unrolled: 1-line block ×22, first 2 shown]
	s_movk_i32 s64, 0x1f8
	s_mov_b64 s[56:57], 0xffff
	v_mov_b32_e32 v30, 0x40100000
	v_mov_b32_e32 v31, 0x3ff00000
	;; [unrolled: 1-line block ×3, first 2 shown]
	s_branch .LBB98_41
.LBB98_40:                              ;   in Loop: Header=BB98_41 Depth=1
	s_or_b64 exec, exec, s[0:1]
	v_mul_f64 v[38:39], v[26:27], v[26:27]
	v_fma_f64 v[40:41], v[26:27], v[26:27], -v[38:39]
	v_add_f64 v[42:43], v[28:29], v[28:29]
	v_fmac_f64_e32 v[40:41], v[26:27], v[42:43]
	v_add_f64 v[38:39], v[38:39], v[40:41]
	v_pk_mov_b32 v[40:41], s[26:27], s[26:27] op_sel:[0,1]
	v_fma_f64 v[42:43], s[28:29], v[38:39], v[40:41]
	v_fma_f64 v[42:43], v[38:39], v[42:43], s[30:31]
	;; [unrolled: 1-line block ×13, first 2 shown]
	v_mul_f64 v[38:39], v[38:39], v[42:43]
	v_mul_f64 v[42:43], v[26:27], v[38:39]
	v_add_f64 v[44:45], v[26:27], v[42:43]
	v_fma_f64 v[38:39], v[26:27], v[38:39], -v[42:43]
	v_add_f64 v[26:27], v[44:45], -v[26:27]
	v_add_f64 v[26:27], v[42:43], -v[26:27]
	v_add_f64 v[28:29], v[28:29], v[38:39]
	v_add_f64 v[26:27], v[28:29], v[26:27]
	;; [unrolled: 1-line block ×3, first 2 shown]
	v_rcp_f64_e32 v[38:39], v[28:29]
	v_and_b32_e32 v9, 1, v36
	v_add_f64 v[36:37], v[28:29], -v[44:45]
	v_add_f64 v[26:27], v[26:27], -v[36:37]
	v_fma_f64 v[36:37], -v[28:29], v[38:39], 1.0
	v_fmac_f64_e32 v[38:39], v[36:37], v[38:39]
	v_fma_f64 v[36:37], -v[28:29], v[38:39], 1.0
	v_fmac_f64_e32 v[38:39], v[36:37], v[38:39]
	v_mul_f64 v[36:37], v[28:29], v[38:39]
	v_fma_f64 v[42:43], v[38:39], v[28:29], -v[36:37]
	v_fmac_f64_e32 v[42:43], v[38:39], v[26:27]
	v_add_f64 v[26:27], v[36:37], v[42:43]
	v_add_f64 v[44:45], -v[26:27], 1.0
	v_add_f64 v[36:37], v[26:27], -v[36:37]
	v_add_f64 v[46:47], -v[44:45], 1.0
	v_add_f64 v[26:27], v[46:47], -v[26:27]
	v_add_f64 v[36:37], v[36:37], -v[42:43]
	v_add_f64 v[26:27], v[36:37], v[26:27]
	v_add_f64 v[26:27], v[44:45], v[26:27]
	v_mul_f64 v[26:27], v[38:39], v[26:27]
	v_add_f64 v[26:27], v[38:39], v[26:27]
	v_xor_b32_e32 v27, 0x80000000, v27
	v_cmp_eq_u32_e32 vcc, 0, v9
	v_cndmask_b32_e32 v9, v26, v28, vcc
	v_cndmask_b32_e32 v26, v27, v29, vcc
	v_and_b32_e32 v27, 0x80000000, v1
	v_xor_b32_e32 v26, v26, v27
	v_cmp_class_f64_e64 vcc, v[0:1], s64
	v_cndmask_b32_e32 v1, v32, v26, vcc
	v_mul_f64 v[26:27], v[18:19], v[18:19]
	v_fma_f64 v[28:29], v[18:19], v[18:19], -v[26:27]
	v_add_f64 v[36:37], v[20:21], v[20:21]
	v_fmac_f64_e32 v[28:29], v[18:19], v[36:37]
	v_add_f64 v[26:27], v[26:27], v[28:29]
	v_fma_f64 v[28:29], s[28:29], v[26:27], v[40:41]
	v_fma_f64 v[28:29], v[26:27], v[28:29], s[30:31]
	v_fma_f64 v[28:29], v[26:27], v[28:29], s[34:35]
	v_fma_f64 v[28:29], v[26:27], v[28:29], s[36:37]
	v_fma_f64 v[28:29], v[26:27], v[28:29], s[38:39]
	v_fma_f64 v[28:29], v[26:27], v[28:29], s[40:41]
	v_fma_f64 v[28:29], v[26:27], v[28:29], s[42:43]
	v_fma_f64 v[28:29], v[26:27], v[28:29], s[44:45]
	v_fma_f64 v[28:29], v[26:27], v[28:29], s[46:47]
	v_fma_f64 v[28:29], v[26:27], v[28:29], s[48:49]
	v_fma_f64 v[28:29], v[26:27], v[28:29], s[50:51]
	v_fma_f64 v[28:29], v[26:27], v[28:29], s[52:53]
	v_fma_f64 v[28:29], v[26:27], v[28:29], s[54:55]
	v_mul_f64 v[26:27], v[26:27], v[28:29]
	v_mul_f64 v[28:29], v[18:19], v[26:27]
	v_add_f64 v[36:37], v[18:19], v[28:29]
	v_fma_f64 v[26:27], v[18:19], v[26:27], -v[28:29]
	v_add_f64 v[18:19], v[36:37], -v[18:19]
	v_add_f64 v[18:19], v[28:29], -v[18:19]
	v_add_f64 v[20:21], v[20:21], v[26:27]
	v_add_f64 v[18:19], v[20:21], v[18:19]
	v_add_f64 v[20:21], v[36:37], v[18:19]
	v_rcp_f64_e32 v[26:27], v[20:21]
	v_add_f64 v[28:29], v[20:21], -v[36:37]
	v_add_f64 v[18:19], v[18:19], -v[28:29]
	v_cndmask_b32_e32 v0, 0, v9, vcc
	v_fma_f64 v[28:29], -v[20:21], v[26:27], 1.0
	v_fmac_f64_e32 v[26:27], v[28:29], v[26:27]
	v_fma_f64 v[28:29], -v[20:21], v[26:27], 1.0
	v_fmac_f64_e32 v[26:27], v[28:29], v[26:27]
	v_mul_f64 v[28:29], v[20:21], v[26:27]
	v_fma_f64 v[36:37], v[26:27], v[20:21], -v[28:29]
	v_fmac_f64_e32 v[36:37], v[26:27], v[18:19]
	v_add_f64 v[18:19], v[28:29], v[36:37]
	v_add_f64 v[38:39], -v[18:19], 1.0
	v_add_f64 v[28:29], v[18:19], -v[28:29]
	v_add_f64 v[42:43], -v[38:39], 1.0
	v_add_f64 v[18:19], v[42:43], -v[18:19]
	v_add_f64 v[28:29], v[28:29], -v[36:37]
	v_add_f64 v[18:19], v[28:29], v[18:19]
	v_add_f64 v[18:19], v[38:39], v[18:19]
	v_mul_f64 v[18:19], v[26:27], v[18:19]
	v_and_b32_e32 v9, 1, v34
	v_add_f64 v[18:19], v[26:27], v[18:19]
	v_xor_b32_e32 v19, 0x80000000, v19
	v_cmp_eq_u32_e32 vcc, 0, v9
	v_cndmask_b32_e32 v9, v18, v20, vcc
	v_cndmask_b32_e32 v18, v19, v21, vcc
	v_and_b32_e32 v19, 0x80000000, v7
	v_xor_b32_e32 v18, v18, v19
	v_cmp_class_f64_e64 vcc, v[6:7], s64
	v_cndmask_b32_e32 v7, v32, v18, vcc
	v_mul_f64 v[18:19], v[14:15], v[14:15]
	v_fma_f64 v[20:21], v[14:15], v[14:15], -v[18:19]
	v_add_f64 v[26:27], v[16:17], v[16:17]
	v_fmac_f64_e32 v[20:21], v[14:15], v[26:27]
	v_add_f64 v[18:19], v[18:19], v[20:21]
	v_fma_f64 v[20:21], s[28:29], v[18:19], v[40:41]
	v_fma_f64 v[20:21], v[18:19], v[20:21], s[30:31]
	v_fma_f64 v[20:21], v[18:19], v[20:21], s[34:35]
	v_fma_f64 v[20:21], v[18:19], v[20:21], s[36:37]
	v_fma_f64 v[20:21], v[18:19], v[20:21], s[38:39]
	v_fma_f64 v[20:21], v[18:19], v[20:21], s[40:41]
	v_fma_f64 v[20:21], v[18:19], v[20:21], s[42:43]
	v_fma_f64 v[20:21], v[18:19], v[20:21], s[44:45]
	v_fma_f64 v[20:21], v[18:19], v[20:21], s[46:47]
	v_fma_f64 v[20:21], v[18:19], v[20:21], s[48:49]
	v_fma_f64 v[20:21], v[18:19], v[20:21], s[50:51]
	v_fma_f64 v[20:21], v[18:19], v[20:21], s[52:53]
	v_fma_f64 v[20:21], v[18:19], v[20:21], s[54:55]
	v_mul_f64 v[18:19], v[18:19], v[20:21]
	v_mul_f64 v[20:21], v[14:15], v[18:19]
	v_add_f64 v[26:27], v[14:15], v[20:21]
	v_fma_f64 v[18:19], v[14:15], v[18:19], -v[20:21]
	v_add_f64 v[14:15], v[26:27], -v[14:15]
	v_add_f64 v[14:15], v[20:21], -v[14:15]
	v_add_f64 v[16:17], v[16:17], v[18:19]
	v_add_f64 v[14:15], v[16:17], v[14:15]
	v_add_f64 v[16:17], v[26:27], v[14:15]
	v_rcp_f64_e32 v[18:19], v[16:17]
	v_add_f64 v[20:21], v[16:17], -v[26:27]
	v_add_f64 v[14:15], v[14:15], -v[20:21]
	v_cndmask_b32_e32 v6, 0, v9, vcc
	v_fma_f64 v[20:21], -v[16:17], v[18:19], 1.0
	v_fmac_f64_e32 v[18:19], v[20:21], v[18:19]
	v_fma_f64 v[20:21], -v[16:17], v[18:19], 1.0
	v_fmac_f64_e32 v[18:19], v[20:21], v[18:19]
	v_mul_f64 v[20:21], v[16:17], v[18:19]
	v_fma_f64 v[26:27], v[18:19], v[16:17], -v[20:21]
	v_fmac_f64_e32 v[26:27], v[18:19], v[14:15]
	v_add_f64 v[14:15], v[20:21], v[26:27]
	v_add_f64 v[28:29], -v[14:15], 1.0
	v_add_f64 v[20:21], v[14:15], -v[20:21]
	v_add_f64 v[36:37], -v[28:29], 1.0
	v_add_f64 v[14:15], v[36:37], -v[14:15]
	v_add_f64 v[20:21], v[20:21], -v[26:27]
	v_add_f64 v[14:15], v[20:21], v[14:15]
	v_add_f64 v[14:15], v[28:29], v[14:15]
	v_mul_f64 v[14:15], v[18:19], v[14:15]
	v_and_b32_e32 v9, 1, v33
	v_add_f64 v[14:15], v[18:19], v[14:15]
	v_xor_b32_e32 v15, 0x80000000, v15
	v_cmp_eq_u32_e32 vcc, 0, v9
	v_cndmask_b32_e32 v9, v14, v16, vcc
	v_cndmask_b32_e32 v14, v15, v17, vcc
	v_and_b32_e32 v15, 0x80000000, v5
	v_xor_b32_e32 v14, v14, v15
	v_cmp_class_f64_e64 vcc, v[4:5], s64
	v_cndmask_b32_e32 v5, v32, v14, vcc
	v_mul_f64 v[14:15], v[22:23], v[22:23]
	v_fma_f64 v[16:17], v[22:23], v[22:23], -v[14:15]
	v_add_f64 v[18:19], v[24:25], v[24:25]
	v_fmac_f64_e32 v[16:17], v[22:23], v[18:19]
	v_add_f64 v[14:15], v[14:15], v[16:17]
	v_fma_f64 v[16:17], s[28:29], v[14:15], v[40:41]
	v_fma_f64 v[16:17], v[14:15], v[16:17], s[30:31]
	v_fma_f64 v[16:17], v[14:15], v[16:17], s[34:35]
	v_fma_f64 v[16:17], v[14:15], v[16:17], s[36:37]
	v_fma_f64 v[16:17], v[14:15], v[16:17], s[38:39]
	v_fma_f64 v[16:17], v[14:15], v[16:17], s[40:41]
	v_fma_f64 v[16:17], v[14:15], v[16:17], s[42:43]
	v_fma_f64 v[16:17], v[14:15], v[16:17], s[44:45]
	v_fma_f64 v[16:17], v[14:15], v[16:17], s[46:47]
	v_fma_f64 v[16:17], v[14:15], v[16:17], s[48:49]
	v_fma_f64 v[16:17], v[14:15], v[16:17], s[50:51]
	v_fma_f64 v[16:17], v[14:15], v[16:17], s[52:53]
	v_fma_f64 v[16:17], v[14:15], v[16:17], s[54:55]
	v_mul_f64 v[14:15], v[14:15], v[16:17]
	v_mul_f64 v[16:17], v[22:23], v[14:15]
	v_add_f64 v[18:19], v[22:23], v[16:17]
	v_fma_f64 v[14:15], v[22:23], v[14:15], -v[16:17]
	v_add_f64 v[20:21], v[18:19], -v[22:23]
	v_add_f64 v[16:17], v[16:17], -v[20:21]
	v_add_f64 v[14:15], v[24:25], v[14:15]
	v_add_f64 v[14:15], v[14:15], v[16:17]
	v_add_f64 v[16:17], v[18:19], v[14:15]
	v_rcp_f64_e32 v[20:21], v[16:17]
	v_add_f64 v[18:19], v[16:17], -v[18:19]
	v_add_f64 v[14:15], v[14:15], -v[18:19]
	v_cndmask_b32_e32 v4, 0, v9, vcc
	v_fma_f64 v[18:19], -v[16:17], v[20:21], 1.0
	v_fmac_f64_e32 v[20:21], v[18:19], v[20:21]
	v_fma_f64 v[18:19], -v[16:17], v[20:21], 1.0
	v_fmac_f64_e32 v[20:21], v[18:19], v[20:21]
	v_mul_f64 v[18:19], v[16:17], v[20:21]
	v_fma_f64 v[22:23], v[20:21], v[16:17], -v[18:19]
	v_fmac_f64_e32 v[22:23], v[20:21], v[14:15]
	v_add_f64 v[14:15], v[18:19], v[22:23]
	v_add_f64 v[24:25], -v[14:15], 1.0
	v_add_f64 v[18:19], v[14:15], -v[18:19]
	v_add_f64 v[26:27], -v[24:25], 1.0
	v_add_f64 v[14:15], v[26:27], -v[14:15]
	v_add_f64 v[18:19], v[18:19], -v[22:23]
	v_add_f64 v[14:15], v[18:19], v[14:15]
	v_add_f64 v[14:15], v[24:25], v[14:15]
	v_mul_f64 v[14:15], v[20:21], v[14:15]
	v_and_b32_e32 v9, 1, v35
	v_add_f64 v[14:15], v[20:21], v[14:15]
	v_xor_b32_e32 v15, 0x80000000, v15
	v_cmp_eq_u32_e32 vcc, 0, v9
	v_cndmask_b32_e32 v9, v14, v16, vcc
	v_cndmask_b32_e32 v14, v15, v17, vcc
	v_and_b32_e32 v15, 0x80000000, v3
	v_xor_b32_e32 v14, v14, v15
	v_cmp_class_f64_e64 vcc, v[2:3], s64
	v_cndmask_b32_e32 v2, 0, v9, vcc
	v_cndmask_b32_e32 v3, v32, v14, vcc
	v_cmp_le_i64_e32 vcc, s[12:13], v[10:11]
	v_cmp_lt_u64_e64 s[0:1], s[56:57], v[10:11]
	global_store_dwordx4 v[12:13], v[4:7], off offset:-16
	global_store_dwordx4 v[12:13], v[0:3], off
	s_or_b64 s[0:1], vcc, s[0:1]
	v_mov_b32_e32 v0, s33
	v_add_co_u32_e32 v10, vcc, s60, v10
	v_addc_co_u32_e32 v11, vcc, v11, v0, vcc
	v_mov_b32_e32 v0, s62
	s_and_b64 s[0:1], exec, s[0:1]
	v_add_co_u32_e32 v12, vcc, s61, v12
	s_or_b64 s[2:3], s[0:1], s[2:3]
	v_addc_co_u32_e32 v13, vcc, v13, v0, vcc
	s_andn2_b64 exec, exec, s[2:3]
	s_cbranch_execz .LBB98_57
.LBB98_41:                              ; =>This Inner Loop Header: Depth=1
	global_load_dwordx4 v[4:7], v[12:13], off offset:-16
	global_load_dwordx4 v[0:3], v[12:13], off
                                        ; implicit-def: $vgpr33
                                        ; implicit-def: $vgpr14_vgpr15
                                        ; implicit-def: $vgpr16_vgpr17
	s_waitcnt vmcnt(1)
	v_cmp_nlt_f64_e64 s[0:1], |v[4:5]|, s[4:5]
	s_and_saveexec_b64 s[58:59], s[0:1]
	s_xor_b64 s[58:59], exec, s[58:59]
	s_cbranch_execz .LBB98_43
; %bb.42:                               ;   in Loop: Header=BB98_41 Depth=1
	v_and_b32_e32 v9, 0x7fffffff, v5
	v_ldexp_f64 v[18:19], |v[4:5]|, s63
	v_cmp_ge_f64_e64 vcc, |v[4:5]|, s[6:7]
	v_trig_preop_f64 v[14:15], |v[4:5]|, 0
	v_cndmask_b32_e32 v19, v9, v19, vcc
	v_cndmask_b32_e32 v18, v4, v18, vcc
	v_trig_preop_f64 v[16:17], |v[4:5]|, 1
	v_mul_f64 v[22:23], v[14:15], v[18:19]
	v_mul_f64 v[20:21], v[16:17], v[18:19]
	v_fma_f64 v[14:15], v[14:15], v[18:19], -v[22:23]
	v_add_f64 v[24:25], v[20:21], v[14:15]
	v_add_f64 v[26:27], v[22:23], v[24:25]
	v_ldexp_f64 v[28:29], v[26:27], -2
	v_fract_f64_e32 v[34:35], v[28:29]
	v_cmp_neq_f64_e64 vcc, |v[28:29]|, s[8:9]
	v_cndmask_b32_e32 v29, 0, v35, vcc
	v_cndmask_b32_e32 v28, 0, v34, vcc
	v_add_f64 v[34:35], v[24:25], -v[20:21]
	v_add_f64 v[14:15], v[14:15], -v[34:35]
	;; [unrolled: 1-line block ×4, first 2 shown]
	v_fma_f64 v[16:17], v[16:17], v[18:19], -v[20:21]
	v_trig_preop_f64 v[20:21], |v[4:5]|, 2
	v_add_f64 v[14:15], v[14:15], v[34:35]
	v_mul_f64 v[34:35], v[20:21], v[18:19]
	v_add_f64 v[36:37], v[34:35], v[16:17]
	v_add_f64 v[38:39], v[36:37], v[14:15]
	v_add_f64 v[22:23], v[26:27], -v[22:23]
	v_add_f64 v[26:27], v[38:39], -v[36:37]
	;; [unrolled: 1-line block ×5, first 2 shown]
	v_add_f64 v[14:15], v[14:15], v[26:27]
	v_add_f64 v[26:27], v[36:37], -v[34:35]
	v_add_f64 v[16:17], v[16:17], -v[26:27]
	;; [unrolled: 1-line block ×4, first 2 shown]
	v_add_f64 v[16:17], v[16:17], v[26:27]
	v_add_f64 v[22:23], v[24:25], -v[22:23]
	v_add_f64 v[14:15], v[16:17], v[14:15]
	v_fma_f64 v[16:17], v[20:21], v[18:19], -v[34:35]
	v_add_f64 v[24:25], v[22:23], v[38:39]
	v_add_f64 v[14:15], v[16:17], v[14:15]
	v_ldexp_f64 v[16:17], v[28:29], 2
	v_add_f64 v[18:19], v[24:25], v[16:17]
	v_cmp_gt_f64_e32 vcc, 0, v[18:19]
	v_cndmask_b32_e32 v9, 0, v30, vcc
	v_add_f64 v[16:17], v[16:17], v[8:9]
	v_add_f64 v[18:19], v[24:25], v[16:17]
	v_cvt_i32_f64_e32 v9, v[18:19]
	v_cvt_f64_i32_e32 v[18:19], v9
	v_add_f64 v[16:17], v[16:17], -v[18:19]
	v_add_f64 v[22:23], v[24:25], -v[22:23]
	v_add_f64 v[18:19], v[24:25], v[16:17]
	v_add_f64 v[22:23], v[38:39], -v[22:23]
	v_add_f64 v[16:17], v[18:19], -v[16:17]
	v_cmp_le_f64_e32 vcc, 0.5, v[18:19]
	v_add_f64 v[14:15], v[22:23], v[14:15]
	v_add_f64 v[16:17], v[24:25], -v[16:17]
	v_addc_co_u32_e64 v33, s[0:1], 0, v9, vcc
	v_cndmask_b32_e32 v9, 0, v31, vcc
	v_add_f64 v[14:15], v[14:15], v[16:17]
	v_add_f64 v[16:17], v[18:19], -v[8:9]
	v_add_f64 v[18:19], v[16:17], v[14:15]
	v_add_f64 v[16:17], v[18:19], -v[16:17]
	s_mov_b32 s10, s14
	v_add_f64 v[14:15], v[14:15], -v[16:17]
	v_mul_f64 v[16:17], v[18:19], s[10:11]
	v_fma_f64 v[20:21], v[18:19], s[10:11], -v[16:17]
	s_mov_b32 s19, s17
	v_fmac_f64_e32 v[20:21], s[18:19], v[18:19]
	v_fmac_f64_e32 v[20:21], s[10:11], v[14:15]
	v_add_f64 v[14:15], v[16:17], v[20:21]
	v_add_f64 v[16:17], v[14:15], -v[16:17]
	v_add_f64 v[16:17], v[20:21], -v[16:17]
.LBB98_43:                              ;   in Loop: Header=BB98_41 Depth=1
	s_andn2_saveexec_b64 s[0:1], s[58:59]
	s_cbranch_execz .LBB98_45
; %bb.44:                               ;   in Loop: Header=BB98_41 Depth=1
	v_mul_f64 v[14:15], |v[4:5]|, s[20:21]
	v_rndne_f64_e32 v[18:19], v[14:15]
	v_fma_f64 v[14:15], v[18:19], s[14:15], |v[4:5]|
	v_mul_f64 v[20:21], v[18:19], s[22:23]
	v_add_f64 v[24:25], v[14:15], v[20:21]
	v_fma_f64 v[16:17], s[22:23], v[18:19], v[14:15]
	s_mov_b32 s16, s22
	v_add_f64 v[14:15], v[14:15], -v[24:25]
	v_fma_f64 v[22:23], s[16:17], v[18:19], v[20:21]
	v_add_f64 v[14:15], v[14:15], v[20:21]
	v_add_f64 v[20:21], v[24:25], -v[16:17]
	v_add_f64 v[14:15], v[20:21], v[14:15]
	v_add_f64 v[20:21], v[14:15], -v[22:23]
	v_fmac_f64_e32 v[20:21], s[24:25], v[18:19]
	v_add_f64 v[14:15], v[16:17], v[20:21]
	v_add_f64 v[16:17], v[14:15], -v[16:17]
	v_add_f64 v[16:17], v[20:21], -v[16:17]
	v_cvt_i32_f64_e32 v33, v[18:19]
.LBB98_45:                              ;   in Loop: Header=BB98_41 Depth=1
	s_or_b64 exec, exec, s[0:1]
	v_cmp_nlt_f64_e64 s[0:1], |v[6:7]|, s[4:5]
                                        ; implicit-def: $vgpr34
                                        ; implicit-def: $vgpr18_vgpr19
                                        ; implicit-def: $vgpr20_vgpr21
	s_and_saveexec_b64 s[58:59], s[0:1]
	s_xor_b64 s[58:59], exec, s[58:59]
	s_cbranch_execz .LBB98_47
; %bb.46:                               ;   in Loop: Header=BB98_41 Depth=1
	v_and_b32_e32 v9, 0x7fffffff, v7
	v_ldexp_f64 v[22:23], |v[6:7]|, s63
	v_cmp_ge_f64_e64 vcc, |v[6:7]|, s[6:7]
	v_trig_preop_f64 v[18:19], |v[6:7]|, 0
	v_cndmask_b32_e32 v23, v9, v23, vcc
	v_cndmask_b32_e32 v22, v6, v22, vcc
	v_trig_preop_f64 v[20:21], |v[6:7]|, 1
	v_mul_f64 v[26:27], v[18:19], v[22:23]
	v_mul_f64 v[24:25], v[20:21], v[22:23]
	v_fma_f64 v[18:19], v[18:19], v[22:23], -v[26:27]
	v_add_f64 v[28:29], v[24:25], v[18:19]
	v_add_f64 v[34:35], v[26:27], v[28:29]
	v_ldexp_f64 v[36:37], v[34:35], -2
	v_fract_f64_e32 v[38:39], v[36:37]
	v_cmp_neq_f64_e64 vcc, |v[36:37]|, s[8:9]
	v_cndmask_b32_e32 v37, 0, v39, vcc
	v_cndmask_b32_e32 v36, 0, v38, vcc
	v_add_f64 v[38:39], v[28:29], -v[24:25]
	v_add_f64 v[18:19], v[18:19], -v[38:39]
	;; [unrolled: 1-line block ×4, first 2 shown]
	v_fma_f64 v[20:21], v[20:21], v[22:23], -v[24:25]
	v_trig_preop_f64 v[24:25], |v[6:7]|, 2
	v_add_f64 v[18:19], v[18:19], v[38:39]
	v_mul_f64 v[38:39], v[24:25], v[22:23]
	v_add_f64 v[40:41], v[38:39], v[20:21]
	v_add_f64 v[42:43], v[40:41], v[18:19]
	v_add_f64 v[26:27], v[34:35], -v[26:27]
	v_add_f64 v[34:35], v[42:43], -v[40:41]
	;; [unrolled: 1-line block ×5, first 2 shown]
	v_add_f64 v[18:19], v[18:19], v[34:35]
	v_add_f64 v[34:35], v[40:41], -v[38:39]
	v_add_f64 v[20:21], v[20:21], -v[34:35]
	;; [unrolled: 1-line block ×4, first 2 shown]
	v_add_f64 v[20:21], v[20:21], v[34:35]
	v_add_f64 v[26:27], v[28:29], -v[26:27]
	v_add_f64 v[18:19], v[20:21], v[18:19]
	v_fma_f64 v[20:21], v[24:25], v[22:23], -v[38:39]
	v_add_f64 v[28:29], v[26:27], v[42:43]
	v_add_f64 v[18:19], v[20:21], v[18:19]
	v_ldexp_f64 v[20:21], v[36:37], 2
	v_add_f64 v[22:23], v[28:29], v[20:21]
	v_cmp_gt_f64_e32 vcc, 0, v[22:23]
	v_cndmask_b32_e32 v9, 0, v30, vcc
	v_add_f64 v[20:21], v[20:21], v[8:9]
	v_add_f64 v[22:23], v[28:29], v[20:21]
	v_cvt_i32_f64_e32 v9, v[22:23]
	v_cvt_f64_i32_e32 v[22:23], v9
	v_add_f64 v[20:21], v[20:21], -v[22:23]
	v_add_f64 v[26:27], v[28:29], -v[26:27]
	v_add_f64 v[22:23], v[28:29], v[20:21]
	v_add_f64 v[26:27], v[42:43], -v[26:27]
	v_add_f64 v[20:21], v[22:23], -v[20:21]
	v_cmp_le_f64_e32 vcc, 0.5, v[22:23]
	v_add_f64 v[18:19], v[26:27], v[18:19]
	v_add_f64 v[20:21], v[28:29], -v[20:21]
	v_addc_co_u32_e64 v34, s[0:1], 0, v9, vcc
	v_cndmask_b32_e32 v9, 0, v31, vcc
	v_add_f64 v[18:19], v[18:19], v[20:21]
	v_add_f64 v[20:21], v[22:23], -v[8:9]
	v_add_f64 v[22:23], v[20:21], v[18:19]
	v_add_f64 v[20:21], v[22:23], -v[20:21]
	s_mov_b32 s10, s14
	v_add_f64 v[18:19], v[18:19], -v[20:21]
	v_mul_f64 v[20:21], v[22:23], s[10:11]
	v_fma_f64 v[24:25], v[22:23], s[10:11], -v[20:21]
	s_mov_b32 s19, s17
	v_fmac_f64_e32 v[24:25], s[18:19], v[22:23]
	v_fmac_f64_e32 v[24:25], s[10:11], v[18:19]
	v_add_f64 v[18:19], v[20:21], v[24:25]
	v_add_f64 v[20:21], v[18:19], -v[20:21]
	v_add_f64 v[20:21], v[24:25], -v[20:21]
.LBB98_47:                              ;   in Loop: Header=BB98_41 Depth=1
	s_andn2_saveexec_b64 s[0:1], s[58:59]
	s_cbranch_execz .LBB98_49
; %bb.48:                               ;   in Loop: Header=BB98_41 Depth=1
	v_mul_f64 v[18:19], |v[6:7]|, s[20:21]
	v_rndne_f64_e32 v[22:23], v[18:19]
	v_fma_f64 v[18:19], v[22:23], s[14:15], |v[6:7]|
	v_mul_f64 v[24:25], v[22:23], s[22:23]
	v_add_f64 v[28:29], v[18:19], v[24:25]
	v_fma_f64 v[20:21], s[22:23], v[22:23], v[18:19]
	s_mov_b32 s16, s22
	v_add_f64 v[18:19], v[18:19], -v[28:29]
	v_fma_f64 v[26:27], s[16:17], v[22:23], v[24:25]
	v_add_f64 v[18:19], v[18:19], v[24:25]
	v_add_f64 v[24:25], v[28:29], -v[20:21]
	v_add_f64 v[18:19], v[24:25], v[18:19]
	v_add_f64 v[24:25], v[18:19], -v[26:27]
	v_fmac_f64_e32 v[24:25], s[24:25], v[22:23]
	v_add_f64 v[18:19], v[20:21], v[24:25]
	v_add_f64 v[20:21], v[18:19], -v[20:21]
	v_add_f64 v[20:21], v[24:25], -v[20:21]
	v_cvt_i32_f64_e32 v34, v[22:23]
.LBB98_49:                              ;   in Loop: Header=BB98_41 Depth=1
	s_or_b64 exec, exec, s[0:1]
	s_waitcnt vmcnt(0)
	v_cmp_nlt_f64_e64 s[0:1], |v[0:1]|, s[4:5]
                                        ; implicit-def: $vgpr36
                                        ; implicit-def: $vgpr26_vgpr27
                                        ; implicit-def: $vgpr28_vgpr29
	s_and_saveexec_b64 s[58:59], s[0:1]
	s_xor_b64 s[58:59], exec, s[58:59]
	s_cbranch_execz .LBB98_51
; %bb.50:                               ;   in Loop: Header=BB98_41 Depth=1
	v_and_b32_e32 v9, 0x7fffffff, v1
	v_ldexp_f64 v[26:27], |v[0:1]|, s63
	v_cmp_ge_f64_e64 vcc, |v[0:1]|, s[6:7]
	v_trig_preop_f64 v[22:23], |v[0:1]|, 0
	v_cndmask_b32_e32 v27, v9, v27, vcc
	v_cndmask_b32_e32 v26, v0, v26, vcc
	v_trig_preop_f64 v[24:25], |v[0:1]|, 1
	v_mul_f64 v[36:37], v[22:23], v[26:27]
	v_mul_f64 v[28:29], v[24:25], v[26:27]
	v_fma_f64 v[22:23], v[22:23], v[26:27], -v[36:37]
	v_add_f64 v[38:39], v[28:29], v[22:23]
	v_add_f64 v[40:41], v[36:37], v[38:39]
	v_ldexp_f64 v[42:43], v[40:41], -2
	v_fract_f64_e32 v[44:45], v[42:43]
	v_cmp_neq_f64_e64 vcc, |v[42:43]|, s[8:9]
	v_cndmask_b32_e32 v43, 0, v45, vcc
	v_cndmask_b32_e32 v42, 0, v44, vcc
	v_add_f64 v[44:45], v[38:39], -v[28:29]
	v_add_f64 v[22:23], v[22:23], -v[44:45]
	;; [unrolled: 1-line block ×4, first 2 shown]
	v_fma_f64 v[24:25], v[24:25], v[26:27], -v[28:29]
	v_trig_preop_f64 v[28:29], |v[0:1]|, 2
	v_add_f64 v[22:23], v[22:23], v[44:45]
	v_mul_f64 v[44:45], v[28:29], v[26:27]
	v_add_f64 v[46:47], v[44:45], v[24:25]
	v_add_f64 v[48:49], v[46:47], v[22:23]
	v_add_f64 v[36:37], v[40:41], -v[36:37]
	v_add_f64 v[40:41], v[48:49], -v[46:47]
	;; [unrolled: 1-line block ×5, first 2 shown]
	v_add_f64 v[22:23], v[22:23], v[40:41]
	v_add_f64 v[40:41], v[46:47], -v[44:45]
	v_add_f64 v[24:25], v[24:25], -v[40:41]
	;; [unrolled: 1-line block ×4, first 2 shown]
	v_add_f64 v[24:25], v[24:25], v[40:41]
	v_add_f64 v[36:37], v[38:39], -v[36:37]
	v_add_f64 v[22:23], v[24:25], v[22:23]
	v_fma_f64 v[24:25], v[28:29], v[26:27], -v[44:45]
	v_add_f64 v[38:39], v[36:37], v[48:49]
	v_add_f64 v[22:23], v[24:25], v[22:23]
	v_ldexp_f64 v[24:25], v[42:43], 2
	v_add_f64 v[26:27], v[38:39], v[24:25]
	v_cmp_gt_f64_e32 vcc, 0, v[26:27]
	v_cndmask_b32_e32 v9, 0, v30, vcc
	v_add_f64 v[24:25], v[24:25], v[8:9]
	v_add_f64 v[26:27], v[38:39], v[24:25]
	v_cvt_i32_f64_e32 v9, v[26:27]
	v_cvt_f64_i32_e32 v[26:27], v9
	v_add_f64 v[24:25], v[24:25], -v[26:27]
	v_add_f64 v[36:37], v[38:39], -v[36:37]
	v_add_f64 v[26:27], v[38:39], v[24:25]
	v_add_f64 v[36:37], v[48:49], -v[36:37]
	v_add_f64 v[24:25], v[26:27], -v[24:25]
	v_cmp_le_f64_e32 vcc, 0.5, v[26:27]
	v_add_f64 v[22:23], v[36:37], v[22:23]
	v_add_f64 v[24:25], v[38:39], -v[24:25]
	v_addc_co_u32_e64 v36, s[0:1], 0, v9, vcc
	v_cndmask_b32_e32 v9, 0, v31, vcc
	v_add_f64 v[22:23], v[22:23], v[24:25]
	v_add_f64 v[24:25], v[26:27], -v[8:9]
	v_add_f64 v[26:27], v[24:25], v[22:23]
	v_add_f64 v[24:25], v[26:27], -v[24:25]
	s_mov_b32 s10, s14
	v_add_f64 v[22:23], v[22:23], -v[24:25]
	v_mul_f64 v[24:25], v[26:27], s[10:11]
	v_fma_f64 v[28:29], v[26:27], s[10:11], -v[24:25]
	s_mov_b32 s19, s17
	v_fmac_f64_e32 v[28:29], s[18:19], v[26:27]
	v_fmac_f64_e32 v[28:29], s[10:11], v[22:23]
	v_add_f64 v[26:27], v[24:25], v[28:29]
	v_add_f64 v[22:23], v[26:27], -v[24:25]
	v_add_f64 v[28:29], v[28:29], -v[22:23]
.LBB98_51:                              ;   in Loop: Header=BB98_41 Depth=1
	s_andn2_saveexec_b64 s[0:1], s[58:59]
	s_cbranch_execz .LBB98_53
; %bb.52:                               ;   in Loop: Header=BB98_41 Depth=1
	v_mul_f64 v[22:23], |v[0:1]|, s[20:21]
	v_rndne_f64_e32 v[22:23], v[22:23]
	v_fma_f64 v[24:25], v[22:23], s[14:15], |v[0:1]|
	v_mul_f64 v[26:27], v[22:23], s[22:23]
	v_add_f64 v[38:39], v[24:25], v[26:27]
	v_fma_f64 v[28:29], s[22:23], v[22:23], v[24:25]
	s_mov_b32 s16, s22
	v_add_f64 v[24:25], v[24:25], -v[38:39]
	v_fma_f64 v[36:37], s[16:17], v[22:23], v[26:27]
	v_add_f64 v[24:25], v[24:25], v[26:27]
	v_add_f64 v[26:27], v[38:39], -v[28:29]
	v_add_f64 v[24:25], v[26:27], v[24:25]
	v_add_f64 v[24:25], v[24:25], -v[36:37]
	v_fmac_f64_e32 v[24:25], s[24:25], v[22:23]
	v_add_f64 v[26:27], v[28:29], v[24:25]
	v_add_f64 v[28:29], v[26:27], -v[28:29]
	v_add_f64 v[28:29], v[24:25], -v[28:29]
	v_cvt_i32_f64_e32 v36, v[22:23]
.LBB98_53:                              ;   in Loop: Header=BB98_41 Depth=1
	s_or_b64 exec, exec, s[0:1]
	v_cmp_nlt_f64_e64 s[0:1], |v[2:3]|, s[4:5]
                                        ; implicit-def: $vgpr35
                                        ; implicit-def: $vgpr22_vgpr23
                                        ; implicit-def: $vgpr24_vgpr25
	s_and_saveexec_b64 s[58:59], s[0:1]
	s_xor_b64 s[58:59], exec, s[58:59]
	s_cbranch_execz .LBB98_55
; %bb.54:                               ;   in Loop: Header=BB98_41 Depth=1
	v_and_b32_e32 v9, 0x7fffffff, v3
	v_ldexp_f64 v[38:39], |v[2:3]|, s63
	v_cmp_ge_f64_e64 vcc, |v[2:3]|, s[6:7]
	v_trig_preop_f64 v[22:23], |v[2:3]|, 0
	v_cndmask_b32_e32 v39, v9, v39, vcc
	v_cndmask_b32_e32 v38, v2, v38, vcc
	v_trig_preop_f64 v[24:25], |v[2:3]|, 1
	v_mul_f64 v[42:43], v[22:23], v[38:39]
	v_mul_f64 v[40:41], v[24:25], v[38:39]
	v_fma_f64 v[22:23], v[22:23], v[38:39], -v[42:43]
	v_add_f64 v[44:45], v[40:41], v[22:23]
	v_add_f64 v[46:47], v[42:43], v[44:45]
	v_ldexp_f64 v[48:49], v[46:47], -2
	v_fract_f64_e32 v[50:51], v[48:49]
	v_cmp_neq_f64_e64 vcc, |v[48:49]|, s[8:9]
	v_cndmask_b32_e32 v49, 0, v51, vcc
	v_cndmask_b32_e32 v48, 0, v50, vcc
	v_add_f64 v[50:51], v[44:45], -v[40:41]
	v_add_f64 v[22:23], v[22:23], -v[50:51]
	;; [unrolled: 1-line block ×4, first 2 shown]
	v_fma_f64 v[24:25], v[24:25], v[38:39], -v[40:41]
	v_trig_preop_f64 v[40:41], |v[2:3]|, 2
	v_add_f64 v[22:23], v[22:23], v[50:51]
	v_mul_f64 v[50:51], v[40:41], v[38:39]
	v_add_f64 v[52:53], v[50:51], v[24:25]
	v_add_f64 v[54:55], v[52:53], v[22:23]
	v_add_f64 v[42:43], v[46:47], -v[42:43]
	v_add_f64 v[46:47], v[54:55], -v[52:53]
	;; [unrolled: 1-line block ×5, first 2 shown]
	v_add_f64 v[22:23], v[22:23], v[46:47]
	v_add_f64 v[46:47], v[52:53], -v[50:51]
	v_add_f64 v[24:25], v[24:25], -v[46:47]
	;; [unrolled: 1-line block ×4, first 2 shown]
	v_add_f64 v[24:25], v[24:25], v[46:47]
	v_add_f64 v[42:43], v[44:45], -v[42:43]
	v_add_f64 v[22:23], v[24:25], v[22:23]
	v_fma_f64 v[24:25], v[40:41], v[38:39], -v[50:51]
	v_add_f64 v[44:45], v[42:43], v[54:55]
	v_add_f64 v[22:23], v[24:25], v[22:23]
	v_ldexp_f64 v[24:25], v[48:49], 2
	v_add_f64 v[38:39], v[44:45], v[24:25]
	v_cmp_gt_f64_e32 vcc, 0, v[38:39]
	v_cndmask_b32_e32 v9, 0, v30, vcc
	v_add_f64 v[24:25], v[24:25], v[8:9]
	v_add_f64 v[38:39], v[44:45], v[24:25]
	v_cvt_i32_f64_e32 v9, v[38:39]
	v_cvt_f64_i32_e32 v[38:39], v9
	v_add_f64 v[24:25], v[24:25], -v[38:39]
	v_add_f64 v[42:43], v[44:45], -v[42:43]
	v_add_f64 v[38:39], v[44:45], v[24:25]
	v_add_f64 v[42:43], v[54:55], -v[42:43]
	v_add_f64 v[24:25], v[38:39], -v[24:25]
	v_cmp_le_f64_e32 vcc, 0.5, v[38:39]
	v_add_f64 v[22:23], v[42:43], v[22:23]
	v_add_f64 v[24:25], v[44:45], -v[24:25]
	v_addc_co_u32_e64 v35, s[0:1], 0, v9, vcc
	v_cndmask_b32_e32 v9, 0, v31, vcc
	v_add_f64 v[22:23], v[22:23], v[24:25]
	v_add_f64 v[24:25], v[38:39], -v[8:9]
	v_add_f64 v[38:39], v[24:25], v[22:23]
	v_add_f64 v[24:25], v[38:39], -v[24:25]
	s_mov_b32 s10, s14
	v_add_f64 v[22:23], v[22:23], -v[24:25]
	v_mul_f64 v[24:25], v[38:39], s[10:11]
	v_fma_f64 v[40:41], v[38:39], s[10:11], -v[24:25]
	s_mov_b32 s19, s17
	v_fmac_f64_e32 v[40:41], s[18:19], v[38:39]
	v_fmac_f64_e32 v[40:41], s[10:11], v[22:23]
	v_add_f64 v[22:23], v[24:25], v[40:41]
	v_add_f64 v[24:25], v[22:23], -v[24:25]
	v_add_f64 v[24:25], v[40:41], -v[24:25]
.LBB98_55:                              ;   in Loop: Header=BB98_41 Depth=1
	s_andn2_saveexec_b64 s[0:1], s[58:59]
	s_cbranch_execz .LBB98_40
; %bb.56:                               ;   in Loop: Header=BB98_41 Depth=1
	v_mul_f64 v[22:23], |v[2:3]|, s[20:21]
	v_rndne_f64_e32 v[38:39], v[22:23]
	v_fma_f64 v[22:23], v[38:39], s[14:15], |v[2:3]|
	v_mul_f64 v[40:41], v[38:39], s[22:23]
	v_add_f64 v[44:45], v[22:23], v[40:41]
	v_fma_f64 v[24:25], s[22:23], v[38:39], v[22:23]
	s_mov_b32 s16, s22
	v_add_f64 v[22:23], v[22:23], -v[44:45]
	v_fma_f64 v[42:43], s[16:17], v[38:39], v[40:41]
	v_add_f64 v[22:23], v[22:23], v[40:41]
	v_add_f64 v[40:41], v[44:45], -v[24:25]
	v_add_f64 v[22:23], v[40:41], v[22:23]
	v_add_f64 v[40:41], v[22:23], -v[42:43]
	v_fmac_f64_e32 v[40:41], s[24:25], v[38:39]
	v_add_f64 v[22:23], v[24:25], v[40:41]
	v_add_f64 v[24:25], v[22:23], -v[24:25]
	v_add_f64 v[24:25], v[40:41], -v[24:25]
	v_cvt_i32_f64_e32 v35, v[38:39]
	s_branch .LBB98_40
.LBB98_57:
	s_endpgm
	.section	.rodata,"a",@progbits
	.p2align	6, 0x0
	.amdhsa_kernel _ZN2at6native12_GLOBAL__N_125multi_tensor_apply_kernelINS1_18TensorListMetadataILi1EEENS1_14UnaryOpFunctorIdLi1ELi1ELi0EEEJNS0_3TanIdEEEEEvT_T0_DpT1_
		.amdhsa_group_segment_fixed_size 0
		.amdhsa_private_segment_fixed_size 0
		.amdhsa_kernarg_size 3632
		.amdhsa_user_sgpr_count 6
		.amdhsa_user_sgpr_private_segment_buffer 1
		.amdhsa_user_sgpr_dispatch_ptr 0
		.amdhsa_user_sgpr_queue_ptr 0
		.amdhsa_user_sgpr_kernarg_segment_ptr 1
		.amdhsa_user_sgpr_dispatch_id 0
		.amdhsa_user_sgpr_flat_scratch_init 0
		.amdhsa_user_sgpr_kernarg_preload_length 0
		.amdhsa_user_sgpr_kernarg_preload_offset 0
		.amdhsa_user_sgpr_private_segment_size 0
		.amdhsa_uses_dynamic_stack 0
		.amdhsa_system_sgpr_private_segment_wavefront_offset 0
		.amdhsa_system_sgpr_workgroup_id_x 1
		.amdhsa_system_sgpr_workgroup_id_y 0
		.amdhsa_system_sgpr_workgroup_id_z 0
		.amdhsa_system_sgpr_workgroup_info 0
		.amdhsa_system_vgpr_workitem_id 0
		.amdhsa_next_free_vgpr 88
		.amdhsa_next_free_sgpr 65
		.amdhsa_accum_offset 88
		.amdhsa_reserve_vcc 1
		.amdhsa_reserve_flat_scratch 0
		.amdhsa_float_round_mode_32 0
		.amdhsa_float_round_mode_16_64 0
		.amdhsa_float_denorm_mode_32 3
		.amdhsa_float_denorm_mode_16_64 3
		.amdhsa_dx10_clamp 1
		.amdhsa_ieee_mode 1
		.amdhsa_fp16_overflow 0
		.amdhsa_tg_split 0
		.amdhsa_exception_fp_ieee_invalid_op 0
		.amdhsa_exception_fp_denorm_src 0
		.amdhsa_exception_fp_ieee_div_zero 0
		.amdhsa_exception_fp_ieee_overflow 0
		.amdhsa_exception_fp_ieee_underflow 0
		.amdhsa_exception_fp_ieee_inexact 0
		.amdhsa_exception_int_div_zero 0
	.end_amdhsa_kernel
	.section	.text._ZN2at6native12_GLOBAL__N_125multi_tensor_apply_kernelINS1_18TensorListMetadataILi1EEENS1_14UnaryOpFunctorIdLi1ELi1ELi0EEEJNS0_3TanIdEEEEEvT_T0_DpT1_,"axG",@progbits,_ZN2at6native12_GLOBAL__N_125multi_tensor_apply_kernelINS1_18TensorListMetadataILi1EEENS1_14UnaryOpFunctorIdLi1ELi1ELi0EEEJNS0_3TanIdEEEEEvT_T0_DpT1_,comdat
.Lfunc_end98:
	.size	_ZN2at6native12_GLOBAL__N_125multi_tensor_apply_kernelINS1_18TensorListMetadataILi1EEENS1_14UnaryOpFunctorIdLi1ELi1ELi0EEEJNS0_3TanIdEEEEEvT_T0_DpT1_, .Lfunc_end98-_ZN2at6native12_GLOBAL__N_125multi_tensor_apply_kernelINS1_18TensorListMetadataILi1EEENS1_14UnaryOpFunctorIdLi1ELi1ELi0EEEJNS0_3TanIdEEEEEvT_T0_DpT1_
                                        ; -- End function
	.section	.AMDGPU.csdata,"",@progbits
; Kernel info:
; codeLenInByte = 11056
; NumSgprs: 69
; NumVgprs: 88
; NumAgprs: 0
; TotalNumVgprs: 88
; ScratchSize: 0
; MemoryBound: 0
; FloatMode: 240
; IeeeMode: 1
; LDSByteSize: 0 bytes/workgroup (compile time only)
; SGPRBlocks: 8
; VGPRBlocks: 10
; NumSGPRsForWavesPerEU: 69
; NumVGPRsForWavesPerEU: 88
; AccumOffset: 88
; Occupancy: 5
; WaveLimiterHint : 0
; COMPUTE_PGM_RSRC2:SCRATCH_EN: 0
; COMPUTE_PGM_RSRC2:USER_SGPR: 6
; COMPUTE_PGM_RSRC2:TRAP_HANDLER: 0
; COMPUTE_PGM_RSRC2:TGID_X_EN: 1
; COMPUTE_PGM_RSRC2:TGID_Y_EN: 0
; COMPUTE_PGM_RSRC2:TGID_Z_EN: 0
; COMPUTE_PGM_RSRC2:TIDIG_COMP_CNT: 0
; COMPUTE_PGM_RSRC3_GFX90A:ACCUM_OFFSET: 21
; COMPUTE_PGM_RSRC3_GFX90A:TG_SPLIT: 0
	.section	.text._ZN2at6native12_GLOBAL__N_125multi_tensor_apply_kernelINS1_18TensorListMetadataILi1EEENS1_14UnaryOpFunctorIfLi1ELi1ELi0EEEJNS0_3TanIfEEEEEvT_T0_DpT1_,"axG",@progbits,_ZN2at6native12_GLOBAL__N_125multi_tensor_apply_kernelINS1_18TensorListMetadataILi1EEENS1_14UnaryOpFunctorIfLi1ELi1ELi0EEEJNS0_3TanIfEEEEEvT_T0_DpT1_,comdat
	.globl	_ZN2at6native12_GLOBAL__N_125multi_tensor_apply_kernelINS1_18TensorListMetadataILi1EEENS1_14UnaryOpFunctorIfLi1ELi1ELi0EEEJNS0_3TanIfEEEEEvT_T0_DpT1_ ; -- Begin function _ZN2at6native12_GLOBAL__N_125multi_tensor_apply_kernelINS1_18TensorListMetadataILi1EEENS1_14UnaryOpFunctorIfLi1ELi1ELi0EEEJNS0_3TanIfEEEEEvT_T0_DpT1_
	.p2align	8
	.type	_ZN2at6native12_GLOBAL__N_125multi_tensor_apply_kernelINS1_18TensorListMetadataILi1EEENS1_14UnaryOpFunctorIfLi1ELi1ELi0EEEJNS0_3TanIfEEEEEvT_T0_DpT1_,@function
_ZN2at6native12_GLOBAL__N_125multi_tensor_apply_kernelINS1_18TensorListMetadataILi1EEENS1_14UnaryOpFunctorIfLi1ELi1ELi0EEEJNS0_3TanIfEEEEEvT_T0_DpT1_: ; @_ZN2at6native12_GLOBAL__N_125multi_tensor_apply_kernelINS1_18TensorListMetadataILi1EEENS1_14UnaryOpFunctorIfLi1ELi1ELi0EEEJNS0_3TanIfEEEEEvT_T0_DpT1_
; %bb.0:
	v_mov_b32_e32 v1, s6
	global_load_ubyte v1, v1, s[4:5] offset:1760
	s_add_u32 s0, s4, s6
	s_mul_hi_u32 s1, s6, 3
	s_mul_i32 s6, s6, 3
	s_addc_u32 s2, s5, 0
	s_add_u32 s0, s0, s6
	s_addc_u32 s1, s2, s1
	s_load_dword s0, s[0:1], 0x820
	s_mov_b32 s7, 0
	s_waitcnt vmcnt(0)
	v_readfirstlane_b32 s2, v1
	s_lshl_b32 s1, s2, 3
	s_load_dwordx2 s[2:3], s[4:5], s1 offset:0x370
	s_load_dwordx2 s[18:19], s[4:5], s1 offset:0x0
	s_waitcnt lgkmcnt(0)
	s_ashr_i32 s1, s0, 31
	s_lshl_b64 s[20:21], s[0:1], 18
	s_lshl_b64 s[0:1], s[0:1], 16
	s_and_b32 s6, s18, 15
	s_sub_u32 s16, s2, s0
	s_subb_u32 s17, s3, s1
	s_and_b32 s0, s2, 3
	s_mov_b32 s1, s7
	s_or_b64 s[0:1], s[6:7], s[0:1]
	s_cmp_eq_u64 s[0:1], 0
	s_cbranch_scc1 .LBB99_37
; %bb.1:
	v_cmp_lt_i64_e64 s[0:1], s[16:17], 1
	s_and_b64 vcc, exec, s[0:1]
	s_cbranch_vccnz .LBB99_36
; %bb.2:
	s_load_dword s0, s[4:5], 0xd3c
	v_mov_b32_e32 v4, 0x10000
	v_mov_b32_e32 v5, 0
	v_cmp_lt_u64_e32 vcc, s[16:17], v[4:5]
	v_lshlrev_b32_e32 v1, 2, v0
	s_waitcnt lgkmcnt(0)
	s_and_b32 s2, s0, 0xffff
	s_and_b64 s[0:1], vcc, exec
	s_cselect_b32 s23, s17, 0
	s_cselect_b32 s22, s16, 0x10000
	s_lshl_b32 s3, s2, 1
	s_lshl_b32 s29, s2, 2
	s_add_u32 s6, s18, s20
	s_addc_u32 s7, s19, s21
	v_mov_b32_e32 v2, s7
	v_add_co_u32_e32 v4, vcc, s6, v1
	s_mul_i32 s0, s2, 3
	v_addc_co_u32_e32 v5, vcc, 0, v2, vcc
	v_add_co_u32_e32 v1, vcc, s0, v0
	v_addc_co_u32_e64 v8, s[0:1], 0, 0, vcc
	v_add_co_u32_e32 v9, vcc, s3, v0
	v_addc_co_u32_e64 v10, s[0:1], 0, 0, vcc
	v_add_co_u32_e32 v11, vcc, s2, v0
	v_lshlrev_b32_e32 v2, 2, v11
	s_mov_b32 s28, 0
	v_addc_co_u32_e64 v12, s[0:1], 0, 0, vcc
	v_mov_b32_e32 v7, s7
	v_add_co_u32_e32 v6, vcc, s6, v2
	v_mov_b32_e32 v3, 0
	s_lshl_b32 s30, s2, 4
	s_mul_i32 s31, s2, 12
	s_mov_b32 s33, s28
	s_lshl_b32 s34, s2, 3
	s_mov_b32 s35, s28
	v_addc_co_u32_e32 v7, vcc, 0, v7, vcc
	s_mov_b64 s[24:25], 0
	s_brev_b32 s36, 18
	s_mov_b32 s37, 0xfe5163ab
	s_mov_b32 s38, 0x3c439041
	;; [unrolled: 1-line block ×10, first 2 shown]
	v_mov_b32_e32 v13, 0x3f93f425
	s_movk_i32 s47, 0x1f8
	v_not_b32_e32 v14, 63
	v_not_b32_e32 v15, 31
	v_mov_b32_e32 v16, 0x7fc00000
	s_branch .LBB99_4
.LBB99_3:                               ;   in Loop: Header=BB99_4 Depth=1
	s_or_b64 exec, exec, s[0:1]
	s_add_u32 s24, s24, s29
	s_addc_u32 s25, s25, 0
	v_pk_mov_b32 v[18:19], s[16:17], s[16:17] op_sel:[0,1]
	v_cmp_ge_i64_e32 vcc, s[24:25], v[18:19]
	v_mov_b32_e32 v18, 0xffff
	v_mov_b32_e32 v19, 0
	v_cmp_gt_u64_e64 s[0:1], s[24:25], v[18:19]
	s_or_b64 s[0:1], vcc, s[0:1]
	v_mov_b32_e32 v2, s28
	v_add_co_u32_e32 v4, vcc, s30, v4
	v_addc_co_u32_e32 v5, vcc, v5, v2, vcc
	v_add_co_u32_e32 v6, vcc, s30, v6
	v_addc_co_u32_e32 v7, vcc, v7, v2, vcc
	s_and_b64 vcc, exec, s[0:1]
	s_cbranch_vccnz .LBB99_36
.LBB99_4:                               ; =>This Inner Loop Header: Depth=1
	v_mov_b32_e32 v2, s25
	v_add_co_u32_e32 v18, vcc, s24, v0
	v_addc_co_u32_e32 v19, vcc, 0, v2, vcc
	v_cmp_gt_u64_e64 s[6:7], s[22:23], v[18:19]
	v_mov_b32_e32 v20, 0
	s_and_saveexec_b64 s[0:1], s[6:7]
	s_cbranch_execz .LBB99_6
; %bb.5:                                ;   in Loop: Header=BB99_4 Depth=1
	global_load_dword v20, v[4:5], off
.LBB99_6:                               ;   in Loop: Header=BB99_4 Depth=1
	s_or_b64 exec, exec, s[0:1]
	v_mov_b32_e32 v2, s25
	v_add_co_u32_e32 v18, vcc, s24, v11
	v_addc_co_u32_e32 v19, vcc, v12, v2, vcc
	v_cmp_gt_u64_e64 s[2:3], s[22:23], v[18:19]
	v_mov_b32_e32 v19, 0
	s_and_saveexec_b64 s[0:1], s[2:3]
	s_cbranch_execz .LBB99_8
; %bb.7:                                ;   in Loop: Header=BB99_4 Depth=1
	global_load_dword v19, v[6:7], off
.LBB99_8:                               ;   in Loop: Header=BB99_4 Depth=1
	s_or_b64 exec, exec, s[0:1]
	v_mov_b32_e32 v2, s25
	v_add_co_u32_e32 v22, vcc, s24, v9
	v_addc_co_u32_e32 v23, vcc, v10, v2, vcc
	v_cmp_gt_u64_e64 s[0:1], s[22:23], v[22:23]
	v_mov_b32_e32 v17, 0
	v_mov_b32_e32 v18, 0
	s_and_saveexec_b64 s[8:9], s[0:1]
	s_cbranch_execz .LBB99_10
; %bb.9:                                ;   in Loop: Header=BB99_4 Depth=1
	v_mov_b32_e32 v2, s35
	v_add_co_u32_e32 v22, vcc, s34, v4
	v_addc_co_u32_e32 v23, vcc, v5, v2, vcc
	global_load_dword v18, v[22:23], off
.LBB99_10:                              ;   in Loop: Header=BB99_4 Depth=1
	s_or_b64 exec, exec, s[8:9]
	v_mov_b32_e32 v2, s25
	v_add_co_u32_e32 v22, vcc, s24, v1
	v_addc_co_u32_e32 v23, vcc, v8, v2, vcc
	v_cmp_gt_u64_e32 vcc, s[22:23], v[22:23]
	s_and_saveexec_b64 s[10:11], vcc
	s_cbranch_execz .LBB99_12
; %bb.11:                               ;   in Loop: Header=BB99_4 Depth=1
	v_mov_b32_e32 v2, s33
	v_add_co_u32_e64 v22, s[8:9], s31, v4
	v_addc_co_u32_e64 v23, s[8:9], v5, v2, s[8:9]
	global_load_dword v17, v[22:23], off
.LBB99_12:                              ;   in Loop: Header=BB99_4 Depth=1
	s_or_b64 exec, exec, s[10:11]
	s_waitcnt vmcnt(0)
	v_and_b32_e32 v21, 0x7fffffff, v20
	v_cmp_nlt_f32_e64 s[8:9], |v20|, s36
                                        ; implicit-def: $vgpr24
                                        ; implicit-def: $vgpr23
	s_and_saveexec_b64 s[10:11], s[8:9]
	s_xor_b64 s[26:27], exec, s[10:11]
	s_cbranch_execz .LBB99_14
; %bb.13:                               ;   in Loop: Header=BB99_4 Depth=1
	v_lshrrev_b32_e32 v2, 23, v21
	v_add_u32_e32 v2, 0xffffff88, v2
	v_cmp_lt_u32_e64 s[8:9], 63, v2
	v_cndmask_b32_e64 v22, 0, v14, s[8:9]
	v_add_u32_e32 v2, v22, v2
	v_cmp_lt_u32_e64 s[10:11], 31, v2
	v_cndmask_b32_e64 v22, 0, v15, s[10:11]
	;; [unrolled: 3-line block ×3, first 2 shown]
	v_add_u32_e32 v36, v22, v2
	v_and_b32_e32 v2, 0x7fffff, v21
	v_or_b32_e32 v34, 0x800000, v2
	v_mad_u64_u32 v[22:23], s[14:15], v34, s37, 0
	v_mov_b32_e32 v2, v23
	v_mad_u64_u32 v[24:25], s[14:15], v34, s38, v[2:3]
	v_mov_b32_e32 v2, v25
	;; [unrolled: 2-line block ×6, first 2 shown]
	v_mad_u64_u32 v[34:35], s[14:15], v34, s43, v[2:3]
	v_cndmask_b32_e64 v23, v32, v28, s[8:9]
	v_cndmask_b32_e64 v2, v34, v30, s[8:9]
	;; [unrolled: 1-line block ×10, first 2 shown]
	v_sub_u32_e32 v29, 32, v36
	v_cndmask_b32_e64 v27, v27, v24, s[10:11]
	v_alignbit_b32 v30, v2, v25, v29
	v_cmp_eq_u32_e64 s[14:15], 0, v36
	v_cndmask_b32_e64 v23, v23, v27, s[12:13]
	v_cndmask_b32_e64 v22, v26, v22, s[8:9]
	;; [unrolled: 1-line block ×3, first 2 shown]
	v_alignbit_b32 v28, v25, v23, v29
	v_cndmask_b32_e64 v22, v24, v22, s[10:11]
	v_cndmask_b32_e64 v25, v28, v25, s[14:15]
	v_bfe_u32 v31, v2, 29, 1
	v_cndmask_b32_e64 v22, v27, v22, s[12:13]
	v_alignbit_b32 v28, v2, v25, 30
	v_sub_u32_e32 v32, 0, v31
	v_alignbit_b32 v24, v23, v22, v29
	v_xor_b32_e32 v33, v28, v32
	v_cndmask_b32_e64 v23, v24, v23, s[14:15]
	v_alignbit_b32 v24, v25, v23, 30
	v_ffbh_u32_e32 v25, v33
	v_add_u32_e32 v25, 1, v25
	v_cmp_ne_u32_e64 s[8:9], v28, v32
	v_cndmask_b32_e64 v25, 33, v25, s[8:9]
	v_alignbit_b32 v22, v23, v22, 30
	v_xor_b32_e32 v24, v24, v32
	v_sub_u32_e32 v26, 32, v25
	v_xor_b32_e32 v22, v22, v32
	v_alignbit_b32 v27, v33, v24, v26
	v_alignbit_b32 v22, v24, v22, v26
	;; [unrolled: 1-line block ×3, first 2 shown]
	v_ffbh_u32_e32 v24, v23
	v_min_u32_e32 v24, 32, v24
	v_lshrrev_b32_e32 v30, 29, v2
	v_sub_u32_e32 v26, 31, v24
	v_alignbit_b32 v22, v23, v22, v26
	v_lshlrev_b32_e32 v23, 31, v30
	v_or_b32_e32 v26, 0x33800000, v23
	v_add_lshl_u32 v24, v24, v25, 23
	v_lshrrev_b32_e32 v22, 9, v22
	v_sub_u32_e32 v24, v26, v24
	v_or_b32_e32 v22, v24, v22
	v_alignbit_b32 v24, v25, v27, 9
	v_or_b32_e32 v23, v24, v23
	v_xor_b32_e32 v23, 1.0, v23
	v_mul_f32_e32 v24, 0x3fc90fda, v23
	v_fma_f32 v25, v23, s44, -v24
	v_fmac_f32_e32 v25, 0x33a22168, v23
	v_fmac_f32_e32 v25, 0x3fc90fda, v22
	v_lshrrev_b32_e32 v2, 30, v2
	v_add_f32_e32 v23, v24, v25
	v_add_u32_e32 v24, v31, v2
.LBB99_14:                              ;   in Loop: Header=BB99_4 Depth=1
	s_andn2_saveexec_b64 s[8:9], s[26:27]
; %bb.15:                               ;   in Loop: Header=BB99_4 Depth=1
	v_mul_f32_e64 v2, |v20|, s45
	v_rndne_f32_e32 v2, v2
	v_cvt_i32_f32_e32 v24, v2
	v_fma_f32 v23, v2, s46, |v20|
	v_fmac_f32_e32 v23, 0xb3a22168, v2
	v_fmac_f32_e32 v23, 0xa7c234c4, v2
; %bb.16:                               ;   in Loop: Header=BB99_4 Depth=1
	s_or_b64 exec, exec, s[8:9]
	v_and_b32_e32 v22, 0x7fffffff, v19
	v_cmp_nlt_f32_e64 s[8:9], |v19|, s36
                                        ; implicit-def: $vgpr27
                                        ; implicit-def: $vgpr26
	s_and_saveexec_b64 s[10:11], s[8:9]
	s_xor_b64 s[26:27], exec, s[10:11]
	s_cbranch_execz .LBB99_18
; %bb.17:                               ;   in Loop: Header=BB99_4 Depth=1
	v_lshrrev_b32_e32 v2, 23, v22
	v_add_u32_e32 v2, 0xffffff88, v2
	v_cmp_lt_u32_e64 s[8:9], 63, v2
	v_cndmask_b32_e64 v25, 0, v14, s[8:9]
	v_add_u32_e32 v2, v25, v2
	v_cmp_lt_u32_e64 s[10:11], 31, v2
	v_cndmask_b32_e64 v25, 0, v15, s[10:11]
	;; [unrolled: 3-line block ×3, first 2 shown]
	v_add_u32_e32 v25, v25, v2
	v_and_b32_e32 v2, 0x7fffff, v22
	v_or_b32_e32 v38, 0x800000, v2
	v_mad_u64_u32 v[26:27], s[14:15], v38, s37, 0
	v_mov_b32_e32 v2, v27
	v_mad_u64_u32 v[28:29], s[14:15], v38, s38, v[2:3]
	v_mov_b32_e32 v2, v29
	;; [unrolled: 2-line block ×6, first 2 shown]
	v_mad_u64_u32 v[38:39], s[14:15], v38, s43, v[2:3]
	v_cndmask_b32_e64 v27, v36, v32, s[8:9]
	v_cndmask_b32_e64 v2, v38, v34, s[8:9]
	;; [unrolled: 1-line block ×7, first 2 shown]
	v_sub_u32_e32 v33, 32, v25
	v_cmp_eq_u32_e64 s[14:15], 0, v25
	v_cndmask_b32_e64 v25, v32, v28, s[8:9]
	v_cndmask_b32_e64 v2, v2, v29, s[12:13]
	v_cndmask_b32_e64 v29, v29, v27, s[12:13]
	v_cndmask_b32_e64 v28, v31, v25, s[10:11]
	v_alignbit_b32 v34, v2, v29, v33
	v_cndmask_b32_e64 v27, v27, v28, s[12:13]
	v_cndmask_b32_e64 v2, v34, v2, s[14:15]
	v_alignbit_b32 v31, v29, v27, v33
	v_cndmask_b32_e64 v29, v31, v29, s[14:15]
	v_bfe_u32 v34, v2, 29, 1
	v_cndmask_b32_e64 v26, v30, v26, s[8:9]
	v_alignbit_b32 v31, v2, v29, 30
	v_sub_u32_e32 v35, 0, v34
	v_cndmask_b32_e64 v25, v25, v26, s[10:11]
	v_xor_b32_e32 v36, v31, v35
	v_cndmask_b32_e64 v25, v28, v25, s[12:13]
	v_alignbit_b32 v26, v27, v25, v33
	v_ffbh_u32_e32 v28, v36
	v_cndmask_b32_e64 v26, v26, v27, s[14:15]
	v_add_u32_e32 v28, 1, v28
	v_cmp_ne_u32_e64 s[8:9], v31, v35
	v_alignbit_b32 v27, v29, v26, 30
	v_cndmask_b32_e64 v28, 33, v28, s[8:9]
	v_alignbit_b32 v25, v26, v25, 30
	v_xor_b32_e32 v27, v27, v35
	v_sub_u32_e32 v29, 32, v28
	v_xor_b32_e32 v25, v25, v35
	v_alignbit_b32 v30, v36, v27, v29
	v_alignbit_b32 v25, v27, v25, v29
	;; [unrolled: 1-line block ×3, first 2 shown]
	v_ffbh_u32_e32 v27, v26
	v_min_u32_e32 v27, 32, v27
	v_lshrrev_b32_e32 v32, 29, v2
	v_sub_u32_e32 v29, 31, v27
	v_alignbit_b32 v25, v26, v25, v29
	v_lshlrev_b32_e32 v26, 31, v32
	v_or_b32_e32 v29, 0x33800000, v26
	v_add_lshl_u32 v27, v27, v28, 23
	v_lshrrev_b32_e32 v25, 9, v25
	v_sub_u32_e32 v27, v29, v27
	v_or_b32_e32 v25, v27, v25
	v_alignbit_b32 v27, v28, v30, 9
	v_or_b32_e32 v26, v27, v26
	v_xor_b32_e32 v26, 1.0, v26
	v_mul_f32_e32 v27, 0x3fc90fda, v26
	v_fma_f32 v28, v26, s44, -v27
	v_fmac_f32_e32 v28, 0x33a22168, v26
	v_fmac_f32_e32 v28, 0x3fc90fda, v25
	v_lshrrev_b32_e32 v2, 30, v2
	v_add_f32_e32 v26, v27, v28
	v_add_u32_e32 v27, v34, v2
.LBB99_18:                              ;   in Loop: Header=BB99_4 Depth=1
	s_andn2_saveexec_b64 s[8:9], s[26:27]
; %bb.19:                               ;   in Loop: Header=BB99_4 Depth=1
	v_mul_f32_e64 v2, |v19|, s45
	v_rndne_f32_e32 v2, v2
	v_cvt_i32_f32_e32 v27, v2
	v_fma_f32 v26, v2, s46, |v19|
	v_fmac_f32_e32 v26, 0xb3a22168, v2
	v_fmac_f32_e32 v26, 0xa7c234c4, v2
; %bb.20:                               ;   in Loop: Header=BB99_4 Depth=1
	s_or_b64 exec, exec, s[8:9]
	v_and_b32_e32 v25, 0x7fffffff, v18
	v_cmp_nlt_f32_e64 s[8:9], |v18|, s36
                                        ; implicit-def: $vgpr30
                                        ; implicit-def: $vgpr29
	s_and_saveexec_b64 s[10:11], s[8:9]
	s_xor_b64 s[26:27], exec, s[10:11]
	s_cbranch_execz .LBB99_22
; %bb.21:                               ;   in Loop: Header=BB99_4 Depth=1
	v_lshrrev_b32_e32 v2, 23, v25
	v_add_u32_e32 v2, 0xffffff88, v2
	v_cmp_lt_u32_e64 s[8:9], 63, v2
	v_cndmask_b32_e64 v28, 0, v14, s[8:9]
	v_add_u32_e32 v2, v28, v2
	v_cmp_lt_u32_e64 s[10:11], 31, v2
	v_cndmask_b32_e64 v28, 0, v15, s[10:11]
	;; [unrolled: 3-line block ×3, first 2 shown]
	v_add_u32_e32 v42, v28, v2
	v_and_b32_e32 v2, 0x7fffff, v25
	v_or_b32_e32 v40, 0x800000, v2
	v_mad_u64_u32 v[28:29], s[14:15], v40, s37, 0
	v_mov_b32_e32 v2, v29
	v_mad_u64_u32 v[30:31], s[14:15], v40, s38, v[2:3]
	v_mov_b32_e32 v2, v31
	;; [unrolled: 2-line block ×6, first 2 shown]
	v_mad_u64_u32 v[40:41], s[14:15], v40, s43, v[2:3]
	v_cndmask_b32_e64 v29, v38, v34, s[8:9]
	v_cndmask_b32_e64 v2, v40, v36, s[8:9]
	;; [unrolled: 1-line block ×10, first 2 shown]
	v_sub_u32_e32 v35, 32, v42
	v_cndmask_b32_e64 v33, v33, v30, s[10:11]
	v_alignbit_b32 v36, v2, v31, v35
	v_cmp_eq_u32_e64 s[14:15], 0, v42
	v_cndmask_b32_e64 v29, v29, v33, s[12:13]
	v_cndmask_b32_e64 v28, v32, v28, s[8:9]
	;; [unrolled: 1-line block ×3, first 2 shown]
	v_alignbit_b32 v34, v31, v29, v35
	v_cndmask_b32_e64 v28, v30, v28, s[10:11]
	v_cndmask_b32_e64 v31, v34, v31, s[14:15]
	v_bfe_u32 v37, v2, 29, 1
	v_cndmask_b32_e64 v28, v33, v28, s[12:13]
	v_alignbit_b32 v34, v2, v31, 30
	v_sub_u32_e32 v38, 0, v37
	v_alignbit_b32 v30, v29, v28, v35
	v_xor_b32_e32 v39, v34, v38
	v_cndmask_b32_e64 v29, v30, v29, s[14:15]
	v_alignbit_b32 v30, v31, v29, 30
	v_ffbh_u32_e32 v31, v39
	v_add_u32_e32 v31, 1, v31
	v_cmp_ne_u32_e64 s[8:9], v34, v38
	v_cndmask_b32_e64 v31, 33, v31, s[8:9]
	v_alignbit_b32 v28, v29, v28, 30
	v_xor_b32_e32 v30, v30, v38
	v_sub_u32_e32 v32, 32, v31
	v_xor_b32_e32 v28, v28, v38
	v_alignbit_b32 v33, v39, v30, v32
	v_alignbit_b32 v28, v30, v28, v32
	;; [unrolled: 1-line block ×3, first 2 shown]
	v_ffbh_u32_e32 v30, v29
	v_min_u32_e32 v30, 32, v30
	v_lshrrev_b32_e32 v36, 29, v2
	v_sub_u32_e32 v32, 31, v30
	v_alignbit_b32 v28, v29, v28, v32
	v_lshlrev_b32_e32 v29, 31, v36
	v_or_b32_e32 v32, 0x33800000, v29
	v_add_lshl_u32 v30, v30, v31, 23
	v_lshrrev_b32_e32 v28, 9, v28
	v_sub_u32_e32 v30, v32, v30
	v_or_b32_e32 v28, v30, v28
	v_alignbit_b32 v30, v31, v33, 9
	v_or_b32_e32 v29, v30, v29
	v_xor_b32_e32 v29, 1.0, v29
	v_mul_f32_e32 v30, 0x3fc90fda, v29
	v_fma_f32 v31, v29, s44, -v30
	v_fmac_f32_e32 v31, 0x33a22168, v29
	v_fmac_f32_e32 v31, 0x3fc90fda, v28
	v_lshrrev_b32_e32 v2, 30, v2
	v_add_f32_e32 v29, v30, v31
	v_add_u32_e32 v30, v37, v2
.LBB99_22:                              ;   in Loop: Header=BB99_4 Depth=1
	s_andn2_saveexec_b64 s[8:9], s[26:27]
; %bb.23:                               ;   in Loop: Header=BB99_4 Depth=1
	v_mul_f32_e64 v2, |v18|, s45
	v_rndne_f32_e32 v2, v2
	v_cvt_i32_f32_e32 v30, v2
	v_fma_f32 v29, v2, s46, |v18|
	v_fmac_f32_e32 v29, 0xb3a22168, v2
	v_fmac_f32_e32 v29, 0xa7c234c4, v2
; %bb.24:                               ;   in Loop: Header=BB99_4 Depth=1
	s_or_b64 exec, exec, s[8:9]
	v_and_b32_e32 v28, 0x7fffffff, v17
	v_cmp_nlt_f32_e64 s[8:9], |v17|, s36
                                        ; implicit-def: $vgpr31
                                        ; implicit-def: $vgpr2
	s_and_saveexec_b64 s[10:11], s[8:9]
	s_xor_b64 s[26:27], exec, s[10:11]
	s_cbranch_execnz .LBB99_30
; %bb.25:                               ;   in Loop: Header=BB99_4 Depth=1
	s_andn2_saveexec_b64 s[8:9], s[26:27]
	s_cbranch_execnz .LBB99_31
.LBB99_26:                              ;   in Loop: Header=BB99_4 Depth=1
	s_or_b64 exec, exec, s[8:9]
	s_and_saveexec_b64 s[8:9], s[6:7]
	s_xor_b64 s[8:9], exec, s[8:9]
	s_cbranch_execnz .LBB99_32
.LBB99_27:                              ;   in Loop: Header=BB99_4 Depth=1
	s_or_b64 exec, exec, s[8:9]
	s_and_saveexec_b64 s[6:7], s[2:3]
	s_cbranch_execnz .LBB99_33
.LBB99_28:                              ;   in Loop: Header=BB99_4 Depth=1
	s_or_b64 exec, exec, s[6:7]
	s_and_saveexec_b64 s[2:3], s[0:1]
	s_cbranch_execnz .LBB99_34
.LBB99_29:                              ;   in Loop: Header=BB99_4 Depth=1
	s_or_b64 exec, exec, s[2:3]
	s_and_saveexec_b64 s[0:1], vcc
	s_cbranch_execz .LBB99_3
	s_branch .LBB99_35
.LBB99_30:                              ;   in Loop: Header=BB99_4 Depth=1
	v_lshrrev_b32_e32 v2, 23, v28
	v_add_u32_e32 v2, 0xffffff88, v2
	v_cmp_lt_u32_e64 s[8:9], 63, v2
	v_cndmask_b32_e64 v31, 0, v14, s[8:9]
	v_add_u32_e32 v2, v31, v2
	v_cmp_lt_u32_e64 s[10:11], 31, v2
	v_cndmask_b32_e64 v31, 0, v15, s[10:11]
	v_add_u32_e32 v2, v31, v2
	v_cmp_lt_u32_e64 s[12:13], 31, v2
	v_cndmask_b32_e64 v31, 0, v15, s[12:13]
	v_add_u32_e32 v31, v31, v2
	v_and_b32_e32 v2, 0x7fffff, v28
	v_or_b32_e32 v44, 0x800000, v2
	v_mad_u64_u32 v[32:33], s[14:15], v44, s37, 0
	v_mov_b32_e32 v2, v33
	v_mad_u64_u32 v[34:35], s[14:15], v44, s38, v[2:3]
	v_mov_b32_e32 v2, v35
	;; [unrolled: 2-line block ×6, first 2 shown]
	v_mad_u64_u32 v[44:45], s[14:15], v44, s43, v[2:3]
	v_cndmask_b32_e64 v33, v42, v38, s[8:9]
	v_cndmask_b32_e64 v2, v44, v40, s[8:9]
	;; [unrolled: 1-line block ×9, first 2 shown]
	v_sub_u32_e32 v39, 32, v31
	v_alignbit_b32 v40, v2, v35, v39
	v_cmp_eq_u32_e64 s[14:15], 0, v31
	v_cndmask_b32_e64 v31, v40, v2, s[14:15]
	v_cndmask_b32_e64 v2, v38, v34, s[8:9]
	;; [unrolled: 1-line block ×4, first 2 shown]
	v_alignbit_b32 v37, v35, v33, v39
	v_cndmask_b32_e64 v35, v37, v35, s[14:15]
	v_bfe_u32 v40, v31, 29, 1
	v_cndmask_b32_e64 v32, v36, v32, s[8:9]
	v_alignbit_b32 v37, v31, v35, 30
	v_sub_u32_e32 v41, 0, v40
	v_cndmask_b32_e64 v2, v2, v32, s[10:11]
	v_xor_b32_e32 v42, v37, v41
	v_cndmask_b32_e64 v2, v34, v2, s[12:13]
	v_alignbit_b32 v32, v33, v2, v39
	v_ffbh_u32_e32 v34, v42
	v_cndmask_b32_e64 v32, v32, v33, s[14:15]
	v_add_u32_e32 v34, 1, v34
	v_cmp_ne_u32_e64 s[8:9], v37, v41
	v_alignbit_b32 v33, v35, v32, 30
	v_cndmask_b32_e64 v34, 33, v34, s[8:9]
	v_alignbit_b32 v2, v32, v2, 30
	v_xor_b32_e32 v33, v33, v41
	v_sub_u32_e32 v35, 32, v34
	v_xor_b32_e32 v2, v2, v41
	v_alignbit_b32 v36, v42, v33, v35
	v_alignbit_b32 v2, v33, v2, v35
	;; [unrolled: 1-line block ×3, first 2 shown]
	v_ffbh_u32_e32 v33, v32
	v_min_u32_e32 v33, 32, v33
	v_lshrrev_b32_e32 v38, 29, v31
	v_sub_u32_e32 v35, 31, v33
	v_alignbit_b32 v2, v32, v2, v35
	v_lshlrev_b32_e32 v32, 31, v38
	v_or_b32_e32 v35, 0x33800000, v32
	v_add_lshl_u32 v33, v33, v34, 23
	v_lshrrev_b32_e32 v2, 9, v2
	v_sub_u32_e32 v33, v35, v33
	v_or_b32_e32 v2, v33, v2
	v_alignbit_b32 v33, v34, v36, 9
	v_or_b32_e32 v32, v33, v32
	v_xor_b32_e32 v32, 1.0, v32
	v_mul_f32_e32 v33, 0x3fc90fda, v32
	v_fma_f32 v34, v32, s44, -v33
	v_fmac_f32_e32 v34, 0x33a22168, v32
	v_fmac_f32_e32 v34, 0x3fc90fda, v2
	v_lshrrev_b32_e32 v31, 30, v31
	v_add_f32_e32 v2, v33, v34
	v_add_u32_e32 v31, v40, v31
	s_andn2_saveexec_b64 s[8:9], s[26:27]
	s_cbranch_execz .LBB99_26
.LBB99_31:                              ;   in Loop: Header=BB99_4 Depth=1
	v_mul_f32_e64 v2, |v17|, s45
	v_rndne_f32_e32 v32, v2
	v_cvt_i32_f32_e32 v31, v32
	v_fma_f32 v2, v32, s46, |v17|
	v_fmac_f32_e32 v2, 0xb3a22168, v32
	v_fmac_f32_e32 v2, 0xa7c234c4, v32
	s_or_b64 exec, exec, s[8:9]
	s_and_saveexec_b64 s[8:9], s[6:7]
	s_xor_b64 s[8:9], exec, s[8:9]
	s_cbranch_execz .LBB99_27
.LBB99_32:                              ;   in Loop: Header=BB99_4 Depth=1
	v_mul_f32_e32 v32, v23, v23
	v_mov_b32_e32 v33, 0xbf039337
	v_fmac_f32_e32 v33, 0x3c971480, v32
	v_fma_f32 v33, v32, v33, v13
	v_rcp_f32_e32 v33, v33
	v_mov_b32_e32 v34, 0x3ec54587
	v_fmac_f32_e32 v34, 0xbc8cedd3, v32
	v_and_b32_e32 v24, 1, v24
	v_mul_f32_e32 v33, v34, v33
	v_mul_f32_e32 v32, v32, v33
	v_fma_f32 v33, v32, v23, v23
	v_rcp_f32_e32 v34, v33
	v_sub_f32_e32 v35, v33, v23
	v_fma_f32 v23, v32, v23, -v35
	v_cmp_eq_u32_e64 s[6:7], 0, v24
	v_fma_f32 v32, v33, -v34, 1.0
	v_fma_f32 v23, v23, -v34, v32
	v_fma_f32 v23, v23, -v34, -v34
	v_cndmask_b32_e64 v23, v23, v33, s[6:7]
	v_xor_b32_e32 v21, v21, v20
	v_xor_b32_e32 v21, v21, v23
	v_cmp_class_f32_e64 s[6:7], v20, s47
	v_cndmask_b32_e64 v20, v16, v21, s[6:7]
	global_store_dword v[4:5], v20, off
	s_or_b64 exec, exec, s[8:9]
	s_and_saveexec_b64 s[6:7], s[2:3]
	s_cbranch_execz .LBB99_28
.LBB99_33:                              ;   in Loop: Header=BB99_4 Depth=1
	v_mul_f32_e32 v20, v26, v26
	v_mov_b32_e32 v21, 0xbf039337
	v_fmac_f32_e32 v21, 0x3c971480, v20
	v_fma_f32 v21, v20, v21, v13
	v_rcp_f32_e32 v21, v21
	v_mov_b32_e32 v23, 0x3ec54587
	v_fmac_f32_e32 v23, 0xbc8cedd3, v20
	v_and_b32_e32 v24, 1, v27
	v_mul_f32_e32 v21, v23, v21
	v_mul_f32_e32 v20, v20, v21
	v_fma_f32 v21, v20, v26, v26
	v_rcp_f32_e32 v23, v21
	v_sub_f32_e32 v27, v21, v26
	v_fma_f32 v20, v20, v26, -v27
	v_cmp_eq_u32_e64 s[2:3], 0, v24
	v_fma_f32 v26, v21, -v23, 1.0
	v_fma_f32 v20, v20, -v23, v26
	v_fma_f32 v20, v20, -v23, -v23
	v_cndmask_b32_e64 v20, v20, v21, s[2:3]
	v_xor_b32_e32 v21, v22, v19
	v_xor_b32_e32 v20, v21, v20
	v_cmp_class_f32_e64 s[2:3], v19, s47
	v_cndmask_b32_e64 v19, v16, v20, s[2:3]
	global_store_dword v[6:7], v19, off
	s_or_b64 exec, exec, s[6:7]
	s_and_saveexec_b64 s[2:3], s[0:1]
	s_cbranch_execz .LBB99_29
.LBB99_34:                              ;   in Loop: Header=BB99_4 Depth=1
	v_mul_f32_e32 v19, v29, v29
	v_mov_b32_e32 v20, 0xbf039337
	v_fmac_f32_e32 v20, 0x3c971480, v19
	v_fma_f32 v20, v19, v20, v13
	v_rcp_f32_e32 v20, v20
	v_mov_b32_e32 v21, 0x3ec54587
	v_fmac_f32_e32 v21, 0xbc8cedd3, v19
	v_and_b32_e32 v22, 1, v30
	v_mul_f32_e32 v20, v21, v20
	v_mul_f32_e32 v19, v19, v20
	v_fma_f32 v20, v19, v29, v29
	v_rcp_f32_e32 v21, v20
	v_sub_f32_e32 v23, v20, v29
	v_fma_f32 v19, v19, v29, -v23
	v_cmp_eq_u32_e64 s[0:1], 0, v22
	v_fma_f32 v23, v20, -v21, 1.0
	v_fma_f32 v19, v19, -v21, v23
	v_fma_f32 v19, v19, -v21, -v21
	v_cndmask_b32_e64 v19, v19, v20, s[0:1]
	v_xor_b32_e32 v20, v25, v18
	v_xor_b32_e32 v19, v20, v19
	v_cmp_class_f32_e64 s[0:1], v18, s47
	v_cndmask_b32_e64 v20, v16, v19, s[0:1]
	v_mov_b32_e32 v19, s35
	v_add_co_u32_e64 v18, s[0:1], s34, v4
	v_addc_co_u32_e64 v19, s[0:1], v5, v19, s[0:1]
	global_store_dword v[18:19], v20, off
	s_or_b64 exec, exec, s[2:3]
	s_and_saveexec_b64 s[0:1], vcc
	s_cbranch_execz .LBB99_3
.LBB99_35:                              ;   in Loop: Header=BB99_4 Depth=1
	v_mul_f32_e32 v18, v2, v2
	v_mov_b32_e32 v19, 0xbf039337
	v_fmac_f32_e32 v19, 0x3c971480, v18
	v_fma_f32 v19, v18, v19, v13
	v_rcp_f32_e32 v19, v19
	v_mov_b32_e32 v20, 0x3ec54587
	v_fmac_f32_e32 v20, 0xbc8cedd3, v18
	v_and_b32_e32 v21, 1, v31
	v_mul_f32_e32 v19, v20, v19
	v_mul_f32_e32 v18, v18, v19
	v_fma_f32 v19, v18, v2, v2
	v_rcp_f32_e32 v20, v19
	v_sub_f32_e32 v22, v19, v2
	v_fma_f32 v2, v18, v2, -v22
	v_cmp_eq_u32_e32 vcc, 0, v21
	v_fma_f32 v18, v19, -v20, 1.0
	v_fma_f32 v2, v2, -v20, v18
	v_fma_f32 v2, v2, -v20, -v20
	v_cndmask_b32_e32 v2, v2, v19, vcc
	v_xor_b32_e32 v18, v28, v17
	v_xor_b32_e32 v2, v18, v2
	v_cmp_class_f32_e64 vcc, v17, s47
	v_cndmask_b32_e32 v2, v16, v2, vcc
	v_mov_b32_e32 v17, s33
	v_add_co_u32_e32 v18, vcc, s31, v4
	v_addc_co_u32_e32 v19, vcc, v5, v17, vcc
	global_store_dword v[18:19], v2, off
	s_branch .LBB99_3
.LBB99_36:
	s_cbranch_execz .LBB99_38
	s_branch .LBB99_57
.LBB99_37:
.LBB99_38:
	v_mov_b32_e32 v5, 0
	v_lshlrev_b32_e32 v4, 2, v0
	s_mov_b32 s12, 0
	v_cmp_gt_i64_e32 vcc, s[16:17], v[4:5]
	s_and_saveexec_b64 s[0:1], vcc
	s_cbranch_execz .LBB99_57
; %bb.39:
	s_load_dword s0, s[4:5], 0xd3c
	v_lshlrev_b32_e32 v1, 4, v0
	s_mov_b32 s15, s12
	s_mov_b64 s[6:7], 0
	s_mov_b32 s22, 0xf534ddc0
	s_waitcnt lgkmcnt(0)
	s_and_b32 s0, s0, 0xffff
	s_lshl_b32 s13, s0, 2
	s_add_u32 s1, s18, s20
	s_addc_u32 s2, s19, s21
	v_add_lshl_u32 v4, v0, s0, 2
	v_mov_b32_e32 v0, s2
	v_add_co_u32_e32 v1, vcc, s1, v1
	v_addc_co_u32_e32 v0, vcc, 0, v0, vcc
	v_add_co_u32_e32 v6, vcc, 8, v1
	v_addc_co_u32_e32 v7, vcc, 0, v0, vcc
	s_lshl_b32 s14, s0, 4
	s_brev_b32 s18, 18
	s_mov_b32 s19, 0xfe5163ab
	s_mov_b32 s20, 0x3c439041
	;; [unrolled: 1-line block ×9, first 2 shown]
	v_mov_b32_e32 v10, 0x3f93f425
	s_movk_i32 s29, 0x1f8
	s_mov_b64 s[8:9], 0xffff
	v_not_b32_e32 v11, 63
	v_not_b32_e32 v12, 31
	v_mov_b32_e32 v13, 0x7fc00000
	v_pk_mov_b32 v[8:9], v[4:5], v[4:5] op_sel:[0,1]
	s_branch .LBB99_41
.LBB99_40:                              ;   in Loop: Header=BB99_41 Depth=1
	s_or_b64 exec, exec, s[0:1]
	v_mul_f32_e32 v25, v22, v22
	v_mov_b32_e32 v26, 0xbf039337
	v_fmac_f32_e32 v26, 0x3c971480, v25
	v_fma_f32 v26, v25, v26, v10
	v_rcp_f32_e32 v26, v26
	v_mov_b32_e32 v27, 0x3ec54587
	v_fmac_f32_e32 v27, 0xbc8cedd3, v25
	v_and_b32_e32 v23, 1, v23
	v_mul_f32_e32 v26, v27, v26
	v_mul_f32_e32 v25, v25, v26
	v_fma_f32 v26, v25, v22, v22
	v_rcp_f32_e32 v27, v26
	v_sub_f32_e32 v28, v26, v22
	v_fma_f32 v22, v25, v22, -v28
	v_cmp_eq_u32_e32 vcc, 0, v23
	v_fma_f32 v25, v26, -v27, 1.0
	v_fma_f32 v22, v22, -v27, v25
	v_fma_f32 v22, v22, -v27, -v27
	v_cndmask_b32_e32 v22, v22, v26, vcc
	v_xor_b32_e32 v20, v20, v2
	v_xor_b32_e32 v20, v20, v22
	v_mul_f32_e32 v22, v18, v18
	v_mov_b32_e32 v23, 0xbf039337
	v_fmac_f32_e32 v23, 0x3c971480, v22
	v_fma_f32 v23, v22, v23, v10
	v_rcp_f32_e32 v23, v23
	v_cmp_class_f32_e64 vcc, v2, s29
	v_cndmask_b32_e32 v2, v13, v20, vcc
	v_mov_b32_e32 v20, 0x3ec54587
	v_fmac_f32_e32 v20, 0xbc8cedd3, v22
	v_mul_f32_e32 v20, v20, v23
	v_mul_f32_e32 v20, v22, v20
	v_fma_f32 v22, v20, v18, v18
	v_rcp_f32_e32 v23, v22
	v_sub_f32_e32 v25, v22, v18
	v_fma_f32 v18, v20, v18, -v25
	v_and_b32_e32 v19, 1, v19
	v_fma_f32 v20, v22, -v23, 1.0
	v_fma_f32 v18, v18, -v23, v20
	v_fma_f32 v18, v18, -v23, -v23
	v_cmp_eq_u32_e32 vcc, 0, v19
	v_cndmask_b32_e32 v18, v18, v22, vcc
	v_xor_b32_e32 v17, v17, v1
	v_xor_b32_e32 v17, v17, v18
	v_mul_f32_e32 v18, v15, v15
	v_mov_b32_e32 v19, 0xbf039337
	v_fmac_f32_e32 v19, 0x3c971480, v18
	v_fma_f32 v19, v18, v19, v10
	v_rcp_f32_e32 v19, v19
	v_cmp_class_f32_e64 vcc, v1, s29
	v_cndmask_b32_e32 v1, v13, v17, vcc
	v_mov_b32_e32 v17, 0x3ec54587
	v_fmac_f32_e32 v17, 0xbc8cedd3, v18
	v_mul_f32_e32 v17, v17, v19
	v_mul_f32_e32 v17, v18, v17
	v_fma_f32 v18, v17, v15, v15
	v_rcp_f32_e32 v19, v18
	v_sub_f32_e32 v20, v18, v15
	v_fma_f32 v15, v17, v15, -v20
	v_and_b32_e32 v16, 1, v16
	v_fma_f32 v17, v18, -v19, 1.0
	v_fma_f32 v15, v15, -v19, v17
	v_fma_f32 v15, v15, -v19, -v19
	v_cmp_eq_u32_e32 vcc, 0, v16
	;; [unrolled: 23-line block ×3, first 2 shown]
	v_cndmask_b32_e32 v4, v4, v15, vcc
	v_xor_b32_e32 v14, v21, v3
	v_xor_b32_e32 v4, v14, v4
	v_cmp_class_f32_e64 vcc, v3, s29
	v_cndmask_b32_e32 v3, v13, v4, vcc
	v_cmp_le_i64_e32 vcc, s[16:17], v[8:9]
	v_cmp_lt_u64_e64 s[0:1], s[8:9], v[8:9]
	global_store_dwordx4 v[6:7], v[0:3], off offset:-8
	s_or_b64 s[0:1], vcc, s[0:1]
	v_mov_b32_e32 v0, s12
	v_add_co_u32_e32 v8, vcc, s13, v8
	v_addc_co_u32_e32 v9, vcc, v9, v0, vcc
	v_mov_b32_e32 v0, s15
	s_and_b64 s[0:1], exec, s[0:1]
	v_add_co_u32_e32 v6, vcc, s14, v6
	s_or_b64 s[6:7], s[0:1], s[6:7]
	v_addc_co_u32_e32 v7, vcc, v7, v0, vcc
	s_andn2_b64 exec, exec, s[6:7]
	s_cbranch_execz .LBB99_57
.LBB99_41:                              ; =>This Inner Loop Header: Depth=1
	global_load_dwordx4 v[0:3], v[6:7], off offset:-8
                                        ; implicit-def: $vgpr16
                                        ; implicit-def: $vgpr15
	s_waitcnt vmcnt(0)
	v_and_b32_e32 v14, 0x7fffffff, v0
	v_cmp_nlt_f32_e64 s[0:1], |v0|, s18
	s_and_saveexec_b64 s[2:3], s[0:1]
	s_xor_b64 s[10:11], exec, s[2:3]
	s_cbranch_execz .LBB99_43
; %bb.42:                               ;   in Loop: Header=BB99_41 Depth=1
	v_lshrrev_b32_e32 v4, 23, v14
	v_add_u32_e32 v4, 0xffffff88, v4
	v_cmp_lt_u32_e32 vcc, 63, v4
	v_cndmask_b32_e32 v15, 0, v11, vcc
	v_add_u32_e32 v4, v15, v4
	v_cmp_lt_u32_e64 s[0:1], 31, v4
	v_cndmask_b32_e64 v15, 0, v12, s[0:1]
	v_add_u32_e32 v4, v15, v4
	v_cmp_lt_u32_e64 s[2:3], 31, v4
	v_cndmask_b32_e64 v15, 0, v12, s[2:3]
	v_add_u32_e32 v15, v15, v4
	v_and_b32_e32 v4, 0x7fffff, v14
	v_or_b32_e32 v28, 0x800000, v4
	v_mad_u64_u32 v[16:17], s[4:5], v28, s19, 0
	v_mov_b32_e32 v4, v17
	v_mad_u64_u32 v[18:19], s[4:5], v28, s20, v[4:5]
	v_mov_b32_e32 v4, v19
	;; [unrolled: 2-line block ×6, first 2 shown]
	v_mad_u64_u32 v[28:29], s[4:5], v28, s25, v[4:5]
	v_cndmask_b32_e32 v17, v26, v22, vcc
	v_cndmask_b32_e32 v4, v28, v24, vcc
	;; [unrolled: 1-line block ×3, first 2 shown]
	v_cndmask_b32_e64 v19, v4, v17, s[0:1]
	v_cndmask_b32_e64 v4, v21, v4, s[0:1]
	v_cndmask_b32_e32 v21, v24, v20, vcc
	v_cndmask_b32_e64 v17, v17, v21, s[0:1]
	v_sub_u32_e32 v23, 32, v15
	v_cmp_eq_u32_e64 s[4:5], 0, v15
	v_cndmask_b32_e32 v15, v22, v18, vcc
	v_cndmask_b32_e64 v4, v4, v19, s[2:3]
	v_cndmask_b32_e64 v19, v19, v17, s[2:3]
	;; [unrolled: 1-line block ×3, first 2 shown]
	v_alignbit_b32 v24, v4, v19, v23
	v_cndmask_b32_e64 v17, v17, v18, s[2:3]
	v_cndmask_b32_e64 v4, v24, v4, s[4:5]
	v_alignbit_b32 v21, v19, v17, v23
	v_cndmask_b32_e64 v19, v21, v19, s[4:5]
	v_bfe_u32 v24, v4, 29, 1
	v_cndmask_b32_e32 v16, v20, v16, vcc
	v_alignbit_b32 v21, v4, v19, 30
	v_sub_u32_e32 v25, 0, v24
	v_cndmask_b32_e64 v15, v15, v16, s[0:1]
	v_xor_b32_e32 v26, v21, v25
	v_cndmask_b32_e64 v15, v18, v15, s[2:3]
	v_alignbit_b32 v16, v17, v15, v23
	v_ffbh_u32_e32 v18, v26
	v_cndmask_b32_e64 v16, v16, v17, s[4:5]
	v_add_u32_e32 v18, 1, v18
	v_cmp_ne_u32_e32 vcc, v21, v25
	v_alignbit_b32 v17, v19, v16, 30
	v_cndmask_b32_e32 v18, 33, v18, vcc
	v_alignbit_b32 v15, v16, v15, 30
	v_xor_b32_e32 v17, v17, v25
	v_sub_u32_e32 v19, 32, v18
	v_xor_b32_e32 v15, v15, v25
	v_alignbit_b32 v20, v26, v17, v19
	v_alignbit_b32 v15, v17, v15, v19
	;; [unrolled: 1-line block ×3, first 2 shown]
	v_ffbh_u32_e32 v17, v16
	v_min_u32_e32 v17, 32, v17
	v_lshrrev_b32_e32 v22, 29, v4
	v_sub_u32_e32 v19, 31, v17
	v_alignbit_b32 v15, v16, v15, v19
	v_lshlrev_b32_e32 v16, 31, v22
	v_or_b32_e32 v19, 0x33800000, v16
	v_add_lshl_u32 v17, v17, v18, 23
	v_lshrrev_b32_e32 v15, 9, v15
	v_sub_u32_e32 v17, v19, v17
	v_or_b32_e32 v15, v17, v15
	v_alignbit_b32 v17, v18, v20, 9
	v_or_b32_e32 v16, v17, v16
	v_xor_b32_e32 v16, 1.0, v16
	v_mul_f32_e32 v17, 0x3fc90fda, v16
	v_fma_f32 v18, v16, s26, -v17
	v_fmac_f32_e32 v18, 0x33a22168, v16
	v_fmac_f32_e32 v18, 0x3fc90fda, v15
	v_lshrrev_b32_e32 v4, 30, v4
	v_add_f32_e32 v15, v17, v18
	v_add_u32_e32 v16, v24, v4
.LBB99_43:                              ;   in Loop: Header=BB99_41 Depth=1
	s_andn2_saveexec_b64 s[0:1], s[10:11]
; %bb.44:                               ;   in Loop: Header=BB99_41 Depth=1
	v_mul_f32_e64 v4, |v0|, s27
	v_rndne_f32_e32 v4, v4
	v_cvt_i32_f32_e32 v16, v4
	v_fma_f32 v15, v4, s28, |v0|
	v_fmac_f32_e32 v15, 0xb3a22168, v4
	v_fmac_f32_e32 v15, 0xa7c234c4, v4
; %bb.45:                               ;   in Loop: Header=BB99_41 Depth=1
	s_or_b64 exec, exec, s[0:1]
	v_and_b32_e32 v17, 0x7fffffff, v1
	v_cmp_nlt_f32_e64 s[0:1], |v1|, s18
                                        ; implicit-def: $vgpr19
                                        ; implicit-def: $vgpr18
	s_and_saveexec_b64 s[2:3], s[0:1]
	s_xor_b64 s[10:11], exec, s[2:3]
	s_cbranch_execz .LBB99_47
; %bb.46:                               ;   in Loop: Header=BB99_41 Depth=1
	v_lshrrev_b32_e32 v4, 23, v17
	v_add_u32_e32 v4, 0xffffff88, v4
	v_cmp_lt_u32_e32 vcc, 63, v4
	v_cndmask_b32_e32 v18, 0, v11, vcc
	v_add_u32_e32 v4, v18, v4
	v_cmp_lt_u32_e64 s[0:1], 31, v4
	v_cndmask_b32_e64 v18, 0, v12, s[0:1]
	v_add_u32_e32 v4, v18, v4
	v_cmp_lt_u32_e64 s[2:3], 31, v4
	v_cndmask_b32_e64 v18, 0, v12, s[2:3]
	v_add_u32_e32 v32, v18, v4
	v_and_b32_e32 v4, 0x7fffff, v17
	v_or_b32_e32 v30, 0x800000, v4
	v_mad_u64_u32 v[18:19], s[4:5], v30, s19, 0
	v_mov_b32_e32 v4, v19
	v_mad_u64_u32 v[20:21], s[4:5], v30, s20, v[4:5]
	v_mov_b32_e32 v4, v21
	;; [unrolled: 2-line block ×6, first 2 shown]
	v_mad_u64_u32 v[30:31], s[4:5], v30, s25, v[4:5]
	v_cndmask_b32_e32 v19, v28, v24, vcc
	v_cndmask_b32_e32 v4, v30, v26, vcc
	;; [unrolled: 1-line block ×3, first 2 shown]
	v_cndmask_b32_e64 v21, v4, v19, s[0:1]
	v_cndmask_b32_e64 v4, v23, v4, s[0:1]
	v_cndmask_b32_e32 v23, v26, v22, vcc
	v_cndmask_b32_e64 v19, v19, v23, s[0:1]
	v_cndmask_b32_e32 v20, v24, v20, vcc
	v_cndmask_b32_e64 v4, v4, v21, s[2:3]
	v_cndmask_b32_e64 v21, v21, v19, s[2:3]
	v_sub_u32_e32 v25, 32, v32
	v_cndmask_b32_e64 v23, v23, v20, s[0:1]
	v_alignbit_b32 v26, v4, v21, v25
	v_cmp_eq_u32_e64 s[4:5], 0, v32
	v_cndmask_b32_e64 v19, v19, v23, s[2:3]
	v_cndmask_b32_e32 v18, v22, v18, vcc
	v_cndmask_b32_e64 v4, v26, v4, s[4:5]
	v_alignbit_b32 v24, v21, v19, v25
	v_cndmask_b32_e64 v18, v20, v18, s[0:1]
	v_cndmask_b32_e64 v21, v24, v21, s[4:5]
	v_bfe_u32 v27, v4, 29, 1
	v_cndmask_b32_e64 v18, v23, v18, s[2:3]
	v_alignbit_b32 v24, v4, v21, 30
	v_sub_u32_e32 v28, 0, v27
	v_alignbit_b32 v20, v19, v18, v25
	v_xor_b32_e32 v29, v24, v28
	v_cndmask_b32_e64 v19, v20, v19, s[4:5]
	v_alignbit_b32 v20, v21, v19, 30
	v_ffbh_u32_e32 v21, v29
	v_add_u32_e32 v21, 1, v21
	v_cmp_ne_u32_e32 vcc, v24, v28
	v_cndmask_b32_e32 v21, 33, v21, vcc
	v_alignbit_b32 v18, v19, v18, 30
	v_xor_b32_e32 v20, v20, v28
	v_sub_u32_e32 v22, 32, v21
	v_xor_b32_e32 v18, v18, v28
	v_alignbit_b32 v23, v29, v20, v22
	v_alignbit_b32 v18, v20, v18, v22
	v_alignbit_b32 v19, v23, v18, 9
	v_ffbh_u32_e32 v20, v19
	v_min_u32_e32 v20, 32, v20
	v_lshrrev_b32_e32 v26, 29, v4
	v_sub_u32_e32 v22, 31, v20
	v_alignbit_b32 v18, v19, v18, v22
	v_lshlrev_b32_e32 v19, 31, v26
	v_or_b32_e32 v22, 0x33800000, v19
	v_add_lshl_u32 v20, v20, v21, 23
	v_lshrrev_b32_e32 v18, 9, v18
	v_sub_u32_e32 v20, v22, v20
	v_or_b32_e32 v18, v20, v18
	v_alignbit_b32 v20, v21, v23, 9
	v_or_b32_e32 v19, v20, v19
	v_xor_b32_e32 v19, 1.0, v19
	v_mul_f32_e32 v20, 0x3fc90fda, v19
	v_fma_f32 v21, v19, s26, -v20
	v_fmac_f32_e32 v21, 0x33a22168, v19
	v_fmac_f32_e32 v21, 0x3fc90fda, v18
	v_lshrrev_b32_e32 v4, 30, v4
	v_add_f32_e32 v18, v20, v21
	v_add_u32_e32 v19, v27, v4
.LBB99_47:                              ;   in Loop: Header=BB99_41 Depth=1
	s_andn2_saveexec_b64 s[0:1], s[10:11]
; %bb.48:                               ;   in Loop: Header=BB99_41 Depth=1
	v_mul_f32_e64 v4, |v1|, s27
	v_rndne_f32_e32 v4, v4
	v_cvt_i32_f32_e32 v19, v4
	v_fma_f32 v18, v4, s28, |v1|
	v_fmac_f32_e32 v18, 0xb3a22168, v4
	v_fmac_f32_e32 v18, 0xa7c234c4, v4
; %bb.49:                               ;   in Loop: Header=BB99_41 Depth=1
	s_or_b64 exec, exec, s[0:1]
	v_and_b32_e32 v20, 0x7fffffff, v2
	v_cmp_nlt_f32_e64 s[0:1], |v2|, s18
                                        ; implicit-def: $vgpr23
                                        ; implicit-def: $vgpr22
	s_and_saveexec_b64 s[2:3], s[0:1]
	s_xor_b64 s[10:11], exec, s[2:3]
	s_cbranch_execz .LBB99_51
; %bb.50:                               ;   in Loop: Header=BB99_41 Depth=1
	v_lshrrev_b32_e32 v4, 23, v20
	v_add_u32_e32 v4, 0xffffff88, v4
	v_cmp_lt_u32_e32 vcc, 63, v4
	v_cndmask_b32_e32 v21, 0, v11, vcc
	v_add_u32_e32 v4, v21, v4
	v_cmp_lt_u32_e64 s[0:1], 31, v4
	v_cndmask_b32_e64 v21, 0, v12, s[0:1]
	v_add_u32_e32 v4, v21, v4
	v_cmp_lt_u32_e64 s[2:3], 31, v4
	v_cndmask_b32_e64 v21, 0, v12, s[2:3]
	v_add_u32_e32 v21, v21, v4
	v_and_b32_e32 v4, 0x7fffff, v20
	v_or_b32_e32 v34, 0x800000, v4
	v_mad_u64_u32 v[22:23], s[4:5], v34, s19, 0
	v_mov_b32_e32 v4, v23
	v_mad_u64_u32 v[24:25], s[4:5], v34, s20, v[4:5]
	v_mov_b32_e32 v4, v25
	;; [unrolled: 2-line block ×6, first 2 shown]
	v_mad_u64_u32 v[34:35], s[4:5], v34, s25, v[4:5]
	v_cndmask_b32_e32 v23, v32, v28, vcc
	v_cndmask_b32_e32 v4, v34, v30, vcc
	;; [unrolled: 1-line block ×3, first 2 shown]
	v_cndmask_b32_e64 v25, v4, v23, s[0:1]
	v_cndmask_b32_e64 v4, v27, v4, s[0:1]
	v_cndmask_b32_e32 v27, v30, v26, vcc
	v_cndmask_b32_e64 v23, v23, v27, s[0:1]
	v_sub_u32_e32 v29, 32, v21
	v_cmp_eq_u32_e64 s[4:5], 0, v21
	v_cndmask_b32_e32 v21, v28, v24, vcc
	v_cndmask_b32_e64 v4, v4, v25, s[2:3]
	v_cndmask_b32_e64 v25, v25, v23, s[2:3]
	;; [unrolled: 1-line block ×3, first 2 shown]
	v_alignbit_b32 v30, v4, v25, v29
	v_cndmask_b32_e64 v23, v23, v24, s[2:3]
	v_cndmask_b32_e64 v4, v30, v4, s[4:5]
	v_alignbit_b32 v27, v25, v23, v29
	v_cndmask_b32_e64 v25, v27, v25, s[4:5]
	v_bfe_u32 v30, v4, 29, 1
	v_cndmask_b32_e32 v22, v26, v22, vcc
	v_alignbit_b32 v27, v4, v25, 30
	v_sub_u32_e32 v31, 0, v30
	v_cndmask_b32_e64 v21, v21, v22, s[0:1]
	v_xor_b32_e32 v32, v27, v31
	v_cndmask_b32_e64 v21, v24, v21, s[2:3]
	v_alignbit_b32 v22, v23, v21, v29
	v_ffbh_u32_e32 v24, v32
	v_cndmask_b32_e64 v22, v22, v23, s[4:5]
	v_add_u32_e32 v24, 1, v24
	v_cmp_ne_u32_e32 vcc, v27, v31
	v_alignbit_b32 v23, v25, v22, 30
	v_cndmask_b32_e32 v24, 33, v24, vcc
	v_alignbit_b32 v21, v22, v21, 30
	v_xor_b32_e32 v23, v23, v31
	v_sub_u32_e32 v25, 32, v24
	v_xor_b32_e32 v21, v21, v31
	v_alignbit_b32 v26, v32, v23, v25
	v_alignbit_b32 v21, v23, v21, v25
	;; [unrolled: 1-line block ×3, first 2 shown]
	v_ffbh_u32_e32 v23, v22
	v_min_u32_e32 v23, 32, v23
	v_lshrrev_b32_e32 v28, 29, v4
	v_sub_u32_e32 v25, 31, v23
	v_alignbit_b32 v21, v22, v21, v25
	v_lshlrev_b32_e32 v22, 31, v28
	v_or_b32_e32 v25, 0x33800000, v22
	v_add_lshl_u32 v23, v23, v24, 23
	v_lshrrev_b32_e32 v21, 9, v21
	v_sub_u32_e32 v23, v25, v23
	v_or_b32_e32 v21, v23, v21
	v_alignbit_b32 v23, v24, v26, 9
	v_or_b32_e32 v22, v23, v22
	v_xor_b32_e32 v22, 1.0, v22
	v_mul_f32_e32 v23, 0x3fc90fda, v22
	v_fma_f32 v24, v22, s26, -v23
	v_fmac_f32_e32 v24, 0x33a22168, v22
	v_fmac_f32_e32 v24, 0x3fc90fda, v21
	v_lshrrev_b32_e32 v4, 30, v4
	v_add_f32_e32 v22, v23, v24
	v_add_u32_e32 v23, v30, v4
.LBB99_51:                              ;   in Loop: Header=BB99_41 Depth=1
	s_andn2_saveexec_b64 s[0:1], s[10:11]
; %bb.52:                               ;   in Loop: Header=BB99_41 Depth=1
	v_mul_f32_e64 v4, |v2|, s27
	v_rndne_f32_e32 v4, v4
	v_cvt_i32_f32_e32 v23, v4
	v_fma_f32 v22, v4, s28, |v2|
	v_fmac_f32_e32 v22, 0xb3a22168, v4
	v_fmac_f32_e32 v22, 0xa7c234c4, v4
; %bb.53:                               ;   in Loop: Header=BB99_41 Depth=1
	s_or_b64 exec, exec, s[0:1]
	v_and_b32_e32 v21, 0x7fffffff, v3
	v_cmp_nlt_f32_e64 s[0:1], |v3|, s18
                                        ; implicit-def: $vgpr24
                                        ; implicit-def: $vgpr4
	s_and_saveexec_b64 s[2:3], s[0:1]
	s_xor_b64 s[10:11], exec, s[2:3]
	s_cbranch_execz .LBB99_55
; %bb.54:                               ;   in Loop: Header=BB99_41 Depth=1
	v_lshrrev_b32_e32 v4, 23, v21
	v_add_u32_e32 v4, 0xffffff88, v4
	v_cmp_lt_u32_e32 vcc, 63, v4
	v_cndmask_b32_e32 v24, 0, v11, vcc
	v_add_u32_e32 v4, v24, v4
	v_cmp_lt_u32_e64 s[0:1], 31, v4
	v_cndmask_b32_e64 v24, 0, v12, s[0:1]
	v_add_u32_e32 v4, v24, v4
	v_cmp_lt_u32_e64 s[2:3], 31, v4
	v_cndmask_b32_e64 v24, 0, v12, s[2:3]
	v_add_u32_e32 v38, v24, v4
	v_and_b32_e32 v4, 0x7fffff, v21
	v_or_b32_e32 v36, 0x800000, v4
	v_mad_u64_u32 v[24:25], s[4:5], v36, s19, 0
	v_mov_b32_e32 v4, v25
	v_mad_u64_u32 v[26:27], s[4:5], v36, s20, v[4:5]
	v_mov_b32_e32 v4, v27
	;; [unrolled: 2-line block ×6, first 2 shown]
	v_mad_u64_u32 v[36:37], s[4:5], v36, s25, v[4:5]
	v_cndmask_b32_e32 v25, v34, v30, vcc
	v_cndmask_b32_e32 v4, v36, v32, vcc
	;; [unrolled: 1-line block ×3, first 2 shown]
	v_cndmask_b32_e64 v27, v4, v25, s[0:1]
	v_cndmask_b32_e64 v4, v29, v4, s[0:1]
	v_cndmask_b32_e32 v29, v32, v28, vcc
	v_cndmask_b32_e64 v25, v25, v29, s[0:1]
	v_cndmask_b32_e64 v4, v4, v27, s[2:3]
	;; [unrolled: 1-line block ×3, first 2 shown]
	v_sub_u32_e32 v31, 32, v38
	v_alignbit_b32 v32, v4, v27, v31
	v_cmp_eq_u32_e64 s[4:5], 0, v38
	v_cndmask_b32_e64 v32, v32, v4, s[4:5]
	v_cndmask_b32_e32 v4, v30, v26, vcc
	v_cndmask_b32_e64 v26, v29, v4, s[0:1]
	v_cndmask_b32_e64 v25, v25, v26, s[2:3]
	v_alignbit_b32 v29, v27, v25, v31
	v_cndmask_b32_e64 v27, v29, v27, s[4:5]
	v_bfe_u32 v33, v32, 29, 1
	v_cndmask_b32_e32 v24, v28, v24, vcc
	v_alignbit_b32 v29, v32, v27, 30
	v_sub_u32_e32 v34, 0, v33
	v_cndmask_b32_e64 v4, v4, v24, s[0:1]
	v_xor_b32_e32 v35, v29, v34
	v_cndmask_b32_e64 v4, v26, v4, s[2:3]
	v_alignbit_b32 v24, v25, v4, v31
	v_ffbh_u32_e32 v26, v35
	v_cndmask_b32_e64 v24, v24, v25, s[4:5]
	v_add_u32_e32 v26, 1, v26
	v_cmp_ne_u32_e32 vcc, v29, v34
	v_alignbit_b32 v25, v27, v24, 30
	v_cndmask_b32_e32 v26, 33, v26, vcc
	v_alignbit_b32 v4, v24, v4, 30
	v_xor_b32_e32 v25, v25, v34
	v_sub_u32_e32 v27, 32, v26
	v_xor_b32_e32 v4, v4, v34
	v_alignbit_b32 v28, v35, v25, v27
	v_alignbit_b32 v4, v25, v4, v27
	v_alignbit_b32 v24, v28, v4, 9
	v_ffbh_u32_e32 v25, v24
	v_min_u32_e32 v25, 32, v25
	v_lshrrev_b32_e32 v30, 29, v32
	v_sub_u32_e32 v27, 31, v25
	v_alignbit_b32 v4, v24, v4, v27
	v_lshlrev_b32_e32 v24, 31, v30
	v_or_b32_e32 v27, 0x33800000, v24
	v_add_lshl_u32 v25, v25, v26, 23
	v_lshrrev_b32_e32 v4, 9, v4
	v_sub_u32_e32 v25, v27, v25
	v_or_b32_e32 v4, v25, v4
	v_alignbit_b32 v25, v26, v28, 9
	v_or_b32_e32 v24, v25, v24
	v_xor_b32_e32 v24, 1.0, v24
	v_mul_f32_e32 v25, 0x3fc90fda, v24
	v_fma_f32 v26, v24, s26, -v25
	v_fmac_f32_e32 v26, 0x33a22168, v24
	v_fmac_f32_e32 v26, 0x3fc90fda, v4
	v_lshrrev_b32_e32 v24, 30, v32
	v_add_f32_e32 v4, v25, v26
	v_add_u32_e32 v24, v33, v24
.LBB99_55:                              ;   in Loop: Header=BB99_41 Depth=1
	s_andn2_saveexec_b64 s[0:1], s[10:11]
	s_cbranch_execz .LBB99_40
; %bb.56:                               ;   in Loop: Header=BB99_41 Depth=1
	v_mul_f32_e64 v4, |v3|, s27
	v_rndne_f32_e32 v25, v4
	v_cvt_i32_f32_e32 v24, v25
	v_fma_f32 v4, v25, s28, |v3|
	v_fmac_f32_e32 v4, 0xb3a22168, v25
	v_fmac_f32_e32 v4, 0xa7c234c4, v25
	s_branch .LBB99_40
.LBB99_57:
	s_endpgm
	.section	.rodata,"a",@progbits
	.p2align	6, 0x0
	.amdhsa_kernel _ZN2at6native12_GLOBAL__N_125multi_tensor_apply_kernelINS1_18TensorListMetadataILi1EEENS1_14UnaryOpFunctorIfLi1ELi1ELi0EEEJNS0_3TanIfEEEEEvT_T0_DpT1_
		.amdhsa_group_segment_fixed_size 0
		.amdhsa_private_segment_fixed_size 0
		.amdhsa_kernarg_size 3632
		.amdhsa_user_sgpr_count 6
		.amdhsa_user_sgpr_private_segment_buffer 1
		.amdhsa_user_sgpr_dispatch_ptr 0
		.amdhsa_user_sgpr_queue_ptr 0
		.amdhsa_user_sgpr_kernarg_segment_ptr 1
		.amdhsa_user_sgpr_dispatch_id 0
		.amdhsa_user_sgpr_flat_scratch_init 0
		.amdhsa_user_sgpr_kernarg_preload_length 0
		.amdhsa_user_sgpr_kernarg_preload_offset 0
		.amdhsa_user_sgpr_private_segment_size 0
		.amdhsa_uses_dynamic_stack 0
		.amdhsa_system_sgpr_private_segment_wavefront_offset 0
		.amdhsa_system_sgpr_workgroup_id_x 1
		.amdhsa_system_sgpr_workgroup_id_y 0
		.amdhsa_system_sgpr_workgroup_id_z 0
		.amdhsa_system_sgpr_workgroup_info 0
		.amdhsa_system_vgpr_workitem_id 0
		.amdhsa_next_free_vgpr 46
		.amdhsa_next_free_sgpr 48
		.amdhsa_accum_offset 48
		.amdhsa_reserve_vcc 1
		.amdhsa_reserve_flat_scratch 0
		.amdhsa_float_round_mode_32 0
		.amdhsa_float_round_mode_16_64 0
		.amdhsa_float_denorm_mode_32 3
		.amdhsa_float_denorm_mode_16_64 3
		.amdhsa_dx10_clamp 1
		.amdhsa_ieee_mode 1
		.amdhsa_fp16_overflow 0
		.amdhsa_tg_split 0
		.amdhsa_exception_fp_ieee_invalid_op 0
		.amdhsa_exception_fp_denorm_src 0
		.amdhsa_exception_fp_ieee_div_zero 0
		.amdhsa_exception_fp_ieee_overflow 0
		.amdhsa_exception_fp_ieee_underflow 0
		.amdhsa_exception_fp_ieee_inexact 0
		.amdhsa_exception_int_div_zero 0
	.end_amdhsa_kernel
	.section	.text._ZN2at6native12_GLOBAL__N_125multi_tensor_apply_kernelINS1_18TensorListMetadataILi1EEENS1_14UnaryOpFunctorIfLi1ELi1ELi0EEEJNS0_3TanIfEEEEEvT_T0_DpT1_,"axG",@progbits,_ZN2at6native12_GLOBAL__N_125multi_tensor_apply_kernelINS1_18TensorListMetadataILi1EEENS1_14UnaryOpFunctorIfLi1ELi1ELi0EEEJNS0_3TanIfEEEEEvT_T0_DpT1_,comdat
.Lfunc_end99:
	.size	_ZN2at6native12_GLOBAL__N_125multi_tensor_apply_kernelINS1_18TensorListMetadataILi1EEENS1_14UnaryOpFunctorIfLi1ELi1ELi0EEEJNS0_3TanIfEEEEEvT_T0_DpT1_, .Lfunc_end99-_ZN2at6native12_GLOBAL__N_125multi_tensor_apply_kernelINS1_18TensorListMetadataILi1EEENS1_14UnaryOpFunctorIfLi1ELi1ELi0EEEJNS0_3TanIfEEEEEvT_T0_DpT1_
                                        ; -- End function
	.section	.AMDGPU.csdata,"",@progbits
; Kernel info:
; codeLenInByte = 7308
; NumSgprs: 52
; NumVgprs: 46
; NumAgprs: 0
; TotalNumVgprs: 46
; ScratchSize: 0
; MemoryBound: 0
; FloatMode: 240
; IeeeMode: 1
; LDSByteSize: 0 bytes/workgroup (compile time only)
; SGPRBlocks: 6
; VGPRBlocks: 5
; NumSGPRsForWavesPerEU: 52
; NumVGPRsForWavesPerEU: 46
; AccumOffset: 48
; Occupancy: 8
; WaveLimiterHint : 0
; COMPUTE_PGM_RSRC2:SCRATCH_EN: 0
; COMPUTE_PGM_RSRC2:USER_SGPR: 6
; COMPUTE_PGM_RSRC2:TRAP_HANDLER: 0
; COMPUTE_PGM_RSRC2:TGID_X_EN: 1
; COMPUTE_PGM_RSRC2:TGID_Y_EN: 0
; COMPUTE_PGM_RSRC2:TGID_Z_EN: 0
; COMPUTE_PGM_RSRC2:TIDIG_COMP_CNT: 0
; COMPUTE_PGM_RSRC3_GFX90A:ACCUM_OFFSET: 11
; COMPUTE_PGM_RSRC3_GFX90A:TG_SPLIT: 0
	.section	.text._ZN2at6native12_GLOBAL__N_125multi_tensor_apply_kernelINS1_18TensorListMetadataILi1EEENS1_14UnaryOpFunctorIN3c107complexIdEELi1ELi1ELi0EEEJNS0_3TanIS8_EEEEEvT_T0_DpT1_,"axG",@progbits,_ZN2at6native12_GLOBAL__N_125multi_tensor_apply_kernelINS1_18TensorListMetadataILi1EEENS1_14UnaryOpFunctorIN3c107complexIdEELi1ELi1ELi0EEEJNS0_3TanIS8_EEEEEvT_T0_DpT1_,comdat
	.globl	_ZN2at6native12_GLOBAL__N_125multi_tensor_apply_kernelINS1_18TensorListMetadataILi1EEENS1_14UnaryOpFunctorIN3c107complexIdEELi1ELi1ELi0EEEJNS0_3TanIS8_EEEEEvT_T0_DpT1_ ; -- Begin function _ZN2at6native12_GLOBAL__N_125multi_tensor_apply_kernelINS1_18TensorListMetadataILi1EEENS1_14UnaryOpFunctorIN3c107complexIdEELi1ELi1ELi0EEEJNS0_3TanIS8_EEEEEvT_T0_DpT1_
	.p2align	8
	.type	_ZN2at6native12_GLOBAL__N_125multi_tensor_apply_kernelINS1_18TensorListMetadataILi1EEENS1_14UnaryOpFunctorIN3c107complexIdEELi1ELi1ELi0EEEJNS0_3TanIS8_EEEEEvT_T0_DpT1_,@function
_ZN2at6native12_GLOBAL__N_125multi_tensor_apply_kernelINS1_18TensorListMetadataILi1EEENS1_14UnaryOpFunctorIN3c107complexIdEELi1ELi1ELi0EEEJNS0_3TanIS8_EEEEEvT_T0_DpT1_: ; @_ZN2at6native12_GLOBAL__N_125multi_tensor_apply_kernelINS1_18TensorListMetadataILi1EEENS1_14UnaryOpFunctorIN3c107complexIdEELi1ELi1ELi0EEEJNS0_3TanIS8_EEEEEvT_T0_DpT1_
; %bb.0:
	v_mov_b32_e32 v1, s6
	global_load_ubyte v1, v1, s[4:5] offset:1760
	s_add_u32 s0, s4, s6
	s_mul_hi_u32 s1, s6, 3
	s_mul_i32 s6, s6, 3
	s_addc_u32 s2, s5, 0
	s_add_u32 s0, s0, s6
	s_addc_u32 s1, s2, s1
	s_load_dword s0, s[0:1], 0x820
                                        ; implicit-def: $vgpr112 : SGPR spill to VGPR lane
	s_mov_b32 s7, 0
	s_waitcnt vmcnt(0)
	v_readfirstlane_b32 s1, v1
	s_lshl_b32 s1, s1, 3
	s_load_dwordx2 s[8:9], s[4:5], s1 offset:0x0
	s_load_dwordx2 s[2:3], s[4:5], s1 offset:0x370
	s_waitcnt lgkmcnt(0)
	s_ashr_i32 s1, s0, 31
	s_lshl_b64 s[10:11], s[0:1], 20
	s_add_u32 s33, s8, s10
	v_writelane_b32 v112, s8, 0
	v_writelane_b32 v112, s9, 1
	v_writelane_b32 v112, s10, 2
	s_addc_u32 s70, s9, s11
	s_lshl_b64 s[0:1], s[0:1], 16
	s_and_b32 s6, s33, 63
	s_sub_u32 s12, s2, s0
	s_subb_u32 s13, s3, s1
	s_and_b32 s0, s2, 3
	s_mov_b32 s1, s7
	s_or_b64 s[0:1], s[6:7], s[0:1]
	s_cmp_eq_u64 s[0:1], 0
	v_writelane_b32 v112, s11, 3
	s_cbranch_scc1 .LBB100_173
; %bb.1:
	v_cmp_lt_i64_e64 s[0:1], s[12:13], 1
	s_and_b64 vcc, exec, s[0:1]
	s_cbranch_vccnz .LBB100_172
; %bb.2:
	s_load_dword s0, s[4:5], 0xd3c
	v_mov_b32_e32 v2, 0x10000
	v_mov_b32_e32 v3, 0
	;; [unrolled: 1-line block ×3, first 2 shown]
	v_cmp_lt_u64_e32 vcc, s[12:13], v[2:3]
	s_waitcnt lgkmcnt(0)
	s_and_b32 s2, s0, 0xffff
	s_and_b64 s[0:1], vcc, exec
	s_mul_i32 s6, s2, 3
	v_lshlrev_b32_e32 v24, 4, v0
	v_mov_b32_e32 v25, v22
	v_add_co_u32_e32 v29, vcc, s2, v0
	v_addc_co_u32_e64 v31, s[0:1], 0, 0, vcc
	v_mad_u64_u32 v[26:27], s[0:1], s2, 48, v[24:25]
	v_add_co_u32_e32 v25, vcc, s6, v0
	v_addc_co_u32_e64 v88, s[0:1], 0, 0, vcc
	s_cselect_b32 s19, s13, 0
	s_cselect_b32 s18, s12, 0x10000
	s_lshl_b32 s0, s2, 5
	s_lshl_b32 s3, s2, 1
	v_add_co_u32_e32 v2, vcc, s0, v24
	v_addc_co_u32_e64 v1, s[0:1], 0, 0, vcc
	v_add_co_u32_e32 v89, vcc, s3, v0
	s_mov_b32 s22, 0
	s_mov_b32 s24, 0
	;; [unrolled: 1-line block ×22, first 2 shown]
	s_lshl_b32 s71, s2, 2
	s_lshl_b32 s72, s2, 6
	v_or_b32_e32 v26, 8, v26
	v_lshlrev_b32_e32 v28, 4, v29
	v_or_b32_e32 v30, 8, v2
	v_addc_co_u32_e64 v90, s[0:1], 0, 0, vcc
	s_mov_b64 s[20:21], 0
	s_brev_b32 s73, -2
	s_mov_b32 s94, 0x7ff00000
	s_movk_i32 s95, 0x1f8
	s_mov_b32 s23, 0x41d00000
	s_mov_b32 s25, 0x7b000000
	s_movk_i32 s17, 0xff80
	s_mov_b32 s27, 0x7ff00000
	s_mov_b32 s29, 0x3ff921fb
	;; [unrolled: 1-line block ×17, first 2 shown]
	v_mov_b32_e32 v91, 0x260
	s_mov_b32 s75, 0x3e21eeb6
	s_mov_b32 s77, 0xbda907db
	;; [unrolled: 1-line block ×5, first 2 shown]
	v_mov_b32_e32 v92, 0x40100000
	v_mov_b32_e32 v93, 0x3ff00000
	;; [unrolled: 1-line block ×22, first 2 shown]
	s_mov_b32 s85, 0xbe5ae600
	v_mov_b32_e32 v68, 0x11122322
	s_mov_b32 s87, 0x3de5e0b2
	v_mov_b32_e32 v70, 0x555502a1
	;; [unrolled: 2-line block ×6, first 2 shown]
	v_mov_b32_e32 v35, 0x3f17746f
	v_mov_b32_e32 v37, 0xbefbb44d
	;; [unrolled: 1-line block ×21, first 2 shown]
	s_branch .LBB100_4
.LBB100_3:                              ;   in Loop: Header=BB100_4 Depth=1
	s_or_b64 exec, exec, s[0:1]
	s_add_u32 s20, s20, s71
	s_addc_u32 s21, s21, 0
	v_pk_mov_b32 v[2:3], s[12:13], s[12:13] op_sel:[0,1]
	v_cmp_ge_i64_e32 vcc, s[20:21], v[2:3]
	v_mov_b32_e32 v2, 0xffff
	v_mov_b32_e32 v3, 0
	v_cmp_gt_u64_e64 s[0:1], s[20:21], v[2:3]
	s_or_b64 s[0:1], vcc, s[0:1]
	s_add_u32 s33, s33, s72
	s_addc_u32 s70, s70, 0
	s_and_b64 vcc, exec, s[0:1]
	s_cbranch_vccnz .LBB100_172
.LBB100_4:                              ; =>This Inner Loop Header: Depth=1
	v_mov_b32_e32 v3, s21
	v_add_co_u32_e32 v2, vcc, s20, v0
	v_addc_co_u32_e32 v3, vcc, 0, v3, vcc
	v_pk_mov_b32 v[20:21], 0, 0
	v_cmp_gt_u64_e64 s[0:1], s[18:19], v[2:3]
	v_pk_mov_b32 v[12:13], v[20:21], v[20:21] op_sel:[0,1]
	v_pk_mov_b32 v[10:11], v[20:21], v[20:21] op_sel:[0,1]
	s_and_saveexec_b64 s[2:3], s[0:1]
	s_cbranch_execz .LBB100_6
; %bb.5:                                ;   in Loop: Header=BB100_4 Depth=1
	v_mov_b32_e32 v3, s70
	v_add_co_u32_e32 v2, vcc, s33, v24
	v_addc_co_u32_e32 v3, vcc, 0, v3, vcc
	global_load_dwordx4 v[10:13], v[2:3], off
.LBB100_6:                              ;   in Loop: Header=BB100_4 Depth=1
	s_or_b64 exec, exec, s[2:3]
	v_mov_b32_e32 v3, s21
	v_add_co_u32_e32 v2, vcc, s20, v29
	v_addc_co_u32_e32 v3, vcc, v31, v3, vcc
	v_cmp_gt_u64_e64 s[2:3], s[18:19], v[2:3]
	v_pk_mov_b32 v[18:19], v[20:21], v[20:21] op_sel:[0,1]
	s_and_saveexec_b64 s[6:7], s[2:3]
	s_cbranch_execz .LBB100_8
; %bb.7:                                ;   in Loop: Header=BB100_4 Depth=1
	v_mov_b32_e32 v3, s70
	v_add_co_u32_e32 v2, vcc, s33, v28
	v_addc_co_u32_e32 v3, vcc, 0, v3, vcc
	global_load_dwordx4 v[18:21], v[2:3], off
.LBB100_8:                              ;   in Loop: Header=BB100_4 Depth=1
	s_or_b64 exec, exec, s[6:7]
	v_mov_b32_e32 v3, s21
	v_add_co_u32_e32 v2, vcc, s20, v89
	v_addc_co_u32_e32 v3, vcc, v90, v3, vcc
	v_pk_mov_b32 v[8:9], 0, 0
	v_cmp_gt_u64_e64 s[6:7], s[18:19], v[2:3]
	v_pk_mov_b32 v[16:17], v[8:9], v[8:9] op_sel:[0,1]
	v_pk_mov_b32 v[14:15], v[8:9], v[8:9] op_sel:[0,1]
	s_and_saveexec_b64 s[8:9], s[6:7]
	s_cbranch_execz .LBB100_10
; %bb.9:                                ;   in Loop: Header=BB100_4 Depth=1
	v_mov_b32_e32 v3, s70
	v_add_co_u32_e32 v2, vcc, s33, v30
	v_addc_co_u32_e32 v3, vcc, v3, v1, vcc
	global_load_dwordx4 v[14:17], v[2:3], off offset:-8
.LBB100_10:                             ;   in Loop: Header=BB100_4 Depth=1
	s_or_b64 exec, exec, s[8:9]
	v_mov_b32_e32 v3, s21
	v_add_co_u32_e32 v2, vcc, s20, v25
	v_addc_co_u32_e32 v3, vcc, v88, v3, vcc
	v_cmp_gt_u64_e64 s[8:9], s[18:19], v[2:3]
	v_pk_mov_b32 v[6:7], v[8:9], v[8:9] op_sel:[0,1]
	s_and_saveexec_b64 s[10:11], s[8:9]
	s_cbranch_execz .LBB100_12
; %bb.11:                               ;   in Loop: Header=BB100_4 Depth=1
	v_mov_b32_e32 v3, s70
	v_add_co_u32_e32 v2, vcc, s33, v26
	v_addc_co_u32_e32 v3, vcc, v3, v27, vcc
	global_load_dwordx4 v[6:9], v[2:3], off offset:-8
.LBB100_12:                             ;   in Loop: Header=BB100_4 Depth=1
	s_or_b64 exec, exec, s[10:11]
	s_waitcnt vmcnt(0)
	v_xor_b32_e32 v5, 0x80000000, v13
	v_and_b32_e32 v2, 0x7fffffff, v5
	v_mov_b32_e32 v4, v12
	v_cmp_gt_u32_e32 vcc, s94, v2
	s_and_saveexec_b64 s[10:11], vcc
	s_xor_b64 s[14:15], exec, s[10:11]
	s_cbranch_execz .LBB100_34
; %bb.13:                               ;   in Loop: Header=BB100_4 Depth=1
	v_cmp_class_f64_e64 s[10:11], v[10:11], s95
	s_and_saveexec_b64 s[44:45], s[10:11]
	s_xor_b64 s[44:45], exec, s[44:45]
	s_cbranch_execz .LBB100_31
; %bb.14:                               ;   in Loop: Header=BB100_4 Depth=1
	s_mov_b32 s10, 0x40360000
	v_cmp_gt_u32_e32 vcc, s10, v2
	s_and_saveexec_b64 s[10:11], vcc
	s_xor_b64 s[58:59], exec, s[10:11]
	s_cbranch_execz .LBB100_20
; %bb.15:                               ;   in Loop: Header=BB100_4 Depth=1
	v_cmp_nlt_f64_e64 s[10:11], |v[10:11]|, s[22:23]
                                        ; implicit-def: $vgpr4
                                        ; implicit-def: $vgpr2_vgpr3
                                        ; implicit-def: $vgpr76_vgpr77
	s_and_saveexec_b64 s[60:61], s[10:11]
	s_xor_b64 s[60:61], exec, s[60:61]
	s_cbranch_execz .LBB100_17
; %bb.16:                               ;   in Loop: Header=BB100_4 Depth=1
	v_and_b32_e32 v4, 0x7fffffff, v11
	v_ldexp_f64 v[78:79], |v[10:11]|, s17
	v_cmp_ge_f64_e64 vcc, |v[10:11]|, s[24:25]
	v_trig_preop_f64 v[2:3], |v[10:11]|, 0
	v_cndmask_b32_e32 v79, v4, v79, vcc
	v_cndmask_b32_e32 v78, v10, v78, vcc
	v_trig_preop_f64 v[76:77], |v[10:11]|, 1
	v_mul_f64 v[82:83], v[2:3], v[78:79]
	v_mul_f64 v[80:81], v[76:77], v[78:79]
	v_fma_f64 v[2:3], v[2:3], v[78:79], -v[82:83]
	v_add_f64 v[84:85], v[80:81], v[2:3]
	v_add_f64 v[86:87], v[82:83], v[84:85]
	v_ldexp_f64 v[98:99], v[86:87], -2
	v_fract_f64_e32 v[100:101], v[98:99]
	v_cmp_neq_f64_e64 vcc, |v[98:99]|, s[26:27]
	v_cndmask_b32_e32 v99, 0, v101, vcc
	v_cndmask_b32_e32 v98, 0, v100, vcc
	v_add_f64 v[100:101], v[84:85], -v[80:81]
	v_add_f64 v[2:3], v[2:3], -v[100:101]
	;; [unrolled: 1-line block ×4, first 2 shown]
	v_fma_f64 v[76:77], v[76:77], v[78:79], -v[80:81]
	v_trig_preop_f64 v[80:81], |v[10:11]|, 2
	v_add_f64 v[2:3], v[2:3], v[100:101]
	v_mul_f64 v[100:101], v[80:81], v[78:79]
	v_add_f64 v[102:103], v[100:101], v[76:77]
	v_add_f64 v[104:105], v[102:103], v[2:3]
	v_add_f64 v[82:83], v[86:87], -v[82:83]
	v_add_f64 v[86:87], v[104:105], -v[102:103]
	;; [unrolled: 1-line block ×5, first 2 shown]
	v_add_f64 v[2:3], v[2:3], v[86:87]
	v_add_f64 v[86:87], v[102:103], -v[100:101]
	v_add_f64 v[76:77], v[76:77], -v[86:87]
	;; [unrolled: 1-line block ×4, first 2 shown]
	v_add_f64 v[76:77], v[76:77], v[86:87]
	v_add_f64 v[82:83], v[84:85], -v[82:83]
	v_add_f64 v[2:3], v[76:77], v[2:3]
	v_fma_f64 v[76:77], v[80:81], v[78:79], -v[100:101]
	v_add_f64 v[84:85], v[82:83], v[104:105]
	v_add_f64 v[2:3], v[76:77], v[2:3]
	v_ldexp_f64 v[76:77], v[98:99], 2
	v_add_f64 v[78:79], v[84:85], v[76:77]
	v_cmp_gt_f64_e32 vcc, 0, v[78:79]
	v_cndmask_b32_e32 v23, 0, v92, vcc
	v_add_f64 v[76:77], v[76:77], v[22:23]
	v_add_f64 v[78:79], v[84:85], v[76:77]
	v_cvt_i32_f64_e32 v4, v[78:79]
	v_cvt_f64_i32_e32 v[78:79], v4
	v_add_f64 v[76:77], v[76:77], -v[78:79]
	v_add_f64 v[82:83], v[84:85], -v[82:83]
	v_add_f64 v[78:79], v[84:85], v[76:77]
	v_add_f64 v[82:83], v[104:105], -v[82:83]
	v_add_f64 v[76:77], v[78:79], -v[76:77]
	v_cmp_le_f64_e32 vcc, 0.5, v[78:79]
	v_add_f64 v[2:3], v[82:83], v[2:3]
	v_add_f64 v[76:77], v[84:85], -v[76:77]
	v_cndmask_b32_e32 v23, 0, v93, vcc
	v_add_f64 v[2:3], v[2:3], v[76:77]
	v_add_f64 v[76:77], v[78:79], -v[22:23]
	v_add_f64 v[78:79], v[76:77], v[2:3]
	v_add_f64 v[76:77], v[78:79], -v[76:77]
	s_mov_b32 s28, s30
	v_add_f64 v[2:3], v[2:3], -v[76:77]
	v_mul_f64 v[76:77], v[78:79], s[28:29]
	v_fma_f64 v[80:81], v[78:79], s[28:29], -v[76:77]
	s_mov_b32 s37, s35
	v_fmac_f64_e32 v[80:81], s[36:37], v[78:79]
	v_fmac_f64_e32 v[80:81], s[28:29], v[2:3]
	v_add_f64 v[2:3], v[76:77], v[80:81]
	v_add_f64 v[76:77], v[2:3], -v[76:77]
	v_addc_co_u32_e64 v4, s[10:11], 0, v4, vcc
	v_add_f64 v[76:77], v[80:81], -v[76:77]
.LBB100_17:                             ;   in Loop: Header=BB100_4 Depth=1
	s_andn2_saveexec_b64 s[10:11], s[60:61]
	s_cbranch_execz .LBB100_19
; %bb.18:                               ;   in Loop: Header=BB100_4 Depth=1
	v_mul_f64 v[2:3], |v[10:11]|, s[38:39]
	v_rndne_f64_e32 v[78:79], v[2:3]
	v_fma_f64 v[2:3], v[78:79], s[30:31], |v[10:11]|
	v_mul_f64 v[80:81], v[78:79], s[40:41]
	v_add_f64 v[84:85], v[2:3], v[80:81]
	v_fma_f64 v[76:77], s[40:41], v[78:79], v[2:3]
	s_mov_b32 s34, s40
	v_add_f64 v[2:3], v[2:3], -v[84:85]
	v_fma_f64 v[82:83], s[34:35], v[78:79], v[80:81]
	v_add_f64 v[2:3], v[2:3], v[80:81]
	v_add_f64 v[80:81], v[84:85], -v[76:77]
	v_add_f64 v[2:3], v[80:81], v[2:3]
	v_add_f64 v[80:81], v[2:3], -v[82:83]
	v_fmac_f64_e32 v[80:81], s[42:43], v[78:79]
	v_add_f64 v[2:3], v[76:77], v[80:81]
	v_add_f64 v[76:77], v[2:3], -v[76:77]
	v_add_f64 v[76:77], v[80:81], -v[76:77]
	v_cvt_i32_f64_e32 v4, v[78:79]
.LBB100_19:                             ;   in Loop: Header=BB100_4 Depth=1
	s_or_b64 exec, exec, s[10:11]
	v_mul_f64 v[78:79], v[2:3], v[2:3]
	v_fma_f64 v[80:81], v[2:3], v[2:3], -v[78:79]
	v_add_f64 v[82:83], v[76:77], v[76:77]
	v_fmac_f64_e32 v[80:81], v[2:3], v[82:83]
	s_mov_b32 s10, 0xc751c08c
	v_add_f64 v[78:79], v[78:79], v[80:81]
	v_pk_mov_b32 v[80:81], v[32:33], v[32:33] op_sel:[0,1]
	s_mov_b32 s11, 0x3ef5e089
	v_fmac_f64_e32 v[80:81], s[10:11], v[78:79]
	v_pk_mov_b32 v[82:83], v[34:35], v[34:35] op_sel:[0,1]
	v_fmac_f64_e32 v[82:83], v[78:79], v[80:81]
	v_pk_mov_b32 v[80:81], v[36:37], v[36:37] op_sel:[0,1]
	v_fmac_f64_e32 v[80:81], v[78:79], v[82:83]
	v_pk_mov_b32 v[82:83], v[38:39], v[38:39] op_sel:[0,1]
	v_fmac_f64_e32 v[82:83], v[78:79], v[80:81]
	v_pk_mov_b32 v[80:81], v[40:41], v[40:41] op_sel:[0,1]
	v_fmac_f64_e32 v[80:81], v[78:79], v[82:83]
	v_pk_mov_b32 v[82:83], v[42:43], v[42:43] op_sel:[0,1]
	v_fmac_f64_e32 v[82:83], v[78:79], v[80:81]
	v_pk_mov_b32 v[80:81], v[44:45], v[44:45] op_sel:[0,1]
	v_fmac_f64_e32 v[80:81], v[78:79], v[82:83]
	v_pk_mov_b32 v[82:83], v[46:47], v[46:47] op_sel:[0,1]
	v_fmac_f64_e32 v[82:83], v[78:79], v[80:81]
	v_pk_mov_b32 v[80:81], v[48:49], v[48:49] op_sel:[0,1]
	v_fmac_f64_e32 v[80:81], v[78:79], v[82:83]
	v_pk_mov_b32 v[82:83], v[50:51], v[50:51] op_sel:[0,1]
	v_fmac_f64_e32 v[82:83], v[78:79], v[80:81]
	v_pk_mov_b32 v[80:81], v[52:53], v[52:53] op_sel:[0,1]
	v_fmac_f64_e32 v[80:81], v[78:79], v[82:83]
	v_pk_mov_b32 v[82:83], v[54:55], v[54:55] op_sel:[0,1]
	v_fmac_f64_e32 v[82:83], v[78:79], v[80:81]
	v_pk_mov_b32 v[80:81], v[56:57], v[56:57] op_sel:[0,1]
	v_fmac_f64_e32 v[80:81], v[78:79], v[82:83]
	v_mul_f64 v[78:79], v[78:79], v[80:81]
	v_mul_f64 v[80:81], v[2:3], v[78:79]
	v_add_f64 v[82:83], v[2:3], v[80:81]
	v_fma_f64 v[78:79], v[2:3], v[78:79], -v[80:81]
	v_add_f64 v[2:3], v[82:83], -v[2:3]
	v_add_f64 v[2:3], v[80:81], -v[2:3]
	v_add_f64 v[76:77], v[76:77], v[78:79]
	v_add_f64 v[2:3], v[76:77], v[2:3]
	;; [unrolled: 1-line block ×3, first 2 shown]
	v_rcp_f64_e32 v[78:79], v[76:77]
	v_add_f64 v[80:81], v[76:77], -v[82:83]
	v_add_f64 v[2:3], v[2:3], -v[80:81]
	v_and_b32_e32 v4, 1, v4
	v_fma_f64 v[80:81], -v[76:77], v[78:79], 1.0
	v_fmac_f64_e32 v[78:79], v[80:81], v[78:79]
	v_fma_f64 v[80:81], -v[76:77], v[78:79], 1.0
	v_fmac_f64_e32 v[78:79], v[80:81], v[78:79]
	v_mul_f64 v[80:81], v[76:77], v[78:79]
	v_fma_f64 v[82:83], v[78:79], v[76:77], -v[80:81]
	v_fmac_f64_e32 v[82:83], v[78:79], v[2:3]
	v_add_f64 v[2:3], v[80:81], v[82:83]
	v_add_f64 v[84:85], -v[2:3], 1.0
	v_add_f64 v[80:81], v[2:3], -v[80:81]
	v_add_f64 v[86:87], -v[84:85], 1.0
	v_add_f64 v[2:3], v[86:87], -v[2:3]
	v_add_f64 v[80:81], v[80:81], -v[82:83]
	v_add_f64 v[2:3], v[80:81], v[2:3]
	v_add_f64 v[2:3], v[84:85], v[2:3]
	v_mul_f64 v[2:3], v[78:79], v[2:3]
	v_add_f64 v[2:3], v[78:79], v[2:3]
	v_xor_b32_e32 v3, 0x80000000, v3
	v_cmp_eq_u32_e32 vcc, 0, v4
	v_cndmask_b32_e32 v2, v2, v76, vcc
	v_cndmask_b32_e32 v3, v3, v77, vcc
	v_add_f64 v[76:77], |v[12:13]|, s[46:47]
	v_add_f64 v[78:79], v[76:77], -|v[12:13]|
	v_add_f64 v[80:81], v[78:79], -v[76:77]
	s_mov_b32 s48, s46
	v_add_f64 v[80:81], |v[12:13]|, v[80:81]
	v_add_f64 v[78:79], v[78:79], s[48:49]
	v_add_f64 v[78:79], v[80:81], -v[78:79]
	v_add_f64 v[78:79], v[78:79], s[50:51]
	v_add_f64 v[80:81], v[76:77], v[78:79]
	v_add_f64 v[76:77], v[76:77], -v[80:81]
	s_mov_b32 s52, s54
	v_add_f64 v[76:77], v[78:79], v[76:77]
	v_mul_f64 v[78:79], v[80:81], s[52:53]
	v_rndne_f64_e32 v[78:79], v[78:79]
	s_mov_b32 s57, s47
	v_fmac_f64_e32 v[80:81], s[56:57], v[78:79]
	v_add_f64 v[82:83], v[76:77], v[80:81]
	s_mov_b32 s10, 0xf278e000
	v_add_f64 v[80:81], v[80:81], -v[82:83]
	s_mov_b32 s11, 0xbd53de6a
	v_add_f64 v[76:77], v[76:77], v[80:81]
	v_mul_f64 v[80:81], v[78:79], s[10:11]
	v_add_f64 v[84:85], v[82:83], v[80:81]
	v_add_f64 v[82:83], v[82:83], -v[84:85]
	v_add_f64 v[80:81], v[82:83], v[80:81]
	v_add_f64 v[76:77], v[76:77], v[80:81]
	;; [unrolled: 1-line block ×3, first 2 shown]
	s_mov_b32 s10, 0xf97b57a0
	v_add_f64 v[82:83], v[84:85], -v[80:81]
	s_mov_b32 s11, 0xbac9cc01
	v_add_f64 v[76:77], v[76:77], v[82:83]
	v_mul_f64 v[82:83], v[78:79], s[10:11]
	v_add_f64 v[84:85], v[80:81], v[82:83]
	v_add_f64 v[80:81], v[80:81], -v[84:85]
	v_add_f64 v[80:81], v[80:81], v[82:83]
	v_add_f64 v[76:77], v[76:77], v[80:81]
	;; [unrolled: 1-line block ×3, first 2 shown]
	v_add_f64 v[82:83], v[84:85], -v[80:81]
	v_add_f64 v[76:77], v[76:77], v[82:83]
	v_pk_mov_b32 v[82:83], v[58:59], v[58:59] op_sel:[0,1]
	v_fmac_f64_e32 v[82:83], s[62:63], v[80:81]
	v_pk_mov_b32 v[84:85], v[60:61], v[60:61] op_sel:[0,1]
	v_fmac_f64_e32 v[84:85], v[80:81], v[82:83]
	;; [unrolled: 2-line block ×9, first 2 shown]
	v_mul_f64 v[84:85], v[80:81], v[80:81]
	v_fma_f64 v[86:87], v[80:81], v[80:81], -v[84:85]
	v_add_f64 v[98:99], v[76:77], v[76:77]
	v_fmac_f64_e32 v[86:87], v[80:81], v[98:99]
	v_add_f64 v[98:99], v[84:85], v[86:87]
	v_add_f64 v[84:85], v[98:99], -v[84:85]
	v_add_f64 v[84:85], v[86:87], -v[84:85]
	v_mul_f64 v[86:87], v[98:99], v[82:83]
	v_fma_f64 v[98:99], v[98:99], v[82:83], -v[86:87]
	v_fmac_f64_e32 v[98:99], v[84:85], v[82:83]
	v_add_f64 v[82:83], v[86:87], v[98:99]
	v_add_f64 v[84:85], v[82:83], -v[86:87]
	v_add_f64 v[86:87], v[80:81], v[82:83]
	v_add_f64 v[84:85], v[98:99], -v[84:85]
	v_add_f64 v[80:81], v[86:87], -v[80:81]
	;; [unrolled: 1-line block ×3, first 2 shown]
	v_add_f64 v[76:77], v[76:77], v[84:85]
	v_add_f64 v[76:77], v[76:77], v[80:81]
	;; [unrolled: 1-line block ×3, first 2 shown]
	v_add_f64 v[82:83], v[80:81], -v[86:87]
	v_add_f64 v[76:77], v[76:77], -v[82:83]
	v_add_f64 v[82:83], v[80:81], 1.0
	v_add_f64 v[84:85], v[82:83], -1.0
	v_add_f64 v[80:81], v[80:81], -v[84:85]
	v_add_f64 v[76:77], v[76:77], v[80:81]
	v_add_f64 v[80:81], v[82:83], v[76:77]
	v_cvt_i32_f64_e32 v4, v[78:79]
	v_ldexp_f64 v[78:79], v[80:81], v4
	v_rcp_f64_e32 v[84:85], v[78:79]
	v_add_f64 v[80:81], v[80:81], -v[82:83]
	v_add_f64 v[76:77], v[76:77], -v[80:81]
	v_ldexp_f64 v[76:77], v[76:77], v4
	v_fma_f64 v[80:81], -v[78:79], v[84:85], 1.0
	v_fmac_f64_e32 v[84:85], v[80:81], v[84:85]
	v_fma_f64 v[80:81], -v[78:79], v[84:85], 1.0
	v_fmac_f64_e32 v[84:85], v[80:81], v[84:85]
	v_mul_f64 v[80:81], v[78:79], v[84:85]
	v_fma_f64 v[82:83], v[84:85], v[78:79], -v[80:81]
	v_fmac_f64_e32 v[82:83], v[84:85], v[76:77]
	v_add_f64 v[86:87], v[80:81], v[82:83]
	v_add_f64 v[98:99], -v[86:87], 1.0
	v_add_f64 v[80:81], v[86:87], -v[80:81]
	v_add_f64 v[100:101], -v[98:99], 1.0
	v_add_f64 v[86:87], v[100:101], -v[86:87]
	v_add_f64 v[80:81], v[80:81], -v[82:83]
	v_add_f64 v[80:81], v[80:81], v[86:87]
	v_add_f64 v[82:83], v[98:99], v[80:81]
	v_add_f64 v[86:87], v[98:99], -v[82:83]
	v_add_f64 v[80:81], v[80:81], v[86:87]
	v_mul_f64 v[86:87], v[84:85], v[82:83]
	v_mul_f64 v[98:99], v[78:79], v[86:87]
	v_fma_f64 v[100:101], v[86:87], v[78:79], -v[98:99]
	v_fmac_f64_e32 v[100:101], v[86:87], v[76:77]
	v_add_f64 v[102:103], v[98:99], v[100:101]
	v_add_f64 v[104:105], v[82:83], -v[102:103]
	v_add_f64 v[82:83], v[82:83], -v[104:105]
	;; [unrolled: 1-line block ×4, first 2 shown]
	v_add_f64 v[80:81], v[80:81], v[82:83]
	v_add_f64 v[82:83], v[98:99], -v[100:101]
	v_add_f64 v[80:81], v[82:83], v[80:81]
	v_add_f64 v[80:81], v[104:105], v[80:81]
	;; [unrolled: 1-line block ×3, first 2 shown]
	v_mul_f64 v[80:81], v[84:85], v[80:81]
	v_add_f64 v[84:85], v[82:83], -v[84:85]
	v_add_f64 v[84:85], v[86:87], -v[84:85]
	v_add_f64 v[80:81], v[84:85], v[80:81]
	v_add_f64 v[84:85], v[82:83], v[80:81]
	v_add_f64 v[82:83], v[84:85], -v[82:83]
	v_add_f64 v[80:81], v[80:81], -v[82:83]
	v_ldexp_f64 v[82:83], v[84:85], -2
	v_add_f64 v[84:85], v[78:79], -v[82:83]
	v_add_f64 v[78:79], v[78:79], -v[84:85]
	;; [unrolled: 1-line block ×3, first 2 shown]
	s_mov_b32 s10, 0x8fb9f87e
	v_ldexp_f64 v[80:81], v[80:81], -2
	v_add_f64 v[76:77], v[76:77], v[78:79]
	s_mov_b32 s11, 0x408633ce
	v_add_f64 v[76:77], v[76:77], -v[80:81]
	v_cmp_nge_f64_e64 vcc, |v[12:13]|, s[10:11]
	s_mov_b32 s10, 0
	v_add_f64 v[76:77], v[84:85], v[76:77]
	s_mov_b32 s11, 0x3e400000
	v_and_b32_e32 v10, 0x7fffffff, v13
	v_cndmask_b32_e32 v23, v94, v77, vcc
	v_cndmask_b32_e32 v4, 0, v76, vcc
	v_cmp_lt_f64_e64 vcc, |v[12:13]|, s[10:11]
	v_cndmask_b32_e32 v10, v23, v10, vcc
	v_cndmask_b32_e32 v4, v4, v12, vcc
	v_bfi_b32 v5, s73, v10, v5
	s_mov_b32 s10, 0
	v_fma_f64 v[12:13], v[4:5], v[4:5], 1.0
	s_brev_b32 s11, 8
	v_cmp_gt_f64_e32 vcc, s[10:11], v[12:13]
	v_cndmask_b32_e64 v10, 0, 1, vcc
	v_lshlrev_b32_e32 v10, 8, v10
	v_ldexp_f64 v[12:13], v[12:13], v10
	v_rsq_f64_e32 v[76:77], v[12:13]
	v_and_b32_e32 v10, 0x80000000, v11
	v_cndmask_b32_e32 v23, 0, v95, vcc
	v_xor_b32_e32 v3, v3, v10
	v_mul_f64 v[78:79], v[12:13], v[76:77]
	v_mul_f64 v[76:77], v[76:77], 0.5
	v_fma_f64 v[80:81], -v[76:77], v[78:79], 0.5
	v_fmac_f64_e32 v[78:79], v[78:79], v[80:81]
	v_fma_f64 v[82:83], -v[78:79], v[78:79], v[12:13]
	v_fmac_f64_e32 v[76:77], v[76:77], v[80:81]
	v_fmac_f64_e32 v[78:79], v[82:83], v[76:77]
	v_fma_f64 v[80:81], -v[78:79], v[78:79], v[12:13]
	v_fmac_f64_e32 v[78:79], v[80:81], v[76:77]
	v_ldexp_f64 v[76:77], v[78:79], v23
	v_cmp_class_f64_e32 vcc, v[12:13], v91
	v_fma_f64 v[10:11], v[2:3], v[2:3], 1.0
	v_cndmask_b32_e32 v13, v77, v13, vcc
	v_cndmask_b32_e32 v12, v76, v12, vcc
	v_mul_f64 v[76:77], v[4:5], v[10:11]
	v_mul_f64 v[10:11], v[12:13], v[10:11]
	v_fma_f64 v[76:77], v[4:5], v[76:77], 1.0
	v_mul_f64 v[4:5], v[4:5], v[10:11]
	v_div_scale_f64 v[10:11], s[10:11], v[76:77], v[76:77], v[4:5]
	v_rcp_f64_e32 v[12:13], v[10:11]
	v_fma_f64 v[78:79], -v[10:11], v[12:13], 1.0
	v_fmac_f64_e32 v[12:13], v[12:13], v[78:79]
	v_fma_f64 v[78:79], -v[10:11], v[12:13], 1.0
	v_fmac_f64_e32 v[12:13], v[12:13], v[78:79]
	v_div_scale_f64 v[78:79], vcc, v[4:5], v[76:77], v[4:5]
	v_mul_f64 v[80:81], v[78:79], v[12:13]
	v_fma_f64 v[10:11], -v[10:11], v[80:81], v[78:79]
	v_div_scale_f64 v[78:79], s[10:11], v[76:77], v[76:77], v[2:3]
	v_rcp_f64_e32 v[82:83], v[78:79]
	v_div_fmas_f64 v[10:11], v[10:11], v[12:13], v[80:81]
	v_div_fixup_f64 v[4:5], v[10:11], v[76:77], v[4:5]
	v_fma_f64 v[10:11], -v[78:79], v[82:83], 1.0
	v_fmac_f64_e32 v[82:83], v[82:83], v[10:11]
	v_fma_f64 v[10:11], -v[78:79], v[82:83], 1.0
	v_fmac_f64_e32 v[82:83], v[82:83], v[10:11]
	v_div_scale_f64 v[10:11], vcc, v[2:3], v[76:77], v[2:3]
	v_mul_f64 v[12:13], v[10:11], v[82:83]
	v_fma_f64 v[10:11], -v[78:79], v[12:13], v[10:11]
	s_nop 1
	v_div_fmas_f64 v[10:11], v[10:11], v[82:83], v[12:13]
	v_div_fixup_f64 v[2:3], v[10:11], v[76:77], v[2:3]
                                        ; implicit-def: $vgpr10_vgpr11
.LBB100_20:                             ;   in Loop: Header=BB100_4 Depth=1
	s_andn2_saveexec_b64 s[58:59], s[58:59]
	s_cbranch_execz .LBB100_23
; %bb.21:                               ;   in Loop: Header=BB100_4 Depth=1
	v_cmp_nlt_f64_e64 s[60:61], |v[10:11]|, s[22:23]
                                        ; implicit-def: $vgpr4
                                        ; implicit-def: $vgpr2_vgpr3
                                        ; implicit-def: $vgpr76_vgpr77
	s_and_saveexec_b64 s[10:11], s[60:61]
	s_xor_b64 s[68:69], exec, s[10:11]
	s_cbranch_execz .LBB100_24
; %bb.22:                               ;   in Loop: Header=BB100_4 Depth=1
	v_and_b32_e32 v4, 0x7fffffff, v11
	v_ldexp_f64 v[78:79], |v[10:11]|, s17
	v_cmp_ge_f64_e64 vcc, |v[10:11]|, s[24:25]
	v_trig_preop_f64 v[2:3], |v[10:11]|, 0
	v_cndmask_b32_e32 v79, v4, v79, vcc
	v_cndmask_b32_e32 v78, v10, v78, vcc
	v_trig_preop_f64 v[76:77], |v[10:11]|, 1
	v_mul_f64 v[82:83], v[2:3], v[78:79]
	v_mul_f64 v[80:81], v[76:77], v[78:79]
	v_fma_f64 v[2:3], v[2:3], v[78:79], -v[82:83]
	v_add_f64 v[84:85], v[80:81], v[2:3]
	v_add_f64 v[86:87], v[82:83], v[84:85]
	v_ldexp_f64 v[98:99], v[86:87], -2
	v_fract_f64_e32 v[100:101], v[98:99]
	v_cmp_neq_f64_e64 vcc, |v[98:99]|, s[26:27]
	v_cndmask_b32_e32 v99, 0, v101, vcc
	v_cndmask_b32_e32 v98, 0, v100, vcc
	v_add_f64 v[100:101], v[84:85], -v[80:81]
	v_add_f64 v[2:3], v[2:3], -v[100:101]
	v_add_f64 v[100:101], v[84:85], -v[100:101]
	v_add_f64 v[100:101], v[80:81], -v[100:101]
	v_fma_f64 v[76:77], v[76:77], v[78:79], -v[80:81]
	v_trig_preop_f64 v[80:81], |v[10:11]|, 2
	v_add_f64 v[2:3], v[2:3], v[100:101]
	v_mul_f64 v[100:101], v[80:81], v[78:79]
	v_add_f64 v[102:103], v[100:101], v[76:77]
	v_add_f64 v[104:105], v[102:103], v[2:3]
	v_add_f64 v[82:83], v[86:87], -v[82:83]
	v_add_f64 v[86:87], v[104:105], -v[102:103]
	;; [unrolled: 1-line block ×5, first 2 shown]
	v_add_f64 v[2:3], v[2:3], v[86:87]
	v_add_f64 v[86:87], v[102:103], -v[100:101]
	v_add_f64 v[76:77], v[76:77], -v[86:87]
	;; [unrolled: 1-line block ×4, first 2 shown]
	v_add_f64 v[76:77], v[76:77], v[86:87]
	v_add_f64 v[82:83], v[84:85], -v[82:83]
	v_add_f64 v[2:3], v[76:77], v[2:3]
	v_fma_f64 v[76:77], v[80:81], v[78:79], -v[100:101]
	v_add_f64 v[84:85], v[82:83], v[104:105]
	v_add_f64 v[2:3], v[76:77], v[2:3]
	v_ldexp_f64 v[76:77], v[98:99], 2
	v_add_f64 v[78:79], v[84:85], v[76:77]
	v_cmp_gt_f64_e32 vcc, 0, v[78:79]
	v_cndmask_b32_e32 v23, 0, v92, vcc
	v_add_f64 v[76:77], v[76:77], v[22:23]
	v_add_f64 v[78:79], v[84:85], v[76:77]
	v_cvt_i32_f64_e32 v4, v[78:79]
	v_cvt_f64_i32_e32 v[78:79], v4
	v_add_f64 v[76:77], v[76:77], -v[78:79]
	v_add_f64 v[82:83], v[84:85], -v[82:83]
	v_add_f64 v[78:79], v[84:85], v[76:77]
	v_add_f64 v[82:83], v[104:105], -v[82:83]
	v_add_f64 v[76:77], v[78:79], -v[76:77]
	v_cmp_le_f64_e32 vcc, 0.5, v[78:79]
	v_add_f64 v[2:3], v[82:83], v[2:3]
	v_add_f64 v[76:77], v[84:85], -v[76:77]
	v_cndmask_b32_e32 v23, 0, v93, vcc
	v_add_f64 v[2:3], v[2:3], v[76:77]
	v_add_f64 v[76:77], v[78:79], -v[22:23]
	v_add_f64 v[78:79], v[76:77], v[2:3]
	v_add_f64 v[76:77], v[78:79], -v[76:77]
	s_mov_b32 s28, s30
	v_add_f64 v[2:3], v[2:3], -v[76:77]
	v_mul_f64 v[76:77], v[78:79], s[28:29]
	v_fma_f64 v[80:81], v[78:79], s[28:29], -v[76:77]
	s_mov_b32 s37, s35
	v_fmac_f64_e32 v[80:81], s[36:37], v[78:79]
	v_fmac_f64_e32 v[80:81], s[28:29], v[2:3]
	v_add_f64 v[2:3], v[76:77], v[80:81]
	v_add_f64 v[76:77], v[2:3], -v[76:77]
	v_addc_co_u32_e64 v4, s[10:11], 0, v4, vcc
	v_add_f64 v[76:77], v[80:81], -v[76:77]
	s_andn2_saveexec_b64 s[10:11], s[68:69]
	s_cbranch_execz .LBB100_26
	s_branch .LBB100_25
.LBB100_23:                             ;   in Loop: Header=BB100_4 Depth=1
	s_or_b64 exec, exec, s[58:59]
                                        ; implicit-def: $vgpr10_vgpr11
	s_andn2_saveexec_b64 s[10:11], s[44:45]
	s_cbranch_execnz .LBB100_32
	s_branch .LBB100_33
.LBB100_24:                             ;   in Loop: Header=BB100_4 Depth=1
	s_andn2_saveexec_b64 s[10:11], s[68:69]
	s_cbranch_execz .LBB100_26
.LBB100_25:                             ;   in Loop: Header=BB100_4 Depth=1
	v_mul_f64 v[2:3], |v[10:11]|, s[38:39]
	v_rndne_f64_e32 v[78:79], v[2:3]
	v_fma_f64 v[2:3], v[78:79], s[30:31], |v[10:11]|
	v_mul_f64 v[80:81], v[78:79], s[40:41]
	v_add_f64 v[84:85], v[2:3], v[80:81]
	v_fma_f64 v[76:77], s[40:41], v[78:79], v[2:3]
	s_mov_b32 s34, s40
	v_add_f64 v[2:3], v[2:3], -v[84:85]
	v_fma_f64 v[82:83], s[34:35], v[78:79], v[80:81]
	v_add_f64 v[2:3], v[2:3], v[80:81]
	v_add_f64 v[80:81], v[84:85], -v[76:77]
	v_add_f64 v[2:3], v[80:81], v[2:3]
	v_add_f64 v[80:81], v[2:3], -v[82:83]
	v_fmac_f64_e32 v[80:81], s[42:43], v[78:79]
	v_add_f64 v[2:3], v[76:77], v[80:81]
	v_add_f64 v[76:77], v[2:3], -v[76:77]
	v_add_f64 v[76:77], v[80:81], -v[76:77]
	v_cvt_i32_f64_e32 v4, v[78:79]
.LBB100_26:                             ;   in Loop: Header=BB100_4 Depth=1
	s_or_b64 exec, exec, s[10:11]
                                        ; implicit-def: $vgpr82
                                        ; implicit-def: $vgpr78_vgpr79
                                        ; implicit-def: $vgpr80_vgpr81
	s_and_saveexec_b64 s[10:11], s[60:61]
	s_xor_b64 s[60:61], exec, s[10:11]
	s_cbranch_execz .LBB100_28
; %bb.27:                               ;   in Loop: Header=BB100_4 Depth=1
	v_and_b32_e32 v23, 0x7fffffff, v11
	v_ldexp_f64 v[82:83], |v[10:11]|, s17
	v_cmp_ge_f64_e64 vcc, |v[10:11]|, s[24:25]
	v_trig_preop_f64 v[78:79], |v[10:11]|, 0
	v_cndmask_b32_e32 v83, v23, v83, vcc
	v_cndmask_b32_e32 v82, v10, v82, vcc
	v_trig_preop_f64 v[80:81], |v[10:11]|, 1
	v_mul_f64 v[86:87], v[78:79], v[82:83]
	v_mul_f64 v[84:85], v[80:81], v[82:83]
	v_fma_f64 v[78:79], v[78:79], v[82:83], -v[86:87]
	v_add_f64 v[98:99], v[84:85], v[78:79]
	v_add_f64 v[100:101], v[86:87], v[98:99]
	v_ldexp_f64 v[102:103], v[100:101], -2
	v_fract_f64_e32 v[104:105], v[102:103]
	v_cmp_neq_f64_e64 vcc, |v[102:103]|, s[26:27]
	v_cndmask_b32_e32 v103, 0, v105, vcc
	v_cndmask_b32_e32 v102, 0, v104, vcc
	v_add_f64 v[104:105], v[98:99], -v[84:85]
	v_add_f64 v[78:79], v[78:79], -v[104:105]
	;; [unrolled: 1-line block ×4, first 2 shown]
	v_fma_f64 v[80:81], v[80:81], v[82:83], -v[84:85]
	v_trig_preop_f64 v[84:85], |v[10:11]|, 2
	v_add_f64 v[78:79], v[78:79], v[104:105]
	v_mul_f64 v[104:105], v[84:85], v[82:83]
	v_add_f64 v[106:107], v[104:105], v[80:81]
	v_add_f64 v[108:109], v[106:107], v[78:79]
	v_add_f64 v[86:87], v[100:101], -v[86:87]
	v_add_f64 v[100:101], v[108:109], -v[106:107]
	;; [unrolled: 1-line block ×5, first 2 shown]
	v_add_f64 v[78:79], v[78:79], v[100:101]
	v_add_f64 v[100:101], v[106:107], -v[104:105]
	v_add_f64 v[80:81], v[80:81], -v[100:101]
	;; [unrolled: 1-line block ×4, first 2 shown]
	v_add_f64 v[80:81], v[80:81], v[100:101]
	v_add_f64 v[86:87], v[98:99], -v[86:87]
	v_add_f64 v[78:79], v[80:81], v[78:79]
	v_fma_f64 v[80:81], v[84:85], v[82:83], -v[104:105]
	v_add_f64 v[98:99], v[86:87], v[108:109]
	v_add_f64 v[78:79], v[80:81], v[78:79]
	v_ldexp_f64 v[80:81], v[102:103], 2
	v_add_f64 v[82:83], v[98:99], v[80:81]
	v_cmp_gt_f64_e32 vcc, 0, v[82:83]
	v_cndmask_b32_e32 v23, 0, v92, vcc
	v_add_f64 v[80:81], v[80:81], v[22:23]
	v_add_f64 v[82:83], v[98:99], v[80:81]
	v_cvt_i32_f64_e32 v23, v[82:83]
	v_cvt_f64_i32_e32 v[82:83], v23
	v_add_f64 v[80:81], v[80:81], -v[82:83]
	v_add_f64 v[86:87], v[98:99], -v[86:87]
	v_add_f64 v[84:85], v[98:99], v[80:81]
	v_add_f64 v[86:87], v[108:109], -v[86:87]
	v_add_f64 v[80:81], v[84:85], -v[80:81]
	v_cmp_le_f64_e32 vcc, 0.5, v[84:85]
	v_add_f64 v[78:79], v[86:87], v[78:79]
	v_add_f64 v[80:81], v[98:99], -v[80:81]
	v_addc_co_u32_e64 v82, s[10:11], 0, v23, vcc
	v_cndmask_b32_e32 v23, 0, v93, vcc
	v_add_f64 v[78:79], v[78:79], v[80:81]
	v_add_f64 v[80:81], v[84:85], -v[22:23]
	v_add_f64 v[84:85], v[80:81], v[78:79]
	v_add_f64 v[80:81], v[84:85], -v[80:81]
	s_mov_b32 s28, s30
	v_add_f64 v[78:79], v[78:79], -v[80:81]
	v_mul_f64 v[80:81], v[84:85], s[28:29]
	v_fma_f64 v[86:87], v[84:85], s[28:29], -v[80:81]
	s_mov_b32 s37, s35
	v_fmac_f64_e32 v[86:87], s[36:37], v[84:85]
	v_fmac_f64_e32 v[86:87], s[28:29], v[78:79]
	v_add_f64 v[78:79], v[80:81], v[86:87]
	v_add_f64 v[80:81], v[78:79], -v[80:81]
	v_add_f64 v[80:81], v[86:87], -v[80:81]
	s_andn2_saveexec_b64 s[10:11], s[60:61]
	s_cbranch_execnz .LBB100_29
	s_branch .LBB100_30
.LBB100_28:                             ;   in Loop: Header=BB100_4 Depth=1
	s_andn2_saveexec_b64 s[10:11], s[60:61]
	s_cbranch_execz .LBB100_30
.LBB100_29:                             ;   in Loop: Header=BB100_4 Depth=1
	v_mul_f64 v[78:79], |v[10:11]|, s[38:39]
	v_rndne_f64_e32 v[82:83], v[78:79]
	v_fma_f64 v[78:79], v[82:83], s[30:31], |v[10:11]|
	v_mul_f64 v[84:85], v[82:83], s[40:41]
	v_add_f64 v[98:99], v[78:79], v[84:85]
	v_fma_f64 v[80:81], s[40:41], v[82:83], v[78:79]
	s_mov_b32 s34, s40
	v_add_f64 v[78:79], v[78:79], -v[98:99]
	v_fma_f64 v[86:87], s[34:35], v[82:83], v[84:85]
	v_add_f64 v[78:79], v[78:79], v[84:85]
	v_add_f64 v[84:85], v[98:99], -v[80:81]
	v_add_f64 v[78:79], v[84:85], v[78:79]
	v_add_f64 v[84:85], v[78:79], -v[86:87]
	v_fmac_f64_e32 v[84:85], s[42:43], v[82:83]
	v_add_f64 v[78:79], v[80:81], v[84:85]
	v_add_f64 v[80:81], v[78:79], -v[80:81]
	v_add_f64 v[80:81], v[84:85], -v[80:81]
	v_cvt_i32_f64_e32 v82, v[82:83]
.LBB100_30:                             ;   in Loop: Header=BB100_4 Depth=1
	s_or_b64 exec, exec, s[10:11]
	v_mul_f64 v[84:85], v[2:3], v[2:3]
	v_pk_mov_b32 v[102:103], s[74:75], s[74:75] op_sel:[0,1]
	v_mul_f64 v[86:87], v[84:85], 0.5
	v_fma_f64 v[104:105], s[76:77], v[84:85], v[102:103]
	v_add_f64 v[98:99], -v[86:87], 1.0
	v_fma_f64 v[104:105], v[84:85], v[104:105], s[78:79]
	v_add_f64 v[100:101], -v[98:99], 1.0
	v_fma_f64 v[104:105], v[84:85], v[104:105], s[80:81]
	v_add_f64 v[86:87], v[100:101], -v[86:87]
	v_fma_f64 v[104:105], v[84:85], v[104:105], s[82:83]
	v_mul_f64 v[100:101], v[84:85], v[84:85]
	v_fma_f64 v[104:105], v[84:85], v[104:105], s[66:67]
	v_fma_f64 v[86:87], v[2:3], -v[76:77], v[86:87]
	v_fmac_f64_e32 v[86:87], v[100:101], v[104:105]
	v_add_f64 v[86:87], v[98:99], v[86:87]
	v_pk_mov_b32 v[98:99], s[84:85], s[84:85] op_sel:[0,1]
	v_fma_f64 v[100:101], s[86:87], v[84:85], v[98:99]
	v_fma_f64 v[100:101], v[84:85], v[100:101], s[88:89]
	;; [unrolled: 1-line block ×4, first 2 shown]
	v_mul_f64 v[104:105], v[2:3], -v[84:85]
	v_mul_f64 v[106:107], v[76:77], 0.5
	v_fmac_f64_e32 v[106:107], v[104:105], v[100:101]
	v_and_b32_e32 v10, 1, v4
	v_lshlrev_b32_e32 v4, 30, v4
	v_fma_f64 v[76:77], v[84:85], v[106:107], -v[76:77]
	s_mov_b32 s92, s66
	v_cmp_eq_u32_e32 vcc, 0, v10
	v_xor_b32_e32 v4, v4, v11
	v_mul_f64 v[10:11], |v[12:13]|, s[54:55]
	v_fmac_f64_e32 v[76:77], s[92:93], v[104:105]
	v_rndne_f64_e32 v[10:11], v[10:11]
	v_add_f64 v[2:3], v[2:3], -v[76:77]
	v_fma_f64 v[76:77], v[10:11], s[46:47], -|v[12:13]|
	v_fmac_f64_e32 v[76:77], s[50:51], v[10:11]
	v_pk_mov_b32 v[84:85], v[58:59], v[58:59] op_sel:[0,1]
	v_cndmask_b32_e32 v2, v86, v2, vcc
	v_cndmask_b32_e32 v3, v87, v3, vcc
	v_fmac_f64_e32 v[84:85], s[62:63], v[76:77]
	v_pk_mov_b32 v[86:87], v[60:61], v[60:61] op_sel:[0,1]
	v_fmac_f64_e32 v[86:87], v[76:77], v[84:85]
	v_pk_mov_b32 v[84:85], v[62:63], v[62:63] op_sel:[0,1]
	;; [unrolled: 2-line block ×8, first 2 shown]
	v_fmac_f64_e32 v[84:85], v[76:77], v[86:87]
	v_and_b32_e32 v4, 0x80000000, v4
	v_fma_f64 v[84:85], v[76:77], v[84:85], 1.0
	v_xor_b32_e32 v3, v3, v4
	v_fma_f64 v[76:77], v[76:77], v[84:85], 1.0
	v_cvt_i32_f64_e32 v4, v[10:11]
	s_mov_b32 s10, 0
	v_ldexp_f64 v[10:11], v[76:77], v4
	s_mov_b32 s11, 0x4090cc00
	v_bfi_b32 v23, s73, v93, v5
	v_mul_f64 v[4:5], v[78:79], v[78:79]
	v_cmp_ngt_f64_e64 vcc, |v[12:13]|, s[10:11]
	v_mul_f64 v[12:13], v[4:5], 0.5
	v_fmac_f64_e32 v[102:103], s[76:77], v[4:5]
	v_add_f64 v[76:77], -v[12:13], 1.0
	v_fma_f64 v[86:87], v[4:5], v[102:103], s[78:79]
	v_add_f64 v[84:85], -v[76:77], 1.0
	v_fma_f64 v[86:87], v[4:5], v[86:87], s[80:81]
	v_add_f64 v[12:13], v[84:85], -v[12:13]
	v_fma_f64 v[86:87], v[4:5], v[86:87], s[82:83]
	v_mul_f64 v[84:85], v[4:5], v[4:5]
	v_fma_f64 v[86:87], v[4:5], v[86:87], s[66:67]
	v_fma_f64 v[12:13], v[78:79], -v[80:81], v[12:13]
	v_fmac_f64_e32 v[12:13], v[84:85], v[86:87]
	v_fmac_f64_e32 v[98:99], s[86:87], v[4:5]
	v_add_f64 v[12:13], v[76:77], v[12:13]
	v_fma_f64 v[76:77], v[4:5], v[98:99], s[88:89]
	v_fma_f64 v[76:77], v[4:5], v[76:77], s[90:91]
	;; [unrolled: 1-line block ×3, first 2 shown]
	v_mul_f64 v[84:85], v[78:79], -v[4:5]
	v_mul_f64 v[86:87], v[80:81], 0.5
	v_fmac_f64_e32 v[86:87], v[84:85], v[76:77]
	v_fma_f64 v[4:5], v[4:5], v[86:87], -v[80:81]
	v_fmac_f64_e32 v[4:5], s[92:93], v[84:85]
	v_and_b32_e32 v76, 1, v82
	v_cndmask_b32_e32 v11, 0, v11, vcc
	v_cndmask_b32_e32 v10, 0, v10, vcc
	v_add_f64 v[4:5], v[78:79], -v[4:5]
	v_cmp_eq_u32_e32 vcc, 0, v76
	v_xor_b32_e32 v5, 0x80000000, v5
	v_cndmask_b32_e32 v4, v4, v12, vcc
	v_lshlrev_b32_e32 v12, 30, v82
	v_cndmask_b32_e32 v5, v5, v13, vcc
	v_and_b32_e32 v12, 0x80000000, v12
	v_mul_f64 v[2:3], v[2:3], 4.0
	v_xor_b32_e32 v5, v5, v12
	v_mul_f64 v[2:3], v[2:3], v[4:5]
	v_mul_f64 v[2:3], v[10:11], v[2:3]
	;; [unrolled: 1-line block ×3, first 2 shown]
	v_pk_mov_b32 v[4:5], v[22:23], v[22:23] op_sel:[0,1]
	s_or_b64 exec, exec, s[58:59]
                                        ; implicit-def: $vgpr10_vgpr11
.LBB100_31:                             ;   in Loop: Header=BB100_4 Depth=1
	s_andn2_saveexec_b64 s[10:11], s[44:45]
.LBB100_32:                             ;   in Loop: Header=BB100_4 Depth=1
	v_add_f64 v[2:3], v[10:11], -v[10:11]
	v_pk_mov_b32 v[4:5], v[2:3], v[2:3] op_sel:[0,1]
.LBB100_33:                             ;   in Loop: Header=BB100_4 Depth=1
	s_or_b64 exec, exec, s[10:11]
                                        ; implicit-def: $vgpr10_vgpr11
.LBB100_34:                             ;   in Loop: Header=BB100_4 Depth=1
	s_andn2_saveexec_b64 s[14:15], s[14:15]
	s_cbranch_execz .LBB100_50
; %bb.35:                               ;   in Loop: Header=BB100_4 Depth=1
	v_and_or_b32 v2, v5, s16, v4
	v_cmp_ne_u32_e32 vcc, 0, v2
	s_and_saveexec_b64 s[10:11], vcc
	s_xor_b64 s[10:11], exec, s[10:11]
; %bb.36:                               ;   in Loop: Header=BB100_4 Depth=1
	v_mul_f64 v[2:3], v[10:11], -v[12:13]
	v_cmp_eq_f64_e32 vcc, 0, v[10:11]
	v_cndmask_b32_e32 v3, v3, v11, vcc
	v_cndmask_b32_e32 v2, v2, v10, vcc
                                        ; implicit-def: $vgpr10_vgpr11
; %bb.37:                               ;   in Loop: Header=BB100_4 Depth=1
	s_andn2_saveexec_b64 s[44:45], s[10:11]
	s_cbranch_execz .LBB100_49
; %bb.38:                               ;   in Loop: Header=BB100_4 Depth=1
	v_cmp_neq_f64_e64 s[10:11], |v[10:11]|, s[26:27]
	s_and_saveexec_b64 s[58:59], s[10:11]
	s_cbranch_execz .LBB100_48
; %bb.39:                               ;   in Loop: Header=BB100_4 Depth=1
	v_cmp_nlt_f64_e64 s[60:61], |v[10:11]|, s[22:23]
	v_trig_preop_f64 v[80:81], |v[10:11]|, 0
	v_trig_preop_f64 v[78:79], |v[10:11]|, 1
	v_ldexp_f64 v[82:83], |v[10:11]|, s17
	v_trig_preop_f64 v[76:77], |v[10:11]|, 2
	v_and_b32_e32 v98, 0x7fffffff, v11
                                        ; implicit-def: $vgpr97
                                        ; implicit-def: $vgpr2_vgpr3
                                        ; implicit-def: $vgpr12_vgpr13
	s_and_saveexec_b64 s[10:11], s[60:61]
	s_xor_b64 s[68:69], exec, s[10:11]
	s_cbranch_execz .LBB100_41
; %bb.40:                               ;   in Loop: Header=BB100_4 Depth=1
	v_cmp_ge_f64_e64 vcc, |v[10:11]|, s[24:25]
	v_cndmask_b32_e32 v3, v98, v83, vcc
	v_cndmask_b32_e32 v2, v10, v82, vcc
	v_mul_f64 v[84:85], v[80:81], v[2:3]
	v_mul_f64 v[12:13], v[78:79], v[2:3]
	v_fma_f64 v[86:87], v[80:81], v[2:3], -v[84:85]
	v_add_f64 v[100:101], v[12:13], v[86:87]
	v_add_f64 v[102:103], v[84:85], v[100:101]
	v_ldexp_f64 v[104:105], v[102:103], -2
	v_fract_f64_e32 v[106:107], v[104:105]
	v_cmp_neq_f64_e64 vcc, |v[104:105]|, s[26:27]
	v_cndmask_b32_e32 v105, 0, v107, vcc
	v_cndmask_b32_e32 v104, 0, v106, vcc
	v_add_f64 v[106:107], v[100:101], -v[12:13]
	v_add_f64 v[86:87], v[86:87], -v[106:107]
	;; [unrolled: 1-line block ×4, first 2 shown]
	v_add_f64 v[86:87], v[86:87], v[106:107]
	v_fma_f64 v[12:13], v[78:79], v[2:3], -v[12:13]
	v_mul_f64 v[106:107], v[76:77], v[2:3]
	v_add_f64 v[108:109], v[106:107], v[12:13]
	v_add_f64 v[110:111], v[108:109], v[86:87]
	v_add_f64 v[84:85], v[102:103], -v[84:85]
	v_add_f64 v[102:103], v[110:111], -v[108:109]
	;; [unrolled: 1-line block ×5, first 2 shown]
	v_add_f64 v[86:87], v[86:87], v[102:103]
	v_add_f64 v[102:103], v[108:109], -v[106:107]
	v_add_f64 v[12:13], v[12:13], -v[102:103]
	;; [unrolled: 1-line block ×5, first 2 shown]
	v_add_f64 v[100:101], v[84:85], v[110:111]
	v_add_f64 v[12:13], v[12:13], v[102:103]
	v_add_f64 v[84:85], v[100:101], -v[84:85]
	v_add_f64 v[12:13], v[12:13], v[86:87]
	v_fma_f64 v[2:3], v[76:77], v[2:3], -v[106:107]
	v_add_f64 v[84:85], v[110:111], -v[84:85]
	v_add_f64 v[2:3], v[2:3], v[12:13]
	v_ldexp_f64 v[12:13], v[104:105], 2
	v_add_f64 v[2:3], v[84:85], v[2:3]
	v_add_f64 v[84:85], v[100:101], v[12:13]
	v_cmp_gt_f64_e32 vcc, 0, v[84:85]
	v_cndmask_b32_e32 v23, 0, v92, vcc
	v_add_f64 v[12:13], v[12:13], v[22:23]
	v_add_f64 v[84:85], v[100:101], v[12:13]
	v_cvt_i32_f64_e32 v23, v[84:85]
	v_cvt_f64_i32_e32 v[84:85], v23
	v_add_f64 v[12:13], v[12:13], -v[84:85]
	v_add_f64 v[84:85], v[100:101], v[12:13]
	v_add_f64 v[12:13], v[84:85], -v[12:13]
	v_cmp_le_f64_e32 vcc, 0.5, v[84:85]
	v_add_f64 v[12:13], v[100:101], -v[12:13]
	v_addc_co_u32_e64 v97, s[10:11], 0, v23, vcc
	v_cndmask_b32_e32 v23, 0, v93, vcc
	v_add_f64 v[2:3], v[2:3], v[12:13]
	v_add_f64 v[12:13], v[84:85], -v[22:23]
	v_add_f64 v[84:85], v[12:13], v[2:3]
	v_add_f64 v[12:13], v[84:85], -v[12:13]
	s_mov_b32 s28, s30
	v_add_f64 v[2:3], v[2:3], -v[12:13]
	v_mul_f64 v[12:13], v[84:85], s[28:29]
	v_fma_f64 v[86:87], v[84:85], s[28:29], -v[12:13]
	s_mov_b32 s37, s35
	v_fmac_f64_e32 v[86:87], s[36:37], v[84:85]
	v_fmac_f64_e32 v[86:87], s[28:29], v[2:3]
	v_add_f64 v[2:3], v[12:13], v[86:87]
	v_add_f64 v[12:13], v[2:3], -v[12:13]
	v_add_f64 v[12:13], v[86:87], -v[12:13]
	s_andn2_saveexec_b64 s[10:11], s[68:69]
	s_cbranch_execz .LBB100_43
	s_branch .LBB100_42
.LBB100_41:                             ;   in Loop: Header=BB100_4 Depth=1
	s_andn2_saveexec_b64 s[10:11], s[68:69]
	s_cbranch_execz .LBB100_43
.LBB100_42:                             ;   in Loop: Header=BB100_4 Depth=1
	v_mul_f64 v[2:3], |v[10:11]|, s[38:39]
	v_rndne_f64_e32 v[84:85], v[2:3]
	v_fma_f64 v[2:3], v[84:85], s[30:31], |v[10:11]|
	v_mul_f64 v[86:87], v[84:85], s[40:41]
	v_add_f64 v[102:103], v[2:3], v[86:87]
	v_fma_f64 v[12:13], s[40:41], v[84:85], v[2:3]
	s_mov_b32 s34, s40
	v_add_f64 v[2:3], v[2:3], -v[102:103]
	v_fma_f64 v[100:101], s[34:35], v[84:85], v[86:87]
	v_add_f64 v[2:3], v[2:3], v[86:87]
	v_add_f64 v[86:87], v[102:103], -v[12:13]
	v_add_f64 v[2:3], v[86:87], v[2:3]
	v_add_f64 v[86:87], v[2:3], -v[100:101]
	v_fmac_f64_e32 v[86:87], s[42:43], v[84:85]
	v_add_f64 v[2:3], v[12:13], v[86:87]
	v_add_f64 v[12:13], v[2:3], -v[12:13]
	v_add_f64 v[12:13], v[86:87], -v[12:13]
	v_cvt_i32_f64_e32 v97, v[84:85]
.LBB100_43:                             ;   in Loop: Header=BB100_4 Depth=1
	s_or_b64 exec, exec, s[10:11]
                                        ; implicit-def: $vgpr99
                                        ; implicit-def: $vgpr84_vgpr85
                                        ; implicit-def: $vgpr86_vgpr87
	s_and_saveexec_b64 s[10:11], s[60:61]
	s_xor_b64 s[60:61], exec, s[10:11]
	s_cbranch_execz .LBB100_45
; %bb.44:                               ;   in Loop: Header=BB100_4 Depth=1
	v_cmp_ge_f64_e64 vcc, |v[10:11]|, s[24:25]
	v_cndmask_b32_e32 v83, v98, v83, vcc
	v_cndmask_b32_e32 v82, v10, v82, vcc
	v_mul_f64 v[86:87], v[80:81], v[82:83]
	v_mul_f64 v[84:85], v[78:79], v[82:83]
	v_fma_f64 v[80:81], v[80:81], v[82:83], -v[86:87]
	v_add_f64 v[98:99], v[84:85], v[80:81]
	v_add_f64 v[100:101], v[86:87], v[98:99]
	v_ldexp_f64 v[102:103], v[100:101], -2
	v_fract_f64_e32 v[104:105], v[102:103]
	v_cmp_neq_f64_e64 vcc, |v[102:103]|, s[26:27]
	v_cndmask_b32_e32 v103, 0, v105, vcc
	v_cndmask_b32_e32 v102, 0, v104, vcc
	v_add_f64 v[104:105], v[98:99], -v[84:85]
	v_add_f64 v[80:81], v[80:81], -v[104:105]
	;; [unrolled: 1-line block ×4, first 2 shown]
	v_fma_f64 v[78:79], v[78:79], v[82:83], -v[84:85]
	v_mul_f64 v[84:85], v[76:77], v[82:83]
	v_add_f64 v[80:81], v[80:81], v[104:105]
	v_add_f64 v[104:105], v[84:85], v[78:79]
	;; [unrolled: 1-line block ×3, first 2 shown]
	v_add_f64 v[86:87], v[100:101], -v[86:87]
	v_add_f64 v[100:101], v[106:107], -v[104:105]
	v_add_f64 v[80:81], v[80:81], -v[100:101]
	v_add_f64 v[100:101], v[106:107], -v[100:101]
	v_add_f64 v[100:101], v[104:105], -v[100:101]
	v_add_f64 v[80:81], v[80:81], v[100:101]
	v_add_f64 v[100:101], v[104:105], -v[84:85]
	v_add_f64 v[78:79], v[78:79], -v[100:101]
	;; [unrolled: 1-line block ×4, first 2 shown]
	v_add_f64 v[78:79], v[78:79], v[100:101]
	v_add_f64 v[86:87], v[98:99], -v[86:87]
	v_add_f64 v[78:79], v[78:79], v[80:81]
	v_fma_f64 v[76:77], v[76:77], v[82:83], -v[84:85]
	v_add_f64 v[98:99], v[86:87], v[106:107]
	v_add_f64 v[76:77], v[76:77], v[78:79]
	v_ldexp_f64 v[78:79], v[102:103], 2
	v_add_f64 v[80:81], v[98:99], v[78:79]
	v_cmp_gt_f64_e32 vcc, 0, v[80:81]
	v_cndmask_b32_e32 v23, 0, v92, vcc
	v_add_f64 v[78:79], v[78:79], v[22:23]
	v_add_f64 v[80:81], v[98:99], v[78:79]
	v_cvt_i32_f64_e32 v23, v[80:81]
	v_cvt_f64_i32_e32 v[80:81], v23
	v_add_f64 v[78:79], v[78:79], -v[80:81]
	v_add_f64 v[86:87], v[98:99], -v[86:87]
	v_add_f64 v[80:81], v[98:99], v[78:79]
	v_add_f64 v[86:87], v[106:107], -v[86:87]
	v_add_f64 v[78:79], v[80:81], -v[78:79]
	v_cmp_le_f64_e32 vcc, 0.5, v[80:81]
	v_add_f64 v[76:77], v[86:87], v[76:77]
	v_add_f64 v[78:79], v[98:99], -v[78:79]
	v_addc_co_u32_e64 v99, s[10:11], 0, v23, vcc
	v_cndmask_b32_e32 v23, 0, v93, vcc
	v_add_f64 v[76:77], v[76:77], v[78:79]
	v_add_f64 v[78:79], v[80:81], -v[22:23]
	v_add_f64 v[80:81], v[78:79], v[76:77]
	v_add_f64 v[78:79], v[80:81], -v[78:79]
	s_mov_b32 s28, s30
	v_add_f64 v[76:77], v[76:77], -v[78:79]
	v_mul_f64 v[78:79], v[80:81], s[28:29]
	v_fma_f64 v[82:83], v[80:81], s[28:29], -v[78:79]
	s_mov_b32 s37, s35
	v_fmac_f64_e32 v[82:83], s[36:37], v[80:81]
	v_fmac_f64_e32 v[82:83], s[28:29], v[76:77]
	v_add_f64 v[84:85], v[78:79], v[82:83]
	v_add_f64 v[76:77], v[84:85], -v[78:79]
	v_add_f64 v[86:87], v[82:83], -v[76:77]
	s_andn2_saveexec_b64 s[10:11], s[60:61]
	s_cbranch_execnz .LBB100_46
	s_branch .LBB100_47
.LBB100_45:                             ;   in Loop: Header=BB100_4 Depth=1
	s_andn2_saveexec_b64 s[10:11], s[60:61]
	s_cbranch_execz .LBB100_47
.LBB100_46:                             ;   in Loop: Header=BB100_4 Depth=1
	v_mul_f64 v[76:77], |v[10:11]|, s[38:39]
	v_rndne_f64_e32 v[76:77], v[76:77]
	v_fma_f64 v[78:79], v[76:77], s[30:31], |v[10:11]|
	v_mul_f64 v[82:83], v[76:77], s[40:41]
	v_add_f64 v[86:87], v[78:79], v[82:83]
	v_fma_f64 v[80:81], s[40:41], v[76:77], v[78:79]
	s_mov_b32 s34, s40
	v_add_f64 v[78:79], v[78:79], -v[86:87]
	v_fma_f64 v[84:85], s[34:35], v[76:77], v[82:83]
	v_add_f64 v[78:79], v[78:79], v[82:83]
	v_add_f64 v[82:83], v[86:87], -v[80:81]
	v_add_f64 v[78:79], v[82:83], v[78:79]
	v_add_f64 v[78:79], v[78:79], -v[84:85]
	v_fmac_f64_e32 v[78:79], s[42:43], v[76:77]
	v_add_f64 v[84:85], v[80:81], v[78:79]
	v_add_f64 v[80:81], v[84:85], -v[80:81]
	v_add_f64 v[86:87], v[78:79], -v[80:81]
	v_cvt_i32_f64_e32 v99, v[76:77]
.LBB100_47:                             ;   in Loop: Header=BB100_4 Depth=1
	s_or_b64 exec, exec, s[10:11]
	v_mul_f64 v[76:77], v[2:3], v[2:3]
	v_pk_mov_b32 v[100:101], s[74:75], s[74:75] op_sel:[0,1]
	v_mul_f64 v[78:79], v[76:77], 0.5
	v_fma_f64 v[102:103], s[76:77], v[76:77], v[100:101]
	v_add_f64 v[80:81], -v[78:79], 1.0
	v_fma_f64 v[102:103], v[76:77], v[102:103], s[78:79]
	v_add_f64 v[82:83], -v[80:81], 1.0
	v_fma_f64 v[102:103], v[76:77], v[102:103], s[80:81]
	v_add_f64 v[78:79], v[82:83], -v[78:79]
	v_fma_f64 v[102:103], v[76:77], v[102:103], s[82:83]
	v_mul_f64 v[82:83], v[76:77], v[76:77]
	v_fma_f64 v[102:103], v[76:77], v[102:103], s[66:67]
	v_fma_f64 v[78:79], v[2:3], -v[12:13], v[78:79]
	v_fmac_f64_e32 v[78:79], v[82:83], v[102:103]
	v_add_f64 v[78:79], v[80:81], v[78:79]
	v_pk_mov_b32 v[80:81], s[84:85], s[84:85] op_sel:[0,1]
	v_fma_f64 v[82:83], s[86:87], v[76:77], v[80:81]
	v_fma_f64 v[82:83], v[76:77], v[82:83], s[88:89]
	;; [unrolled: 1-line block ×4, first 2 shown]
	v_mul_f64 v[102:103], v[2:3], -v[76:77]
	v_mul_f64 v[104:105], v[12:13], 0.5
	v_fmac_f64_e32 v[104:105], v[102:103], v[82:83]
	v_fma_f64 v[12:13], v[76:77], v[104:105], -v[12:13]
	s_mov_b32 s92, s66
	v_fmac_f64_e32 v[12:13], s[92:93], v[102:103]
	v_add_f64 v[2:3], v[2:3], -v[12:13]
	v_and_b32_e32 v12, 1, v97
	v_cmp_eq_u32_e32 vcc, 0, v12
	v_lshlrev_b32_e32 v12, 30, v97
	v_xor_b32_e32 v12, v12, v11
	v_cndmask_b32_e32 v2, v78, v2, vcc
	v_cndmask_b32_e32 v3, v79, v3, vcc
	v_and_b32_e32 v12, 0x80000000, v12
	v_cmp_class_f64_e64 vcc, v[10:11], s95
	v_mul_f64 v[10:11], v[84:85], v[84:85]
	v_xor_b32_e32 v3, v3, v12
	v_mul_f64 v[12:13], v[10:11], 0.5
	v_fmac_f64_e32 v[100:101], s[76:77], v[10:11]
	v_add_f64 v[76:77], -v[12:13], 1.0
	v_fma_f64 v[82:83], v[10:11], v[100:101], s[78:79]
	v_add_f64 v[78:79], -v[76:77], 1.0
	v_fma_f64 v[82:83], v[10:11], v[82:83], s[80:81]
	v_add_f64 v[12:13], v[78:79], -v[12:13]
	v_fma_f64 v[82:83], v[10:11], v[82:83], s[82:83]
	v_mul_f64 v[78:79], v[10:11], v[10:11]
	v_fma_f64 v[82:83], v[10:11], v[82:83], s[66:67]
	v_fma_f64 v[12:13], v[84:85], -v[86:87], v[12:13]
	v_fmac_f64_e32 v[12:13], v[78:79], v[82:83]
	v_fmac_f64_e32 v[80:81], s[86:87], v[10:11]
	v_add_f64 v[12:13], v[76:77], v[12:13]
	v_fma_f64 v[76:77], v[10:11], v[80:81], s[88:89]
	v_fma_f64 v[76:77], v[10:11], v[76:77], s[90:91]
	v_fma_f64 v[76:77], v[10:11], v[76:77], s[64:65]
	v_mul_f64 v[78:79], v[84:85], -v[10:11]
	v_mul_f64 v[80:81], v[86:87], 0.5
	v_fmac_f64_e32 v[80:81], v[78:79], v[76:77]
	v_fma_f64 v[10:11], v[10:11], v[80:81], -v[86:87]
	v_fmac_f64_e32 v[10:11], s[92:93], v[78:79]
	v_and_b32_e32 v23, 1, v99
	v_add_f64 v[10:11], v[84:85], -v[10:11]
	v_cmp_eq_u32_e64 s[10:11], 0, v23
	v_xor_b32_e32 v11, 0x80000000, v11
	v_cndmask_b32_e64 v10, v10, v12, s[10:11]
	v_lshlrev_b32_e32 v12, 30, v99
	v_cndmask_b32_e64 v11, v11, v13, s[10:11]
	v_and_b32_e32 v12, 0x80000000, v12
	v_xor_b32_e32 v11, v11, v12
	v_cndmask_b32_e32 v2, 0, v2, vcc
	v_cndmask_b32_e32 v3, v96, v3, vcc
	;; [unrolled: 1-line block ×4, first 2 shown]
	v_mul_f64 v[10:11], v[2:3], v[10:11]
.LBB100_48:                             ;   in Loop: Header=BB100_4 Depth=1
	s_or_b64 exec, exec, s[58:59]
	v_add_co_u32_e32 v4, vcc, 0, v4
	v_bfi_b32 v23, s73, 0, v11
	v_addc_co_u32_e32 v5, vcc, -2.0, v5, vcc
	v_pk_mov_b32 v[2:3], v[22:23], v[22:23] op_sel:[0,1]
.LBB100_49:                             ;   in Loop: Header=BB100_4 Depth=1
	s_or_b64 exec, exec, s[44:45]
.LBB100_50:                             ;   in Loop: Header=BB100_4 Depth=1
	s_or_b64 exec, exec, s[14:15]
	v_xor_b32_e32 v13, 0x80000000, v21
	v_and_b32_e32 v10, 0x7fffffff, v13
	v_mov_b32_e32 v12, v20
	v_cmp_gt_u32_e32 vcc, s94, v10
	s_and_saveexec_b64 s[10:11], vcc
	s_xor_b64 s[14:15], exec, s[10:11]
	s_cbranch_execz .LBB100_72
; %bb.51:                               ;   in Loop: Header=BB100_4 Depth=1
	v_cmp_class_f64_e64 s[10:11], v[18:19], s95
	s_and_saveexec_b64 s[44:45], s[10:11]
	s_xor_b64 s[44:45], exec, s[44:45]
	s_cbranch_execz .LBB100_69
; %bb.52:                               ;   in Loop: Header=BB100_4 Depth=1
	s_mov_b32 s10, 0x40360000
	v_cmp_gt_u32_e32 vcc, s10, v10
	s_and_saveexec_b64 s[10:11], vcc
	s_xor_b64 s[58:59], exec, s[10:11]
	s_cbranch_execz .LBB100_58
; %bb.53:                               ;   in Loop: Header=BB100_4 Depth=1
	v_cmp_nlt_f64_e64 s[10:11], |v[18:19]|, s[22:23]
                                        ; implicit-def: $vgpr12
                                        ; implicit-def: $vgpr10_vgpr11
                                        ; implicit-def: $vgpr76_vgpr77
	s_and_saveexec_b64 s[60:61], s[10:11]
	s_xor_b64 s[60:61], exec, s[60:61]
	s_cbranch_execz .LBB100_55
; %bb.54:                               ;   in Loop: Header=BB100_4 Depth=1
	v_and_b32_e32 v12, 0x7fffffff, v19
	v_ldexp_f64 v[78:79], |v[18:19]|, s17
	v_cmp_ge_f64_e64 vcc, |v[18:19]|, s[24:25]
	v_trig_preop_f64 v[10:11], |v[18:19]|, 0
	v_cndmask_b32_e32 v79, v12, v79, vcc
	v_cndmask_b32_e32 v78, v18, v78, vcc
	v_trig_preop_f64 v[76:77], |v[18:19]|, 1
	v_mul_f64 v[82:83], v[10:11], v[78:79]
	v_mul_f64 v[80:81], v[76:77], v[78:79]
	v_fma_f64 v[10:11], v[10:11], v[78:79], -v[82:83]
	v_add_f64 v[84:85], v[80:81], v[10:11]
	v_add_f64 v[86:87], v[82:83], v[84:85]
	v_ldexp_f64 v[98:99], v[86:87], -2
	v_fract_f64_e32 v[100:101], v[98:99]
	v_cmp_neq_f64_e64 vcc, |v[98:99]|, s[26:27]
	v_cndmask_b32_e32 v99, 0, v101, vcc
	v_cndmask_b32_e32 v98, 0, v100, vcc
	v_add_f64 v[100:101], v[84:85], -v[80:81]
	v_add_f64 v[10:11], v[10:11], -v[100:101]
	;; [unrolled: 1-line block ×4, first 2 shown]
	v_fma_f64 v[76:77], v[76:77], v[78:79], -v[80:81]
	v_trig_preop_f64 v[80:81], |v[18:19]|, 2
	v_add_f64 v[10:11], v[10:11], v[100:101]
	v_mul_f64 v[100:101], v[80:81], v[78:79]
	v_add_f64 v[102:103], v[100:101], v[76:77]
	v_add_f64 v[104:105], v[102:103], v[10:11]
	v_add_f64 v[82:83], v[86:87], -v[82:83]
	v_add_f64 v[86:87], v[104:105], -v[102:103]
	;; [unrolled: 1-line block ×5, first 2 shown]
	v_add_f64 v[10:11], v[10:11], v[86:87]
	v_add_f64 v[86:87], v[102:103], -v[100:101]
	v_add_f64 v[76:77], v[76:77], -v[86:87]
	;; [unrolled: 1-line block ×4, first 2 shown]
	v_add_f64 v[76:77], v[76:77], v[86:87]
	v_add_f64 v[82:83], v[84:85], -v[82:83]
	v_add_f64 v[10:11], v[76:77], v[10:11]
	v_fma_f64 v[76:77], v[80:81], v[78:79], -v[100:101]
	v_add_f64 v[84:85], v[82:83], v[104:105]
	v_add_f64 v[10:11], v[76:77], v[10:11]
	v_ldexp_f64 v[76:77], v[98:99], 2
	v_add_f64 v[78:79], v[84:85], v[76:77]
	v_cmp_gt_f64_e32 vcc, 0, v[78:79]
	v_cndmask_b32_e32 v23, 0, v92, vcc
	v_add_f64 v[76:77], v[76:77], v[22:23]
	v_add_f64 v[78:79], v[84:85], v[76:77]
	v_cvt_i32_f64_e32 v12, v[78:79]
	v_cvt_f64_i32_e32 v[78:79], v12
	v_add_f64 v[76:77], v[76:77], -v[78:79]
	v_add_f64 v[82:83], v[84:85], -v[82:83]
	v_add_f64 v[78:79], v[84:85], v[76:77]
	v_add_f64 v[82:83], v[104:105], -v[82:83]
	v_add_f64 v[76:77], v[78:79], -v[76:77]
	v_cmp_le_f64_e32 vcc, 0.5, v[78:79]
	v_add_f64 v[10:11], v[82:83], v[10:11]
	v_add_f64 v[76:77], v[84:85], -v[76:77]
	v_cndmask_b32_e32 v23, 0, v93, vcc
	v_add_f64 v[10:11], v[10:11], v[76:77]
	v_add_f64 v[76:77], v[78:79], -v[22:23]
	v_add_f64 v[78:79], v[76:77], v[10:11]
	v_add_f64 v[76:77], v[78:79], -v[76:77]
	s_mov_b32 s28, s30
	v_add_f64 v[10:11], v[10:11], -v[76:77]
	v_mul_f64 v[76:77], v[78:79], s[28:29]
	v_fma_f64 v[80:81], v[78:79], s[28:29], -v[76:77]
	s_mov_b32 s37, s35
	v_fmac_f64_e32 v[80:81], s[36:37], v[78:79]
	v_fmac_f64_e32 v[80:81], s[28:29], v[10:11]
	v_add_f64 v[10:11], v[76:77], v[80:81]
	v_add_f64 v[76:77], v[10:11], -v[76:77]
	v_addc_co_u32_e64 v12, s[10:11], 0, v12, vcc
	v_add_f64 v[76:77], v[80:81], -v[76:77]
.LBB100_55:                             ;   in Loop: Header=BB100_4 Depth=1
	s_andn2_saveexec_b64 s[10:11], s[60:61]
	s_cbranch_execz .LBB100_57
; %bb.56:                               ;   in Loop: Header=BB100_4 Depth=1
	v_mul_f64 v[10:11], |v[18:19]|, s[38:39]
	v_rndne_f64_e32 v[78:79], v[10:11]
	v_fma_f64 v[10:11], v[78:79], s[30:31], |v[18:19]|
	v_mul_f64 v[80:81], v[78:79], s[40:41]
	v_add_f64 v[84:85], v[10:11], v[80:81]
	v_fma_f64 v[76:77], s[40:41], v[78:79], v[10:11]
	s_mov_b32 s34, s40
	v_add_f64 v[10:11], v[10:11], -v[84:85]
	v_fma_f64 v[82:83], s[34:35], v[78:79], v[80:81]
	v_add_f64 v[10:11], v[10:11], v[80:81]
	v_add_f64 v[80:81], v[84:85], -v[76:77]
	v_add_f64 v[10:11], v[80:81], v[10:11]
	v_add_f64 v[80:81], v[10:11], -v[82:83]
	v_fmac_f64_e32 v[80:81], s[42:43], v[78:79]
	v_add_f64 v[10:11], v[76:77], v[80:81]
	v_add_f64 v[76:77], v[10:11], -v[76:77]
	v_add_f64 v[76:77], v[80:81], -v[76:77]
	v_cvt_i32_f64_e32 v12, v[78:79]
.LBB100_57:                             ;   in Loop: Header=BB100_4 Depth=1
	s_or_b64 exec, exec, s[10:11]
	v_mul_f64 v[78:79], v[10:11], v[10:11]
	v_fma_f64 v[80:81], v[10:11], v[10:11], -v[78:79]
	v_add_f64 v[82:83], v[76:77], v[76:77]
	v_fmac_f64_e32 v[80:81], v[10:11], v[82:83]
	s_mov_b32 s10, 0xc751c08c
	v_add_f64 v[78:79], v[78:79], v[80:81]
	v_pk_mov_b32 v[80:81], v[32:33], v[32:33] op_sel:[0,1]
	s_mov_b32 s11, 0x3ef5e089
	v_fmac_f64_e32 v[80:81], s[10:11], v[78:79]
	v_pk_mov_b32 v[82:83], v[34:35], v[34:35] op_sel:[0,1]
	v_fmac_f64_e32 v[82:83], v[78:79], v[80:81]
	v_pk_mov_b32 v[80:81], v[36:37], v[36:37] op_sel:[0,1]
	;; [unrolled: 2-line block ×12, first 2 shown]
	v_fmac_f64_e32 v[80:81], v[78:79], v[82:83]
	v_mul_f64 v[78:79], v[78:79], v[80:81]
	v_mul_f64 v[80:81], v[10:11], v[78:79]
	v_add_f64 v[82:83], v[10:11], v[80:81]
	v_fma_f64 v[78:79], v[10:11], v[78:79], -v[80:81]
	v_add_f64 v[10:11], v[82:83], -v[10:11]
	v_add_f64 v[10:11], v[80:81], -v[10:11]
	v_add_f64 v[76:77], v[76:77], v[78:79]
	v_add_f64 v[10:11], v[76:77], v[10:11]
	;; [unrolled: 1-line block ×3, first 2 shown]
	v_rcp_f64_e32 v[78:79], v[76:77]
	v_add_f64 v[80:81], v[76:77], -v[82:83]
	v_add_f64 v[10:11], v[10:11], -v[80:81]
	v_and_b32_e32 v12, 1, v12
	v_fma_f64 v[80:81], -v[76:77], v[78:79], 1.0
	v_fmac_f64_e32 v[78:79], v[80:81], v[78:79]
	v_fma_f64 v[80:81], -v[76:77], v[78:79], 1.0
	v_fmac_f64_e32 v[78:79], v[80:81], v[78:79]
	v_mul_f64 v[80:81], v[76:77], v[78:79]
	v_fma_f64 v[82:83], v[78:79], v[76:77], -v[80:81]
	v_fmac_f64_e32 v[82:83], v[78:79], v[10:11]
	v_add_f64 v[10:11], v[80:81], v[82:83]
	v_add_f64 v[84:85], -v[10:11], 1.0
	v_add_f64 v[80:81], v[10:11], -v[80:81]
	v_add_f64 v[86:87], -v[84:85], 1.0
	v_add_f64 v[10:11], v[86:87], -v[10:11]
	v_add_f64 v[80:81], v[80:81], -v[82:83]
	v_add_f64 v[10:11], v[80:81], v[10:11]
	v_add_f64 v[10:11], v[84:85], v[10:11]
	v_mul_f64 v[10:11], v[78:79], v[10:11]
	v_add_f64 v[10:11], v[78:79], v[10:11]
	v_xor_b32_e32 v11, 0x80000000, v11
	v_cmp_eq_u32_e32 vcc, 0, v12
	v_cndmask_b32_e32 v10, v10, v76, vcc
	v_cndmask_b32_e32 v11, v11, v77, vcc
	v_add_f64 v[76:77], |v[20:21]|, s[46:47]
	v_add_f64 v[78:79], v[76:77], -|v[20:21]|
	v_add_f64 v[80:81], v[78:79], -v[76:77]
	s_mov_b32 s48, s46
	v_add_f64 v[80:81], |v[20:21]|, v[80:81]
	v_add_f64 v[78:79], v[78:79], s[48:49]
	v_add_f64 v[78:79], v[80:81], -v[78:79]
	v_add_f64 v[78:79], v[78:79], s[50:51]
	v_add_f64 v[80:81], v[76:77], v[78:79]
	v_add_f64 v[76:77], v[76:77], -v[80:81]
	s_mov_b32 s52, s54
	v_add_f64 v[76:77], v[78:79], v[76:77]
	v_mul_f64 v[78:79], v[80:81], s[52:53]
	v_rndne_f64_e32 v[78:79], v[78:79]
	s_mov_b32 s57, s47
	v_fmac_f64_e32 v[80:81], s[56:57], v[78:79]
	v_add_f64 v[82:83], v[76:77], v[80:81]
	s_mov_b32 s10, 0xf278e000
	v_add_f64 v[80:81], v[80:81], -v[82:83]
	s_mov_b32 s11, 0xbd53de6a
	v_add_f64 v[76:77], v[76:77], v[80:81]
	v_mul_f64 v[80:81], v[78:79], s[10:11]
	v_add_f64 v[84:85], v[82:83], v[80:81]
	v_add_f64 v[82:83], v[82:83], -v[84:85]
	v_add_f64 v[80:81], v[82:83], v[80:81]
	v_add_f64 v[76:77], v[76:77], v[80:81]
	;; [unrolled: 1-line block ×3, first 2 shown]
	s_mov_b32 s10, 0xf97b57a0
	v_add_f64 v[82:83], v[84:85], -v[80:81]
	s_mov_b32 s11, 0xbac9cc01
	v_add_f64 v[76:77], v[76:77], v[82:83]
	v_mul_f64 v[82:83], v[78:79], s[10:11]
	v_add_f64 v[84:85], v[80:81], v[82:83]
	v_add_f64 v[80:81], v[80:81], -v[84:85]
	v_add_f64 v[80:81], v[80:81], v[82:83]
	v_add_f64 v[76:77], v[76:77], v[80:81]
	;; [unrolled: 1-line block ×3, first 2 shown]
	v_add_f64 v[82:83], v[84:85], -v[80:81]
	v_add_f64 v[76:77], v[76:77], v[82:83]
	v_pk_mov_b32 v[82:83], v[58:59], v[58:59] op_sel:[0,1]
	v_fmac_f64_e32 v[82:83], s[62:63], v[80:81]
	v_pk_mov_b32 v[84:85], v[60:61], v[60:61] op_sel:[0,1]
	v_fmac_f64_e32 v[84:85], v[80:81], v[82:83]
	;; [unrolled: 2-line block ×9, first 2 shown]
	v_mul_f64 v[84:85], v[80:81], v[80:81]
	v_fma_f64 v[86:87], v[80:81], v[80:81], -v[84:85]
	v_add_f64 v[98:99], v[76:77], v[76:77]
	v_fmac_f64_e32 v[86:87], v[80:81], v[98:99]
	v_add_f64 v[98:99], v[84:85], v[86:87]
	v_add_f64 v[84:85], v[98:99], -v[84:85]
	v_add_f64 v[84:85], v[86:87], -v[84:85]
	v_mul_f64 v[86:87], v[98:99], v[82:83]
	v_fma_f64 v[98:99], v[98:99], v[82:83], -v[86:87]
	v_fmac_f64_e32 v[98:99], v[84:85], v[82:83]
	v_add_f64 v[82:83], v[86:87], v[98:99]
	v_add_f64 v[84:85], v[82:83], -v[86:87]
	v_add_f64 v[86:87], v[80:81], v[82:83]
	v_add_f64 v[84:85], v[98:99], -v[84:85]
	v_add_f64 v[80:81], v[86:87], -v[80:81]
	v_add_f64 v[80:81], v[82:83], -v[80:81]
	v_add_f64 v[76:77], v[76:77], v[84:85]
	v_add_f64 v[76:77], v[76:77], v[80:81]
	;; [unrolled: 1-line block ×3, first 2 shown]
	v_add_f64 v[82:83], v[80:81], -v[86:87]
	v_add_f64 v[76:77], v[76:77], -v[82:83]
	v_add_f64 v[82:83], v[80:81], 1.0
	v_add_f64 v[84:85], v[82:83], -1.0
	v_add_f64 v[80:81], v[80:81], -v[84:85]
	v_add_f64 v[76:77], v[76:77], v[80:81]
	v_add_f64 v[80:81], v[82:83], v[76:77]
	v_cvt_i32_f64_e32 v12, v[78:79]
	v_ldexp_f64 v[78:79], v[80:81], v12
	v_rcp_f64_e32 v[84:85], v[78:79]
	v_add_f64 v[80:81], v[80:81], -v[82:83]
	v_add_f64 v[76:77], v[76:77], -v[80:81]
	v_ldexp_f64 v[76:77], v[76:77], v12
	v_fma_f64 v[80:81], -v[78:79], v[84:85], 1.0
	v_fmac_f64_e32 v[84:85], v[80:81], v[84:85]
	v_fma_f64 v[80:81], -v[78:79], v[84:85], 1.0
	v_fmac_f64_e32 v[84:85], v[80:81], v[84:85]
	v_mul_f64 v[80:81], v[78:79], v[84:85]
	v_fma_f64 v[82:83], v[84:85], v[78:79], -v[80:81]
	v_fmac_f64_e32 v[82:83], v[84:85], v[76:77]
	v_add_f64 v[86:87], v[80:81], v[82:83]
	v_add_f64 v[98:99], -v[86:87], 1.0
	v_add_f64 v[80:81], v[86:87], -v[80:81]
	v_add_f64 v[100:101], -v[98:99], 1.0
	v_add_f64 v[86:87], v[100:101], -v[86:87]
	v_add_f64 v[80:81], v[80:81], -v[82:83]
	v_add_f64 v[80:81], v[80:81], v[86:87]
	v_add_f64 v[82:83], v[98:99], v[80:81]
	v_add_f64 v[86:87], v[98:99], -v[82:83]
	v_add_f64 v[80:81], v[80:81], v[86:87]
	v_mul_f64 v[86:87], v[84:85], v[82:83]
	v_mul_f64 v[98:99], v[78:79], v[86:87]
	v_fma_f64 v[100:101], v[86:87], v[78:79], -v[98:99]
	v_fmac_f64_e32 v[100:101], v[86:87], v[76:77]
	v_add_f64 v[102:103], v[98:99], v[100:101]
	v_add_f64 v[104:105], v[82:83], -v[102:103]
	v_add_f64 v[82:83], v[82:83], -v[104:105]
	;; [unrolled: 1-line block ×4, first 2 shown]
	v_add_f64 v[80:81], v[80:81], v[82:83]
	v_add_f64 v[82:83], v[98:99], -v[100:101]
	v_add_f64 v[80:81], v[82:83], v[80:81]
	v_add_f64 v[80:81], v[104:105], v[80:81]
	;; [unrolled: 1-line block ×3, first 2 shown]
	v_mul_f64 v[80:81], v[84:85], v[80:81]
	v_add_f64 v[84:85], v[82:83], -v[84:85]
	v_add_f64 v[84:85], v[86:87], -v[84:85]
	v_add_f64 v[80:81], v[84:85], v[80:81]
	v_add_f64 v[84:85], v[82:83], v[80:81]
	v_add_f64 v[82:83], v[84:85], -v[82:83]
	v_add_f64 v[80:81], v[80:81], -v[82:83]
	v_ldexp_f64 v[82:83], v[84:85], -2
	v_add_f64 v[84:85], v[78:79], -v[82:83]
	v_add_f64 v[78:79], v[78:79], -v[84:85]
	;; [unrolled: 1-line block ×3, first 2 shown]
	s_mov_b32 s10, 0x8fb9f87e
	v_ldexp_f64 v[80:81], v[80:81], -2
	v_add_f64 v[76:77], v[76:77], v[78:79]
	s_mov_b32 s11, 0x408633ce
	v_add_f64 v[76:77], v[76:77], -v[80:81]
	v_cmp_nge_f64_e64 vcc, |v[20:21]|, s[10:11]
	s_mov_b32 s10, 0
	v_add_f64 v[76:77], v[84:85], v[76:77]
	s_mov_b32 s11, 0x3e400000
	v_and_b32_e32 v18, 0x7fffffff, v21
	v_cndmask_b32_e32 v23, v94, v77, vcc
	v_cndmask_b32_e32 v12, 0, v76, vcc
	v_cmp_lt_f64_e64 vcc, |v[20:21]|, s[10:11]
	v_cndmask_b32_e32 v18, v23, v18, vcc
	v_cndmask_b32_e32 v12, v12, v20, vcc
	v_bfi_b32 v13, s73, v18, v13
	s_mov_b32 s10, 0
	v_fma_f64 v[20:21], v[12:13], v[12:13], 1.0
	s_brev_b32 s11, 8
	v_cmp_gt_f64_e32 vcc, s[10:11], v[20:21]
	v_cndmask_b32_e64 v18, 0, 1, vcc
	v_lshlrev_b32_e32 v18, 8, v18
	v_ldexp_f64 v[20:21], v[20:21], v18
	v_rsq_f64_e32 v[76:77], v[20:21]
	v_and_b32_e32 v18, 0x80000000, v19
	v_cndmask_b32_e32 v23, 0, v95, vcc
	v_xor_b32_e32 v11, v11, v18
	v_mul_f64 v[78:79], v[20:21], v[76:77]
	v_mul_f64 v[76:77], v[76:77], 0.5
	v_fma_f64 v[80:81], -v[76:77], v[78:79], 0.5
	v_fmac_f64_e32 v[78:79], v[78:79], v[80:81]
	v_fma_f64 v[82:83], -v[78:79], v[78:79], v[20:21]
	v_fmac_f64_e32 v[76:77], v[76:77], v[80:81]
	v_fmac_f64_e32 v[78:79], v[82:83], v[76:77]
	v_fma_f64 v[80:81], -v[78:79], v[78:79], v[20:21]
	v_fmac_f64_e32 v[78:79], v[80:81], v[76:77]
	v_ldexp_f64 v[76:77], v[78:79], v23
	v_cmp_class_f64_e32 vcc, v[20:21], v91
	v_fma_f64 v[18:19], v[10:11], v[10:11], 1.0
	v_cndmask_b32_e32 v21, v77, v21, vcc
	v_cndmask_b32_e32 v20, v76, v20, vcc
	v_mul_f64 v[76:77], v[12:13], v[18:19]
	v_mul_f64 v[18:19], v[20:21], v[18:19]
	v_fma_f64 v[76:77], v[12:13], v[76:77], 1.0
	v_mul_f64 v[12:13], v[12:13], v[18:19]
	v_div_scale_f64 v[18:19], s[10:11], v[76:77], v[76:77], v[12:13]
	v_rcp_f64_e32 v[20:21], v[18:19]
	v_fma_f64 v[78:79], -v[18:19], v[20:21], 1.0
	v_fmac_f64_e32 v[20:21], v[20:21], v[78:79]
	v_fma_f64 v[78:79], -v[18:19], v[20:21], 1.0
	v_fmac_f64_e32 v[20:21], v[20:21], v[78:79]
	v_div_scale_f64 v[78:79], vcc, v[12:13], v[76:77], v[12:13]
	v_mul_f64 v[80:81], v[78:79], v[20:21]
	v_fma_f64 v[18:19], -v[18:19], v[80:81], v[78:79]
	v_div_scale_f64 v[78:79], s[10:11], v[76:77], v[76:77], v[10:11]
	v_rcp_f64_e32 v[82:83], v[78:79]
	v_div_fmas_f64 v[18:19], v[18:19], v[20:21], v[80:81]
	v_div_fixup_f64 v[12:13], v[18:19], v[76:77], v[12:13]
	v_fma_f64 v[18:19], -v[78:79], v[82:83], 1.0
	v_fmac_f64_e32 v[82:83], v[82:83], v[18:19]
	v_fma_f64 v[18:19], -v[78:79], v[82:83], 1.0
	v_fmac_f64_e32 v[82:83], v[82:83], v[18:19]
	v_div_scale_f64 v[18:19], vcc, v[10:11], v[76:77], v[10:11]
	v_mul_f64 v[20:21], v[18:19], v[82:83]
	v_fma_f64 v[18:19], -v[78:79], v[20:21], v[18:19]
	s_nop 1
	v_div_fmas_f64 v[18:19], v[18:19], v[82:83], v[20:21]
	v_div_fixup_f64 v[10:11], v[18:19], v[76:77], v[10:11]
                                        ; implicit-def: $vgpr18_vgpr19
.LBB100_58:                             ;   in Loop: Header=BB100_4 Depth=1
	s_andn2_saveexec_b64 s[58:59], s[58:59]
	s_cbranch_execz .LBB100_68
; %bb.59:                               ;   in Loop: Header=BB100_4 Depth=1
	v_cmp_nlt_f64_e64 s[60:61], |v[18:19]|, s[22:23]
                                        ; implicit-def: $vgpr12
                                        ; implicit-def: $vgpr10_vgpr11
                                        ; implicit-def: $vgpr76_vgpr77
	s_and_saveexec_b64 s[10:11], s[60:61]
	s_xor_b64 s[68:69], exec, s[10:11]
	s_cbranch_execz .LBB100_61
; %bb.60:                               ;   in Loop: Header=BB100_4 Depth=1
	v_and_b32_e32 v12, 0x7fffffff, v19
	v_ldexp_f64 v[78:79], |v[18:19]|, s17
	v_cmp_ge_f64_e64 vcc, |v[18:19]|, s[24:25]
	v_trig_preop_f64 v[10:11], |v[18:19]|, 0
	v_cndmask_b32_e32 v79, v12, v79, vcc
	v_cndmask_b32_e32 v78, v18, v78, vcc
	v_trig_preop_f64 v[76:77], |v[18:19]|, 1
	v_mul_f64 v[82:83], v[10:11], v[78:79]
	v_mul_f64 v[80:81], v[76:77], v[78:79]
	v_fma_f64 v[10:11], v[10:11], v[78:79], -v[82:83]
	v_add_f64 v[84:85], v[80:81], v[10:11]
	v_add_f64 v[86:87], v[82:83], v[84:85]
	v_ldexp_f64 v[98:99], v[86:87], -2
	v_fract_f64_e32 v[100:101], v[98:99]
	v_cmp_neq_f64_e64 vcc, |v[98:99]|, s[26:27]
	v_cndmask_b32_e32 v99, 0, v101, vcc
	v_cndmask_b32_e32 v98, 0, v100, vcc
	v_add_f64 v[100:101], v[84:85], -v[80:81]
	v_add_f64 v[10:11], v[10:11], -v[100:101]
	;; [unrolled: 1-line block ×4, first 2 shown]
	v_fma_f64 v[76:77], v[76:77], v[78:79], -v[80:81]
	v_trig_preop_f64 v[80:81], |v[18:19]|, 2
	v_add_f64 v[10:11], v[10:11], v[100:101]
	v_mul_f64 v[100:101], v[80:81], v[78:79]
	v_add_f64 v[102:103], v[100:101], v[76:77]
	v_add_f64 v[104:105], v[102:103], v[10:11]
	v_add_f64 v[82:83], v[86:87], -v[82:83]
	v_add_f64 v[86:87], v[104:105], -v[102:103]
	;; [unrolled: 1-line block ×5, first 2 shown]
	v_add_f64 v[10:11], v[10:11], v[86:87]
	v_add_f64 v[86:87], v[102:103], -v[100:101]
	v_add_f64 v[76:77], v[76:77], -v[86:87]
	;; [unrolled: 1-line block ×4, first 2 shown]
	v_add_f64 v[76:77], v[76:77], v[86:87]
	v_add_f64 v[82:83], v[84:85], -v[82:83]
	v_add_f64 v[10:11], v[76:77], v[10:11]
	v_fma_f64 v[76:77], v[80:81], v[78:79], -v[100:101]
	v_add_f64 v[84:85], v[82:83], v[104:105]
	v_add_f64 v[10:11], v[76:77], v[10:11]
	v_ldexp_f64 v[76:77], v[98:99], 2
	v_add_f64 v[78:79], v[84:85], v[76:77]
	v_cmp_gt_f64_e32 vcc, 0, v[78:79]
	v_cndmask_b32_e32 v23, 0, v92, vcc
	v_add_f64 v[76:77], v[76:77], v[22:23]
	v_add_f64 v[78:79], v[84:85], v[76:77]
	v_cvt_i32_f64_e32 v12, v[78:79]
	v_cvt_f64_i32_e32 v[78:79], v12
	v_add_f64 v[76:77], v[76:77], -v[78:79]
	v_add_f64 v[82:83], v[84:85], -v[82:83]
	v_add_f64 v[78:79], v[84:85], v[76:77]
	v_add_f64 v[82:83], v[104:105], -v[82:83]
	v_add_f64 v[76:77], v[78:79], -v[76:77]
	v_cmp_le_f64_e32 vcc, 0.5, v[78:79]
	v_add_f64 v[10:11], v[82:83], v[10:11]
	v_add_f64 v[76:77], v[84:85], -v[76:77]
	v_cndmask_b32_e32 v23, 0, v93, vcc
	v_add_f64 v[10:11], v[10:11], v[76:77]
	v_add_f64 v[76:77], v[78:79], -v[22:23]
	v_add_f64 v[78:79], v[76:77], v[10:11]
	v_add_f64 v[76:77], v[78:79], -v[76:77]
	s_mov_b32 s28, s30
	v_add_f64 v[10:11], v[10:11], -v[76:77]
	v_mul_f64 v[76:77], v[78:79], s[28:29]
	v_fma_f64 v[80:81], v[78:79], s[28:29], -v[76:77]
	s_mov_b32 s37, s35
	v_fmac_f64_e32 v[80:81], s[36:37], v[78:79]
	v_fmac_f64_e32 v[80:81], s[28:29], v[10:11]
	v_add_f64 v[10:11], v[76:77], v[80:81]
	v_add_f64 v[76:77], v[10:11], -v[76:77]
	v_addc_co_u32_e64 v12, s[10:11], 0, v12, vcc
	v_add_f64 v[76:77], v[80:81], -v[76:77]
	s_andn2_saveexec_b64 s[10:11], s[68:69]
	s_cbranch_execz .LBB100_63
	s_branch .LBB100_62
.LBB100_61:                             ;   in Loop: Header=BB100_4 Depth=1
	s_andn2_saveexec_b64 s[10:11], s[68:69]
	s_cbranch_execz .LBB100_63
.LBB100_62:                             ;   in Loop: Header=BB100_4 Depth=1
	v_mul_f64 v[10:11], |v[18:19]|, s[38:39]
	v_rndne_f64_e32 v[78:79], v[10:11]
	v_fma_f64 v[10:11], v[78:79], s[30:31], |v[18:19]|
	v_mul_f64 v[80:81], v[78:79], s[40:41]
	v_add_f64 v[84:85], v[10:11], v[80:81]
	v_fma_f64 v[76:77], s[40:41], v[78:79], v[10:11]
	s_mov_b32 s34, s40
	v_add_f64 v[10:11], v[10:11], -v[84:85]
	v_fma_f64 v[82:83], s[34:35], v[78:79], v[80:81]
	v_add_f64 v[10:11], v[10:11], v[80:81]
	v_add_f64 v[80:81], v[84:85], -v[76:77]
	v_add_f64 v[10:11], v[80:81], v[10:11]
	v_add_f64 v[80:81], v[10:11], -v[82:83]
	v_fmac_f64_e32 v[80:81], s[42:43], v[78:79]
	v_add_f64 v[10:11], v[76:77], v[80:81]
	v_add_f64 v[76:77], v[10:11], -v[76:77]
	v_add_f64 v[76:77], v[80:81], -v[76:77]
	v_cvt_i32_f64_e32 v12, v[78:79]
.LBB100_63:                             ;   in Loop: Header=BB100_4 Depth=1
	s_or_b64 exec, exec, s[10:11]
                                        ; implicit-def: $vgpr82
                                        ; implicit-def: $vgpr78_vgpr79
                                        ; implicit-def: $vgpr80_vgpr81
	s_and_saveexec_b64 s[10:11], s[60:61]
	s_xor_b64 s[60:61], exec, s[10:11]
	s_cbranch_execz .LBB100_65
; %bb.64:                               ;   in Loop: Header=BB100_4 Depth=1
	v_and_b32_e32 v23, 0x7fffffff, v19
	v_ldexp_f64 v[82:83], |v[18:19]|, s17
	v_cmp_ge_f64_e64 vcc, |v[18:19]|, s[24:25]
	v_trig_preop_f64 v[78:79], |v[18:19]|, 0
	v_cndmask_b32_e32 v83, v23, v83, vcc
	v_cndmask_b32_e32 v82, v18, v82, vcc
	v_trig_preop_f64 v[80:81], |v[18:19]|, 1
	v_mul_f64 v[86:87], v[78:79], v[82:83]
	v_mul_f64 v[84:85], v[80:81], v[82:83]
	v_fma_f64 v[78:79], v[78:79], v[82:83], -v[86:87]
	v_add_f64 v[98:99], v[84:85], v[78:79]
	v_add_f64 v[100:101], v[86:87], v[98:99]
	v_ldexp_f64 v[102:103], v[100:101], -2
	v_fract_f64_e32 v[104:105], v[102:103]
	v_cmp_neq_f64_e64 vcc, |v[102:103]|, s[26:27]
	v_cndmask_b32_e32 v103, 0, v105, vcc
	v_cndmask_b32_e32 v102, 0, v104, vcc
	v_add_f64 v[104:105], v[98:99], -v[84:85]
	v_add_f64 v[78:79], v[78:79], -v[104:105]
	;; [unrolled: 1-line block ×4, first 2 shown]
	v_fma_f64 v[80:81], v[80:81], v[82:83], -v[84:85]
	v_trig_preop_f64 v[84:85], |v[18:19]|, 2
	v_add_f64 v[78:79], v[78:79], v[104:105]
	v_mul_f64 v[104:105], v[84:85], v[82:83]
	v_add_f64 v[106:107], v[104:105], v[80:81]
	v_add_f64 v[108:109], v[106:107], v[78:79]
	v_add_f64 v[86:87], v[100:101], -v[86:87]
	v_add_f64 v[100:101], v[108:109], -v[106:107]
	;; [unrolled: 1-line block ×5, first 2 shown]
	v_add_f64 v[78:79], v[78:79], v[100:101]
	v_add_f64 v[100:101], v[106:107], -v[104:105]
	v_add_f64 v[80:81], v[80:81], -v[100:101]
	;; [unrolled: 1-line block ×4, first 2 shown]
	v_add_f64 v[80:81], v[80:81], v[100:101]
	v_add_f64 v[86:87], v[98:99], -v[86:87]
	v_add_f64 v[78:79], v[80:81], v[78:79]
	v_fma_f64 v[80:81], v[84:85], v[82:83], -v[104:105]
	v_add_f64 v[98:99], v[86:87], v[108:109]
	v_add_f64 v[78:79], v[80:81], v[78:79]
	v_ldexp_f64 v[80:81], v[102:103], 2
	v_add_f64 v[82:83], v[98:99], v[80:81]
	v_cmp_gt_f64_e32 vcc, 0, v[82:83]
	v_cndmask_b32_e32 v23, 0, v92, vcc
	v_add_f64 v[80:81], v[80:81], v[22:23]
	v_add_f64 v[82:83], v[98:99], v[80:81]
	v_cvt_i32_f64_e32 v23, v[82:83]
	v_cvt_f64_i32_e32 v[82:83], v23
	v_add_f64 v[80:81], v[80:81], -v[82:83]
	v_add_f64 v[86:87], v[98:99], -v[86:87]
	v_add_f64 v[84:85], v[98:99], v[80:81]
	v_add_f64 v[86:87], v[108:109], -v[86:87]
	v_add_f64 v[80:81], v[84:85], -v[80:81]
	v_cmp_le_f64_e32 vcc, 0.5, v[84:85]
	v_add_f64 v[78:79], v[86:87], v[78:79]
	v_add_f64 v[80:81], v[98:99], -v[80:81]
	v_addc_co_u32_e64 v82, s[10:11], 0, v23, vcc
	v_cndmask_b32_e32 v23, 0, v93, vcc
	v_add_f64 v[78:79], v[78:79], v[80:81]
	v_add_f64 v[80:81], v[84:85], -v[22:23]
	v_add_f64 v[84:85], v[80:81], v[78:79]
	v_add_f64 v[80:81], v[84:85], -v[80:81]
	s_mov_b32 s28, s30
	v_add_f64 v[78:79], v[78:79], -v[80:81]
	v_mul_f64 v[80:81], v[84:85], s[28:29]
	v_fma_f64 v[86:87], v[84:85], s[28:29], -v[80:81]
	s_mov_b32 s37, s35
	v_fmac_f64_e32 v[86:87], s[36:37], v[84:85]
	v_fmac_f64_e32 v[86:87], s[28:29], v[78:79]
	v_add_f64 v[78:79], v[80:81], v[86:87]
	v_add_f64 v[80:81], v[78:79], -v[80:81]
	v_add_f64 v[80:81], v[86:87], -v[80:81]
	s_andn2_saveexec_b64 s[10:11], s[60:61]
	s_cbranch_execnz .LBB100_66
	s_branch .LBB100_67
.LBB100_65:                             ;   in Loop: Header=BB100_4 Depth=1
	s_andn2_saveexec_b64 s[10:11], s[60:61]
	s_cbranch_execz .LBB100_67
.LBB100_66:                             ;   in Loop: Header=BB100_4 Depth=1
	v_mul_f64 v[78:79], |v[18:19]|, s[38:39]
	v_rndne_f64_e32 v[82:83], v[78:79]
	v_fma_f64 v[78:79], v[82:83], s[30:31], |v[18:19]|
	v_mul_f64 v[84:85], v[82:83], s[40:41]
	v_add_f64 v[98:99], v[78:79], v[84:85]
	v_fma_f64 v[80:81], s[40:41], v[82:83], v[78:79]
	s_mov_b32 s34, s40
	v_add_f64 v[78:79], v[78:79], -v[98:99]
	v_fma_f64 v[86:87], s[34:35], v[82:83], v[84:85]
	v_add_f64 v[78:79], v[78:79], v[84:85]
	v_add_f64 v[84:85], v[98:99], -v[80:81]
	v_add_f64 v[78:79], v[84:85], v[78:79]
	v_add_f64 v[84:85], v[78:79], -v[86:87]
	v_fmac_f64_e32 v[84:85], s[42:43], v[82:83]
	v_add_f64 v[78:79], v[80:81], v[84:85]
	v_add_f64 v[80:81], v[78:79], -v[80:81]
	v_add_f64 v[80:81], v[84:85], -v[80:81]
	v_cvt_i32_f64_e32 v82, v[82:83]
.LBB100_67:                             ;   in Loop: Header=BB100_4 Depth=1
	s_or_b64 exec, exec, s[10:11]
	v_mul_f64 v[84:85], v[10:11], v[10:11]
	v_pk_mov_b32 v[102:103], s[74:75], s[74:75] op_sel:[0,1]
	v_mul_f64 v[86:87], v[84:85], 0.5
	v_fma_f64 v[104:105], s[76:77], v[84:85], v[102:103]
	v_add_f64 v[98:99], -v[86:87], 1.0
	v_fma_f64 v[104:105], v[84:85], v[104:105], s[78:79]
	v_add_f64 v[100:101], -v[98:99], 1.0
	v_fma_f64 v[104:105], v[84:85], v[104:105], s[80:81]
	v_add_f64 v[86:87], v[100:101], -v[86:87]
	v_fma_f64 v[104:105], v[84:85], v[104:105], s[82:83]
	v_mul_f64 v[100:101], v[84:85], v[84:85]
	v_fma_f64 v[104:105], v[84:85], v[104:105], s[66:67]
	v_fma_f64 v[86:87], v[10:11], -v[76:77], v[86:87]
	v_fmac_f64_e32 v[86:87], v[100:101], v[104:105]
	v_add_f64 v[86:87], v[98:99], v[86:87]
	v_pk_mov_b32 v[98:99], s[84:85], s[84:85] op_sel:[0,1]
	v_fma_f64 v[100:101], s[86:87], v[84:85], v[98:99]
	v_fma_f64 v[100:101], v[84:85], v[100:101], s[88:89]
	;; [unrolled: 1-line block ×4, first 2 shown]
	v_mul_f64 v[104:105], v[10:11], -v[84:85]
	v_mul_f64 v[106:107], v[76:77], 0.5
	v_fmac_f64_e32 v[106:107], v[104:105], v[100:101]
	v_and_b32_e32 v18, 1, v12
	v_lshlrev_b32_e32 v12, 30, v12
	v_fma_f64 v[76:77], v[84:85], v[106:107], -v[76:77]
	s_mov_b32 s92, s66
	v_cmp_eq_u32_e32 vcc, 0, v18
	v_xor_b32_e32 v12, v12, v19
	v_mul_f64 v[18:19], |v[20:21]|, s[54:55]
	v_fmac_f64_e32 v[76:77], s[92:93], v[104:105]
	v_rndne_f64_e32 v[18:19], v[18:19]
	v_add_f64 v[10:11], v[10:11], -v[76:77]
	v_fma_f64 v[76:77], v[18:19], s[46:47], -|v[20:21]|
	v_fmac_f64_e32 v[76:77], s[50:51], v[18:19]
	v_pk_mov_b32 v[84:85], v[58:59], v[58:59] op_sel:[0,1]
	v_cndmask_b32_e32 v10, v86, v10, vcc
	v_cndmask_b32_e32 v11, v87, v11, vcc
	v_fmac_f64_e32 v[84:85], s[62:63], v[76:77]
	v_pk_mov_b32 v[86:87], v[60:61], v[60:61] op_sel:[0,1]
	v_fmac_f64_e32 v[86:87], v[76:77], v[84:85]
	v_pk_mov_b32 v[84:85], v[62:63], v[62:63] op_sel:[0,1]
	v_fmac_f64_e32 v[84:85], v[76:77], v[86:87]
	v_pk_mov_b32 v[86:87], v[64:65], v[64:65] op_sel:[0,1]
	v_fmac_f64_e32 v[86:87], v[76:77], v[84:85]
	v_pk_mov_b32 v[84:85], v[66:67], v[66:67] op_sel:[0,1]
	v_fmac_f64_e32 v[84:85], v[76:77], v[86:87]
	v_pk_mov_b32 v[86:87], v[68:69], v[68:69] op_sel:[0,1]
	v_fmac_f64_e32 v[86:87], v[76:77], v[84:85]
	v_pk_mov_b32 v[84:85], v[70:71], v[70:71] op_sel:[0,1]
	v_fmac_f64_e32 v[84:85], v[76:77], v[86:87]
	v_pk_mov_b32 v[86:87], v[72:73], v[72:73] op_sel:[0,1]
	v_fmac_f64_e32 v[86:87], v[76:77], v[84:85]
	v_pk_mov_b32 v[84:85], v[74:75], v[74:75] op_sel:[0,1]
	v_fmac_f64_e32 v[84:85], v[76:77], v[86:87]
	v_and_b32_e32 v12, 0x80000000, v12
	v_fma_f64 v[84:85], v[76:77], v[84:85], 1.0
	v_xor_b32_e32 v11, v11, v12
	v_fma_f64 v[76:77], v[76:77], v[84:85], 1.0
	v_cvt_i32_f64_e32 v12, v[18:19]
	s_mov_b32 s10, 0
	v_ldexp_f64 v[18:19], v[76:77], v12
	s_mov_b32 s11, 0x4090cc00
	v_bfi_b32 v23, s73, v93, v13
	v_mul_f64 v[12:13], v[78:79], v[78:79]
	v_cmp_ngt_f64_e64 vcc, |v[20:21]|, s[10:11]
	v_mul_f64 v[20:21], v[12:13], 0.5
	v_fmac_f64_e32 v[102:103], s[76:77], v[12:13]
	v_add_f64 v[76:77], -v[20:21], 1.0
	v_fma_f64 v[86:87], v[12:13], v[102:103], s[78:79]
	v_add_f64 v[84:85], -v[76:77], 1.0
	v_fma_f64 v[86:87], v[12:13], v[86:87], s[80:81]
	v_add_f64 v[20:21], v[84:85], -v[20:21]
	v_fma_f64 v[86:87], v[12:13], v[86:87], s[82:83]
	v_mul_f64 v[84:85], v[12:13], v[12:13]
	v_fma_f64 v[86:87], v[12:13], v[86:87], s[66:67]
	v_fma_f64 v[20:21], v[78:79], -v[80:81], v[20:21]
	v_fmac_f64_e32 v[20:21], v[84:85], v[86:87]
	v_fmac_f64_e32 v[98:99], s[86:87], v[12:13]
	v_add_f64 v[20:21], v[76:77], v[20:21]
	v_fma_f64 v[76:77], v[12:13], v[98:99], s[88:89]
	v_fma_f64 v[76:77], v[12:13], v[76:77], s[90:91]
	;; [unrolled: 1-line block ×3, first 2 shown]
	v_mul_f64 v[84:85], v[78:79], -v[12:13]
	v_mul_f64 v[86:87], v[80:81], 0.5
	v_fmac_f64_e32 v[86:87], v[84:85], v[76:77]
	v_fma_f64 v[12:13], v[12:13], v[86:87], -v[80:81]
	v_fmac_f64_e32 v[12:13], s[92:93], v[84:85]
	v_and_b32_e32 v76, 1, v82
	v_cndmask_b32_e32 v19, 0, v19, vcc
	v_cndmask_b32_e32 v18, 0, v18, vcc
	v_add_f64 v[12:13], v[78:79], -v[12:13]
	v_cmp_eq_u32_e32 vcc, 0, v76
	v_xor_b32_e32 v13, 0x80000000, v13
	v_cndmask_b32_e32 v12, v12, v20, vcc
	v_lshlrev_b32_e32 v20, 30, v82
	v_cndmask_b32_e32 v13, v13, v21, vcc
	v_and_b32_e32 v20, 0x80000000, v20
	v_mul_f64 v[10:11], v[10:11], 4.0
	v_xor_b32_e32 v13, v13, v20
	v_mul_f64 v[10:11], v[10:11], v[12:13]
	v_mul_f64 v[10:11], v[18:19], v[10:11]
	v_mul_f64 v[10:11], v[18:19], v[10:11]
	v_pk_mov_b32 v[12:13], v[22:23], v[22:23] op_sel:[0,1]
.LBB100_68:                             ;   in Loop: Header=BB100_4 Depth=1
	s_or_b64 exec, exec, s[58:59]
                                        ; implicit-def: $vgpr18_vgpr19
.LBB100_69:                             ;   in Loop: Header=BB100_4 Depth=1
	s_andn2_saveexec_b64 s[10:11], s[44:45]
; %bb.70:                               ;   in Loop: Header=BB100_4 Depth=1
	v_add_f64 v[10:11], v[18:19], -v[18:19]
	v_pk_mov_b32 v[12:13], v[10:11], v[10:11] op_sel:[0,1]
; %bb.71:                               ;   in Loop: Header=BB100_4 Depth=1
	s_or_b64 exec, exec, s[10:11]
                                        ; implicit-def: $vgpr18_vgpr19
.LBB100_72:                             ;   in Loop: Header=BB100_4 Depth=1
	s_andn2_saveexec_b64 s[14:15], s[14:15]
	s_cbranch_execz .LBB100_88
; %bb.73:                               ;   in Loop: Header=BB100_4 Depth=1
	v_and_or_b32 v10, v13, s16, v12
	v_cmp_ne_u32_e32 vcc, 0, v10
	s_and_saveexec_b64 s[10:11], vcc
	s_xor_b64 s[10:11], exec, s[10:11]
; %bb.74:                               ;   in Loop: Header=BB100_4 Depth=1
	v_mul_f64 v[10:11], v[18:19], -v[20:21]
	v_cmp_eq_f64_e32 vcc, 0, v[18:19]
	v_cndmask_b32_e32 v11, v11, v19, vcc
	v_cndmask_b32_e32 v10, v10, v18, vcc
                                        ; implicit-def: $vgpr18_vgpr19
; %bb.75:                               ;   in Loop: Header=BB100_4 Depth=1
	s_andn2_saveexec_b64 s[44:45], s[10:11]
	s_cbranch_execz .LBB100_87
; %bb.76:                               ;   in Loop: Header=BB100_4 Depth=1
	v_cmp_neq_f64_e64 s[10:11], |v[18:19]|, s[26:27]
	s_and_saveexec_b64 s[58:59], s[10:11]
	s_cbranch_execz .LBB100_86
; %bb.77:                               ;   in Loop: Header=BB100_4 Depth=1
	v_cmp_nlt_f64_e64 s[60:61], |v[18:19]|, s[22:23]
	v_trig_preop_f64 v[80:81], |v[18:19]|, 0
	v_trig_preop_f64 v[78:79], |v[18:19]|, 1
	v_ldexp_f64 v[82:83], |v[18:19]|, s17
	v_trig_preop_f64 v[76:77], |v[18:19]|, 2
	v_and_b32_e32 v98, 0x7fffffff, v19
                                        ; implicit-def: $vgpr97
                                        ; implicit-def: $vgpr10_vgpr11
                                        ; implicit-def: $vgpr20_vgpr21
	s_and_saveexec_b64 s[10:11], s[60:61]
	s_xor_b64 s[68:69], exec, s[10:11]
	s_cbranch_execz .LBB100_79
; %bb.78:                               ;   in Loop: Header=BB100_4 Depth=1
	v_cmp_ge_f64_e64 vcc, |v[18:19]|, s[24:25]
	v_cndmask_b32_e32 v11, v98, v83, vcc
	v_cndmask_b32_e32 v10, v18, v82, vcc
	v_mul_f64 v[84:85], v[80:81], v[10:11]
	v_mul_f64 v[20:21], v[78:79], v[10:11]
	v_fma_f64 v[86:87], v[80:81], v[10:11], -v[84:85]
	v_add_f64 v[100:101], v[20:21], v[86:87]
	v_add_f64 v[102:103], v[84:85], v[100:101]
	v_ldexp_f64 v[104:105], v[102:103], -2
	v_fract_f64_e32 v[106:107], v[104:105]
	v_cmp_neq_f64_e64 vcc, |v[104:105]|, s[26:27]
	v_cndmask_b32_e32 v105, 0, v107, vcc
	v_cndmask_b32_e32 v104, 0, v106, vcc
	v_add_f64 v[106:107], v[100:101], -v[20:21]
	v_add_f64 v[86:87], v[86:87], -v[106:107]
	;; [unrolled: 1-line block ×4, first 2 shown]
	v_add_f64 v[86:87], v[86:87], v[106:107]
	v_fma_f64 v[20:21], v[78:79], v[10:11], -v[20:21]
	v_mul_f64 v[106:107], v[76:77], v[10:11]
	v_add_f64 v[108:109], v[106:107], v[20:21]
	v_add_f64 v[110:111], v[108:109], v[86:87]
	v_add_f64 v[84:85], v[102:103], -v[84:85]
	v_add_f64 v[102:103], v[110:111], -v[108:109]
	;; [unrolled: 1-line block ×5, first 2 shown]
	v_add_f64 v[86:87], v[86:87], v[102:103]
	v_add_f64 v[102:103], v[108:109], -v[106:107]
	v_add_f64 v[20:21], v[20:21], -v[102:103]
	;; [unrolled: 1-line block ×5, first 2 shown]
	v_add_f64 v[100:101], v[84:85], v[110:111]
	v_add_f64 v[20:21], v[20:21], v[102:103]
	v_add_f64 v[84:85], v[100:101], -v[84:85]
	v_add_f64 v[20:21], v[20:21], v[86:87]
	v_fma_f64 v[10:11], v[76:77], v[10:11], -v[106:107]
	v_add_f64 v[84:85], v[110:111], -v[84:85]
	v_add_f64 v[10:11], v[10:11], v[20:21]
	v_ldexp_f64 v[20:21], v[104:105], 2
	v_add_f64 v[10:11], v[84:85], v[10:11]
	v_add_f64 v[84:85], v[100:101], v[20:21]
	v_cmp_gt_f64_e32 vcc, 0, v[84:85]
	v_cndmask_b32_e32 v23, 0, v92, vcc
	v_add_f64 v[20:21], v[20:21], v[22:23]
	v_add_f64 v[84:85], v[100:101], v[20:21]
	v_cvt_i32_f64_e32 v23, v[84:85]
	v_cvt_f64_i32_e32 v[84:85], v23
	v_add_f64 v[20:21], v[20:21], -v[84:85]
	v_add_f64 v[84:85], v[100:101], v[20:21]
	v_add_f64 v[20:21], v[84:85], -v[20:21]
	v_cmp_le_f64_e32 vcc, 0.5, v[84:85]
	v_add_f64 v[20:21], v[100:101], -v[20:21]
	v_addc_co_u32_e64 v97, s[10:11], 0, v23, vcc
	v_cndmask_b32_e32 v23, 0, v93, vcc
	v_add_f64 v[10:11], v[10:11], v[20:21]
	v_add_f64 v[20:21], v[84:85], -v[22:23]
	v_add_f64 v[84:85], v[20:21], v[10:11]
	v_add_f64 v[20:21], v[84:85], -v[20:21]
	s_mov_b32 s28, s30
	v_add_f64 v[10:11], v[10:11], -v[20:21]
	v_mul_f64 v[20:21], v[84:85], s[28:29]
	v_fma_f64 v[86:87], v[84:85], s[28:29], -v[20:21]
	s_mov_b32 s37, s35
	v_fmac_f64_e32 v[86:87], s[36:37], v[84:85]
	v_fmac_f64_e32 v[86:87], s[28:29], v[10:11]
	v_add_f64 v[10:11], v[20:21], v[86:87]
	v_add_f64 v[20:21], v[10:11], -v[20:21]
	v_add_f64 v[20:21], v[86:87], -v[20:21]
	s_andn2_saveexec_b64 s[10:11], s[68:69]
	s_cbranch_execz .LBB100_81
	s_branch .LBB100_80
.LBB100_79:                             ;   in Loop: Header=BB100_4 Depth=1
	s_andn2_saveexec_b64 s[10:11], s[68:69]
	s_cbranch_execz .LBB100_81
.LBB100_80:                             ;   in Loop: Header=BB100_4 Depth=1
	v_mul_f64 v[10:11], |v[18:19]|, s[38:39]
	v_rndne_f64_e32 v[84:85], v[10:11]
	v_fma_f64 v[10:11], v[84:85], s[30:31], |v[18:19]|
	v_mul_f64 v[86:87], v[84:85], s[40:41]
	v_add_f64 v[102:103], v[10:11], v[86:87]
	v_fma_f64 v[20:21], s[40:41], v[84:85], v[10:11]
	s_mov_b32 s34, s40
	v_add_f64 v[10:11], v[10:11], -v[102:103]
	v_fma_f64 v[100:101], s[34:35], v[84:85], v[86:87]
	v_add_f64 v[10:11], v[10:11], v[86:87]
	v_add_f64 v[86:87], v[102:103], -v[20:21]
	v_add_f64 v[10:11], v[86:87], v[10:11]
	v_add_f64 v[86:87], v[10:11], -v[100:101]
	v_fmac_f64_e32 v[86:87], s[42:43], v[84:85]
	v_add_f64 v[10:11], v[20:21], v[86:87]
	v_add_f64 v[20:21], v[10:11], -v[20:21]
	v_add_f64 v[20:21], v[86:87], -v[20:21]
	v_cvt_i32_f64_e32 v97, v[84:85]
.LBB100_81:                             ;   in Loop: Header=BB100_4 Depth=1
	s_or_b64 exec, exec, s[10:11]
                                        ; implicit-def: $vgpr99
                                        ; implicit-def: $vgpr84_vgpr85
                                        ; implicit-def: $vgpr86_vgpr87
	s_and_saveexec_b64 s[10:11], s[60:61]
	s_xor_b64 s[60:61], exec, s[10:11]
	s_cbranch_execz .LBB100_83
; %bb.82:                               ;   in Loop: Header=BB100_4 Depth=1
	v_cmp_ge_f64_e64 vcc, |v[18:19]|, s[24:25]
	v_cndmask_b32_e32 v83, v98, v83, vcc
	v_cndmask_b32_e32 v82, v18, v82, vcc
	v_mul_f64 v[86:87], v[80:81], v[82:83]
	v_mul_f64 v[84:85], v[78:79], v[82:83]
	v_fma_f64 v[80:81], v[80:81], v[82:83], -v[86:87]
	v_add_f64 v[98:99], v[84:85], v[80:81]
	v_add_f64 v[100:101], v[86:87], v[98:99]
	v_ldexp_f64 v[102:103], v[100:101], -2
	v_fract_f64_e32 v[104:105], v[102:103]
	v_cmp_neq_f64_e64 vcc, |v[102:103]|, s[26:27]
	v_cndmask_b32_e32 v103, 0, v105, vcc
	v_cndmask_b32_e32 v102, 0, v104, vcc
	v_add_f64 v[104:105], v[98:99], -v[84:85]
	v_add_f64 v[80:81], v[80:81], -v[104:105]
	;; [unrolled: 1-line block ×4, first 2 shown]
	v_fma_f64 v[78:79], v[78:79], v[82:83], -v[84:85]
	v_mul_f64 v[84:85], v[76:77], v[82:83]
	v_add_f64 v[80:81], v[80:81], v[104:105]
	v_add_f64 v[104:105], v[84:85], v[78:79]
	;; [unrolled: 1-line block ×3, first 2 shown]
	v_add_f64 v[86:87], v[100:101], -v[86:87]
	v_add_f64 v[100:101], v[106:107], -v[104:105]
	;; [unrolled: 1-line block ×5, first 2 shown]
	v_add_f64 v[80:81], v[80:81], v[100:101]
	v_add_f64 v[100:101], v[104:105], -v[84:85]
	v_add_f64 v[78:79], v[78:79], -v[100:101]
	;; [unrolled: 1-line block ×4, first 2 shown]
	v_add_f64 v[78:79], v[78:79], v[100:101]
	v_add_f64 v[86:87], v[98:99], -v[86:87]
	v_add_f64 v[78:79], v[78:79], v[80:81]
	v_fma_f64 v[76:77], v[76:77], v[82:83], -v[84:85]
	v_add_f64 v[98:99], v[86:87], v[106:107]
	v_add_f64 v[76:77], v[76:77], v[78:79]
	v_ldexp_f64 v[78:79], v[102:103], 2
	v_add_f64 v[80:81], v[98:99], v[78:79]
	v_cmp_gt_f64_e32 vcc, 0, v[80:81]
	v_cndmask_b32_e32 v23, 0, v92, vcc
	v_add_f64 v[78:79], v[78:79], v[22:23]
	v_add_f64 v[80:81], v[98:99], v[78:79]
	v_cvt_i32_f64_e32 v23, v[80:81]
	v_cvt_f64_i32_e32 v[80:81], v23
	v_add_f64 v[78:79], v[78:79], -v[80:81]
	v_add_f64 v[86:87], v[98:99], -v[86:87]
	v_add_f64 v[80:81], v[98:99], v[78:79]
	v_add_f64 v[86:87], v[106:107], -v[86:87]
	v_add_f64 v[78:79], v[80:81], -v[78:79]
	v_cmp_le_f64_e32 vcc, 0.5, v[80:81]
	v_add_f64 v[76:77], v[86:87], v[76:77]
	v_add_f64 v[78:79], v[98:99], -v[78:79]
	v_addc_co_u32_e64 v99, s[10:11], 0, v23, vcc
	v_cndmask_b32_e32 v23, 0, v93, vcc
	v_add_f64 v[76:77], v[76:77], v[78:79]
	v_add_f64 v[78:79], v[80:81], -v[22:23]
	v_add_f64 v[80:81], v[78:79], v[76:77]
	v_add_f64 v[78:79], v[80:81], -v[78:79]
	s_mov_b32 s28, s30
	v_add_f64 v[76:77], v[76:77], -v[78:79]
	v_mul_f64 v[78:79], v[80:81], s[28:29]
	v_fma_f64 v[82:83], v[80:81], s[28:29], -v[78:79]
	s_mov_b32 s37, s35
	v_fmac_f64_e32 v[82:83], s[36:37], v[80:81]
	v_fmac_f64_e32 v[82:83], s[28:29], v[76:77]
	v_add_f64 v[84:85], v[78:79], v[82:83]
	v_add_f64 v[76:77], v[84:85], -v[78:79]
	v_add_f64 v[86:87], v[82:83], -v[76:77]
	s_andn2_saveexec_b64 s[10:11], s[60:61]
	s_cbranch_execnz .LBB100_84
	s_branch .LBB100_85
.LBB100_83:                             ;   in Loop: Header=BB100_4 Depth=1
	s_andn2_saveexec_b64 s[10:11], s[60:61]
	s_cbranch_execz .LBB100_85
.LBB100_84:                             ;   in Loop: Header=BB100_4 Depth=1
	v_mul_f64 v[76:77], |v[18:19]|, s[38:39]
	v_rndne_f64_e32 v[76:77], v[76:77]
	v_fma_f64 v[78:79], v[76:77], s[30:31], |v[18:19]|
	v_mul_f64 v[82:83], v[76:77], s[40:41]
	v_add_f64 v[86:87], v[78:79], v[82:83]
	v_fma_f64 v[80:81], s[40:41], v[76:77], v[78:79]
	s_mov_b32 s34, s40
	v_add_f64 v[78:79], v[78:79], -v[86:87]
	v_fma_f64 v[84:85], s[34:35], v[76:77], v[82:83]
	v_add_f64 v[78:79], v[78:79], v[82:83]
	v_add_f64 v[82:83], v[86:87], -v[80:81]
	v_add_f64 v[78:79], v[82:83], v[78:79]
	v_add_f64 v[78:79], v[78:79], -v[84:85]
	v_fmac_f64_e32 v[78:79], s[42:43], v[76:77]
	v_add_f64 v[84:85], v[80:81], v[78:79]
	v_add_f64 v[80:81], v[84:85], -v[80:81]
	v_add_f64 v[86:87], v[78:79], -v[80:81]
	v_cvt_i32_f64_e32 v99, v[76:77]
.LBB100_85:                             ;   in Loop: Header=BB100_4 Depth=1
	s_or_b64 exec, exec, s[10:11]
	v_mul_f64 v[76:77], v[10:11], v[10:11]
	v_pk_mov_b32 v[100:101], s[74:75], s[74:75] op_sel:[0,1]
	v_mul_f64 v[78:79], v[76:77], 0.5
	v_fma_f64 v[102:103], s[76:77], v[76:77], v[100:101]
	v_add_f64 v[80:81], -v[78:79], 1.0
	v_fma_f64 v[102:103], v[76:77], v[102:103], s[78:79]
	v_add_f64 v[82:83], -v[80:81], 1.0
	v_fma_f64 v[102:103], v[76:77], v[102:103], s[80:81]
	v_add_f64 v[78:79], v[82:83], -v[78:79]
	v_fma_f64 v[102:103], v[76:77], v[102:103], s[82:83]
	v_mul_f64 v[82:83], v[76:77], v[76:77]
	v_fma_f64 v[102:103], v[76:77], v[102:103], s[66:67]
	v_fma_f64 v[78:79], v[10:11], -v[20:21], v[78:79]
	v_fmac_f64_e32 v[78:79], v[82:83], v[102:103]
	v_add_f64 v[78:79], v[80:81], v[78:79]
	v_pk_mov_b32 v[80:81], s[84:85], s[84:85] op_sel:[0,1]
	v_fma_f64 v[82:83], s[86:87], v[76:77], v[80:81]
	v_fma_f64 v[82:83], v[76:77], v[82:83], s[88:89]
	v_fma_f64 v[82:83], v[76:77], v[82:83], s[90:91]
	v_fma_f64 v[82:83], v[76:77], v[82:83], s[64:65]
	v_mul_f64 v[102:103], v[10:11], -v[76:77]
	v_mul_f64 v[104:105], v[20:21], 0.5
	v_fmac_f64_e32 v[104:105], v[102:103], v[82:83]
	v_fma_f64 v[20:21], v[76:77], v[104:105], -v[20:21]
	s_mov_b32 s92, s66
	v_fmac_f64_e32 v[20:21], s[92:93], v[102:103]
	v_add_f64 v[10:11], v[10:11], -v[20:21]
	v_and_b32_e32 v20, 1, v97
	v_cmp_eq_u32_e32 vcc, 0, v20
	v_lshlrev_b32_e32 v20, 30, v97
	v_xor_b32_e32 v20, v20, v19
	v_cndmask_b32_e32 v10, v78, v10, vcc
	v_cndmask_b32_e32 v11, v79, v11, vcc
	v_and_b32_e32 v20, 0x80000000, v20
	v_cmp_class_f64_e64 vcc, v[18:19], s95
	v_mul_f64 v[18:19], v[84:85], v[84:85]
	v_xor_b32_e32 v11, v11, v20
	v_mul_f64 v[20:21], v[18:19], 0.5
	v_fmac_f64_e32 v[100:101], s[76:77], v[18:19]
	v_add_f64 v[76:77], -v[20:21], 1.0
	v_fma_f64 v[82:83], v[18:19], v[100:101], s[78:79]
	v_add_f64 v[78:79], -v[76:77], 1.0
	v_fma_f64 v[82:83], v[18:19], v[82:83], s[80:81]
	v_add_f64 v[20:21], v[78:79], -v[20:21]
	v_fma_f64 v[82:83], v[18:19], v[82:83], s[82:83]
	v_mul_f64 v[78:79], v[18:19], v[18:19]
	v_fma_f64 v[82:83], v[18:19], v[82:83], s[66:67]
	v_fma_f64 v[20:21], v[84:85], -v[86:87], v[20:21]
	v_fmac_f64_e32 v[20:21], v[78:79], v[82:83]
	v_fmac_f64_e32 v[80:81], s[86:87], v[18:19]
	v_add_f64 v[20:21], v[76:77], v[20:21]
	v_fma_f64 v[76:77], v[18:19], v[80:81], s[88:89]
	v_fma_f64 v[76:77], v[18:19], v[76:77], s[90:91]
	;; [unrolled: 1-line block ×3, first 2 shown]
	v_mul_f64 v[78:79], v[84:85], -v[18:19]
	v_mul_f64 v[80:81], v[86:87], 0.5
	v_fmac_f64_e32 v[80:81], v[78:79], v[76:77]
	v_fma_f64 v[18:19], v[18:19], v[80:81], -v[86:87]
	v_fmac_f64_e32 v[18:19], s[92:93], v[78:79]
	v_and_b32_e32 v23, 1, v99
	v_add_f64 v[18:19], v[84:85], -v[18:19]
	v_cmp_eq_u32_e64 s[10:11], 0, v23
	v_xor_b32_e32 v19, 0x80000000, v19
	v_cndmask_b32_e64 v18, v18, v20, s[10:11]
	v_lshlrev_b32_e32 v20, 30, v99
	v_cndmask_b32_e64 v19, v19, v21, s[10:11]
	v_and_b32_e32 v20, 0x80000000, v20
	v_xor_b32_e32 v19, v19, v20
	v_cndmask_b32_e32 v10, 0, v10, vcc
	v_cndmask_b32_e32 v11, v96, v11, vcc
	;; [unrolled: 1-line block ×4, first 2 shown]
	v_mul_f64 v[18:19], v[10:11], v[18:19]
.LBB100_86:                             ;   in Loop: Header=BB100_4 Depth=1
	s_or_b64 exec, exec, s[58:59]
	v_add_co_u32_e32 v12, vcc, 0, v12
	v_bfi_b32 v23, s73, 0, v19
	v_addc_co_u32_e32 v13, vcc, -2.0, v13, vcc
	v_pk_mov_b32 v[10:11], v[22:23], v[22:23] op_sel:[0,1]
.LBB100_87:                             ;   in Loop: Header=BB100_4 Depth=1
	s_or_b64 exec, exec, s[44:45]
.LBB100_88:                             ;   in Loop: Header=BB100_4 Depth=1
	s_or_b64 exec, exec, s[14:15]
	v_xor_b32_e32 v21, 0x80000000, v17
	v_and_b32_e32 v18, 0x7fffffff, v21
	v_mov_b32_e32 v20, v16
	v_cmp_gt_u32_e32 vcc, s94, v18
	s_and_saveexec_b64 s[10:11], vcc
	s_xor_b64 s[14:15], exec, s[10:11]
	s_cbranch_execz .LBB100_110
; %bb.89:                               ;   in Loop: Header=BB100_4 Depth=1
	v_cmp_class_f64_e64 s[10:11], v[14:15], s95
	s_and_saveexec_b64 s[44:45], s[10:11]
	s_xor_b64 s[44:45], exec, s[44:45]
	s_cbranch_execz .LBB100_107
; %bb.90:                               ;   in Loop: Header=BB100_4 Depth=1
	s_mov_b32 s10, 0x40360000
	v_cmp_gt_u32_e32 vcc, s10, v18
	s_and_saveexec_b64 s[10:11], vcc
	s_xor_b64 s[58:59], exec, s[10:11]
	s_cbranch_execz .LBB100_96
; %bb.91:                               ;   in Loop: Header=BB100_4 Depth=1
	v_cmp_nlt_f64_e64 s[10:11], |v[14:15]|, s[22:23]
                                        ; implicit-def: $vgpr20
                                        ; implicit-def: $vgpr18_vgpr19
                                        ; implicit-def: $vgpr76_vgpr77
	s_and_saveexec_b64 s[60:61], s[10:11]
	s_xor_b64 s[60:61], exec, s[60:61]
	s_cbranch_execz .LBB100_93
; %bb.92:                               ;   in Loop: Header=BB100_4 Depth=1
	v_and_b32_e32 v20, 0x7fffffff, v15
	v_ldexp_f64 v[78:79], |v[14:15]|, s17
	v_cmp_ge_f64_e64 vcc, |v[14:15]|, s[24:25]
	v_trig_preop_f64 v[18:19], |v[14:15]|, 0
	v_cndmask_b32_e32 v79, v20, v79, vcc
	v_cndmask_b32_e32 v78, v14, v78, vcc
	v_trig_preop_f64 v[76:77], |v[14:15]|, 1
	v_mul_f64 v[82:83], v[18:19], v[78:79]
	v_mul_f64 v[80:81], v[76:77], v[78:79]
	v_fma_f64 v[18:19], v[18:19], v[78:79], -v[82:83]
	v_add_f64 v[84:85], v[80:81], v[18:19]
	v_add_f64 v[86:87], v[82:83], v[84:85]
	v_ldexp_f64 v[98:99], v[86:87], -2
	v_fract_f64_e32 v[100:101], v[98:99]
	v_cmp_neq_f64_e64 vcc, |v[98:99]|, s[26:27]
	v_cndmask_b32_e32 v99, 0, v101, vcc
	v_cndmask_b32_e32 v98, 0, v100, vcc
	v_add_f64 v[100:101], v[84:85], -v[80:81]
	v_add_f64 v[18:19], v[18:19], -v[100:101]
	;; [unrolled: 1-line block ×4, first 2 shown]
	v_fma_f64 v[76:77], v[76:77], v[78:79], -v[80:81]
	v_trig_preop_f64 v[80:81], |v[14:15]|, 2
	v_add_f64 v[18:19], v[18:19], v[100:101]
	v_mul_f64 v[100:101], v[80:81], v[78:79]
	v_add_f64 v[102:103], v[100:101], v[76:77]
	v_add_f64 v[104:105], v[102:103], v[18:19]
	v_add_f64 v[82:83], v[86:87], -v[82:83]
	v_add_f64 v[86:87], v[104:105], -v[102:103]
	;; [unrolled: 1-line block ×5, first 2 shown]
	v_add_f64 v[18:19], v[18:19], v[86:87]
	v_add_f64 v[86:87], v[102:103], -v[100:101]
	v_add_f64 v[76:77], v[76:77], -v[86:87]
	;; [unrolled: 1-line block ×4, first 2 shown]
	v_add_f64 v[76:77], v[76:77], v[86:87]
	v_add_f64 v[82:83], v[84:85], -v[82:83]
	v_add_f64 v[18:19], v[76:77], v[18:19]
	v_fma_f64 v[76:77], v[80:81], v[78:79], -v[100:101]
	v_add_f64 v[84:85], v[82:83], v[104:105]
	v_add_f64 v[18:19], v[76:77], v[18:19]
	v_ldexp_f64 v[76:77], v[98:99], 2
	v_add_f64 v[78:79], v[84:85], v[76:77]
	v_cmp_gt_f64_e32 vcc, 0, v[78:79]
	v_cndmask_b32_e32 v23, 0, v92, vcc
	v_add_f64 v[76:77], v[76:77], v[22:23]
	v_add_f64 v[78:79], v[84:85], v[76:77]
	v_cvt_i32_f64_e32 v20, v[78:79]
	v_cvt_f64_i32_e32 v[78:79], v20
	v_add_f64 v[76:77], v[76:77], -v[78:79]
	v_add_f64 v[82:83], v[84:85], -v[82:83]
	v_add_f64 v[78:79], v[84:85], v[76:77]
	v_add_f64 v[82:83], v[104:105], -v[82:83]
	v_add_f64 v[76:77], v[78:79], -v[76:77]
	v_cmp_le_f64_e32 vcc, 0.5, v[78:79]
	v_add_f64 v[18:19], v[82:83], v[18:19]
	v_add_f64 v[76:77], v[84:85], -v[76:77]
	v_cndmask_b32_e32 v23, 0, v93, vcc
	v_add_f64 v[18:19], v[18:19], v[76:77]
	v_add_f64 v[76:77], v[78:79], -v[22:23]
	v_add_f64 v[78:79], v[76:77], v[18:19]
	v_add_f64 v[76:77], v[78:79], -v[76:77]
	s_mov_b32 s28, s30
	v_add_f64 v[18:19], v[18:19], -v[76:77]
	v_mul_f64 v[76:77], v[78:79], s[28:29]
	v_fma_f64 v[80:81], v[78:79], s[28:29], -v[76:77]
	s_mov_b32 s37, s35
	v_fmac_f64_e32 v[80:81], s[36:37], v[78:79]
	v_fmac_f64_e32 v[80:81], s[28:29], v[18:19]
	v_add_f64 v[18:19], v[76:77], v[80:81]
	v_add_f64 v[76:77], v[18:19], -v[76:77]
	v_addc_co_u32_e64 v20, s[10:11], 0, v20, vcc
	v_add_f64 v[76:77], v[80:81], -v[76:77]
.LBB100_93:                             ;   in Loop: Header=BB100_4 Depth=1
	s_andn2_saveexec_b64 s[10:11], s[60:61]
	s_cbranch_execz .LBB100_95
; %bb.94:                               ;   in Loop: Header=BB100_4 Depth=1
	v_mul_f64 v[18:19], |v[14:15]|, s[38:39]
	v_rndne_f64_e32 v[78:79], v[18:19]
	v_fma_f64 v[18:19], v[78:79], s[30:31], |v[14:15]|
	v_mul_f64 v[80:81], v[78:79], s[40:41]
	v_add_f64 v[84:85], v[18:19], v[80:81]
	v_fma_f64 v[76:77], s[40:41], v[78:79], v[18:19]
	s_mov_b32 s34, s40
	v_add_f64 v[18:19], v[18:19], -v[84:85]
	v_fma_f64 v[82:83], s[34:35], v[78:79], v[80:81]
	v_add_f64 v[18:19], v[18:19], v[80:81]
	v_add_f64 v[80:81], v[84:85], -v[76:77]
	v_add_f64 v[18:19], v[80:81], v[18:19]
	v_add_f64 v[80:81], v[18:19], -v[82:83]
	v_fmac_f64_e32 v[80:81], s[42:43], v[78:79]
	v_add_f64 v[18:19], v[76:77], v[80:81]
	v_add_f64 v[76:77], v[18:19], -v[76:77]
	v_add_f64 v[76:77], v[80:81], -v[76:77]
	v_cvt_i32_f64_e32 v20, v[78:79]
.LBB100_95:                             ;   in Loop: Header=BB100_4 Depth=1
	s_or_b64 exec, exec, s[10:11]
	v_mul_f64 v[78:79], v[18:19], v[18:19]
	v_fma_f64 v[80:81], v[18:19], v[18:19], -v[78:79]
	v_add_f64 v[82:83], v[76:77], v[76:77]
	v_fmac_f64_e32 v[80:81], v[18:19], v[82:83]
	s_mov_b32 s10, 0xc751c08c
	v_add_f64 v[78:79], v[78:79], v[80:81]
	v_pk_mov_b32 v[80:81], v[32:33], v[32:33] op_sel:[0,1]
	s_mov_b32 s11, 0x3ef5e089
	v_fmac_f64_e32 v[80:81], s[10:11], v[78:79]
	v_pk_mov_b32 v[82:83], v[34:35], v[34:35] op_sel:[0,1]
	v_fmac_f64_e32 v[82:83], v[78:79], v[80:81]
	v_pk_mov_b32 v[80:81], v[36:37], v[36:37] op_sel:[0,1]
	;; [unrolled: 2-line block ×12, first 2 shown]
	v_fmac_f64_e32 v[80:81], v[78:79], v[82:83]
	v_mul_f64 v[78:79], v[78:79], v[80:81]
	v_mul_f64 v[80:81], v[18:19], v[78:79]
	v_add_f64 v[82:83], v[18:19], v[80:81]
	v_fma_f64 v[78:79], v[18:19], v[78:79], -v[80:81]
	v_add_f64 v[18:19], v[82:83], -v[18:19]
	v_add_f64 v[18:19], v[80:81], -v[18:19]
	v_add_f64 v[76:77], v[76:77], v[78:79]
	v_add_f64 v[18:19], v[76:77], v[18:19]
	;; [unrolled: 1-line block ×3, first 2 shown]
	v_rcp_f64_e32 v[78:79], v[76:77]
	v_add_f64 v[80:81], v[76:77], -v[82:83]
	v_add_f64 v[18:19], v[18:19], -v[80:81]
	v_and_b32_e32 v14, 1, v20
	v_fma_f64 v[80:81], -v[76:77], v[78:79], 1.0
	v_fmac_f64_e32 v[78:79], v[80:81], v[78:79]
	v_fma_f64 v[80:81], -v[76:77], v[78:79], 1.0
	v_fmac_f64_e32 v[78:79], v[80:81], v[78:79]
	v_mul_f64 v[80:81], v[76:77], v[78:79]
	v_fma_f64 v[82:83], v[78:79], v[76:77], -v[80:81]
	v_fmac_f64_e32 v[82:83], v[78:79], v[18:19]
	v_add_f64 v[18:19], v[80:81], v[82:83]
	v_add_f64 v[84:85], -v[18:19], 1.0
	v_add_f64 v[80:81], v[18:19], -v[80:81]
	v_add_f64 v[86:87], -v[84:85], 1.0
	v_add_f64 v[18:19], v[86:87], -v[18:19]
	v_add_f64 v[80:81], v[80:81], -v[82:83]
	v_add_f64 v[18:19], v[80:81], v[18:19]
	v_add_f64 v[18:19], v[84:85], v[18:19]
	v_mul_f64 v[18:19], v[78:79], v[18:19]
	v_add_f64 v[18:19], v[78:79], v[18:19]
	v_xor_b32_e32 v19, 0x80000000, v19
	v_cmp_eq_u32_e32 vcc, 0, v14
	v_cndmask_b32_e32 v14, v18, v76, vcc
	v_cndmask_b32_e32 v23, v19, v77, vcc
	v_add_f64 v[18:19], |v[16:17]|, s[46:47]
	v_add_f64 v[76:77], v[18:19], -|v[16:17]|
	v_add_f64 v[78:79], v[76:77], -v[18:19]
	s_mov_b32 s48, s46
	v_add_f64 v[78:79], |v[16:17]|, v[78:79]
	v_add_f64 v[76:77], v[76:77], s[48:49]
	v_add_f64 v[76:77], v[78:79], -v[76:77]
	v_add_f64 v[76:77], v[76:77], s[50:51]
	v_add_f64 v[78:79], v[18:19], v[76:77]
	v_add_f64 v[18:19], v[18:19], -v[78:79]
	s_mov_b32 s52, s54
	v_add_f64 v[18:19], v[76:77], v[18:19]
	v_mul_f64 v[76:77], v[78:79], s[52:53]
	v_rndne_f64_e32 v[76:77], v[76:77]
	s_mov_b32 s57, s47
	v_fmac_f64_e32 v[78:79], s[56:57], v[76:77]
	v_add_f64 v[80:81], v[18:19], v[78:79]
	s_mov_b32 s10, 0xf278e000
	v_add_f64 v[78:79], v[78:79], -v[80:81]
	s_mov_b32 s11, 0xbd53de6a
	v_add_f64 v[18:19], v[18:19], v[78:79]
	v_mul_f64 v[78:79], v[76:77], s[10:11]
	v_add_f64 v[82:83], v[80:81], v[78:79]
	v_add_f64 v[80:81], v[80:81], -v[82:83]
	v_add_f64 v[78:79], v[80:81], v[78:79]
	v_add_f64 v[18:19], v[18:19], v[78:79]
	;; [unrolled: 1-line block ×3, first 2 shown]
	s_mov_b32 s10, 0xf97b57a0
	v_add_f64 v[80:81], v[82:83], -v[78:79]
	s_mov_b32 s11, 0xbac9cc01
	v_add_f64 v[18:19], v[18:19], v[80:81]
	v_mul_f64 v[80:81], v[76:77], s[10:11]
	v_add_f64 v[82:83], v[78:79], v[80:81]
	v_add_f64 v[78:79], v[78:79], -v[82:83]
	v_add_f64 v[78:79], v[78:79], v[80:81]
	v_add_f64 v[18:19], v[18:19], v[78:79]
	;; [unrolled: 1-line block ×3, first 2 shown]
	v_add_f64 v[80:81], v[82:83], -v[78:79]
	v_add_f64 v[18:19], v[18:19], v[80:81]
	v_pk_mov_b32 v[80:81], v[58:59], v[58:59] op_sel:[0,1]
	v_fmac_f64_e32 v[80:81], s[62:63], v[78:79]
	v_pk_mov_b32 v[82:83], v[60:61], v[60:61] op_sel:[0,1]
	v_fmac_f64_e32 v[82:83], v[78:79], v[80:81]
	;; [unrolled: 2-line block ×9, first 2 shown]
	v_mul_f64 v[82:83], v[78:79], v[78:79]
	v_fma_f64 v[84:85], v[78:79], v[78:79], -v[82:83]
	v_add_f64 v[86:87], v[18:19], v[18:19]
	v_fmac_f64_e32 v[84:85], v[78:79], v[86:87]
	v_add_f64 v[86:87], v[82:83], v[84:85]
	v_add_f64 v[82:83], v[86:87], -v[82:83]
	v_add_f64 v[82:83], v[84:85], -v[82:83]
	v_mul_f64 v[84:85], v[86:87], v[80:81]
	v_fma_f64 v[86:87], v[86:87], v[80:81], -v[84:85]
	v_fmac_f64_e32 v[86:87], v[82:83], v[80:81]
	v_add_f64 v[80:81], v[84:85], v[86:87]
	v_add_f64 v[82:83], v[80:81], -v[84:85]
	v_add_f64 v[84:85], v[78:79], v[80:81]
	v_add_f64 v[82:83], v[86:87], -v[82:83]
	v_add_f64 v[78:79], v[84:85], -v[78:79]
	;; [unrolled: 1-line block ×3, first 2 shown]
	v_add_f64 v[18:19], v[18:19], v[82:83]
	v_add_f64 v[18:19], v[18:19], v[78:79]
	;; [unrolled: 1-line block ×3, first 2 shown]
	v_add_f64 v[80:81], v[78:79], -v[84:85]
	v_add_f64 v[18:19], v[18:19], -v[80:81]
	v_add_f64 v[80:81], v[78:79], 1.0
	v_add_f64 v[82:83], v[80:81], -1.0
	v_add_f64 v[78:79], v[78:79], -v[82:83]
	v_add_f64 v[18:19], v[18:19], v[78:79]
	v_add_f64 v[78:79], v[80:81], v[18:19]
	v_cvt_i32_f64_e32 v84, v[76:77]
	v_ldexp_f64 v[76:77], v[78:79], v84
	v_rcp_f64_e32 v[82:83], v[76:77]
	v_add_f64 v[78:79], v[78:79], -v[80:81]
	v_add_f64 v[18:19], v[18:19], -v[78:79]
	v_ldexp_f64 v[18:19], v[18:19], v84
	v_fma_f64 v[78:79], -v[76:77], v[82:83], 1.0
	v_fmac_f64_e32 v[82:83], v[78:79], v[82:83]
	v_fma_f64 v[78:79], -v[76:77], v[82:83], 1.0
	v_fmac_f64_e32 v[82:83], v[78:79], v[82:83]
	v_mul_f64 v[78:79], v[76:77], v[82:83]
	v_fma_f64 v[80:81], v[82:83], v[76:77], -v[78:79]
	v_fmac_f64_e32 v[80:81], v[82:83], v[18:19]
	v_add_f64 v[84:85], v[78:79], v[80:81]
	v_add_f64 v[86:87], -v[84:85], 1.0
	v_add_f64 v[78:79], v[84:85], -v[78:79]
	v_add_f64 v[98:99], -v[86:87], 1.0
	v_add_f64 v[84:85], v[98:99], -v[84:85]
	v_add_f64 v[78:79], v[78:79], -v[80:81]
	v_add_f64 v[78:79], v[78:79], v[84:85]
	v_add_f64 v[80:81], v[86:87], v[78:79]
	v_add_f64 v[84:85], v[86:87], -v[80:81]
	v_add_f64 v[78:79], v[78:79], v[84:85]
	v_mul_f64 v[84:85], v[82:83], v[80:81]
	v_mul_f64 v[86:87], v[76:77], v[84:85]
	v_fma_f64 v[98:99], v[84:85], v[76:77], -v[86:87]
	v_fmac_f64_e32 v[98:99], v[84:85], v[18:19]
	v_add_f64 v[100:101], v[86:87], v[98:99]
	v_add_f64 v[102:103], v[80:81], -v[100:101]
	v_add_f64 v[80:81], v[80:81], -v[102:103]
	;; [unrolled: 1-line block ×4, first 2 shown]
	v_add_f64 v[78:79], v[78:79], v[80:81]
	v_add_f64 v[80:81], v[86:87], -v[98:99]
	v_add_f64 v[78:79], v[80:81], v[78:79]
	v_add_f64 v[78:79], v[102:103], v[78:79]
	;; [unrolled: 1-line block ×3, first 2 shown]
	v_mul_f64 v[78:79], v[82:83], v[78:79]
	v_add_f64 v[82:83], v[80:81], -v[82:83]
	v_add_f64 v[82:83], v[84:85], -v[82:83]
	v_add_f64 v[78:79], v[82:83], v[78:79]
	v_add_f64 v[82:83], v[80:81], v[78:79]
	v_add_f64 v[80:81], v[82:83], -v[80:81]
	v_add_f64 v[78:79], v[78:79], -v[80:81]
	v_ldexp_f64 v[80:81], v[82:83], -2
	v_add_f64 v[82:83], v[76:77], -v[80:81]
	v_add_f64 v[76:77], v[76:77], -v[82:83]
	;; [unrolled: 1-line block ×3, first 2 shown]
	s_mov_b32 s10, 0x8fb9f87e
	v_ldexp_f64 v[78:79], v[78:79], -2
	v_add_f64 v[18:19], v[18:19], v[76:77]
	s_mov_b32 s11, 0x408633ce
	v_add_f64 v[18:19], v[18:19], -v[78:79]
	v_cmp_nge_f64_e64 vcc, |v[16:17]|, s[10:11]
	s_mov_b32 s10, 0
	v_add_f64 v[18:19], v[82:83], v[18:19]
	s_mov_b32 s11, 0x3e400000
	v_and_b32_e32 v20, 0x7fffffff, v17
	v_cndmask_b32_e32 v19, v94, v19, vcc
	v_cndmask_b32_e32 v18, 0, v18, vcc
	v_cmp_lt_f64_e64 vcc, |v[16:17]|, s[10:11]
	v_cndmask_b32_e32 v17, v19, v20, vcc
	v_cndmask_b32_e32 v16, v18, v16, vcc
	v_bfi_b32 v17, s73, v17, v21
	s_mov_b32 s10, 0
	v_fma_f64 v[18:19], v[16:17], v[16:17], 1.0
	s_brev_b32 s11, 8
	v_cmp_gt_f64_e32 vcc, s[10:11], v[18:19]
	v_cndmask_b32_e64 v20, 0, 1, vcc
	v_lshlrev_b32_e32 v20, 8, v20
	v_ldexp_f64 v[18:19], v[18:19], v20
	v_rsq_f64_e32 v[20:21], v[18:19]
	v_and_b32_e32 v15, 0x80000000, v15
	v_xor_b32_e32 v15, v23, v15
	v_fma_f64 v[76:77], v[14:15], v[14:15], 1.0
	v_mul_f64 v[78:79], v[18:19], v[20:21]
	v_mul_f64 v[20:21], v[20:21], 0.5
	v_fma_f64 v[80:81], -v[20:21], v[78:79], 0.5
	v_fmac_f64_e32 v[78:79], v[78:79], v[80:81]
	v_fma_f64 v[82:83], -v[78:79], v[78:79], v[18:19]
	v_fmac_f64_e32 v[20:21], v[20:21], v[80:81]
	v_fmac_f64_e32 v[78:79], v[82:83], v[20:21]
	v_fma_f64 v[80:81], -v[78:79], v[78:79], v[18:19]
	v_fmac_f64_e32 v[78:79], v[80:81], v[20:21]
	v_cndmask_b32_e32 v20, 0, v95, vcc
	v_ldexp_f64 v[20:21], v[78:79], v20
	v_cmp_class_f64_e32 vcc, v[18:19], v91
	v_cndmask_b32_e32 v19, v21, v19, vcc
	v_cndmask_b32_e32 v18, v20, v18, vcc
	v_mul_f64 v[20:21], v[16:17], v[76:77]
	v_mul_f64 v[18:19], v[18:19], v[76:77]
	v_fma_f64 v[78:79], v[16:17], v[20:21], 1.0
	v_mul_f64 v[16:17], v[16:17], v[18:19]
	v_div_scale_f64 v[18:19], s[10:11], v[78:79], v[78:79], v[16:17]
	v_rcp_f64_e32 v[20:21], v[18:19]
	v_fma_f64 v[76:77], -v[18:19], v[20:21], 1.0
	v_fmac_f64_e32 v[20:21], v[20:21], v[76:77]
	v_fma_f64 v[76:77], -v[18:19], v[20:21], 1.0
	v_fmac_f64_e32 v[20:21], v[20:21], v[76:77]
	v_div_scale_f64 v[76:77], vcc, v[16:17], v[78:79], v[16:17]
	v_mul_f64 v[80:81], v[76:77], v[20:21]
	v_fma_f64 v[18:19], -v[18:19], v[80:81], v[76:77]
	v_div_scale_f64 v[76:77], s[10:11], v[78:79], v[78:79], v[14:15]
	v_rcp_f64_e32 v[82:83], v[76:77]
	v_div_fmas_f64 v[18:19], v[18:19], v[20:21], v[80:81]
	v_div_fixup_f64 v[20:21], v[18:19], v[78:79], v[16:17]
	v_fma_f64 v[16:17], -v[76:77], v[82:83], 1.0
	v_fmac_f64_e32 v[82:83], v[82:83], v[16:17]
	v_fma_f64 v[16:17], -v[76:77], v[82:83], 1.0
	v_fmac_f64_e32 v[82:83], v[82:83], v[16:17]
	v_div_scale_f64 v[16:17], vcc, v[14:15], v[78:79], v[14:15]
	v_mul_f64 v[18:19], v[16:17], v[82:83]
	v_fma_f64 v[16:17], -v[76:77], v[18:19], v[16:17]
	s_nop 1
	v_div_fmas_f64 v[16:17], v[16:17], v[82:83], v[18:19]
	v_div_fixup_f64 v[18:19], v[16:17], v[78:79], v[14:15]
                                        ; implicit-def: $vgpr14_vgpr15
.LBB100_96:                             ;   in Loop: Header=BB100_4 Depth=1
	s_andn2_saveexec_b64 s[58:59], s[58:59]
	s_cbranch_execz .LBB100_106
; %bb.97:                               ;   in Loop: Header=BB100_4 Depth=1
	v_cmp_nlt_f64_e64 s[60:61], |v[14:15]|, s[22:23]
                                        ; implicit-def: $vgpr20
                                        ; implicit-def: $vgpr18_vgpr19
                                        ; implicit-def: $vgpr76_vgpr77
	s_and_saveexec_b64 s[10:11], s[60:61]
	s_xor_b64 s[68:69], exec, s[10:11]
	s_cbranch_execz .LBB100_99
; %bb.98:                               ;   in Loop: Header=BB100_4 Depth=1
	v_and_b32_e32 v20, 0x7fffffff, v15
	v_ldexp_f64 v[78:79], |v[14:15]|, s17
	v_cmp_ge_f64_e64 vcc, |v[14:15]|, s[24:25]
	v_trig_preop_f64 v[18:19], |v[14:15]|, 0
	v_cndmask_b32_e32 v79, v20, v79, vcc
	v_cndmask_b32_e32 v78, v14, v78, vcc
	v_trig_preop_f64 v[76:77], |v[14:15]|, 1
	v_mul_f64 v[82:83], v[18:19], v[78:79]
	v_mul_f64 v[80:81], v[76:77], v[78:79]
	v_fma_f64 v[18:19], v[18:19], v[78:79], -v[82:83]
	v_add_f64 v[84:85], v[80:81], v[18:19]
	v_add_f64 v[86:87], v[82:83], v[84:85]
	v_ldexp_f64 v[98:99], v[86:87], -2
	v_fract_f64_e32 v[100:101], v[98:99]
	v_cmp_neq_f64_e64 vcc, |v[98:99]|, s[26:27]
	v_cndmask_b32_e32 v99, 0, v101, vcc
	v_cndmask_b32_e32 v98, 0, v100, vcc
	v_add_f64 v[100:101], v[84:85], -v[80:81]
	v_add_f64 v[18:19], v[18:19], -v[100:101]
	;; [unrolled: 1-line block ×4, first 2 shown]
	v_fma_f64 v[76:77], v[76:77], v[78:79], -v[80:81]
	v_trig_preop_f64 v[80:81], |v[14:15]|, 2
	v_add_f64 v[18:19], v[18:19], v[100:101]
	v_mul_f64 v[100:101], v[80:81], v[78:79]
	v_add_f64 v[102:103], v[100:101], v[76:77]
	v_add_f64 v[104:105], v[102:103], v[18:19]
	v_add_f64 v[82:83], v[86:87], -v[82:83]
	v_add_f64 v[86:87], v[104:105], -v[102:103]
	;; [unrolled: 1-line block ×5, first 2 shown]
	v_add_f64 v[18:19], v[18:19], v[86:87]
	v_add_f64 v[86:87], v[102:103], -v[100:101]
	v_add_f64 v[76:77], v[76:77], -v[86:87]
	;; [unrolled: 1-line block ×4, first 2 shown]
	v_add_f64 v[76:77], v[76:77], v[86:87]
	v_add_f64 v[82:83], v[84:85], -v[82:83]
	v_add_f64 v[18:19], v[76:77], v[18:19]
	v_fma_f64 v[76:77], v[80:81], v[78:79], -v[100:101]
	v_add_f64 v[84:85], v[82:83], v[104:105]
	v_add_f64 v[18:19], v[76:77], v[18:19]
	v_ldexp_f64 v[76:77], v[98:99], 2
	v_add_f64 v[78:79], v[84:85], v[76:77]
	v_cmp_gt_f64_e32 vcc, 0, v[78:79]
	v_cndmask_b32_e32 v23, 0, v92, vcc
	v_add_f64 v[76:77], v[76:77], v[22:23]
	v_add_f64 v[78:79], v[84:85], v[76:77]
	v_cvt_i32_f64_e32 v20, v[78:79]
	v_cvt_f64_i32_e32 v[78:79], v20
	v_add_f64 v[76:77], v[76:77], -v[78:79]
	v_add_f64 v[82:83], v[84:85], -v[82:83]
	v_add_f64 v[78:79], v[84:85], v[76:77]
	v_add_f64 v[82:83], v[104:105], -v[82:83]
	v_add_f64 v[76:77], v[78:79], -v[76:77]
	v_cmp_le_f64_e32 vcc, 0.5, v[78:79]
	v_add_f64 v[18:19], v[82:83], v[18:19]
	v_add_f64 v[76:77], v[84:85], -v[76:77]
	v_cndmask_b32_e32 v23, 0, v93, vcc
	v_add_f64 v[18:19], v[18:19], v[76:77]
	v_add_f64 v[76:77], v[78:79], -v[22:23]
	v_add_f64 v[78:79], v[76:77], v[18:19]
	v_add_f64 v[76:77], v[78:79], -v[76:77]
	s_mov_b32 s28, s30
	v_add_f64 v[18:19], v[18:19], -v[76:77]
	v_mul_f64 v[76:77], v[78:79], s[28:29]
	v_fma_f64 v[80:81], v[78:79], s[28:29], -v[76:77]
	s_mov_b32 s37, s35
	v_fmac_f64_e32 v[80:81], s[36:37], v[78:79]
	v_fmac_f64_e32 v[80:81], s[28:29], v[18:19]
	v_add_f64 v[18:19], v[76:77], v[80:81]
	v_add_f64 v[76:77], v[18:19], -v[76:77]
	v_addc_co_u32_e64 v20, s[10:11], 0, v20, vcc
	v_add_f64 v[76:77], v[80:81], -v[76:77]
	s_andn2_saveexec_b64 s[10:11], s[68:69]
	s_cbranch_execz .LBB100_101
	s_branch .LBB100_100
.LBB100_99:                             ;   in Loop: Header=BB100_4 Depth=1
	s_andn2_saveexec_b64 s[10:11], s[68:69]
	s_cbranch_execz .LBB100_101
.LBB100_100:                            ;   in Loop: Header=BB100_4 Depth=1
	v_mul_f64 v[18:19], |v[14:15]|, s[38:39]
	v_rndne_f64_e32 v[78:79], v[18:19]
	v_fma_f64 v[18:19], v[78:79], s[30:31], |v[14:15]|
	v_mul_f64 v[80:81], v[78:79], s[40:41]
	v_add_f64 v[84:85], v[18:19], v[80:81]
	v_fma_f64 v[76:77], s[40:41], v[78:79], v[18:19]
	s_mov_b32 s34, s40
	v_add_f64 v[18:19], v[18:19], -v[84:85]
	v_fma_f64 v[82:83], s[34:35], v[78:79], v[80:81]
	v_add_f64 v[18:19], v[18:19], v[80:81]
	v_add_f64 v[80:81], v[84:85], -v[76:77]
	v_add_f64 v[18:19], v[80:81], v[18:19]
	v_add_f64 v[80:81], v[18:19], -v[82:83]
	v_fmac_f64_e32 v[80:81], s[42:43], v[78:79]
	v_add_f64 v[18:19], v[76:77], v[80:81]
	v_add_f64 v[76:77], v[18:19], -v[76:77]
	v_add_f64 v[76:77], v[80:81], -v[76:77]
	v_cvt_i32_f64_e32 v20, v[78:79]
.LBB100_101:                            ;   in Loop: Header=BB100_4 Depth=1
	s_or_b64 exec, exec, s[10:11]
                                        ; implicit-def: $vgpr82
                                        ; implicit-def: $vgpr78_vgpr79
                                        ; implicit-def: $vgpr80_vgpr81
	s_and_saveexec_b64 s[10:11], s[60:61]
	s_xor_b64 s[60:61], exec, s[10:11]
	s_cbranch_execz .LBB100_103
; %bb.102:                              ;   in Loop: Header=BB100_4 Depth=1
	v_and_b32_e32 v23, 0x7fffffff, v15
	v_ldexp_f64 v[82:83], |v[14:15]|, s17
	v_cmp_ge_f64_e64 vcc, |v[14:15]|, s[24:25]
	v_trig_preop_f64 v[78:79], |v[14:15]|, 0
	v_cndmask_b32_e32 v83, v23, v83, vcc
	v_cndmask_b32_e32 v82, v14, v82, vcc
	v_trig_preop_f64 v[80:81], |v[14:15]|, 1
	v_mul_f64 v[86:87], v[78:79], v[82:83]
	v_mul_f64 v[84:85], v[80:81], v[82:83]
	v_fma_f64 v[78:79], v[78:79], v[82:83], -v[86:87]
	v_add_f64 v[98:99], v[84:85], v[78:79]
	v_add_f64 v[100:101], v[86:87], v[98:99]
	v_ldexp_f64 v[102:103], v[100:101], -2
	v_fract_f64_e32 v[104:105], v[102:103]
	v_cmp_neq_f64_e64 vcc, |v[102:103]|, s[26:27]
	v_cndmask_b32_e32 v103, 0, v105, vcc
	v_cndmask_b32_e32 v102, 0, v104, vcc
	v_add_f64 v[104:105], v[98:99], -v[84:85]
	v_add_f64 v[78:79], v[78:79], -v[104:105]
	;; [unrolled: 1-line block ×4, first 2 shown]
	v_fma_f64 v[80:81], v[80:81], v[82:83], -v[84:85]
	v_trig_preop_f64 v[84:85], |v[14:15]|, 2
	v_add_f64 v[78:79], v[78:79], v[104:105]
	v_mul_f64 v[104:105], v[84:85], v[82:83]
	v_add_f64 v[106:107], v[104:105], v[80:81]
	v_add_f64 v[108:109], v[106:107], v[78:79]
	v_add_f64 v[86:87], v[100:101], -v[86:87]
	v_add_f64 v[100:101], v[108:109], -v[106:107]
	;; [unrolled: 1-line block ×5, first 2 shown]
	v_add_f64 v[78:79], v[78:79], v[100:101]
	v_add_f64 v[100:101], v[106:107], -v[104:105]
	v_add_f64 v[80:81], v[80:81], -v[100:101]
	;; [unrolled: 1-line block ×4, first 2 shown]
	v_add_f64 v[80:81], v[80:81], v[100:101]
	v_add_f64 v[86:87], v[98:99], -v[86:87]
	v_add_f64 v[78:79], v[80:81], v[78:79]
	v_fma_f64 v[80:81], v[84:85], v[82:83], -v[104:105]
	v_add_f64 v[98:99], v[86:87], v[108:109]
	v_add_f64 v[78:79], v[80:81], v[78:79]
	v_ldexp_f64 v[80:81], v[102:103], 2
	v_add_f64 v[82:83], v[98:99], v[80:81]
	v_cmp_gt_f64_e32 vcc, 0, v[82:83]
	v_cndmask_b32_e32 v23, 0, v92, vcc
	v_add_f64 v[80:81], v[80:81], v[22:23]
	v_add_f64 v[82:83], v[98:99], v[80:81]
	v_cvt_i32_f64_e32 v23, v[82:83]
	v_cvt_f64_i32_e32 v[82:83], v23
	v_add_f64 v[80:81], v[80:81], -v[82:83]
	v_add_f64 v[86:87], v[98:99], -v[86:87]
	v_add_f64 v[84:85], v[98:99], v[80:81]
	v_add_f64 v[86:87], v[108:109], -v[86:87]
	v_add_f64 v[80:81], v[84:85], -v[80:81]
	v_cmp_le_f64_e32 vcc, 0.5, v[84:85]
	v_add_f64 v[78:79], v[86:87], v[78:79]
	v_add_f64 v[80:81], v[98:99], -v[80:81]
	v_addc_co_u32_e64 v82, s[10:11], 0, v23, vcc
	v_cndmask_b32_e32 v23, 0, v93, vcc
	v_add_f64 v[78:79], v[78:79], v[80:81]
	v_add_f64 v[80:81], v[84:85], -v[22:23]
	v_add_f64 v[84:85], v[80:81], v[78:79]
	v_add_f64 v[80:81], v[84:85], -v[80:81]
	s_mov_b32 s28, s30
	v_add_f64 v[78:79], v[78:79], -v[80:81]
	v_mul_f64 v[80:81], v[84:85], s[28:29]
	v_fma_f64 v[86:87], v[84:85], s[28:29], -v[80:81]
	s_mov_b32 s37, s35
	v_fmac_f64_e32 v[86:87], s[36:37], v[84:85]
	v_fmac_f64_e32 v[86:87], s[28:29], v[78:79]
	v_add_f64 v[78:79], v[80:81], v[86:87]
	v_add_f64 v[80:81], v[78:79], -v[80:81]
	v_add_f64 v[80:81], v[86:87], -v[80:81]
	s_andn2_saveexec_b64 s[10:11], s[60:61]
	s_cbranch_execnz .LBB100_104
	s_branch .LBB100_105
.LBB100_103:                            ;   in Loop: Header=BB100_4 Depth=1
	s_andn2_saveexec_b64 s[10:11], s[60:61]
	s_cbranch_execz .LBB100_105
.LBB100_104:                            ;   in Loop: Header=BB100_4 Depth=1
	v_mul_f64 v[78:79], |v[14:15]|, s[38:39]
	v_rndne_f64_e32 v[82:83], v[78:79]
	v_fma_f64 v[78:79], v[82:83], s[30:31], |v[14:15]|
	v_mul_f64 v[84:85], v[82:83], s[40:41]
	v_add_f64 v[98:99], v[78:79], v[84:85]
	v_fma_f64 v[80:81], s[40:41], v[82:83], v[78:79]
	s_mov_b32 s34, s40
	v_add_f64 v[78:79], v[78:79], -v[98:99]
	v_fma_f64 v[86:87], s[34:35], v[82:83], v[84:85]
	v_add_f64 v[78:79], v[78:79], v[84:85]
	v_add_f64 v[84:85], v[98:99], -v[80:81]
	v_add_f64 v[78:79], v[84:85], v[78:79]
	v_add_f64 v[84:85], v[78:79], -v[86:87]
	v_fmac_f64_e32 v[84:85], s[42:43], v[82:83]
	v_add_f64 v[78:79], v[80:81], v[84:85]
	v_add_f64 v[80:81], v[78:79], -v[80:81]
	v_add_f64 v[80:81], v[84:85], -v[80:81]
	v_cvt_i32_f64_e32 v82, v[82:83]
.LBB100_105:                            ;   in Loop: Header=BB100_4 Depth=1
	s_or_b64 exec, exec, s[10:11]
	v_mul_f64 v[84:85], v[18:19], v[18:19]
	v_pk_mov_b32 v[102:103], s[74:75], s[74:75] op_sel:[0,1]
	v_mul_f64 v[86:87], v[84:85], 0.5
	v_fma_f64 v[104:105], s[76:77], v[84:85], v[102:103]
	v_add_f64 v[98:99], -v[86:87], 1.0
	v_fma_f64 v[104:105], v[84:85], v[104:105], s[78:79]
	v_add_f64 v[100:101], -v[98:99], 1.0
	v_fma_f64 v[104:105], v[84:85], v[104:105], s[80:81]
	v_add_f64 v[86:87], v[100:101], -v[86:87]
	v_fma_f64 v[104:105], v[84:85], v[104:105], s[82:83]
	v_mul_f64 v[100:101], v[84:85], v[84:85]
	v_fma_f64 v[104:105], v[84:85], v[104:105], s[66:67]
	v_fma_f64 v[86:87], v[18:19], -v[76:77], v[86:87]
	v_fmac_f64_e32 v[86:87], v[100:101], v[104:105]
	v_add_f64 v[86:87], v[98:99], v[86:87]
	v_pk_mov_b32 v[98:99], s[84:85], s[84:85] op_sel:[0,1]
	v_fma_f64 v[100:101], s[86:87], v[84:85], v[98:99]
	v_fma_f64 v[100:101], v[84:85], v[100:101], s[88:89]
	;; [unrolled: 1-line block ×4, first 2 shown]
	v_mul_f64 v[104:105], v[18:19], -v[84:85]
	v_mul_f64 v[106:107], v[76:77], 0.5
	v_fmac_f64_e32 v[106:107], v[104:105], v[100:101]
	v_fma_f64 v[76:77], v[84:85], v[106:107], -v[76:77]
	s_mov_b32 s92, s66
	v_fmac_f64_e32 v[76:77], s[92:93], v[104:105]
	v_and_b32_e32 v14, 1, v20
	v_add_f64 v[18:19], v[18:19], -v[76:77]
	v_cmp_eq_u32_e32 vcc, 0, v14
	v_cndmask_b32_e32 v14, v86, v18, vcc
	v_cndmask_b32_e32 v18, v87, v19, vcc
	v_lshlrev_b32_e32 v19, 30, v20
	v_xor_b32_e32 v15, v19, v15
	v_and_b32_e32 v15, 0x80000000, v15
	v_xor_b32_e32 v15, v18, v15
	v_mul_f64 v[18:19], |v[16:17]|, s[54:55]
	v_rndne_f64_e32 v[18:19], v[18:19]
	v_fma_f64 v[76:77], v[18:19], s[46:47], -|v[16:17]|
	v_fmac_f64_e32 v[76:77], s[50:51], v[18:19]
	v_pk_mov_b32 v[84:85], v[58:59], v[58:59] op_sel:[0,1]
	v_fmac_f64_e32 v[84:85], s[62:63], v[76:77]
	v_pk_mov_b32 v[86:87], v[60:61], v[60:61] op_sel:[0,1]
	;; [unrolled: 2-line block ×9, first 2 shown]
	v_fmac_f64_e32 v[84:85], v[76:77], v[86:87]
	v_fma_f64 v[84:85], v[76:77], v[84:85], 1.0
	s_mov_b32 s10, 0
	v_fma_f64 v[76:77], v[76:77], v[84:85], 1.0
	v_cvt_i32_f64_e32 v18, v[18:19]
	s_mov_b32 s11, 0x4090cc00
	v_ldexp_f64 v[18:19], v[76:77], v18
	v_cmp_ngt_f64_e64 vcc, |v[16:17]|, s[10:11]
	v_cndmask_b32_e32 v17, 0, v19, vcc
	v_cndmask_b32_e32 v16, 0, v18, vcc
	v_mul_f64 v[18:19], v[78:79], v[78:79]
	v_bfi_b32 v23, s73, v93, v21
	v_mul_f64 v[20:21], v[18:19], 0.5
	v_fmac_f64_e32 v[102:103], s[76:77], v[18:19]
	v_add_f64 v[76:77], -v[20:21], 1.0
	v_fma_f64 v[86:87], v[18:19], v[102:103], s[78:79]
	v_add_f64 v[84:85], -v[76:77], 1.0
	v_fma_f64 v[86:87], v[18:19], v[86:87], s[80:81]
	v_add_f64 v[20:21], v[84:85], -v[20:21]
	v_fma_f64 v[86:87], v[18:19], v[86:87], s[82:83]
	v_mul_f64 v[84:85], v[18:19], v[18:19]
	v_fma_f64 v[86:87], v[18:19], v[86:87], s[66:67]
	v_fma_f64 v[20:21], v[78:79], -v[80:81], v[20:21]
	v_fmac_f64_e32 v[20:21], v[84:85], v[86:87]
	v_fmac_f64_e32 v[98:99], s[86:87], v[18:19]
	v_add_f64 v[20:21], v[76:77], v[20:21]
	v_fma_f64 v[76:77], v[18:19], v[98:99], s[88:89]
	v_fma_f64 v[76:77], v[18:19], v[76:77], s[90:91]
	;; [unrolled: 1-line block ×3, first 2 shown]
	v_mul_f64 v[84:85], v[78:79], -v[18:19]
	v_mul_f64 v[86:87], v[80:81], 0.5
	v_fmac_f64_e32 v[86:87], v[84:85], v[76:77]
	v_fma_f64 v[18:19], v[18:19], v[86:87], -v[80:81]
	v_fmac_f64_e32 v[18:19], s[92:93], v[84:85]
	v_and_b32_e32 v76, 1, v82
	v_add_f64 v[18:19], v[78:79], -v[18:19]
	v_cmp_eq_u32_e32 vcc, 0, v76
	v_xor_b32_e32 v19, 0x80000000, v19
	v_cndmask_b32_e32 v18, v18, v20, vcc
	v_lshlrev_b32_e32 v20, 30, v82
	v_cndmask_b32_e32 v19, v19, v21, vcc
	v_and_b32_e32 v20, 0x80000000, v20
	v_mul_f64 v[14:15], v[14:15], 4.0
	v_xor_b32_e32 v19, v19, v20
	v_mul_f64 v[14:15], v[14:15], v[18:19]
	v_mul_f64 v[14:15], v[16:17], v[14:15]
	;; [unrolled: 1-line block ×3, first 2 shown]
	v_pk_mov_b32 v[20:21], v[22:23], v[22:23] op_sel:[0,1]
.LBB100_106:                            ;   in Loop: Header=BB100_4 Depth=1
	s_or_b64 exec, exec, s[58:59]
                                        ; implicit-def: $vgpr14_vgpr15
.LBB100_107:                            ;   in Loop: Header=BB100_4 Depth=1
	s_andn2_saveexec_b64 s[10:11], s[44:45]
; %bb.108:                              ;   in Loop: Header=BB100_4 Depth=1
	v_add_f64 v[18:19], v[14:15], -v[14:15]
	v_pk_mov_b32 v[20:21], v[18:19], v[18:19] op_sel:[0,1]
; %bb.109:                              ;   in Loop: Header=BB100_4 Depth=1
	s_or_b64 exec, exec, s[10:11]
                                        ; implicit-def: $vgpr14_vgpr15
.LBB100_110:                            ;   in Loop: Header=BB100_4 Depth=1
	s_andn2_saveexec_b64 s[14:15], s[14:15]
	s_cbranch_execz .LBB100_126
; %bb.111:                              ;   in Loop: Header=BB100_4 Depth=1
	v_and_or_b32 v18, v21, s16, v20
	v_cmp_ne_u32_e32 vcc, 0, v18
	s_and_saveexec_b64 s[10:11], vcc
	s_xor_b64 s[10:11], exec, s[10:11]
; %bb.112:                              ;   in Loop: Header=BB100_4 Depth=1
	v_mul_f64 v[16:17], v[14:15], -v[16:17]
	v_cmp_eq_f64_e32 vcc, 0, v[14:15]
	v_cndmask_b32_e32 v19, v17, v15, vcc
	v_cndmask_b32_e32 v18, v16, v14, vcc
                                        ; implicit-def: $vgpr14_vgpr15
; %bb.113:                              ;   in Loop: Header=BB100_4 Depth=1
	s_andn2_saveexec_b64 s[44:45], s[10:11]
	s_cbranch_execz .LBB100_125
; %bb.114:                              ;   in Loop: Header=BB100_4 Depth=1
	v_cmp_neq_f64_e64 s[10:11], |v[14:15]|, s[26:27]
	s_and_saveexec_b64 s[58:59], s[10:11]
	s_cbranch_execz .LBB100_124
; %bb.115:                              ;   in Loop: Header=BB100_4 Depth=1
	v_cmp_nlt_f64_e64 s[60:61], |v[14:15]|, s[22:23]
	v_trig_preop_f64 v[80:81], |v[14:15]|, 0
	v_trig_preop_f64 v[78:79], |v[14:15]|, 1
	v_ldexp_f64 v[82:83], |v[14:15]|, s17
	v_trig_preop_f64 v[76:77], |v[14:15]|, 2
	v_and_b32_e32 v98, 0x7fffffff, v15
                                        ; implicit-def: $vgpr97
                                        ; implicit-def: $vgpr16_vgpr17
                                        ; implicit-def: $vgpr18_vgpr19
	s_and_saveexec_b64 s[10:11], s[60:61]
	s_xor_b64 s[68:69], exec, s[10:11]
	s_cbranch_execz .LBB100_117
; %bb.116:                              ;   in Loop: Header=BB100_4 Depth=1
	v_cmp_ge_f64_e64 vcc, |v[14:15]|, s[24:25]
	v_cndmask_b32_e32 v17, v98, v83, vcc
	v_cndmask_b32_e32 v16, v14, v82, vcc
	v_mul_f64 v[84:85], v[80:81], v[16:17]
	v_mul_f64 v[18:19], v[78:79], v[16:17]
	v_fma_f64 v[86:87], v[80:81], v[16:17], -v[84:85]
	v_add_f64 v[100:101], v[18:19], v[86:87]
	v_add_f64 v[102:103], v[84:85], v[100:101]
	v_ldexp_f64 v[104:105], v[102:103], -2
	v_fract_f64_e32 v[106:107], v[104:105]
	v_cmp_neq_f64_e64 vcc, |v[104:105]|, s[26:27]
	v_cndmask_b32_e32 v105, 0, v107, vcc
	v_cndmask_b32_e32 v104, 0, v106, vcc
	v_add_f64 v[106:107], v[100:101], -v[18:19]
	v_add_f64 v[86:87], v[86:87], -v[106:107]
	;; [unrolled: 1-line block ×4, first 2 shown]
	v_add_f64 v[86:87], v[86:87], v[106:107]
	v_fma_f64 v[18:19], v[78:79], v[16:17], -v[18:19]
	v_mul_f64 v[106:107], v[76:77], v[16:17]
	v_add_f64 v[108:109], v[106:107], v[18:19]
	v_add_f64 v[110:111], v[108:109], v[86:87]
	v_add_f64 v[84:85], v[102:103], -v[84:85]
	v_add_f64 v[102:103], v[110:111], -v[108:109]
	v_add_f64 v[86:87], v[86:87], -v[102:103]
	v_add_f64 v[102:103], v[110:111], -v[102:103]
	v_add_f64 v[102:103], v[108:109], -v[102:103]
	v_add_f64 v[86:87], v[86:87], v[102:103]
	v_add_f64 v[102:103], v[108:109], -v[106:107]
	v_add_f64 v[18:19], v[18:19], -v[102:103]
	;; [unrolled: 1-line block ×5, first 2 shown]
	v_add_f64 v[100:101], v[84:85], v[110:111]
	v_add_f64 v[18:19], v[18:19], v[102:103]
	v_add_f64 v[84:85], v[100:101], -v[84:85]
	v_add_f64 v[18:19], v[18:19], v[86:87]
	v_fma_f64 v[16:17], v[76:77], v[16:17], -v[106:107]
	v_add_f64 v[84:85], v[110:111], -v[84:85]
	v_add_f64 v[16:17], v[16:17], v[18:19]
	v_ldexp_f64 v[18:19], v[104:105], 2
	v_add_f64 v[16:17], v[84:85], v[16:17]
	v_add_f64 v[84:85], v[100:101], v[18:19]
	v_cmp_gt_f64_e32 vcc, 0, v[84:85]
	v_cndmask_b32_e32 v23, 0, v92, vcc
	v_add_f64 v[18:19], v[18:19], v[22:23]
	v_add_f64 v[84:85], v[100:101], v[18:19]
	v_cvt_i32_f64_e32 v23, v[84:85]
	v_cvt_f64_i32_e32 v[84:85], v23
	v_add_f64 v[18:19], v[18:19], -v[84:85]
	v_add_f64 v[84:85], v[100:101], v[18:19]
	v_add_f64 v[18:19], v[84:85], -v[18:19]
	v_cmp_le_f64_e32 vcc, 0.5, v[84:85]
	v_add_f64 v[18:19], v[100:101], -v[18:19]
	v_addc_co_u32_e64 v97, s[10:11], 0, v23, vcc
	v_cndmask_b32_e32 v23, 0, v93, vcc
	v_add_f64 v[16:17], v[16:17], v[18:19]
	v_add_f64 v[18:19], v[84:85], -v[22:23]
	v_add_f64 v[84:85], v[18:19], v[16:17]
	v_add_f64 v[18:19], v[84:85], -v[18:19]
	s_mov_b32 s28, s30
	v_add_f64 v[16:17], v[16:17], -v[18:19]
	v_mul_f64 v[18:19], v[84:85], s[28:29]
	v_fma_f64 v[86:87], v[84:85], s[28:29], -v[18:19]
	s_mov_b32 s37, s35
	v_fmac_f64_e32 v[86:87], s[36:37], v[84:85]
	v_fmac_f64_e32 v[86:87], s[28:29], v[16:17]
	v_add_f64 v[16:17], v[18:19], v[86:87]
	v_add_f64 v[18:19], v[16:17], -v[18:19]
	v_add_f64 v[18:19], v[86:87], -v[18:19]
	s_andn2_saveexec_b64 s[10:11], s[68:69]
	s_cbranch_execz .LBB100_119
	s_branch .LBB100_118
.LBB100_117:                            ;   in Loop: Header=BB100_4 Depth=1
	s_andn2_saveexec_b64 s[10:11], s[68:69]
	s_cbranch_execz .LBB100_119
.LBB100_118:                            ;   in Loop: Header=BB100_4 Depth=1
	v_mul_f64 v[16:17], |v[14:15]|, s[38:39]
	v_rndne_f64_e32 v[84:85], v[16:17]
	v_fma_f64 v[16:17], v[84:85], s[30:31], |v[14:15]|
	v_mul_f64 v[86:87], v[84:85], s[40:41]
	v_add_f64 v[102:103], v[16:17], v[86:87]
	v_fma_f64 v[18:19], s[40:41], v[84:85], v[16:17]
	s_mov_b32 s34, s40
	v_add_f64 v[16:17], v[16:17], -v[102:103]
	v_fma_f64 v[100:101], s[34:35], v[84:85], v[86:87]
	v_add_f64 v[16:17], v[16:17], v[86:87]
	v_add_f64 v[86:87], v[102:103], -v[18:19]
	v_add_f64 v[16:17], v[86:87], v[16:17]
	v_add_f64 v[86:87], v[16:17], -v[100:101]
	v_fmac_f64_e32 v[86:87], s[42:43], v[84:85]
	v_add_f64 v[16:17], v[18:19], v[86:87]
	v_add_f64 v[18:19], v[16:17], -v[18:19]
	v_add_f64 v[18:19], v[86:87], -v[18:19]
	v_cvt_i32_f64_e32 v97, v[84:85]
.LBB100_119:                            ;   in Loop: Header=BB100_4 Depth=1
	s_or_b64 exec, exec, s[10:11]
                                        ; implicit-def: $vgpr99
                                        ; implicit-def: $vgpr84_vgpr85
                                        ; implicit-def: $vgpr86_vgpr87
	s_and_saveexec_b64 s[10:11], s[60:61]
	s_xor_b64 s[60:61], exec, s[10:11]
	s_cbranch_execz .LBB100_121
; %bb.120:                              ;   in Loop: Header=BB100_4 Depth=1
	v_cmp_ge_f64_e64 vcc, |v[14:15]|, s[24:25]
	v_cndmask_b32_e32 v83, v98, v83, vcc
	v_cndmask_b32_e32 v82, v14, v82, vcc
	v_mul_f64 v[86:87], v[80:81], v[82:83]
	v_mul_f64 v[84:85], v[78:79], v[82:83]
	v_fma_f64 v[80:81], v[80:81], v[82:83], -v[86:87]
	v_add_f64 v[98:99], v[84:85], v[80:81]
	v_add_f64 v[100:101], v[86:87], v[98:99]
	v_ldexp_f64 v[102:103], v[100:101], -2
	v_fract_f64_e32 v[104:105], v[102:103]
	v_cmp_neq_f64_e64 vcc, |v[102:103]|, s[26:27]
	v_cndmask_b32_e32 v103, 0, v105, vcc
	v_cndmask_b32_e32 v102, 0, v104, vcc
	v_add_f64 v[104:105], v[98:99], -v[84:85]
	v_add_f64 v[80:81], v[80:81], -v[104:105]
	;; [unrolled: 1-line block ×4, first 2 shown]
	v_fma_f64 v[78:79], v[78:79], v[82:83], -v[84:85]
	v_mul_f64 v[84:85], v[76:77], v[82:83]
	v_add_f64 v[80:81], v[80:81], v[104:105]
	v_add_f64 v[104:105], v[84:85], v[78:79]
	;; [unrolled: 1-line block ×3, first 2 shown]
	v_add_f64 v[86:87], v[100:101], -v[86:87]
	v_add_f64 v[100:101], v[106:107], -v[104:105]
	;; [unrolled: 1-line block ×5, first 2 shown]
	v_add_f64 v[80:81], v[80:81], v[100:101]
	v_add_f64 v[100:101], v[104:105], -v[84:85]
	v_add_f64 v[78:79], v[78:79], -v[100:101]
	;; [unrolled: 1-line block ×4, first 2 shown]
	v_add_f64 v[78:79], v[78:79], v[100:101]
	v_add_f64 v[86:87], v[98:99], -v[86:87]
	v_add_f64 v[78:79], v[78:79], v[80:81]
	v_fma_f64 v[76:77], v[76:77], v[82:83], -v[84:85]
	v_add_f64 v[98:99], v[86:87], v[106:107]
	v_add_f64 v[76:77], v[76:77], v[78:79]
	v_ldexp_f64 v[78:79], v[102:103], 2
	v_add_f64 v[80:81], v[98:99], v[78:79]
	v_cmp_gt_f64_e32 vcc, 0, v[80:81]
	v_cndmask_b32_e32 v23, 0, v92, vcc
	v_add_f64 v[78:79], v[78:79], v[22:23]
	v_add_f64 v[80:81], v[98:99], v[78:79]
	v_cvt_i32_f64_e32 v23, v[80:81]
	v_cvt_f64_i32_e32 v[80:81], v23
	v_add_f64 v[78:79], v[78:79], -v[80:81]
	v_add_f64 v[86:87], v[98:99], -v[86:87]
	v_add_f64 v[80:81], v[98:99], v[78:79]
	v_add_f64 v[86:87], v[106:107], -v[86:87]
	v_add_f64 v[78:79], v[80:81], -v[78:79]
	v_cmp_le_f64_e32 vcc, 0.5, v[80:81]
	v_add_f64 v[76:77], v[86:87], v[76:77]
	v_add_f64 v[78:79], v[98:99], -v[78:79]
	v_addc_co_u32_e64 v99, s[10:11], 0, v23, vcc
	v_cndmask_b32_e32 v23, 0, v93, vcc
	v_add_f64 v[76:77], v[76:77], v[78:79]
	v_add_f64 v[78:79], v[80:81], -v[22:23]
	v_add_f64 v[80:81], v[78:79], v[76:77]
	v_add_f64 v[78:79], v[80:81], -v[78:79]
	s_mov_b32 s28, s30
	v_add_f64 v[76:77], v[76:77], -v[78:79]
	v_mul_f64 v[78:79], v[80:81], s[28:29]
	v_fma_f64 v[82:83], v[80:81], s[28:29], -v[78:79]
	s_mov_b32 s37, s35
	v_fmac_f64_e32 v[82:83], s[36:37], v[80:81]
	v_fmac_f64_e32 v[82:83], s[28:29], v[76:77]
	v_add_f64 v[84:85], v[78:79], v[82:83]
	v_add_f64 v[76:77], v[84:85], -v[78:79]
	v_add_f64 v[86:87], v[82:83], -v[76:77]
	s_andn2_saveexec_b64 s[10:11], s[60:61]
	s_cbranch_execnz .LBB100_122
	s_branch .LBB100_123
.LBB100_121:                            ;   in Loop: Header=BB100_4 Depth=1
	s_andn2_saveexec_b64 s[10:11], s[60:61]
	s_cbranch_execz .LBB100_123
.LBB100_122:                            ;   in Loop: Header=BB100_4 Depth=1
	v_mul_f64 v[76:77], |v[14:15]|, s[38:39]
	v_rndne_f64_e32 v[76:77], v[76:77]
	v_fma_f64 v[78:79], v[76:77], s[30:31], |v[14:15]|
	v_mul_f64 v[82:83], v[76:77], s[40:41]
	v_add_f64 v[86:87], v[78:79], v[82:83]
	v_fma_f64 v[80:81], s[40:41], v[76:77], v[78:79]
	s_mov_b32 s34, s40
	v_add_f64 v[78:79], v[78:79], -v[86:87]
	v_fma_f64 v[84:85], s[34:35], v[76:77], v[82:83]
	v_add_f64 v[78:79], v[78:79], v[82:83]
	v_add_f64 v[82:83], v[86:87], -v[80:81]
	v_add_f64 v[78:79], v[82:83], v[78:79]
	v_add_f64 v[78:79], v[78:79], -v[84:85]
	v_fmac_f64_e32 v[78:79], s[42:43], v[76:77]
	v_add_f64 v[84:85], v[80:81], v[78:79]
	v_add_f64 v[80:81], v[84:85], -v[80:81]
	v_add_f64 v[86:87], v[78:79], -v[80:81]
	v_cvt_i32_f64_e32 v99, v[76:77]
.LBB100_123:                            ;   in Loop: Header=BB100_4 Depth=1
	s_or_b64 exec, exec, s[10:11]
	v_mul_f64 v[76:77], v[16:17], v[16:17]
	v_pk_mov_b32 v[100:101], s[74:75], s[74:75] op_sel:[0,1]
	v_mul_f64 v[78:79], v[76:77], 0.5
	v_fma_f64 v[102:103], s[76:77], v[76:77], v[100:101]
	v_add_f64 v[80:81], -v[78:79], 1.0
	v_fma_f64 v[102:103], v[76:77], v[102:103], s[78:79]
	v_add_f64 v[82:83], -v[80:81], 1.0
	v_fma_f64 v[102:103], v[76:77], v[102:103], s[80:81]
	v_add_f64 v[78:79], v[82:83], -v[78:79]
	v_fma_f64 v[102:103], v[76:77], v[102:103], s[82:83]
	v_mul_f64 v[82:83], v[76:77], v[76:77]
	v_fma_f64 v[102:103], v[76:77], v[102:103], s[66:67]
	v_fma_f64 v[78:79], v[16:17], -v[18:19], v[78:79]
	v_fmac_f64_e32 v[78:79], v[82:83], v[102:103]
	v_add_f64 v[78:79], v[80:81], v[78:79]
	v_pk_mov_b32 v[80:81], s[84:85], s[84:85] op_sel:[0,1]
	v_fma_f64 v[82:83], s[86:87], v[76:77], v[80:81]
	v_fma_f64 v[82:83], v[76:77], v[82:83], s[88:89]
	;; [unrolled: 1-line block ×4, first 2 shown]
	v_mul_f64 v[102:103], v[16:17], -v[76:77]
	v_mul_f64 v[104:105], v[18:19], 0.5
	v_fmac_f64_e32 v[104:105], v[102:103], v[82:83]
	v_fma_f64 v[18:19], v[76:77], v[104:105], -v[18:19]
	s_mov_b32 s92, s66
	v_fmac_f64_e32 v[18:19], s[92:93], v[102:103]
	v_add_f64 v[16:17], v[16:17], -v[18:19]
	v_and_b32_e32 v18, 1, v97
	v_cmp_eq_u32_e32 vcc, 0, v18
	v_lshlrev_b32_e32 v18, 30, v97
	v_xor_b32_e32 v18, v18, v15
	v_cndmask_b32_e32 v17, v79, v17, vcc
	v_and_b32_e32 v18, 0x80000000, v18
	v_cndmask_b32_e32 v16, v78, v16, vcc
	v_xor_b32_e32 v17, v17, v18
	v_cmp_class_f64_e64 vcc, v[14:15], s95
	v_cndmask_b32_e32 v14, 0, v16, vcc
	v_cndmask_b32_e32 v15, v96, v17, vcc
	v_mul_f64 v[16:17], v[84:85], v[84:85]
	v_mul_f64 v[18:19], v[16:17], 0.5
	v_fmac_f64_e32 v[100:101], s[76:77], v[16:17]
	v_add_f64 v[76:77], -v[18:19], 1.0
	v_fma_f64 v[82:83], v[16:17], v[100:101], s[78:79]
	v_add_f64 v[78:79], -v[76:77], 1.0
	v_fma_f64 v[82:83], v[16:17], v[82:83], s[80:81]
	v_add_f64 v[18:19], v[78:79], -v[18:19]
	v_fma_f64 v[82:83], v[16:17], v[82:83], s[82:83]
	v_mul_f64 v[78:79], v[16:17], v[16:17]
	v_fma_f64 v[82:83], v[16:17], v[82:83], s[66:67]
	v_fma_f64 v[18:19], v[84:85], -v[86:87], v[18:19]
	v_fmac_f64_e32 v[18:19], v[78:79], v[82:83]
	v_fmac_f64_e32 v[80:81], s[86:87], v[16:17]
	v_add_f64 v[18:19], v[76:77], v[18:19]
	v_fma_f64 v[76:77], v[16:17], v[80:81], s[88:89]
	v_fma_f64 v[76:77], v[16:17], v[76:77], s[90:91]
	;; [unrolled: 1-line block ×3, first 2 shown]
	v_mul_f64 v[78:79], v[84:85], -v[16:17]
	v_mul_f64 v[80:81], v[86:87], 0.5
	v_fmac_f64_e32 v[80:81], v[78:79], v[76:77]
	v_fma_f64 v[16:17], v[16:17], v[80:81], -v[86:87]
	v_fmac_f64_e32 v[16:17], s[92:93], v[78:79]
	v_and_b32_e32 v23, 1, v99
	v_add_f64 v[16:17], v[84:85], -v[16:17]
	v_cmp_eq_u32_e64 s[10:11], 0, v23
	v_xor_b32_e32 v17, 0x80000000, v17
	v_cndmask_b32_e64 v16, v16, v18, s[10:11]
	v_lshlrev_b32_e32 v18, 30, v99
	v_cndmask_b32_e64 v17, v17, v19, s[10:11]
	v_and_b32_e32 v18, 0x80000000, v18
	v_xor_b32_e32 v17, v17, v18
	v_cndmask_b32_e32 v16, 0, v16, vcc
	v_cndmask_b32_e32 v17, v96, v17, vcc
	v_mul_f64 v[14:15], v[14:15], v[16:17]
.LBB100_124:                            ;   in Loop: Header=BB100_4 Depth=1
	s_or_b64 exec, exec, s[58:59]
	v_add_co_u32_e32 v20, vcc, 0, v20
	v_bfi_b32 v23, s73, 0, v15
	v_addc_co_u32_e32 v21, vcc, -2.0, v21, vcc
	v_pk_mov_b32 v[18:19], v[22:23], v[22:23] op_sel:[0,1]
.LBB100_125:                            ;   in Loop: Header=BB100_4 Depth=1
	s_or_b64 exec, exec, s[44:45]
.LBB100_126:                            ;   in Loop: Header=BB100_4 Depth=1
	s_or_b64 exec, exec, s[14:15]
	v_xor_b32_e32 v17, 0x80000000, v9
	v_and_b32_e32 v14, 0x7fffffff, v17
	v_mov_b32_e32 v16, v8
	v_cmp_gt_u32_e32 vcc, s94, v14
	s_and_saveexec_b64 s[10:11], vcc
	s_xor_b64 s[14:15], exec, s[10:11]
	s_cbranch_execz .LBB100_137
; %bb.127:                              ;   in Loop: Header=BB100_4 Depth=1
	v_cmp_class_f64_e64 s[10:11], v[6:7], s95
	s_and_saveexec_b64 s[44:45], s[10:11]
	s_xor_b64 s[44:45], exec, s[44:45]
	s_cbranch_execz .LBB100_156
; %bb.128:                              ;   in Loop: Header=BB100_4 Depth=1
	s_mov_b32 s10, 0x40360000
	v_cmp_gt_u32_e32 vcc, s10, v14
	s_and_saveexec_b64 s[10:11], vcc
	s_xor_b64 s[58:59], exec, s[10:11]
	s_cbranch_execz .LBB100_134
; %bb.129:                              ;   in Loop: Header=BB100_4 Depth=1
	v_cmp_nlt_f64_e64 s[10:11], |v[6:7]|, s[22:23]
                                        ; implicit-def: $vgpr16
                                        ; implicit-def: $vgpr14_vgpr15
                                        ; implicit-def: $vgpr76_vgpr77
	s_and_saveexec_b64 s[60:61], s[10:11]
	s_xor_b64 s[60:61], exec, s[60:61]
	s_cbranch_execz .LBB100_131
; %bb.130:                              ;   in Loop: Header=BB100_4 Depth=1
	v_and_b32_e32 v16, 0x7fffffff, v7
	v_ldexp_f64 v[78:79], |v[6:7]|, s17
	v_cmp_ge_f64_e64 vcc, |v[6:7]|, s[24:25]
	v_trig_preop_f64 v[14:15], |v[6:7]|, 0
	v_cndmask_b32_e32 v79, v16, v79, vcc
	v_cndmask_b32_e32 v78, v6, v78, vcc
	v_trig_preop_f64 v[76:77], |v[6:7]|, 1
	v_mul_f64 v[82:83], v[14:15], v[78:79]
	v_mul_f64 v[80:81], v[76:77], v[78:79]
	v_fma_f64 v[14:15], v[14:15], v[78:79], -v[82:83]
	v_add_f64 v[84:85], v[80:81], v[14:15]
	v_add_f64 v[86:87], v[82:83], v[84:85]
	v_ldexp_f64 v[98:99], v[86:87], -2
	v_fract_f64_e32 v[100:101], v[98:99]
	v_cmp_neq_f64_e64 vcc, |v[98:99]|, s[26:27]
	v_cndmask_b32_e32 v99, 0, v101, vcc
	v_cndmask_b32_e32 v98, 0, v100, vcc
	v_add_f64 v[100:101], v[84:85], -v[80:81]
	v_add_f64 v[14:15], v[14:15], -v[100:101]
	;; [unrolled: 1-line block ×4, first 2 shown]
	v_fma_f64 v[76:77], v[76:77], v[78:79], -v[80:81]
	v_trig_preop_f64 v[80:81], |v[6:7]|, 2
	v_add_f64 v[14:15], v[14:15], v[100:101]
	v_mul_f64 v[100:101], v[80:81], v[78:79]
	v_add_f64 v[102:103], v[100:101], v[76:77]
	v_add_f64 v[104:105], v[102:103], v[14:15]
	v_add_f64 v[82:83], v[86:87], -v[82:83]
	v_add_f64 v[86:87], v[104:105], -v[102:103]
	;; [unrolled: 1-line block ×5, first 2 shown]
	v_add_f64 v[14:15], v[14:15], v[86:87]
	v_add_f64 v[86:87], v[102:103], -v[100:101]
	v_add_f64 v[76:77], v[76:77], -v[86:87]
	;; [unrolled: 1-line block ×4, first 2 shown]
	v_add_f64 v[76:77], v[76:77], v[86:87]
	v_add_f64 v[82:83], v[84:85], -v[82:83]
	v_add_f64 v[14:15], v[76:77], v[14:15]
	v_fma_f64 v[76:77], v[80:81], v[78:79], -v[100:101]
	v_add_f64 v[84:85], v[82:83], v[104:105]
	v_add_f64 v[14:15], v[76:77], v[14:15]
	v_ldexp_f64 v[76:77], v[98:99], 2
	v_add_f64 v[78:79], v[84:85], v[76:77]
	v_cmp_gt_f64_e32 vcc, 0, v[78:79]
	v_cndmask_b32_e32 v23, 0, v92, vcc
	v_add_f64 v[76:77], v[76:77], v[22:23]
	v_add_f64 v[78:79], v[84:85], v[76:77]
	v_cvt_i32_f64_e32 v16, v[78:79]
	v_cvt_f64_i32_e32 v[78:79], v16
	v_add_f64 v[76:77], v[76:77], -v[78:79]
	v_add_f64 v[82:83], v[84:85], -v[82:83]
	v_add_f64 v[78:79], v[84:85], v[76:77]
	v_add_f64 v[82:83], v[104:105], -v[82:83]
	v_add_f64 v[76:77], v[78:79], -v[76:77]
	v_cmp_le_f64_e32 vcc, 0.5, v[78:79]
	v_add_f64 v[14:15], v[82:83], v[14:15]
	v_add_f64 v[76:77], v[84:85], -v[76:77]
	v_cndmask_b32_e32 v23, 0, v93, vcc
	v_add_f64 v[14:15], v[14:15], v[76:77]
	v_add_f64 v[76:77], v[78:79], -v[22:23]
	v_add_f64 v[78:79], v[76:77], v[14:15]
	v_add_f64 v[76:77], v[78:79], -v[76:77]
	s_mov_b32 s28, s30
	v_add_f64 v[14:15], v[14:15], -v[76:77]
	v_mul_f64 v[76:77], v[78:79], s[28:29]
	v_fma_f64 v[80:81], v[78:79], s[28:29], -v[76:77]
	s_mov_b32 s37, s35
	v_fmac_f64_e32 v[80:81], s[36:37], v[78:79]
	v_fmac_f64_e32 v[80:81], s[28:29], v[14:15]
	v_add_f64 v[14:15], v[76:77], v[80:81]
	v_add_f64 v[76:77], v[14:15], -v[76:77]
	v_addc_co_u32_e64 v16, s[10:11], 0, v16, vcc
	v_add_f64 v[76:77], v[80:81], -v[76:77]
.LBB100_131:                            ;   in Loop: Header=BB100_4 Depth=1
	s_andn2_saveexec_b64 s[10:11], s[60:61]
	s_cbranch_execz .LBB100_133
; %bb.132:                              ;   in Loop: Header=BB100_4 Depth=1
	v_mul_f64 v[14:15], |v[6:7]|, s[38:39]
	v_rndne_f64_e32 v[78:79], v[14:15]
	v_fma_f64 v[14:15], v[78:79], s[30:31], |v[6:7]|
	v_mul_f64 v[80:81], v[78:79], s[40:41]
	v_add_f64 v[84:85], v[14:15], v[80:81]
	v_fma_f64 v[76:77], s[40:41], v[78:79], v[14:15]
	s_mov_b32 s34, s40
	v_add_f64 v[14:15], v[14:15], -v[84:85]
	v_fma_f64 v[82:83], s[34:35], v[78:79], v[80:81]
	v_add_f64 v[14:15], v[14:15], v[80:81]
	v_add_f64 v[80:81], v[84:85], -v[76:77]
	v_add_f64 v[14:15], v[80:81], v[14:15]
	v_add_f64 v[80:81], v[14:15], -v[82:83]
	v_fmac_f64_e32 v[80:81], s[42:43], v[78:79]
	v_add_f64 v[14:15], v[76:77], v[80:81]
	v_add_f64 v[76:77], v[14:15], -v[76:77]
	v_add_f64 v[76:77], v[80:81], -v[76:77]
	v_cvt_i32_f64_e32 v16, v[78:79]
.LBB100_133:                            ;   in Loop: Header=BB100_4 Depth=1
	s_or_b64 exec, exec, s[10:11]
	v_mul_f64 v[78:79], v[14:15], v[14:15]
	v_fma_f64 v[80:81], v[14:15], v[14:15], -v[78:79]
	v_add_f64 v[82:83], v[76:77], v[76:77]
	v_fmac_f64_e32 v[80:81], v[14:15], v[82:83]
	s_mov_b32 s10, 0xc751c08c
	v_add_f64 v[78:79], v[78:79], v[80:81]
	v_pk_mov_b32 v[80:81], v[32:33], v[32:33] op_sel:[0,1]
	s_mov_b32 s11, 0x3ef5e089
	v_fmac_f64_e32 v[80:81], s[10:11], v[78:79]
	v_pk_mov_b32 v[82:83], v[34:35], v[34:35] op_sel:[0,1]
	v_fmac_f64_e32 v[82:83], v[78:79], v[80:81]
	v_pk_mov_b32 v[80:81], v[36:37], v[36:37] op_sel:[0,1]
	;; [unrolled: 2-line block ×12, first 2 shown]
	v_fmac_f64_e32 v[80:81], v[78:79], v[82:83]
	v_mul_f64 v[78:79], v[78:79], v[80:81]
	v_mul_f64 v[80:81], v[14:15], v[78:79]
	v_add_f64 v[82:83], v[14:15], v[80:81]
	v_fma_f64 v[78:79], v[14:15], v[78:79], -v[80:81]
	v_add_f64 v[14:15], v[82:83], -v[14:15]
	v_add_f64 v[14:15], v[80:81], -v[14:15]
	v_add_f64 v[76:77], v[76:77], v[78:79]
	v_add_f64 v[14:15], v[76:77], v[14:15]
	;; [unrolled: 1-line block ×3, first 2 shown]
	v_rcp_f64_e32 v[78:79], v[76:77]
	v_add_f64 v[80:81], v[76:77], -v[82:83]
	v_add_f64 v[14:15], v[14:15], -v[80:81]
	v_and_b32_e32 v6, 1, v16
	v_fma_f64 v[80:81], -v[76:77], v[78:79], 1.0
	v_fmac_f64_e32 v[78:79], v[80:81], v[78:79]
	v_fma_f64 v[80:81], -v[76:77], v[78:79], 1.0
	v_fmac_f64_e32 v[78:79], v[80:81], v[78:79]
	v_mul_f64 v[80:81], v[76:77], v[78:79]
	v_fma_f64 v[82:83], v[78:79], v[76:77], -v[80:81]
	v_fmac_f64_e32 v[82:83], v[78:79], v[14:15]
	v_add_f64 v[14:15], v[80:81], v[82:83]
	v_add_f64 v[84:85], -v[14:15], 1.0
	v_add_f64 v[80:81], v[14:15], -v[80:81]
	v_add_f64 v[86:87], -v[84:85], 1.0
	v_add_f64 v[14:15], v[86:87], -v[14:15]
	v_add_f64 v[80:81], v[80:81], -v[82:83]
	v_add_f64 v[14:15], v[80:81], v[14:15]
	v_add_f64 v[14:15], v[84:85], v[14:15]
	v_mul_f64 v[14:15], v[78:79], v[14:15]
	v_add_f64 v[14:15], v[78:79], v[14:15]
	v_xor_b32_e32 v15, 0x80000000, v15
	v_cmp_eq_u32_e32 vcc, 0, v6
	v_cndmask_b32_e32 v6, v14, v76, vcc
	v_cndmask_b32_e32 v23, v15, v77, vcc
	v_add_f64 v[14:15], |v[8:9]|, s[46:47]
	v_add_f64 v[76:77], v[14:15], -|v[8:9]|
	v_add_f64 v[78:79], v[76:77], -v[14:15]
	s_mov_b32 s48, s46
	v_add_f64 v[78:79], |v[8:9]|, v[78:79]
	v_add_f64 v[76:77], v[76:77], s[48:49]
	v_add_f64 v[76:77], v[78:79], -v[76:77]
	v_add_f64 v[76:77], v[76:77], s[50:51]
	v_add_f64 v[78:79], v[14:15], v[76:77]
	v_add_f64 v[14:15], v[14:15], -v[78:79]
	s_mov_b32 s52, s54
	v_add_f64 v[14:15], v[76:77], v[14:15]
	v_mul_f64 v[76:77], v[78:79], s[52:53]
	v_rndne_f64_e32 v[76:77], v[76:77]
	s_mov_b32 s57, s47
	v_fmac_f64_e32 v[78:79], s[56:57], v[76:77]
	v_add_f64 v[80:81], v[14:15], v[78:79]
	s_mov_b32 s10, 0xf278e000
	v_add_f64 v[78:79], v[78:79], -v[80:81]
	s_mov_b32 s11, 0xbd53de6a
	v_add_f64 v[14:15], v[14:15], v[78:79]
	v_mul_f64 v[78:79], v[76:77], s[10:11]
	v_add_f64 v[82:83], v[80:81], v[78:79]
	v_add_f64 v[80:81], v[80:81], -v[82:83]
	v_add_f64 v[78:79], v[80:81], v[78:79]
	v_add_f64 v[14:15], v[14:15], v[78:79]
	;; [unrolled: 1-line block ×3, first 2 shown]
	s_mov_b32 s10, 0xf97b57a0
	v_add_f64 v[80:81], v[82:83], -v[78:79]
	s_mov_b32 s11, 0xbac9cc01
	v_add_f64 v[14:15], v[14:15], v[80:81]
	v_mul_f64 v[80:81], v[76:77], s[10:11]
	v_add_f64 v[82:83], v[78:79], v[80:81]
	v_add_f64 v[78:79], v[78:79], -v[82:83]
	v_add_f64 v[78:79], v[78:79], v[80:81]
	v_add_f64 v[14:15], v[14:15], v[78:79]
	;; [unrolled: 1-line block ×3, first 2 shown]
	v_add_f64 v[80:81], v[82:83], -v[78:79]
	v_add_f64 v[14:15], v[14:15], v[80:81]
	v_pk_mov_b32 v[80:81], v[58:59], v[58:59] op_sel:[0,1]
	v_fmac_f64_e32 v[80:81], s[62:63], v[78:79]
	v_pk_mov_b32 v[82:83], v[60:61], v[60:61] op_sel:[0,1]
	v_fmac_f64_e32 v[82:83], v[78:79], v[80:81]
	;; [unrolled: 2-line block ×9, first 2 shown]
	v_mul_f64 v[82:83], v[78:79], v[78:79]
	v_fma_f64 v[84:85], v[78:79], v[78:79], -v[82:83]
	v_add_f64 v[86:87], v[14:15], v[14:15]
	v_fmac_f64_e32 v[84:85], v[78:79], v[86:87]
	v_add_f64 v[86:87], v[82:83], v[84:85]
	v_add_f64 v[82:83], v[86:87], -v[82:83]
	v_add_f64 v[82:83], v[84:85], -v[82:83]
	v_mul_f64 v[84:85], v[86:87], v[80:81]
	v_fma_f64 v[86:87], v[86:87], v[80:81], -v[84:85]
	v_fmac_f64_e32 v[86:87], v[82:83], v[80:81]
	v_add_f64 v[80:81], v[84:85], v[86:87]
	v_add_f64 v[82:83], v[80:81], -v[84:85]
	v_add_f64 v[84:85], v[78:79], v[80:81]
	v_add_f64 v[82:83], v[86:87], -v[82:83]
	v_add_f64 v[78:79], v[84:85], -v[78:79]
	;; [unrolled: 1-line block ×3, first 2 shown]
	v_add_f64 v[14:15], v[14:15], v[82:83]
	v_add_f64 v[14:15], v[14:15], v[78:79]
	;; [unrolled: 1-line block ×3, first 2 shown]
	v_add_f64 v[80:81], v[78:79], -v[84:85]
	v_add_f64 v[14:15], v[14:15], -v[80:81]
	v_add_f64 v[80:81], v[78:79], 1.0
	v_add_f64 v[82:83], v[80:81], -1.0
	v_add_f64 v[78:79], v[78:79], -v[82:83]
	v_add_f64 v[14:15], v[14:15], v[78:79]
	v_add_f64 v[78:79], v[80:81], v[14:15]
	v_cvt_i32_f64_e32 v84, v[76:77]
	v_ldexp_f64 v[76:77], v[78:79], v84
	v_rcp_f64_e32 v[82:83], v[76:77]
	v_add_f64 v[78:79], v[78:79], -v[80:81]
	v_add_f64 v[14:15], v[14:15], -v[78:79]
	v_ldexp_f64 v[14:15], v[14:15], v84
	v_fma_f64 v[78:79], -v[76:77], v[82:83], 1.0
	v_fmac_f64_e32 v[82:83], v[78:79], v[82:83]
	v_fma_f64 v[78:79], -v[76:77], v[82:83], 1.0
	v_fmac_f64_e32 v[82:83], v[78:79], v[82:83]
	v_mul_f64 v[78:79], v[76:77], v[82:83]
	v_fma_f64 v[80:81], v[82:83], v[76:77], -v[78:79]
	v_fmac_f64_e32 v[80:81], v[82:83], v[14:15]
	v_add_f64 v[84:85], v[78:79], v[80:81]
	v_add_f64 v[86:87], -v[84:85], 1.0
	v_add_f64 v[78:79], v[84:85], -v[78:79]
	v_add_f64 v[98:99], -v[86:87], 1.0
	v_add_f64 v[84:85], v[98:99], -v[84:85]
	v_add_f64 v[78:79], v[78:79], -v[80:81]
	v_add_f64 v[78:79], v[78:79], v[84:85]
	v_add_f64 v[80:81], v[86:87], v[78:79]
	v_add_f64 v[84:85], v[86:87], -v[80:81]
	v_add_f64 v[78:79], v[78:79], v[84:85]
	v_mul_f64 v[84:85], v[82:83], v[80:81]
	v_mul_f64 v[86:87], v[76:77], v[84:85]
	v_fma_f64 v[98:99], v[84:85], v[76:77], -v[86:87]
	v_fmac_f64_e32 v[98:99], v[84:85], v[14:15]
	v_add_f64 v[100:101], v[86:87], v[98:99]
	v_add_f64 v[102:103], v[80:81], -v[100:101]
	v_add_f64 v[80:81], v[80:81], -v[102:103]
	;; [unrolled: 1-line block ×4, first 2 shown]
	v_add_f64 v[78:79], v[78:79], v[80:81]
	v_add_f64 v[80:81], v[86:87], -v[98:99]
	v_add_f64 v[78:79], v[80:81], v[78:79]
	v_add_f64 v[78:79], v[102:103], v[78:79]
	;; [unrolled: 1-line block ×3, first 2 shown]
	v_mul_f64 v[78:79], v[82:83], v[78:79]
	v_add_f64 v[82:83], v[80:81], -v[82:83]
	v_add_f64 v[82:83], v[84:85], -v[82:83]
	v_add_f64 v[78:79], v[82:83], v[78:79]
	v_add_f64 v[82:83], v[80:81], v[78:79]
	v_add_f64 v[80:81], v[82:83], -v[80:81]
	v_add_f64 v[78:79], v[78:79], -v[80:81]
	v_ldexp_f64 v[80:81], v[82:83], -2
	v_add_f64 v[82:83], v[76:77], -v[80:81]
	v_add_f64 v[76:77], v[76:77], -v[82:83]
	;; [unrolled: 1-line block ×3, first 2 shown]
	s_mov_b32 s10, 0x8fb9f87e
	v_ldexp_f64 v[78:79], v[78:79], -2
	v_add_f64 v[14:15], v[14:15], v[76:77]
	s_mov_b32 s11, 0x408633ce
	v_add_f64 v[14:15], v[14:15], -v[78:79]
	v_cmp_nge_f64_e64 vcc, |v[8:9]|, s[10:11]
	s_mov_b32 s10, 0
	v_add_f64 v[14:15], v[82:83], v[14:15]
	s_mov_b32 s11, 0x3e400000
	v_and_b32_e32 v16, 0x7fffffff, v9
	v_cndmask_b32_e32 v15, v94, v15, vcc
	v_cndmask_b32_e32 v14, 0, v14, vcc
	v_cmp_lt_f64_e64 vcc, |v[8:9]|, s[10:11]
	v_cndmask_b32_e32 v9, v15, v16, vcc
	v_cndmask_b32_e32 v8, v14, v8, vcc
	v_bfi_b32 v9, s73, v9, v17
	s_mov_b32 s10, 0
	v_fma_f64 v[14:15], v[8:9], v[8:9], 1.0
	s_brev_b32 s11, 8
	v_cmp_gt_f64_e32 vcc, s[10:11], v[14:15]
	v_cndmask_b32_e64 v16, 0, 1, vcc
	v_lshlrev_b32_e32 v16, 8, v16
	v_ldexp_f64 v[14:15], v[14:15], v16
	v_rsq_f64_e32 v[16:17], v[14:15]
	v_and_b32_e32 v7, 0x80000000, v7
	v_xor_b32_e32 v7, v23, v7
	v_fma_f64 v[76:77], v[6:7], v[6:7], 1.0
	v_mul_f64 v[78:79], v[14:15], v[16:17]
	v_mul_f64 v[16:17], v[16:17], 0.5
	v_fma_f64 v[80:81], -v[16:17], v[78:79], 0.5
	v_fmac_f64_e32 v[78:79], v[78:79], v[80:81]
	v_fma_f64 v[82:83], -v[78:79], v[78:79], v[14:15]
	v_fmac_f64_e32 v[16:17], v[16:17], v[80:81]
	v_fmac_f64_e32 v[78:79], v[82:83], v[16:17]
	v_fma_f64 v[80:81], -v[78:79], v[78:79], v[14:15]
	v_fmac_f64_e32 v[78:79], v[80:81], v[16:17]
	v_cndmask_b32_e32 v16, 0, v95, vcc
	v_ldexp_f64 v[16:17], v[78:79], v16
	v_cmp_class_f64_e32 vcc, v[14:15], v91
	v_cndmask_b32_e32 v15, v17, v15, vcc
	v_cndmask_b32_e32 v14, v16, v14, vcc
	v_mul_f64 v[16:17], v[8:9], v[76:77]
	v_mul_f64 v[14:15], v[14:15], v[76:77]
	v_fma_f64 v[78:79], v[8:9], v[16:17], 1.0
	v_mul_f64 v[8:9], v[8:9], v[14:15]
	v_div_scale_f64 v[14:15], s[10:11], v[78:79], v[78:79], v[8:9]
	v_rcp_f64_e32 v[16:17], v[14:15]
	v_fma_f64 v[76:77], -v[14:15], v[16:17], 1.0
	v_fmac_f64_e32 v[16:17], v[16:17], v[76:77]
	v_fma_f64 v[76:77], -v[14:15], v[16:17], 1.0
	v_fmac_f64_e32 v[16:17], v[16:17], v[76:77]
	v_div_scale_f64 v[76:77], vcc, v[8:9], v[78:79], v[8:9]
	v_mul_f64 v[80:81], v[76:77], v[16:17]
	v_fma_f64 v[14:15], -v[14:15], v[80:81], v[76:77]
	v_div_scale_f64 v[76:77], s[10:11], v[78:79], v[78:79], v[6:7]
	v_rcp_f64_e32 v[82:83], v[76:77]
	v_div_fmas_f64 v[14:15], v[14:15], v[16:17], v[80:81]
	v_div_fixup_f64 v[16:17], v[14:15], v[78:79], v[8:9]
	v_fma_f64 v[8:9], -v[76:77], v[82:83], 1.0
	v_fmac_f64_e32 v[82:83], v[82:83], v[8:9]
	v_fma_f64 v[8:9], -v[76:77], v[82:83], 1.0
	v_fmac_f64_e32 v[82:83], v[82:83], v[8:9]
	v_div_scale_f64 v[8:9], vcc, v[6:7], v[78:79], v[6:7]
	v_mul_f64 v[14:15], v[8:9], v[82:83]
	v_fma_f64 v[8:9], -v[76:77], v[14:15], v[8:9]
	s_nop 1
	v_div_fmas_f64 v[8:9], v[8:9], v[82:83], v[14:15]
	v_div_fixup_f64 v[14:15], v[8:9], v[78:79], v[6:7]
                                        ; implicit-def: $vgpr6_vgpr7
.LBB100_134:                            ;   in Loop: Header=BB100_4 Depth=1
	s_andn2_saveexec_b64 s[58:59], s[58:59]
	s_cbranch_execz .LBB100_155
; %bb.135:                              ;   in Loop: Header=BB100_4 Depth=1
	v_cmp_nlt_f64_e64 s[60:61], |v[6:7]|, s[22:23]
                                        ; implicit-def: $vgpr16
                                        ; implicit-def: $vgpr14_vgpr15
                                        ; implicit-def: $vgpr76_vgpr77
	s_and_saveexec_b64 s[10:11], s[60:61]
	s_xor_b64 s[68:69], exec, s[10:11]
	s_cbranch_execz .LBB100_144
; %bb.136:                              ;   in Loop: Header=BB100_4 Depth=1
	v_and_b32_e32 v16, 0x7fffffff, v7
	v_ldexp_f64 v[78:79], |v[6:7]|, s17
	v_cmp_ge_f64_e64 vcc, |v[6:7]|, s[24:25]
	v_trig_preop_f64 v[14:15], |v[6:7]|, 0
	v_cndmask_b32_e32 v79, v16, v79, vcc
	v_cndmask_b32_e32 v78, v6, v78, vcc
	v_trig_preop_f64 v[76:77], |v[6:7]|, 1
	v_mul_f64 v[82:83], v[14:15], v[78:79]
	v_mul_f64 v[80:81], v[76:77], v[78:79]
	v_fma_f64 v[14:15], v[14:15], v[78:79], -v[82:83]
	v_add_f64 v[84:85], v[80:81], v[14:15]
	v_add_f64 v[86:87], v[82:83], v[84:85]
	v_ldexp_f64 v[98:99], v[86:87], -2
	v_fract_f64_e32 v[100:101], v[98:99]
	v_cmp_neq_f64_e64 vcc, |v[98:99]|, s[26:27]
	v_cndmask_b32_e32 v99, 0, v101, vcc
	v_cndmask_b32_e32 v98, 0, v100, vcc
	v_add_f64 v[100:101], v[84:85], -v[80:81]
	v_add_f64 v[14:15], v[14:15], -v[100:101]
	v_add_f64 v[100:101], v[84:85], -v[100:101]
	v_add_f64 v[100:101], v[80:81], -v[100:101]
	v_fma_f64 v[76:77], v[76:77], v[78:79], -v[80:81]
	v_trig_preop_f64 v[80:81], |v[6:7]|, 2
	v_add_f64 v[14:15], v[14:15], v[100:101]
	v_mul_f64 v[100:101], v[80:81], v[78:79]
	v_add_f64 v[102:103], v[100:101], v[76:77]
	v_add_f64 v[104:105], v[102:103], v[14:15]
	v_add_f64 v[82:83], v[86:87], -v[82:83]
	v_add_f64 v[86:87], v[104:105], -v[102:103]
	;; [unrolled: 1-line block ×5, first 2 shown]
	v_add_f64 v[14:15], v[14:15], v[86:87]
	v_add_f64 v[86:87], v[102:103], -v[100:101]
	v_add_f64 v[76:77], v[76:77], -v[86:87]
	;; [unrolled: 1-line block ×4, first 2 shown]
	v_add_f64 v[76:77], v[76:77], v[86:87]
	v_add_f64 v[82:83], v[84:85], -v[82:83]
	v_add_f64 v[14:15], v[76:77], v[14:15]
	v_fma_f64 v[76:77], v[80:81], v[78:79], -v[100:101]
	v_add_f64 v[84:85], v[82:83], v[104:105]
	v_add_f64 v[14:15], v[76:77], v[14:15]
	v_ldexp_f64 v[76:77], v[98:99], 2
	v_add_f64 v[78:79], v[84:85], v[76:77]
	v_cmp_gt_f64_e32 vcc, 0, v[78:79]
	v_cndmask_b32_e32 v23, 0, v92, vcc
	v_add_f64 v[76:77], v[76:77], v[22:23]
	v_add_f64 v[78:79], v[84:85], v[76:77]
	v_cvt_i32_f64_e32 v16, v[78:79]
	v_cvt_f64_i32_e32 v[78:79], v16
	v_add_f64 v[76:77], v[76:77], -v[78:79]
	v_add_f64 v[82:83], v[84:85], -v[82:83]
	v_add_f64 v[78:79], v[84:85], v[76:77]
	v_add_f64 v[82:83], v[104:105], -v[82:83]
	v_add_f64 v[76:77], v[78:79], -v[76:77]
	v_cmp_le_f64_e32 vcc, 0.5, v[78:79]
	v_add_f64 v[14:15], v[82:83], v[14:15]
	v_add_f64 v[76:77], v[84:85], -v[76:77]
	v_cndmask_b32_e32 v23, 0, v93, vcc
	v_add_f64 v[14:15], v[14:15], v[76:77]
	v_add_f64 v[76:77], v[78:79], -v[22:23]
	v_add_f64 v[78:79], v[76:77], v[14:15]
	v_add_f64 v[76:77], v[78:79], -v[76:77]
	s_mov_b32 s28, s30
	v_add_f64 v[14:15], v[14:15], -v[76:77]
	v_mul_f64 v[76:77], v[78:79], s[28:29]
	v_fma_f64 v[80:81], v[78:79], s[28:29], -v[76:77]
	s_mov_b32 s37, s35
	v_fmac_f64_e32 v[80:81], s[36:37], v[78:79]
	v_fmac_f64_e32 v[80:81], s[28:29], v[14:15]
	v_add_f64 v[14:15], v[76:77], v[80:81]
	v_add_f64 v[76:77], v[14:15], -v[76:77]
	v_addc_co_u32_e64 v16, s[10:11], 0, v16, vcc
	v_add_f64 v[76:77], v[80:81], -v[76:77]
	s_andn2_saveexec_b64 s[10:11], s[68:69]
	s_cbranch_execz .LBB100_146
	s_branch .LBB100_145
.LBB100_137:                            ;   in Loop: Header=BB100_4 Depth=1
	s_andn2_saveexec_b64 s[14:15], s[14:15]
	s_cbranch_execz .LBB100_159
.LBB100_138:                            ;   in Loop: Header=BB100_4 Depth=1
	v_and_or_b32 v14, v17, s16, v16
	v_cmp_ne_u32_e32 vcc, 0, v14
	s_and_saveexec_b64 s[10:11], vcc
	s_xor_b64 s[10:11], exec, s[10:11]
; %bb.139:                              ;   in Loop: Header=BB100_4 Depth=1
	v_mul_f64 v[8:9], v[6:7], -v[8:9]
	v_cmp_eq_f64_e32 vcc, 0, v[6:7]
	v_cndmask_b32_e32 v15, v9, v7, vcc
	v_cndmask_b32_e32 v14, v8, v6, vcc
                                        ; implicit-def: $vgpr6_vgpr7
; %bb.140:                              ;   in Loop: Header=BB100_4 Depth=1
	s_andn2_saveexec_b64 s[44:45], s[10:11]
	s_cbranch_execz .LBB100_167
; %bb.141:                              ;   in Loop: Header=BB100_4 Depth=1
	v_cmp_neq_f64_e64 s[10:11], |v[6:7]|, s[26:27]
	s_and_saveexec_b64 s[58:59], s[10:11]
	s_cbranch_execz .LBB100_166
; %bb.142:                              ;   in Loop: Header=BB100_4 Depth=1
	v_cmp_nlt_f64_e64 s[60:61], |v[6:7]|, s[22:23]
	v_trig_preop_f64 v[80:81], |v[6:7]|, 0
	v_trig_preop_f64 v[78:79], |v[6:7]|, 1
	v_ldexp_f64 v[82:83], |v[6:7]|, s17
	v_trig_preop_f64 v[76:77], |v[6:7]|, 2
	v_and_b32_e32 v98, 0x7fffffff, v7
                                        ; implicit-def: $vgpr97
                                        ; implicit-def: $vgpr8_vgpr9
                                        ; implicit-def: $vgpr14_vgpr15
	s_and_saveexec_b64 s[10:11], s[60:61]
	s_xor_b64 s[68:69], exec, s[10:11]
	s_cbranch_execz .LBB100_148
; %bb.143:                              ;   in Loop: Header=BB100_4 Depth=1
	v_cmp_ge_f64_e64 vcc, |v[6:7]|, s[24:25]
	v_cndmask_b32_e32 v9, v98, v83, vcc
	v_cndmask_b32_e32 v8, v6, v82, vcc
	v_mul_f64 v[84:85], v[80:81], v[8:9]
	v_mul_f64 v[14:15], v[78:79], v[8:9]
	v_fma_f64 v[86:87], v[80:81], v[8:9], -v[84:85]
	v_add_f64 v[100:101], v[14:15], v[86:87]
	v_add_f64 v[102:103], v[84:85], v[100:101]
	v_ldexp_f64 v[104:105], v[102:103], -2
	v_fract_f64_e32 v[106:107], v[104:105]
	v_cmp_neq_f64_e64 vcc, |v[104:105]|, s[26:27]
	v_cndmask_b32_e32 v105, 0, v107, vcc
	v_cndmask_b32_e32 v104, 0, v106, vcc
	v_add_f64 v[106:107], v[100:101], -v[14:15]
	v_add_f64 v[86:87], v[86:87], -v[106:107]
	;; [unrolled: 1-line block ×4, first 2 shown]
	v_add_f64 v[86:87], v[86:87], v[106:107]
	v_fma_f64 v[14:15], v[78:79], v[8:9], -v[14:15]
	v_mul_f64 v[106:107], v[76:77], v[8:9]
	v_add_f64 v[108:109], v[106:107], v[14:15]
	v_add_f64 v[110:111], v[108:109], v[86:87]
	v_add_f64 v[84:85], v[102:103], -v[84:85]
	v_add_f64 v[102:103], v[110:111], -v[108:109]
	;; [unrolled: 1-line block ×5, first 2 shown]
	v_add_f64 v[86:87], v[86:87], v[102:103]
	v_add_f64 v[102:103], v[108:109], -v[106:107]
	v_add_f64 v[14:15], v[14:15], -v[102:103]
	;; [unrolled: 1-line block ×5, first 2 shown]
	v_add_f64 v[100:101], v[84:85], v[110:111]
	v_add_f64 v[14:15], v[14:15], v[102:103]
	v_add_f64 v[84:85], v[100:101], -v[84:85]
	v_add_f64 v[14:15], v[14:15], v[86:87]
	v_fma_f64 v[8:9], v[76:77], v[8:9], -v[106:107]
	v_add_f64 v[84:85], v[110:111], -v[84:85]
	v_add_f64 v[8:9], v[8:9], v[14:15]
	v_ldexp_f64 v[14:15], v[104:105], 2
	v_add_f64 v[8:9], v[84:85], v[8:9]
	v_add_f64 v[84:85], v[100:101], v[14:15]
	v_cmp_gt_f64_e32 vcc, 0, v[84:85]
	v_cndmask_b32_e32 v23, 0, v92, vcc
	v_add_f64 v[14:15], v[14:15], v[22:23]
	v_add_f64 v[84:85], v[100:101], v[14:15]
	v_cvt_i32_f64_e32 v23, v[84:85]
	v_cvt_f64_i32_e32 v[84:85], v23
	v_add_f64 v[14:15], v[14:15], -v[84:85]
	v_add_f64 v[84:85], v[100:101], v[14:15]
	v_add_f64 v[14:15], v[84:85], -v[14:15]
	v_cmp_le_f64_e32 vcc, 0.5, v[84:85]
	v_add_f64 v[14:15], v[100:101], -v[14:15]
	v_addc_co_u32_e64 v97, s[10:11], 0, v23, vcc
	v_cndmask_b32_e32 v23, 0, v93, vcc
	v_add_f64 v[8:9], v[8:9], v[14:15]
	v_add_f64 v[14:15], v[84:85], -v[22:23]
	v_add_f64 v[84:85], v[14:15], v[8:9]
	v_add_f64 v[14:15], v[84:85], -v[14:15]
	s_mov_b32 s28, s30
	v_add_f64 v[8:9], v[8:9], -v[14:15]
	v_mul_f64 v[14:15], v[84:85], s[28:29]
	v_fma_f64 v[86:87], v[84:85], s[28:29], -v[14:15]
	s_mov_b32 s37, s35
	v_fmac_f64_e32 v[86:87], s[36:37], v[84:85]
	v_fmac_f64_e32 v[86:87], s[28:29], v[8:9]
	v_add_f64 v[8:9], v[14:15], v[86:87]
	v_add_f64 v[14:15], v[8:9], -v[14:15]
	v_add_f64 v[14:15], v[86:87], -v[14:15]
	s_andn2_saveexec_b64 s[10:11], s[68:69]
	s_cbranch_execz .LBB100_150
	s_branch .LBB100_149
.LBB100_144:                            ;   in Loop: Header=BB100_4 Depth=1
	s_andn2_saveexec_b64 s[10:11], s[68:69]
	s_cbranch_execz .LBB100_146
.LBB100_145:                            ;   in Loop: Header=BB100_4 Depth=1
	v_mul_f64 v[14:15], |v[6:7]|, s[38:39]
	v_rndne_f64_e32 v[78:79], v[14:15]
	v_fma_f64 v[14:15], v[78:79], s[30:31], |v[6:7]|
	v_mul_f64 v[80:81], v[78:79], s[40:41]
	v_add_f64 v[84:85], v[14:15], v[80:81]
	v_fma_f64 v[76:77], s[40:41], v[78:79], v[14:15]
	s_mov_b32 s34, s40
	v_add_f64 v[14:15], v[14:15], -v[84:85]
	v_fma_f64 v[82:83], s[34:35], v[78:79], v[80:81]
	v_add_f64 v[14:15], v[14:15], v[80:81]
	v_add_f64 v[80:81], v[84:85], -v[76:77]
	v_add_f64 v[14:15], v[80:81], v[14:15]
	v_add_f64 v[80:81], v[14:15], -v[82:83]
	v_fmac_f64_e32 v[80:81], s[42:43], v[78:79]
	v_add_f64 v[14:15], v[76:77], v[80:81]
	v_add_f64 v[76:77], v[14:15], -v[76:77]
	v_add_f64 v[76:77], v[80:81], -v[76:77]
	v_cvt_i32_f64_e32 v16, v[78:79]
.LBB100_146:                            ;   in Loop: Header=BB100_4 Depth=1
	s_or_b64 exec, exec, s[10:11]
                                        ; implicit-def: $vgpr82
                                        ; implicit-def: $vgpr78_vgpr79
                                        ; implicit-def: $vgpr80_vgpr81
	s_and_saveexec_b64 s[10:11], s[60:61]
	s_xor_b64 s[60:61], exec, s[10:11]
	s_cbranch_execz .LBB100_152
; %bb.147:                              ;   in Loop: Header=BB100_4 Depth=1
	v_and_b32_e32 v23, 0x7fffffff, v7
	v_ldexp_f64 v[82:83], |v[6:7]|, s17
	v_cmp_ge_f64_e64 vcc, |v[6:7]|, s[24:25]
	v_trig_preop_f64 v[78:79], |v[6:7]|, 0
	v_cndmask_b32_e32 v83, v23, v83, vcc
	v_cndmask_b32_e32 v82, v6, v82, vcc
	v_trig_preop_f64 v[80:81], |v[6:7]|, 1
	v_mul_f64 v[86:87], v[78:79], v[82:83]
	v_mul_f64 v[84:85], v[80:81], v[82:83]
	v_fma_f64 v[78:79], v[78:79], v[82:83], -v[86:87]
	v_add_f64 v[98:99], v[84:85], v[78:79]
	v_add_f64 v[100:101], v[86:87], v[98:99]
	v_ldexp_f64 v[102:103], v[100:101], -2
	v_fract_f64_e32 v[104:105], v[102:103]
	v_cmp_neq_f64_e64 vcc, |v[102:103]|, s[26:27]
	v_cndmask_b32_e32 v103, 0, v105, vcc
	v_cndmask_b32_e32 v102, 0, v104, vcc
	v_add_f64 v[104:105], v[98:99], -v[84:85]
	v_add_f64 v[78:79], v[78:79], -v[104:105]
	;; [unrolled: 1-line block ×4, first 2 shown]
	v_fma_f64 v[80:81], v[80:81], v[82:83], -v[84:85]
	v_trig_preop_f64 v[84:85], |v[6:7]|, 2
	v_add_f64 v[78:79], v[78:79], v[104:105]
	v_mul_f64 v[104:105], v[84:85], v[82:83]
	v_add_f64 v[106:107], v[104:105], v[80:81]
	v_add_f64 v[108:109], v[106:107], v[78:79]
	v_add_f64 v[86:87], v[100:101], -v[86:87]
	v_add_f64 v[100:101], v[108:109], -v[106:107]
	;; [unrolled: 1-line block ×5, first 2 shown]
	v_add_f64 v[78:79], v[78:79], v[100:101]
	v_add_f64 v[100:101], v[106:107], -v[104:105]
	v_add_f64 v[80:81], v[80:81], -v[100:101]
	;; [unrolled: 1-line block ×4, first 2 shown]
	v_add_f64 v[80:81], v[80:81], v[100:101]
	v_add_f64 v[86:87], v[98:99], -v[86:87]
	v_add_f64 v[78:79], v[80:81], v[78:79]
	v_fma_f64 v[80:81], v[84:85], v[82:83], -v[104:105]
	v_add_f64 v[98:99], v[86:87], v[108:109]
	v_add_f64 v[78:79], v[80:81], v[78:79]
	v_ldexp_f64 v[80:81], v[102:103], 2
	v_add_f64 v[82:83], v[98:99], v[80:81]
	v_cmp_gt_f64_e32 vcc, 0, v[82:83]
	v_cndmask_b32_e32 v23, 0, v92, vcc
	v_add_f64 v[80:81], v[80:81], v[22:23]
	v_add_f64 v[82:83], v[98:99], v[80:81]
	v_cvt_i32_f64_e32 v23, v[82:83]
	v_cvt_f64_i32_e32 v[82:83], v23
	v_add_f64 v[80:81], v[80:81], -v[82:83]
	v_add_f64 v[86:87], v[98:99], -v[86:87]
	v_add_f64 v[84:85], v[98:99], v[80:81]
	v_add_f64 v[86:87], v[108:109], -v[86:87]
	v_add_f64 v[80:81], v[84:85], -v[80:81]
	v_cmp_le_f64_e32 vcc, 0.5, v[84:85]
	v_add_f64 v[78:79], v[86:87], v[78:79]
	v_add_f64 v[80:81], v[98:99], -v[80:81]
	v_addc_co_u32_e64 v82, s[10:11], 0, v23, vcc
	v_cndmask_b32_e32 v23, 0, v93, vcc
	v_add_f64 v[78:79], v[78:79], v[80:81]
	v_add_f64 v[80:81], v[84:85], -v[22:23]
	v_add_f64 v[84:85], v[80:81], v[78:79]
	v_add_f64 v[80:81], v[84:85], -v[80:81]
	s_mov_b32 s28, s30
	v_add_f64 v[78:79], v[78:79], -v[80:81]
	v_mul_f64 v[80:81], v[84:85], s[28:29]
	v_fma_f64 v[86:87], v[84:85], s[28:29], -v[80:81]
	s_mov_b32 s37, s35
	v_fmac_f64_e32 v[86:87], s[36:37], v[84:85]
	v_fmac_f64_e32 v[86:87], s[28:29], v[78:79]
	v_add_f64 v[78:79], v[80:81], v[86:87]
	v_add_f64 v[80:81], v[78:79], -v[80:81]
	v_add_f64 v[80:81], v[86:87], -v[80:81]
	s_andn2_saveexec_b64 s[10:11], s[60:61]
	s_cbranch_execnz .LBB100_153
	s_branch .LBB100_154
.LBB100_148:                            ;   in Loop: Header=BB100_4 Depth=1
	s_andn2_saveexec_b64 s[10:11], s[68:69]
	s_cbranch_execz .LBB100_150
.LBB100_149:                            ;   in Loop: Header=BB100_4 Depth=1
	v_mul_f64 v[8:9], |v[6:7]|, s[38:39]
	v_rndne_f64_e32 v[84:85], v[8:9]
	v_fma_f64 v[8:9], v[84:85], s[30:31], |v[6:7]|
	v_mul_f64 v[86:87], v[84:85], s[40:41]
	v_add_f64 v[102:103], v[8:9], v[86:87]
	v_fma_f64 v[14:15], s[40:41], v[84:85], v[8:9]
	s_mov_b32 s34, s40
	v_add_f64 v[8:9], v[8:9], -v[102:103]
	v_fma_f64 v[100:101], s[34:35], v[84:85], v[86:87]
	v_add_f64 v[8:9], v[8:9], v[86:87]
	v_add_f64 v[86:87], v[102:103], -v[14:15]
	v_add_f64 v[8:9], v[86:87], v[8:9]
	v_add_f64 v[86:87], v[8:9], -v[100:101]
	v_fmac_f64_e32 v[86:87], s[42:43], v[84:85]
	v_add_f64 v[8:9], v[14:15], v[86:87]
	v_add_f64 v[14:15], v[8:9], -v[14:15]
	v_add_f64 v[14:15], v[86:87], -v[14:15]
	v_cvt_i32_f64_e32 v97, v[84:85]
.LBB100_150:                            ;   in Loop: Header=BB100_4 Depth=1
	s_or_b64 exec, exec, s[10:11]
                                        ; implicit-def: $vgpr99
                                        ; implicit-def: $vgpr84_vgpr85
                                        ; implicit-def: $vgpr86_vgpr87
	s_and_saveexec_b64 s[10:11], s[60:61]
	s_xor_b64 s[60:61], exec, s[10:11]
	s_cbranch_execz .LBB100_163
; %bb.151:                              ;   in Loop: Header=BB100_4 Depth=1
	v_cmp_ge_f64_e64 vcc, |v[6:7]|, s[24:25]
	v_cndmask_b32_e32 v83, v98, v83, vcc
	v_cndmask_b32_e32 v82, v6, v82, vcc
	v_mul_f64 v[86:87], v[80:81], v[82:83]
	v_mul_f64 v[84:85], v[78:79], v[82:83]
	v_fma_f64 v[80:81], v[80:81], v[82:83], -v[86:87]
	v_add_f64 v[98:99], v[84:85], v[80:81]
	v_add_f64 v[100:101], v[86:87], v[98:99]
	v_ldexp_f64 v[102:103], v[100:101], -2
	v_fract_f64_e32 v[104:105], v[102:103]
	v_cmp_neq_f64_e64 vcc, |v[102:103]|, s[26:27]
	v_cndmask_b32_e32 v103, 0, v105, vcc
	v_cndmask_b32_e32 v102, 0, v104, vcc
	v_add_f64 v[104:105], v[98:99], -v[84:85]
	v_add_f64 v[80:81], v[80:81], -v[104:105]
	;; [unrolled: 1-line block ×4, first 2 shown]
	v_fma_f64 v[78:79], v[78:79], v[82:83], -v[84:85]
	v_mul_f64 v[84:85], v[76:77], v[82:83]
	v_add_f64 v[80:81], v[80:81], v[104:105]
	v_add_f64 v[104:105], v[84:85], v[78:79]
	;; [unrolled: 1-line block ×3, first 2 shown]
	v_add_f64 v[86:87], v[100:101], -v[86:87]
	v_add_f64 v[100:101], v[106:107], -v[104:105]
	;; [unrolled: 1-line block ×5, first 2 shown]
	v_add_f64 v[80:81], v[80:81], v[100:101]
	v_add_f64 v[100:101], v[104:105], -v[84:85]
	v_add_f64 v[78:79], v[78:79], -v[100:101]
	;; [unrolled: 1-line block ×4, first 2 shown]
	v_add_f64 v[78:79], v[78:79], v[100:101]
	v_add_f64 v[86:87], v[98:99], -v[86:87]
	v_add_f64 v[78:79], v[78:79], v[80:81]
	v_fma_f64 v[76:77], v[76:77], v[82:83], -v[84:85]
	v_add_f64 v[98:99], v[86:87], v[106:107]
	v_add_f64 v[76:77], v[76:77], v[78:79]
	v_ldexp_f64 v[78:79], v[102:103], 2
	v_add_f64 v[80:81], v[98:99], v[78:79]
	v_cmp_gt_f64_e32 vcc, 0, v[80:81]
	v_cndmask_b32_e32 v23, 0, v92, vcc
	v_add_f64 v[78:79], v[78:79], v[22:23]
	v_add_f64 v[80:81], v[98:99], v[78:79]
	v_cvt_i32_f64_e32 v23, v[80:81]
	v_cvt_f64_i32_e32 v[80:81], v23
	v_add_f64 v[78:79], v[78:79], -v[80:81]
	v_add_f64 v[86:87], v[98:99], -v[86:87]
	v_add_f64 v[80:81], v[98:99], v[78:79]
	v_add_f64 v[86:87], v[106:107], -v[86:87]
	v_add_f64 v[78:79], v[80:81], -v[78:79]
	v_cmp_le_f64_e32 vcc, 0.5, v[80:81]
	v_add_f64 v[76:77], v[86:87], v[76:77]
	v_add_f64 v[78:79], v[98:99], -v[78:79]
	v_addc_co_u32_e64 v99, s[10:11], 0, v23, vcc
	v_cndmask_b32_e32 v23, 0, v93, vcc
	v_add_f64 v[76:77], v[76:77], v[78:79]
	v_add_f64 v[78:79], v[80:81], -v[22:23]
	v_add_f64 v[80:81], v[78:79], v[76:77]
	v_add_f64 v[78:79], v[80:81], -v[78:79]
	s_mov_b32 s28, s30
	v_add_f64 v[76:77], v[76:77], -v[78:79]
	v_mul_f64 v[78:79], v[80:81], s[28:29]
	v_fma_f64 v[82:83], v[80:81], s[28:29], -v[78:79]
	s_mov_b32 s37, s35
	v_fmac_f64_e32 v[82:83], s[36:37], v[80:81]
	v_fmac_f64_e32 v[82:83], s[28:29], v[76:77]
	v_add_f64 v[84:85], v[78:79], v[82:83]
	v_add_f64 v[76:77], v[84:85], -v[78:79]
	v_add_f64 v[86:87], v[82:83], -v[76:77]
	s_andn2_saveexec_b64 s[10:11], s[60:61]
	s_cbranch_execnz .LBB100_164
	s_branch .LBB100_165
.LBB100_152:                            ;   in Loop: Header=BB100_4 Depth=1
	s_andn2_saveexec_b64 s[10:11], s[60:61]
	s_cbranch_execz .LBB100_154
.LBB100_153:                            ;   in Loop: Header=BB100_4 Depth=1
	v_mul_f64 v[78:79], |v[6:7]|, s[38:39]
	v_rndne_f64_e32 v[82:83], v[78:79]
	v_fma_f64 v[78:79], v[82:83], s[30:31], |v[6:7]|
	v_mul_f64 v[84:85], v[82:83], s[40:41]
	v_add_f64 v[98:99], v[78:79], v[84:85]
	v_fma_f64 v[80:81], s[40:41], v[82:83], v[78:79]
	s_mov_b32 s34, s40
	v_add_f64 v[78:79], v[78:79], -v[98:99]
	v_fma_f64 v[86:87], s[34:35], v[82:83], v[84:85]
	v_add_f64 v[78:79], v[78:79], v[84:85]
	v_add_f64 v[84:85], v[98:99], -v[80:81]
	v_add_f64 v[78:79], v[84:85], v[78:79]
	v_add_f64 v[84:85], v[78:79], -v[86:87]
	v_fmac_f64_e32 v[84:85], s[42:43], v[82:83]
	v_add_f64 v[78:79], v[80:81], v[84:85]
	v_add_f64 v[80:81], v[78:79], -v[80:81]
	v_add_f64 v[80:81], v[84:85], -v[80:81]
	v_cvt_i32_f64_e32 v82, v[82:83]
.LBB100_154:                            ;   in Loop: Header=BB100_4 Depth=1
	s_or_b64 exec, exec, s[10:11]
	v_mul_f64 v[84:85], v[14:15], v[14:15]
	v_pk_mov_b32 v[102:103], s[74:75], s[74:75] op_sel:[0,1]
	v_mul_f64 v[86:87], v[84:85], 0.5
	v_fma_f64 v[104:105], s[76:77], v[84:85], v[102:103]
	v_add_f64 v[98:99], -v[86:87], 1.0
	v_fma_f64 v[104:105], v[84:85], v[104:105], s[78:79]
	v_add_f64 v[100:101], -v[98:99], 1.0
	v_fma_f64 v[104:105], v[84:85], v[104:105], s[80:81]
	v_add_f64 v[86:87], v[100:101], -v[86:87]
	v_fma_f64 v[104:105], v[84:85], v[104:105], s[82:83]
	v_mul_f64 v[100:101], v[84:85], v[84:85]
	v_fma_f64 v[104:105], v[84:85], v[104:105], s[66:67]
	v_fma_f64 v[86:87], v[14:15], -v[76:77], v[86:87]
	v_fmac_f64_e32 v[86:87], v[100:101], v[104:105]
	v_add_f64 v[86:87], v[98:99], v[86:87]
	v_pk_mov_b32 v[98:99], s[84:85], s[84:85] op_sel:[0,1]
	v_fma_f64 v[100:101], s[86:87], v[84:85], v[98:99]
	v_fma_f64 v[100:101], v[84:85], v[100:101], s[88:89]
	;; [unrolled: 1-line block ×4, first 2 shown]
	v_mul_f64 v[104:105], v[14:15], -v[84:85]
	v_mul_f64 v[106:107], v[76:77], 0.5
	v_fmac_f64_e32 v[106:107], v[104:105], v[100:101]
	v_fma_f64 v[76:77], v[84:85], v[106:107], -v[76:77]
	s_mov_b32 s92, s66
	v_fmac_f64_e32 v[76:77], s[92:93], v[104:105]
	v_and_b32_e32 v6, 1, v16
	v_add_f64 v[14:15], v[14:15], -v[76:77]
	v_cmp_eq_u32_e32 vcc, 0, v6
	v_cndmask_b32_e32 v6, v86, v14, vcc
	v_cndmask_b32_e32 v14, v87, v15, vcc
	v_lshlrev_b32_e32 v15, 30, v16
	v_xor_b32_e32 v7, v15, v7
	v_and_b32_e32 v7, 0x80000000, v7
	v_xor_b32_e32 v7, v14, v7
	v_mul_f64 v[14:15], |v[8:9]|, s[54:55]
	v_rndne_f64_e32 v[14:15], v[14:15]
	v_fma_f64 v[76:77], v[14:15], s[46:47], -|v[8:9]|
	v_fmac_f64_e32 v[76:77], s[50:51], v[14:15]
	v_pk_mov_b32 v[84:85], v[58:59], v[58:59] op_sel:[0,1]
	v_fmac_f64_e32 v[84:85], s[62:63], v[76:77]
	v_pk_mov_b32 v[86:87], v[60:61], v[60:61] op_sel:[0,1]
	;; [unrolled: 2-line block ×9, first 2 shown]
	v_fmac_f64_e32 v[84:85], v[76:77], v[86:87]
	v_fma_f64 v[84:85], v[76:77], v[84:85], 1.0
	s_mov_b32 s10, 0
	v_fma_f64 v[76:77], v[76:77], v[84:85], 1.0
	v_cvt_i32_f64_e32 v14, v[14:15]
	s_mov_b32 s11, 0x4090cc00
	v_ldexp_f64 v[14:15], v[76:77], v14
	v_cmp_ngt_f64_e64 vcc, |v[8:9]|, s[10:11]
	v_cndmask_b32_e32 v9, 0, v15, vcc
	v_cndmask_b32_e32 v8, 0, v14, vcc
	v_mul_f64 v[14:15], v[78:79], v[78:79]
	v_bfi_b32 v23, s73, v93, v17
	v_mul_f64 v[16:17], v[14:15], 0.5
	v_fmac_f64_e32 v[102:103], s[76:77], v[14:15]
	v_add_f64 v[76:77], -v[16:17], 1.0
	v_fma_f64 v[86:87], v[14:15], v[102:103], s[78:79]
	v_add_f64 v[84:85], -v[76:77], 1.0
	v_fma_f64 v[86:87], v[14:15], v[86:87], s[80:81]
	v_add_f64 v[16:17], v[84:85], -v[16:17]
	v_fma_f64 v[86:87], v[14:15], v[86:87], s[82:83]
	v_mul_f64 v[84:85], v[14:15], v[14:15]
	v_fma_f64 v[86:87], v[14:15], v[86:87], s[66:67]
	v_fma_f64 v[16:17], v[78:79], -v[80:81], v[16:17]
	v_fmac_f64_e32 v[16:17], v[84:85], v[86:87]
	v_fmac_f64_e32 v[98:99], s[86:87], v[14:15]
	v_add_f64 v[16:17], v[76:77], v[16:17]
	v_fma_f64 v[76:77], v[14:15], v[98:99], s[88:89]
	v_fma_f64 v[76:77], v[14:15], v[76:77], s[90:91]
	v_fma_f64 v[76:77], v[14:15], v[76:77], s[64:65]
	v_mul_f64 v[84:85], v[78:79], -v[14:15]
	v_mul_f64 v[86:87], v[80:81], 0.5
	v_fmac_f64_e32 v[86:87], v[84:85], v[76:77]
	v_fma_f64 v[14:15], v[14:15], v[86:87], -v[80:81]
	v_fmac_f64_e32 v[14:15], s[92:93], v[84:85]
	v_and_b32_e32 v76, 1, v82
	v_add_f64 v[14:15], v[78:79], -v[14:15]
	v_cmp_eq_u32_e32 vcc, 0, v76
	v_xor_b32_e32 v15, 0x80000000, v15
	v_cndmask_b32_e32 v14, v14, v16, vcc
	v_lshlrev_b32_e32 v16, 30, v82
	v_cndmask_b32_e32 v15, v15, v17, vcc
	v_and_b32_e32 v16, 0x80000000, v16
	v_mul_f64 v[6:7], v[6:7], 4.0
	v_xor_b32_e32 v15, v15, v16
	v_mul_f64 v[6:7], v[6:7], v[14:15]
	v_mul_f64 v[6:7], v[8:9], v[6:7]
	;; [unrolled: 1-line block ×3, first 2 shown]
	v_pk_mov_b32 v[16:17], v[22:23], v[22:23] op_sel:[0,1]
.LBB100_155:                            ;   in Loop: Header=BB100_4 Depth=1
	s_or_b64 exec, exec, s[58:59]
                                        ; implicit-def: $vgpr6_vgpr7
.LBB100_156:                            ;   in Loop: Header=BB100_4 Depth=1
	s_andn2_saveexec_b64 s[10:11], s[44:45]
; %bb.157:                              ;   in Loop: Header=BB100_4 Depth=1
	v_add_f64 v[14:15], v[6:7], -v[6:7]
	v_pk_mov_b32 v[16:17], v[14:15], v[14:15] op_sel:[0,1]
; %bb.158:                              ;   in Loop: Header=BB100_4 Depth=1
	s_or_b64 exec, exec, s[10:11]
                                        ; implicit-def: $vgpr6_vgpr7
	s_andn2_saveexec_b64 s[14:15], s[14:15]
	s_cbranch_execnz .LBB100_138
.LBB100_159:                            ;   in Loop: Header=BB100_4 Depth=1
	s_or_b64 exec, exec, s[14:15]
	s_and_saveexec_b64 s[10:11], s[0:1]
	s_xor_b64 s[0:1], exec, s[10:11]
	s_cbranch_execz .LBB100_168
.LBB100_160:                            ;   in Loop: Header=BB100_4 Depth=1
	v_mov_b32_e32 v7, s70
	v_add_co_u32_e32 v6, vcc, s33, v24
	v_xor_b32_e32 v5, 0x80000000, v5
	v_addc_co_u32_e32 v7, vcc, 0, v7, vcc
	global_store_dwordx4 v[6:7], v[2:5], off
	s_or_b64 exec, exec, s[0:1]
	s_and_saveexec_b64 s[0:1], s[2:3]
	s_cbranch_execnz .LBB100_169
.LBB100_161:                            ;   in Loop: Header=BB100_4 Depth=1
	s_or_b64 exec, exec, s[0:1]
	s_and_saveexec_b64 s[0:1], s[6:7]
	s_cbranch_execz .LBB100_170
.LBB100_162:                            ;   in Loop: Header=BB100_4 Depth=1
	v_mov_b32_e32 v3, s70
	v_add_co_u32_e32 v2, vcc, s33, v30
	v_xor_b32_e32 v21, 0x80000000, v21
	v_addc_co_u32_e32 v3, vcc, v3, v1, vcc
	global_store_dwordx4 v[2:3], v[18:21], off offset:-8
	s_or_b64 exec, exec, s[0:1]
	s_and_saveexec_b64 s[0:1], s[8:9]
	s_cbranch_execz .LBB100_3
	s_branch .LBB100_171
.LBB100_163:                            ;   in Loop: Header=BB100_4 Depth=1
	s_andn2_saveexec_b64 s[10:11], s[60:61]
	s_cbranch_execz .LBB100_165
.LBB100_164:                            ;   in Loop: Header=BB100_4 Depth=1
	v_mul_f64 v[76:77], |v[6:7]|, s[38:39]
	v_rndne_f64_e32 v[76:77], v[76:77]
	v_fma_f64 v[78:79], v[76:77], s[30:31], |v[6:7]|
	v_mul_f64 v[82:83], v[76:77], s[40:41]
	v_add_f64 v[86:87], v[78:79], v[82:83]
	v_fma_f64 v[80:81], s[40:41], v[76:77], v[78:79]
	s_mov_b32 s34, s40
	v_add_f64 v[78:79], v[78:79], -v[86:87]
	v_fma_f64 v[84:85], s[34:35], v[76:77], v[82:83]
	v_add_f64 v[78:79], v[78:79], v[82:83]
	v_add_f64 v[82:83], v[86:87], -v[80:81]
	v_add_f64 v[78:79], v[82:83], v[78:79]
	v_add_f64 v[78:79], v[78:79], -v[84:85]
	v_fmac_f64_e32 v[78:79], s[42:43], v[76:77]
	v_add_f64 v[84:85], v[80:81], v[78:79]
	v_add_f64 v[80:81], v[84:85], -v[80:81]
	v_add_f64 v[86:87], v[78:79], -v[80:81]
	v_cvt_i32_f64_e32 v99, v[76:77]
.LBB100_165:                            ;   in Loop: Header=BB100_4 Depth=1
	s_or_b64 exec, exec, s[10:11]
	v_mul_f64 v[76:77], v[8:9], v[8:9]
	v_pk_mov_b32 v[100:101], s[74:75], s[74:75] op_sel:[0,1]
	v_mul_f64 v[78:79], v[76:77], 0.5
	v_fma_f64 v[102:103], s[76:77], v[76:77], v[100:101]
	v_add_f64 v[80:81], -v[78:79], 1.0
	v_fma_f64 v[102:103], v[76:77], v[102:103], s[78:79]
	v_add_f64 v[82:83], -v[80:81], 1.0
	v_fma_f64 v[102:103], v[76:77], v[102:103], s[80:81]
	v_add_f64 v[78:79], v[82:83], -v[78:79]
	v_fma_f64 v[102:103], v[76:77], v[102:103], s[82:83]
	v_mul_f64 v[82:83], v[76:77], v[76:77]
	v_fma_f64 v[102:103], v[76:77], v[102:103], s[66:67]
	v_fma_f64 v[78:79], v[8:9], -v[14:15], v[78:79]
	v_fmac_f64_e32 v[78:79], v[82:83], v[102:103]
	v_add_f64 v[78:79], v[80:81], v[78:79]
	v_pk_mov_b32 v[80:81], s[84:85], s[84:85] op_sel:[0,1]
	v_fma_f64 v[82:83], s[86:87], v[76:77], v[80:81]
	v_fma_f64 v[82:83], v[76:77], v[82:83], s[88:89]
	;; [unrolled: 1-line block ×4, first 2 shown]
	v_mul_f64 v[102:103], v[8:9], -v[76:77]
	v_mul_f64 v[104:105], v[14:15], 0.5
	v_fmac_f64_e32 v[104:105], v[102:103], v[82:83]
	v_fma_f64 v[14:15], v[76:77], v[104:105], -v[14:15]
	s_mov_b32 s92, s66
	v_fmac_f64_e32 v[14:15], s[92:93], v[102:103]
	v_add_f64 v[8:9], v[8:9], -v[14:15]
	v_and_b32_e32 v14, 1, v97
	v_cmp_eq_u32_e32 vcc, 0, v14
	v_lshlrev_b32_e32 v14, 30, v97
	v_xor_b32_e32 v14, v14, v7
	v_cndmask_b32_e32 v9, v79, v9, vcc
	v_and_b32_e32 v14, 0x80000000, v14
	v_cndmask_b32_e32 v8, v78, v8, vcc
	v_xor_b32_e32 v9, v9, v14
	v_cmp_class_f64_e64 vcc, v[6:7], s95
	v_cndmask_b32_e32 v6, 0, v8, vcc
	v_cndmask_b32_e32 v7, v96, v9, vcc
	v_mul_f64 v[8:9], v[84:85], v[84:85]
	v_mul_f64 v[14:15], v[8:9], 0.5
	v_fmac_f64_e32 v[100:101], s[76:77], v[8:9]
	v_add_f64 v[76:77], -v[14:15], 1.0
	v_fma_f64 v[82:83], v[8:9], v[100:101], s[78:79]
	v_add_f64 v[78:79], -v[76:77], 1.0
	v_fma_f64 v[82:83], v[8:9], v[82:83], s[80:81]
	v_add_f64 v[14:15], v[78:79], -v[14:15]
	v_fma_f64 v[82:83], v[8:9], v[82:83], s[82:83]
	v_mul_f64 v[78:79], v[8:9], v[8:9]
	v_fma_f64 v[82:83], v[8:9], v[82:83], s[66:67]
	v_fma_f64 v[14:15], v[84:85], -v[86:87], v[14:15]
	v_fmac_f64_e32 v[14:15], v[78:79], v[82:83]
	v_fmac_f64_e32 v[80:81], s[86:87], v[8:9]
	v_add_f64 v[14:15], v[76:77], v[14:15]
	v_fma_f64 v[76:77], v[8:9], v[80:81], s[88:89]
	v_fma_f64 v[76:77], v[8:9], v[76:77], s[90:91]
	;; [unrolled: 1-line block ×3, first 2 shown]
	v_mul_f64 v[78:79], v[84:85], -v[8:9]
	v_mul_f64 v[80:81], v[86:87], 0.5
	v_fmac_f64_e32 v[80:81], v[78:79], v[76:77]
	v_fma_f64 v[8:9], v[8:9], v[80:81], -v[86:87]
	v_fmac_f64_e32 v[8:9], s[92:93], v[78:79]
	v_and_b32_e32 v23, 1, v99
	v_add_f64 v[8:9], v[84:85], -v[8:9]
	v_cmp_eq_u32_e64 s[10:11], 0, v23
	v_xor_b32_e32 v9, 0x80000000, v9
	v_cndmask_b32_e64 v8, v8, v14, s[10:11]
	v_lshlrev_b32_e32 v14, 30, v99
	v_cndmask_b32_e64 v9, v9, v15, s[10:11]
	v_and_b32_e32 v14, 0x80000000, v14
	v_xor_b32_e32 v9, v9, v14
	v_cndmask_b32_e32 v8, 0, v8, vcc
	v_cndmask_b32_e32 v9, v96, v9, vcc
	v_mul_f64 v[6:7], v[6:7], v[8:9]
.LBB100_166:                            ;   in Loop: Header=BB100_4 Depth=1
	s_or_b64 exec, exec, s[58:59]
	v_add_co_u32_e32 v16, vcc, 0, v16
	v_bfi_b32 v23, s73, 0, v7
	v_addc_co_u32_e32 v17, vcc, -2.0, v17, vcc
	v_pk_mov_b32 v[14:15], v[22:23], v[22:23] op_sel:[0,1]
.LBB100_167:                            ;   in Loop: Header=BB100_4 Depth=1
	s_or_b64 exec, exec, s[44:45]
	s_or_b64 exec, exec, s[14:15]
	s_and_saveexec_b64 s[10:11], s[0:1]
	s_xor_b64 s[0:1], exec, s[10:11]
	s_cbranch_execnz .LBB100_160
.LBB100_168:                            ;   in Loop: Header=BB100_4 Depth=1
	s_or_b64 exec, exec, s[0:1]
	s_and_saveexec_b64 s[0:1], s[2:3]
	s_cbranch_execz .LBB100_161
.LBB100_169:                            ;   in Loop: Header=BB100_4 Depth=1
	v_mov_b32_e32 v3, s70
	v_add_co_u32_e32 v2, vcc, s33, v28
	v_xor_b32_e32 v13, 0x80000000, v13
	v_addc_co_u32_e32 v3, vcc, 0, v3, vcc
	global_store_dwordx4 v[2:3], v[10:13], off
	s_or_b64 exec, exec, s[0:1]
	s_and_saveexec_b64 s[0:1], s[6:7]
	s_cbranch_execnz .LBB100_162
.LBB100_170:                            ;   in Loop: Header=BB100_4 Depth=1
	s_or_b64 exec, exec, s[0:1]
	s_and_saveexec_b64 s[0:1], s[8:9]
	s_cbranch_execz .LBB100_3
.LBB100_171:                            ;   in Loop: Header=BB100_4 Depth=1
	v_mov_b32_e32 v3, s70
	v_add_co_u32_e32 v2, vcc, s33, v26
	v_xor_b32_e32 v17, 0x80000000, v17
	v_addc_co_u32_e32 v3, vcc, v3, v27, vcc
	global_store_dwordx4 v[2:3], v[14:17], off offset:-8
	s_branch .LBB100_3
.LBB100_172:
	s_cbranch_execz .LBB100_174
	s_branch .LBB100_329
.LBB100_173:
.LBB100_174:
	v_mov_b32_e32 v20, 0
	v_lshlrev_b32_e32 v2, 2, v0
	v_mov_b32_e32 v3, v20
	s_mov_b32 s33, 0
	v_cmp_gt_i64_e32 vcc, s[12:13], v[2:3]
	s_and_saveexec_b64 s[0:1], vcc
	s_cbranch_execz .LBB100_329
; %bb.175:
	s_load_dword s0, s[4:5], 0xd3c
	v_readlane_b32 s2, v112, 0
	v_readlane_b32 s4, v112, 2
	;; [unrolled: 1-line block ×4, first 2 shown]
	s_waitcnt lgkmcnt(0)
	s_and_b32 s0, s0, 0xffff
	s_lshl_b32 s92, s0, 2
	s_add_u32 s1, s2, s4
	v_lshlrev_b32_e32 v1, 6, v0
	s_addc_u32 s2, s3, s5
	v_add_lshl_u32 v22, v0, s0, 2
	v_mov_b32_e32 v0, s2
	v_add_co_u32_e32 v24, vcc, s1, v1
	s_mov_b32 s4, 0
	s_mov_b32 s6, 0
	;; [unrolled: 1-line block ×26, first 2 shown]
	v_mov_b32_e32 v23, v20
	v_addc_co_u32_e32 v25, vcc, 0, v0, vcc
	s_lshl_b32 s93, s0, 6
	s_mov_b32 s94, s33
	s_mov_b64 s[2:3], 0
	s_brev_b32 s95, -2
	s_mov_b32 s26, 0x7ff00000
	s_movk_i32 s27, 0x1f8
	s_mov_b32 s42, 0x40360000
	s_mov_b32 s5, 0x41d00000
	;; [unrolled: 1-line block ×3, first 2 shown]
	s_movk_i32 s43, 0xff80
	s_mov_b32 s9, 0x7ff00000
	s_mov_b32 s11, 0x3ff921fb
	;; [unrolled: 1-line block ×19, first 2 shown]
	s_brev_b32 s57, 8
	v_mov_b32_e32 v82, 0x260
	s_mov_b32 s59, 0x3e21eeb6
	s_mov_b32 s61, 0xbda907db
	;; [unrolled: 1-line block ×8, first 2 shown]
	v_mov_b32_e32 v83, 0x40100000
	v_mov_b32_e32 v84, 0x3ff00000
	;; [unrolled: 1-line block ×49, first 2 shown]
	s_mov_b32 s73, 0x3ec71de3
	s_mov_b32 s75, 0xbf2a01a0
	;; [unrolled: 1-line block ×4, first 2 shown]
	s_mov_b64 s[80:81], 0xffff
	s_branch .LBB100_180
.LBB100_176:                            ;   in Loop: Header=BB100_180 Depth=1
	s_or_b64 exec, exec, s[0:1]
	v_mul_f64 v[70:71], v[2:3], v[2:3]
	v_pk_mov_b32 v[92:93], s[58:59], s[58:59] op_sel:[0,1]
	v_mul_f64 v[72:73], v[70:71], 0.5
	v_fma_f64 v[94:95], s[60:61], v[70:71], v[92:93]
	v_add_f64 v[74:75], -v[72:73], 1.0
	v_fma_f64 v[94:95], v[70:71], v[94:95], s[62:63]
	v_add_f64 v[76:77], -v[74:75], 1.0
	v_fma_f64 v[94:95], v[70:71], v[94:95], s[64:65]
	v_add_f64 v[72:73], v[76:77], -v[72:73]
	v_fma_f64 v[94:95], v[70:71], v[94:95], s[66:67]
	v_mul_f64 v[76:77], v[70:71], v[70:71]
	v_fma_f64 v[94:95], v[70:71], v[94:95], s[50:51]
	v_fma_f64 v[72:73], v[2:3], -v[8:9], v[72:73]
	v_fmac_f64_e32 v[72:73], v[76:77], v[94:95]
	v_add_f64 v[72:73], v[74:75], v[72:73]
	v_pk_mov_b32 v[74:75], s[68:69], s[68:69] op_sel:[0,1]
	v_fma_f64 v[76:77], s[70:71], v[70:71], v[74:75]
	v_fma_f64 v[76:77], v[70:71], v[76:77], s[72:73]
	;; [unrolled: 1-line block ×4, first 2 shown]
	v_mul_f64 v[94:95], v[2:3], -v[70:71]
	v_mul_f64 v[96:97], v[8:9], 0.5
	v_fmac_f64_e32 v[96:97], v[94:95], v[76:77]
	v_fma_f64 v[8:9], v[70:71], v[96:97], -v[8:9]
	s_mov_b32 s76, s50
	v_fmac_f64_e32 v[8:9], s[76:77], v[94:95]
	v_add_f64 v[2:3], v[2:3], -v[8:9]
	v_and_b32_e32 v8, 1, v88
	v_cmp_eq_u32_e32 vcc, 0, v8
	v_lshlrev_b32_e32 v8, 30, v88
	v_xor_b32_e32 v8, v8, v1
	v_cndmask_b32_e32 v3, v73, v3, vcc
	v_and_b32_e32 v8, 0x80000000, v8
	v_cndmask_b32_e32 v2, v72, v2, vcc
	v_xor_b32_e32 v3, v3, v8
	v_cmp_class_f64_e64 vcc, v[0:1], s27
	v_cndmask_b32_e32 v0, 0, v2, vcc
	v_cndmask_b32_e32 v1, v87, v3, vcc
	v_mul_f64 v[2:3], v[78:79], v[78:79]
	v_mul_f64 v[8:9], v[2:3], 0.5
	v_fmac_f64_e32 v[92:93], s[60:61], v[2:3]
	v_add_f64 v[70:71], -v[8:9], 1.0
	v_fma_f64 v[76:77], v[2:3], v[92:93], s[62:63]
	v_add_f64 v[72:73], -v[70:71], 1.0
	v_fma_f64 v[76:77], v[2:3], v[76:77], s[64:65]
	v_add_f64 v[8:9], v[72:73], -v[8:9]
	v_fma_f64 v[76:77], v[2:3], v[76:77], s[66:67]
	v_mul_f64 v[72:73], v[2:3], v[2:3]
	v_fma_f64 v[76:77], v[2:3], v[76:77], s[50:51]
	v_fma_f64 v[8:9], v[78:79], -v[80:81], v[8:9]
	v_fmac_f64_e32 v[8:9], v[72:73], v[76:77]
	v_fmac_f64_e32 v[74:75], s[70:71], v[2:3]
	v_add_f64 v[8:9], v[70:71], v[8:9]
	v_fma_f64 v[70:71], v[2:3], v[74:75], s[72:73]
	v_fma_f64 v[70:71], v[2:3], v[70:71], s[74:75]
	;; [unrolled: 1-line block ×3, first 2 shown]
	v_mul_f64 v[72:73], v[78:79], -v[2:3]
	v_mul_f64 v[74:75], v[80:81], 0.5
	v_fmac_f64_e32 v[74:75], v[72:73], v[70:71]
	v_fma_f64 v[2:3], v[2:3], v[74:75], -v[80:81]
	v_fmac_f64_e32 v[2:3], s[76:77], v[72:73]
	v_and_b32_e32 v21, 1, v90
	v_add_f64 v[2:3], v[78:79], -v[2:3]
	v_cmp_eq_u32_e64 s[0:1], 0, v21
	v_xor_b32_e32 v3, 0x80000000, v3
	v_cndmask_b32_e64 v2, v2, v8, s[0:1]
	v_lshlrev_b32_e32 v8, 30, v90
	v_cndmask_b32_e64 v3, v3, v9, s[0:1]
	v_and_b32_e32 v8, 0x80000000, v8
	v_xor_b32_e32 v3, v3, v8
	v_cndmask_b32_e32 v2, 0, v2, vcc
	v_cndmask_b32_e32 v3, v87, v3, vcc
	v_mul_f64 v[0:1], v[0:1], v[2:3]
.LBB100_177:                            ;   in Loop: Header=BB100_180 Depth=1
	s_or_b64 exec, exec, s[86:87]
	v_add_co_u32_e32 v10, vcc, 0, v10
	v_bfi_b32 v21, s95, 0, v1
	v_addc_co_u32_e32 v11, vcc, -2.0, v11, vcc
	v_pk_mov_b32 v[8:9], v[20:21], v[20:21] op_sel:[0,1]
.LBB100_178:                            ;   in Loop: Header=BB100_180 Depth=1
	s_or_b64 exec, exec, s[84:85]
.LBB100_179:                            ;   in Loop: Header=BB100_180 Depth=1
	s_or_b64 exec, exec, s[82:83]
	v_cmp_le_i64_e32 vcc, s[12:13], v[22:23]
	v_cmp_lt_u64_e64 s[0:1], s[80:81], v[22:23]
	s_or_b64 s[0:1], vcc, s[0:1]
	v_mov_b32_e32 v0, s33
	v_add_co_u32_e32 v22, vcc, s92, v22
	v_xor_b32_e32 v7, 0x80000000, v7
	v_addc_co_u32_e32 v23, vcc, v23, v0, vcc
	v_xor_b32_e32 v19, 0x80000000, v19
	v_xor_b32_e32 v15, 0x80000000, v15
	;; [unrolled: 1-line block ×3, first 2 shown]
	global_store_dwordx4 v[24:25], v[4:7], off
	global_store_dwordx4 v[24:25], v[12:15], off offset:16
	global_store_dwordx4 v[24:25], v[16:19], off offset:32
	;; [unrolled: 1-line block ×3, first 2 shown]
	v_mov_b32_e32 v0, s94
	s_and_b64 s[0:1], exec, s[0:1]
	v_add_co_u32_e32 v24, vcc, s93, v24
	s_or_b64 s[2:3], s[0:1], s[2:3]
	v_addc_co_u32_e32 v25, vcc, v25, v0, vcc
	s_andn2_b64 exec, exec, s[2:3]
	s_cbranch_execz .LBB100_329
.LBB100_180:                            ; =>This Inner Loop Header: Depth=1
	global_load_dwordx4 v[12:15], v[24:25], off
	global_load_dwordx4 v[16:19], v[24:25], off offset:16
	global_load_dwordx4 v[0:3], v[24:25], off offset:48
	;; [unrolled: 1-line block ×3, first 2 shown]
	s_waitcnt vmcnt(3)
	v_xor_b32_e32 v7, 0x80000000, v15
	v_and_b32_e32 v21, 0x7fffffff, v7
	v_mov_b32_e32 v6, v14
	v_cmp_gt_u32_e32 vcc, s26, v21
	s_and_saveexec_b64 s[0:1], vcc
	s_xor_b64 s[82:83], exec, s[0:1]
	s_cbranch_execz .LBB100_202
; %bb.181:                              ;   in Loop: Header=BB100_180 Depth=1
	v_cmp_class_f64_e64 s[0:1], v[12:13], s27
                                        ; implicit-def: $vgpr4_vgpr5
	s_and_saveexec_b64 s[84:85], s[0:1]
	s_xor_b64 s[84:85], exec, s[84:85]
	s_cbranch_execz .LBB100_199
; %bb.182:                              ;   in Loop: Header=BB100_180 Depth=1
	v_cmp_gt_u32_e32 vcc, s42, v21
                                        ; implicit-def: $vgpr4_vgpr5
	s_and_saveexec_b64 s[0:1], vcc
	s_xor_b64 s[86:87], exec, s[0:1]
	s_cbranch_execz .LBB100_188
; %bb.183:                              ;   in Loop: Header=BB100_180 Depth=1
	v_cmp_nlt_f64_e64 s[0:1], |v[12:13]|, s[4:5]
                                        ; implicit-def: $vgpr70
                                        ; implicit-def: $vgpr4_vgpr5
                                        ; implicit-def: $vgpr6_vgpr7
	s_and_saveexec_b64 s[88:89], s[0:1]
	s_xor_b64 s[88:89], exec, s[88:89]
	s_cbranch_execz .LBB100_185
; %bb.184:                              ;   in Loop: Header=BB100_180 Depth=1
	v_and_b32_e32 v21, 0x7fffffff, v13
	v_ldexp_f64 v[70:71], |v[12:13]|, s43
	v_cmp_ge_f64_e64 vcc, |v[12:13]|, s[6:7]
	v_trig_preop_f64 v[4:5], |v[12:13]|, 0
	v_cndmask_b32_e32 v71, v21, v71, vcc
	v_cndmask_b32_e32 v70, v12, v70, vcc
	v_trig_preop_f64 v[6:7], |v[12:13]|, 1
	v_mul_f64 v[74:75], v[4:5], v[70:71]
	v_mul_f64 v[72:73], v[6:7], v[70:71]
	v_fma_f64 v[4:5], v[4:5], v[70:71], -v[74:75]
	v_add_f64 v[76:77], v[72:73], v[4:5]
	v_add_f64 v[78:79], v[74:75], v[76:77]
	v_ldexp_f64 v[80:81], v[78:79], -2
	v_fract_f64_e32 v[88:89], v[80:81]
	v_cmp_neq_f64_e64 vcc, |v[80:81]|, s[8:9]
	v_cndmask_b32_e32 v81, 0, v89, vcc
	v_cndmask_b32_e32 v80, 0, v88, vcc
	v_add_f64 v[88:89], v[76:77], -v[72:73]
	v_add_f64 v[4:5], v[4:5], -v[88:89]
	;; [unrolled: 1-line block ×4, first 2 shown]
	v_fma_f64 v[6:7], v[6:7], v[70:71], -v[72:73]
	v_trig_preop_f64 v[72:73], |v[12:13]|, 2
	v_add_f64 v[4:5], v[4:5], v[88:89]
	v_mul_f64 v[88:89], v[72:73], v[70:71]
	v_add_f64 v[90:91], v[88:89], v[6:7]
	v_add_f64 v[92:93], v[90:91], v[4:5]
	v_add_f64 v[74:75], v[78:79], -v[74:75]
	v_add_f64 v[78:79], v[92:93], -v[90:91]
	v_add_f64 v[4:5], v[4:5], -v[78:79]
	v_add_f64 v[78:79], v[92:93], -v[78:79]
	v_add_f64 v[78:79], v[90:91], -v[78:79]
	v_add_f64 v[4:5], v[4:5], v[78:79]
	v_add_f64 v[78:79], v[90:91], -v[88:89]
	v_add_f64 v[6:7], v[6:7], -v[78:79]
	;; [unrolled: 1-line block ×4, first 2 shown]
	v_add_f64 v[6:7], v[6:7], v[78:79]
	v_add_f64 v[74:75], v[76:77], -v[74:75]
	v_add_f64 v[4:5], v[6:7], v[4:5]
	v_fma_f64 v[6:7], v[72:73], v[70:71], -v[88:89]
	v_add_f64 v[76:77], v[74:75], v[92:93]
	v_add_f64 v[4:5], v[6:7], v[4:5]
	v_ldexp_f64 v[6:7], v[80:81], 2
	v_add_f64 v[70:71], v[76:77], v[6:7]
	v_cmp_gt_f64_e32 vcc, 0, v[70:71]
	v_cndmask_b32_e32 v21, 0, v83, vcc
	v_add_f64 v[6:7], v[6:7], v[20:21]
	v_add_f64 v[70:71], v[76:77], v[6:7]
	v_cvt_i32_f64_e32 v21, v[70:71]
	v_cvt_f64_i32_e32 v[70:71], v21
	v_add_f64 v[6:7], v[6:7], -v[70:71]
	v_add_f64 v[74:75], v[76:77], -v[74:75]
	v_add_f64 v[72:73], v[76:77], v[6:7]
	v_add_f64 v[74:75], v[92:93], -v[74:75]
	v_add_f64 v[6:7], v[72:73], -v[6:7]
	v_cmp_le_f64_e32 vcc, 0.5, v[72:73]
	v_add_f64 v[4:5], v[74:75], v[4:5]
	v_add_f64 v[6:7], v[76:77], -v[6:7]
	v_addc_co_u32_e64 v70, s[0:1], 0, v21, vcc
	v_cndmask_b32_e32 v21, 0, v84, vcc
	v_add_f64 v[4:5], v[4:5], v[6:7]
	v_add_f64 v[6:7], v[72:73], -v[20:21]
	v_add_f64 v[72:73], v[6:7], v[4:5]
	v_add_f64 v[6:7], v[72:73], -v[6:7]
	s_mov_b32 s10, s14
	v_add_f64 v[4:5], v[4:5], -v[6:7]
	v_mul_f64 v[6:7], v[72:73], s[10:11]
	v_fma_f64 v[74:75], v[72:73], s[10:11], -v[6:7]
	s_mov_b32 s19, s17
	v_fmac_f64_e32 v[74:75], s[18:19], v[72:73]
	v_fmac_f64_e32 v[74:75], s[10:11], v[4:5]
	v_add_f64 v[4:5], v[6:7], v[74:75]
	v_add_f64 v[6:7], v[4:5], -v[6:7]
	v_add_f64 v[6:7], v[74:75], -v[6:7]
.LBB100_185:                            ;   in Loop: Header=BB100_180 Depth=1
	s_andn2_saveexec_b64 s[0:1], s[88:89]
	s_cbranch_execz .LBB100_187
; %bb.186:                              ;   in Loop: Header=BB100_180 Depth=1
	v_mul_f64 v[4:5], |v[12:13]|, s[20:21]
	v_rndne_f64_e32 v[70:71], v[4:5]
	v_fma_f64 v[4:5], v[70:71], s[14:15], |v[12:13]|
	v_mul_f64 v[72:73], v[70:71], s[22:23]
	v_add_f64 v[76:77], v[4:5], v[72:73]
	v_fma_f64 v[6:7], s[22:23], v[70:71], v[4:5]
	s_mov_b32 s16, s22
	v_add_f64 v[4:5], v[4:5], -v[76:77]
	v_fma_f64 v[74:75], s[16:17], v[70:71], v[72:73]
	v_add_f64 v[4:5], v[4:5], v[72:73]
	v_add_f64 v[72:73], v[76:77], -v[6:7]
	v_add_f64 v[4:5], v[72:73], v[4:5]
	v_add_f64 v[72:73], v[4:5], -v[74:75]
	v_fmac_f64_e32 v[72:73], s[24:25], v[70:71]
	v_add_f64 v[4:5], v[6:7], v[72:73]
	v_add_f64 v[6:7], v[4:5], -v[6:7]
	v_add_f64 v[6:7], v[72:73], -v[6:7]
	v_cvt_i32_f64_e32 v70, v[70:71]
.LBB100_187:                            ;   in Loop: Header=BB100_180 Depth=1
	s_or_b64 exec, exec, s[0:1]
	v_mul_f64 v[72:73], v[4:5], v[4:5]
	v_fma_f64 v[74:75], v[4:5], v[4:5], -v[72:73]
	v_add_f64 v[76:77], v[6:7], v[6:7]
	v_fmac_f64_e32 v[74:75], v[4:5], v[76:77]
	s_mov_b32 s0, 0xc751c08c
	v_add_f64 v[72:73], v[72:73], v[74:75]
	v_pk_mov_b32 v[74:75], v[26:27], v[26:27] op_sel:[0,1]
	s_mov_b32 s1, 0x3ef5e089
	v_fmac_f64_e32 v[74:75], s[0:1], v[72:73]
	v_pk_mov_b32 v[76:77], v[28:29], v[28:29] op_sel:[0,1]
	v_fmac_f64_e32 v[76:77], v[72:73], v[74:75]
	v_pk_mov_b32 v[74:75], v[30:31], v[30:31] op_sel:[0,1]
	;; [unrolled: 2-line block ×12, first 2 shown]
	v_fmac_f64_e32 v[74:75], v[72:73], v[76:77]
	v_mul_f64 v[72:73], v[72:73], v[74:75]
	v_mul_f64 v[74:75], v[4:5], v[72:73]
	v_add_f64 v[76:77], v[4:5], v[74:75]
	v_fma_f64 v[72:73], v[4:5], v[72:73], -v[74:75]
	v_add_f64 v[4:5], v[76:77], -v[4:5]
	v_add_f64 v[4:5], v[74:75], -v[4:5]
	v_add_f64 v[6:7], v[6:7], v[72:73]
	v_add_f64 v[4:5], v[6:7], v[4:5]
	;; [unrolled: 1-line block ×3, first 2 shown]
	v_rcp_f64_e32 v[72:73], v[6:7]
	v_and_b32_e32 v12, 1, v70
	v_add_f64 v[70:71], v[6:7], -v[76:77]
	v_add_f64 v[4:5], v[4:5], -v[70:71]
	v_fma_f64 v[70:71], -v[6:7], v[72:73], 1.0
	v_fmac_f64_e32 v[72:73], v[70:71], v[72:73]
	v_fma_f64 v[70:71], -v[6:7], v[72:73], 1.0
	v_fmac_f64_e32 v[72:73], v[70:71], v[72:73]
	v_mul_f64 v[70:71], v[6:7], v[72:73]
	v_fma_f64 v[74:75], v[72:73], v[6:7], -v[70:71]
	v_fmac_f64_e32 v[74:75], v[72:73], v[4:5]
	v_add_f64 v[4:5], v[70:71], v[74:75]
	v_add_f64 v[76:77], -v[4:5], 1.0
	v_add_f64 v[70:71], v[4:5], -v[70:71]
	v_add_f64 v[78:79], -v[76:77], 1.0
	v_add_f64 v[4:5], v[78:79], -v[4:5]
	v_add_f64 v[70:71], v[70:71], -v[74:75]
	v_add_f64 v[4:5], v[70:71], v[4:5]
	v_add_f64 v[4:5], v[76:77], v[4:5]
	v_mul_f64 v[4:5], v[72:73], v[4:5]
	v_add_f64 v[4:5], v[72:73], v[4:5]
	v_xor_b32_e32 v5, 0x80000000, v5
	v_cmp_eq_u32_e32 vcc, 0, v12
	v_cndmask_b32_e32 v4, v4, v6, vcc
	v_cndmask_b32_e32 v5, v5, v7, vcc
	v_add_f64 v[6:7], |v[14:15]|, s[28:29]
	v_add_f64 v[70:71], v[6:7], -|v[14:15]|
	v_add_f64 v[72:73], v[70:71], -v[6:7]
	s_mov_b32 s30, s28
	v_add_f64 v[72:73], |v[14:15]|, v[72:73]
	v_add_f64 v[70:71], v[70:71], s[30:31]
	v_add_f64 v[70:71], v[72:73], -v[70:71]
	v_add_f64 v[70:71], v[70:71], s[34:35]
	v_add_f64 v[72:73], v[6:7], v[70:71]
	v_add_f64 v[6:7], v[6:7], -v[72:73]
	s_mov_b32 s36, s38
	v_add_f64 v[6:7], v[70:71], v[6:7]
	v_mul_f64 v[70:71], v[72:73], s[36:37]
	v_rndne_f64_e32 v[70:71], v[70:71]
	s_mov_b32 s41, s29
	v_fmac_f64_e32 v[72:73], s[40:41], v[70:71]
	v_add_f64 v[74:75], v[6:7], v[72:73]
	s_mov_b32 s0, 0xf278e000
	v_add_f64 v[72:73], v[72:73], -v[74:75]
	s_mov_b32 s1, 0xbd53de6a
	v_add_f64 v[6:7], v[6:7], v[72:73]
	v_mul_f64 v[72:73], v[70:71], s[0:1]
	v_add_f64 v[76:77], v[74:75], v[72:73]
	v_add_f64 v[74:75], v[74:75], -v[76:77]
	v_add_f64 v[72:73], v[74:75], v[72:73]
	v_add_f64 v[6:7], v[6:7], v[72:73]
	;; [unrolled: 1-line block ×3, first 2 shown]
	s_mov_b32 s0, 0xf97b57a0
	v_add_f64 v[74:75], v[76:77], -v[72:73]
	s_mov_b32 s1, 0xbac9cc01
	v_add_f64 v[6:7], v[6:7], v[74:75]
	v_mul_f64 v[74:75], v[70:71], s[0:1]
	v_add_f64 v[76:77], v[72:73], v[74:75]
	v_add_f64 v[72:73], v[72:73], -v[76:77]
	v_add_f64 v[72:73], v[72:73], v[74:75]
	v_add_f64 v[6:7], v[6:7], v[72:73]
	;; [unrolled: 1-line block ×3, first 2 shown]
	v_add_f64 v[74:75], v[76:77], -v[72:73]
	v_add_f64 v[6:7], v[6:7], v[74:75]
	v_pk_mov_b32 v[74:75], v[52:53], v[52:53] op_sel:[0,1]
	v_fmac_f64_e32 v[74:75], s[46:47], v[72:73]
	v_pk_mov_b32 v[76:77], v[54:55], v[54:55] op_sel:[0,1]
	v_fmac_f64_e32 v[76:77], v[72:73], v[74:75]
	;; [unrolled: 2-line block ×9, first 2 shown]
	v_mul_f64 v[76:77], v[72:73], v[72:73]
	v_fma_f64 v[78:79], v[72:73], v[72:73], -v[76:77]
	v_add_f64 v[80:81], v[6:7], v[6:7]
	v_fmac_f64_e32 v[78:79], v[72:73], v[80:81]
	v_add_f64 v[80:81], v[76:77], v[78:79]
	v_add_f64 v[76:77], v[80:81], -v[76:77]
	v_add_f64 v[76:77], v[78:79], -v[76:77]
	v_mul_f64 v[78:79], v[80:81], v[74:75]
	v_fma_f64 v[80:81], v[80:81], v[74:75], -v[78:79]
	v_fmac_f64_e32 v[80:81], v[76:77], v[74:75]
	v_add_f64 v[74:75], v[78:79], v[80:81]
	v_add_f64 v[76:77], v[74:75], -v[78:79]
	v_add_f64 v[78:79], v[72:73], v[74:75]
	v_add_f64 v[76:77], v[80:81], -v[76:77]
	v_add_f64 v[72:73], v[78:79], -v[72:73]
	;; [unrolled: 1-line block ×3, first 2 shown]
	v_add_f64 v[6:7], v[6:7], v[76:77]
	v_add_f64 v[6:7], v[6:7], v[72:73]
	;; [unrolled: 1-line block ×3, first 2 shown]
	v_add_f64 v[74:75], v[72:73], -v[78:79]
	v_add_f64 v[6:7], v[6:7], -v[74:75]
	v_add_f64 v[74:75], v[72:73], 1.0
	v_add_f64 v[76:77], v[74:75], -1.0
	v_add_f64 v[72:73], v[72:73], -v[76:77]
	v_add_f64 v[6:7], v[6:7], v[72:73]
	v_add_f64 v[72:73], v[74:75], v[6:7]
	v_cvt_i32_f64_e32 v21, v[70:71]
	v_ldexp_f64 v[70:71], v[72:73], v21
	v_rcp_f64_e32 v[76:77], v[70:71]
	v_add_f64 v[72:73], v[72:73], -v[74:75]
	v_add_f64 v[6:7], v[6:7], -v[72:73]
	v_ldexp_f64 v[6:7], v[6:7], v21
	v_fma_f64 v[72:73], -v[70:71], v[76:77], 1.0
	v_fmac_f64_e32 v[76:77], v[72:73], v[76:77]
	v_fma_f64 v[72:73], -v[70:71], v[76:77], 1.0
	v_fmac_f64_e32 v[76:77], v[72:73], v[76:77]
	v_mul_f64 v[72:73], v[70:71], v[76:77]
	v_fma_f64 v[74:75], v[76:77], v[70:71], -v[72:73]
	v_fmac_f64_e32 v[74:75], v[76:77], v[6:7]
	v_add_f64 v[78:79], v[72:73], v[74:75]
	v_add_f64 v[80:81], -v[78:79], 1.0
	v_add_f64 v[72:73], v[78:79], -v[72:73]
	v_add_f64 v[88:89], -v[80:81], 1.0
	v_add_f64 v[78:79], v[88:89], -v[78:79]
	v_add_f64 v[72:73], v[72:73], -v[74:75]
	v_add_f64 v[72:73], v[72:73], v[78:79]
	v_add_f64 v[74:75], v[80:81], v[72:73]
	v_add_f64 v[78:79], v[80:81], -v[74:75]
	v_add_f64 v[72:73], v[72:73], v[78:79]
	v_mul_f64 v[78:79], v[76:77], v[74:75]
	v_mul_f64 v[80:81], v[70:71], v[78:79]
	v_fma_f64 v[88:89], v[78:79], v[70:71], -v[80:81]
	v_fmac_f64_e32 v[88:89], v[78:79], v[6:7]
	v_add_f64 v[90:91], v[80:81], v[88:89]
	v_add_f64 v[92:93], v[74:75], -v[90:91]
	v_add_f64 v[74:75], v[74:75], -v[92:93]
	;; [unrolled: 1-line block ×4, first 2 shown]
	v_add_f64 v[72:73], v[72:73], v[74:75]
	v_add_f64 v[74:75], v[80:81], -v[88:89]
	v_add_f64 v[72:73], v[74:75], v[72:73]
	v_add_f64 v[72:73], v[92:93], v[72:73]
	v_add_f64 v[74:75], v[76:77], v[78:79]
	v_mul_f64 v[72:73], v[76:77], v[72:73]
	v_add_f64 v[76:77], v[74:75], -v[76:77]
	v_add_f64 v[76:77], v[78:79], -v[76:77]
	v_add_f64 v[72:73], v[76:77], v[72:73]
	v_add_f64 v[76:77], v[74:75], v[72:73]
	v_add_f64 v[74:75], v[76:77], -v[74:75]
	v_add_f64 v[72:73], v[72:73], -v[74:75]
	v_ldexp_f64 v[74:75], v[76:77], -2
	v_add_f64 v[76:77], v[70:71], -v[74:75]
	v_add_f64 v[70:71], v[70:71], -v[76:77]
	v_add_f64 v[70:71], v[70:71], -v[74:75]
	v_ldexp_f64 v[72:73], v[72:73], -2
	v_add_f64 v[6:7], v[6:7], v[70:71]
	v_add_f64 v[6:7], v[6:7], -v[72:73]
	v_add_f64 v[6:7], v[76:77], v[6:7]
	v_cmp_nge_f64_e64 vcc, |v[14:15]|, s[52:53]
	v_and_b32_e32 v12, 0x7fffffff, v15
	v_cndmask_b32_e32 v7, v85, v7, vcc
	v_cndmask_b32_e32 v6, 0, v6, vcc
	v_cmp_lt_f64_e64 vcc, |v[14:15]|, s[54:55]
	v_cndmask_b32_e32 v7, v7, v12, vcc
	v_xor_b32_e32 v12, 0x80000000, v15
	v_cndmask_b32_e32 v6, v6, v14, vcc
	v_bfi_b32 v7, s95, v7, v12
	v_fma_f64 v[14:15], v[6:7], v[6:7], 1.0
	v_cmp_gt_f64_e32 vcc, s[56:57], v[14:15]
	v_cndmask_b32_e64 v12, 0, 1, vcc
	v_lshlrev_b32_e32 v12, 8, v12
	v_ldexp_f64 v[14:15], v[14:15], v12
	v_rsq_f64_e32 v[70:71], v[14:15]
	v_and_b32_e32 v12, 0x80000000, v13
	v_cndmask_b32_e32 v21, 0, v86, vcc
	v_xor_b32_e32 v5, v5, v12
	v_mul_f64 v[72:73], v[14:15], v[70:71]
	v_mul_f64 v[70:71], v[70:71], 0.5
	v_fma_f64 v[74:75], -v[70:71], v[72:73], 0.5
	v_fmac_f64_e32 v[72:73], v[72:73], v[74:75]
	v_fma_f64 v[76:77], -v[72:73], v[72:73], v[14:15]
	v_fmac_f64_e32 v[70:71], v[70:71], v[74:75]
	v_fmac_f64_e32 v[72:73], v[76:77], v[70:71]
	v_fma_f64 v[74:75], -v[72:73], v[72:73], v[14:15]
	v_fmac_f64_e32 v[72:73], v[74:75], v[70:71]
	v_ldexp_f64 v[70:71], v[72:73], v21
	v_cmp_class_f64_e32 vcc, v[14:15], v82
	v_fma_f64 v[12:13], v[4:5], v[4:5], 1.0
	v_cndmask_b32_e32 v15, v71, v15, vcc
	v_cndmask_b32_e32 v14, v70, v14, vcc
	v_mul_f64 v[70:71], v[6:7], v[12:13]
	v_mul_f64 v[12:13], v[14:15], v[12:13]
	v_fma_f64 v[70:71], v[6:7], v[70:71], 1.0
	v_mul_f64 v[6:7], v[6:7], v[12:13]
	v_div_scale_f64 v[12:13], s[0:1], v[70:71], v[70:71], v[6:7]
	v_rcp_f64_e32 v[14:15], v[12:13]
	v_fma_f64 v[72:73], -v[12:13], v[14:15], 1.0
	v_fmac_f64_e32 v[14:15], v[14:15], v[72:73]
	v_fma_f64 v[72:73], -v[12:13], v[14:15], 1.0
	v_fmac_f64_e32 v[14:15], v[14:15], v[72:73]
	v_div_scale_f64 v[72:73], vcc, v[6:7], v[70:71], v[6:7]
	v_mul_f64 v[74:75], v[72:73], v[14:15]
	v_fma_f64 v[12:13], -v[12:13], v[74:75], v[72:73]
	v_div_scale_f64 v[72:73], s[0:1], v[70:71], v[70:71], v[4:5]
	v_rcp_f64_e32 v[76:77], v[72:73]
	v_div_fmas_f64 v[12:13], v[12:13], v[14:15], v[74:75]
	v_div_fixup_f64 v[6:7], v[12:13], v[70:71], v[6:7]
	v_fma_f64 v[12:13], -v[72:73], v[76:77], 1.0
	v_fmac_f64_e32 v[76:77], v[76:77], v[12:13]
	v_fma_f64 v[12:13], -v[72:73], v[76:77], 1.0
	v_fmac_f64_e32 v[76:77], v[76:77], v[12:13]
	v_div_scale_f64 v[12:13], vcc, v[4:5], v[70:71], v[4:5]
	v_mul_f64 v[14:15], v[12:13], v[76:77]
	v_fma_f64 v[12:13], -v[72:73], v[14:15], v[12:13]
	s_nop 1
	v_div_fmas_f64 v[12:13], v[12:13], v[76:77], v[14:15]
	v_div_fixup_f64 v[4:5], v[12:13], v[70:71], v[4:5]
                                        ; implicit-def: $vgpr12_vgpr13
.LBB100_188:                            ;   in Loop: Header=BB100_180 Depth=1
	s_andn2_saveexec_b64 s[86:87], s[86:87]
	s_cbranch_execz .LBB100_191
; %bb.189:                              ;   in Loop: Header=BB100_180 Depth=1
	v_cmp_nlt_f64_e64 s[88:89], |v[12:13]|, s[4:5]
                                        ; implicit-def: $vgpr74
                                        ; implicit-def: $vgpr4_vgpr5
                                        ; implicit-def: $vgpr6_vgpr7
	s_and_saveexec_b64 s[0:1], s[88:89]
	s_xor_b64 s[90:91], exec, s[0:1]
	s_cbranch_execz .LBB100_192
; %bb.190:                              ;   in Loop: Header=BB100_180 Depth=1
	v_and_b32_e32 v21, 0x7fffffff, v13
	v_ldexp_f64 v[70:71], |v[12:13]|, s43
	v_cmp_ge_f64_e64 vcc, |v[12:13]|, s[6:7]
	v_trig_preop_f64 v[4:5], |v[12:13]|, 0
	v_cndmask_b32_e32 v71, v21, v71, vcc
	v_cndmask_b32_e32 v70, v12, v70, vcc
	v_trig_preop_f64 v[6:7], |v[12:13]|, 1
	v_mul_f64 v[74:75], v[4:5], v[70:71]
	v_mul_f64 v[72:73], v[6:7], v[70:71]
	v_fma_f64 v[4:5], v[4:5], v[70:71], -v[74:75]
	v_add_f64 v[76:77], v[72:73], v[4:5]
	v_add_f64 v[78:79], v[74:75], v[76:77]
	v_ldexp_f64 v[80:81], v[78:79], -2
	v_fract_f64_e32 v[88:89], v[80:81]
	v_cmp_neq_f64_e64 vcc, |v[80:81]|, s[8:9]
	v_cndmask_b32_e32 v81, 0, v89, vcc
	v_cndmask_b32_e32 v80, 0, v88, vcc
	v_add_f64 v[88:89], v[76:77], -v[72:73]
	v_add_f64 v[4:5], v[4:5], -v[88:89]
	;; [unrolled: 1-line block ×4, first 2 shown]
	v_fma_f64 v[6:7], v[6:7], v[70:71], -v[72:73]
	v_trig_preop_f64 v[72:73], |v[12:13]|, 2
	v_add_f64 v[4:5], v[4:5], v[88:89]
	v_mul_f64 v[88:89], v[72:73], v[70:71]
	v_add_f64 v[90:91], v[88:89], v[6:7]
	v_add_f64 v[92:93], v[90:91], v[4:5]
	v_add_f64 v[74:75], v[78:79], -v[74:75]
	v_add_f64 v[78:79], v[92:93], -v[90:91]
	;; [unrolled: 1-line block ×5, first 2 shown]
	v_add_f64 v[4:5], v[4:5], v[78:79]
	v_add_f64 v[78:79], v[90:91], -v[88:89]
	v_add_f64 v[6:7], v[6:7], -v[78:79]
	;; [unrolled: 1-line block ×4, first 2 shown]
	v_add_f64 v[6:7], v[6:7], v[78:79]
	v_add_f64 v[74:75], v[76:77], -v[74:75]
	v_add_f64 v[4:5], v[6:7], v[4:5]
	v_fma_f64 v[6:7], v[72:73], v[70:71], -v[88:89]
	v_add_f64 v[76:77], v[74:75], v[92:93]
	v_add_f64 v[4:5], v[6:7], v[4:5]
	v_ldexp_f64 v[6:7], v[80:81], 2
	v_add_f64 v[70:71], v[76:77], v[6:7]
	v_cmp_gt_f64_e32 vcc, 0, v[70:71]
	v_cndmask_b32_e32 v21, 0, v83, vcc
	v_add_f64 v[6:7], v[6:7], v[20:21]
	v_add_f64 v[70:71], v[76:77], v[6:7]
	v_cvt_i32_f64_e32 v21, v[70:71]
	v_cvt_f64_i32_e32 v[70:71], v21
	v_add_f64 v[6:7], v[6:7], -v[70:71]
	v_add_f64 v[74:75], v[76:77], -v[74:75]
	v_add_f64 v[70:71], v[76:77], v[6:7]
	v_add_f64 v[74:75], v[92:93], -v[74:75]
	v_add_f64 v[6:7], v[70:71], -v[6:7]
	v_cmp_le_f64_e32 vcc, 0.5, v[70:71]
	v_add_f64 v[4:5], v[74:75], v[4:5]
	v_add_f64 v[6:7], v[76:77], -v[6:7]
	v_addc_co_u32_e64 v74, s[0:1], 0, v21, vcc
	v_cndmask_b32_e32 v21, 0, v84, vcc
	v_add_f64 v[4:5], v[4:5], v[6:7]
	v_add_f64 v[6:7], v[70:71], -v[20:21]
	v_add_f64 v[70:71], v[6:7], v[4:5]
	v_add_f64 v[6:7], v[70:71], -v[6:7]
	s_mov_b32 s10, s14
	v_add_f64 v[4:5], v[4:5], -v[6:7]
	v_mul_f64 v[6:7], v[70:71], s[10:11]
	v_fma_f64 v[72:73], v[70:71], s[10:11], -v[6:7]
	s_mov_b32 s19, s17
	v_fmac_f64_e32 v[72:73], s[18:19], v[70:71]
	v_fmac_f64_e32 v[72:73], s[10:11], v[4:5]
	v_add_f64 v[4:5], v[6:7], v[72:73]
	v_add_f64 v[6:7], v[4:5], -v[6:7]
	v_add_f64 v[6:7], v[72:73], -v[6:7]
	s_andn2_saveexec_b64 s[0:1], s[90:91]
	s_cbranch_execz .LBB100_194
	s_branch .LBB100_193
.LBB100_191:                            ;   in Loop: Header=BB100_180 Depth=1
	s_or_b64 exec, exec, s[86:87]
                                        ; implicit-def: $vgpr12_vgpr13
	s_andn2_saveexec_b64 s[0:1], s[84:85]
	s_cbranch_execnz .LBB100_200
	s_branch .LBB100_201
.LBB100_192:                            ;   in Loop: Header=BB100_180 Depth=1
	s_andn2_saveexec_b64 s[0:1], s[90:91]
	s_cbranch_execz .LBB100_194
.LBB100_193:                            ;   in Loop: Header=BB100_180 Depth=1
	v_mul_f64 v[4:5], |v[12:13]|, s[20:21]
	v_rndne_f64_e32 v[70:71], v[4:5]
	v_fma_f64 v[4:5], v[70:71], s[14:15], |v[12:13]|
	v_mul_f64 v[72:73], v[70:71], s[22:23]
	v_add_f64 v[76:77], v[4:5], v[72:73]
	v_fma_f64 v[6:7], s[22:23], v[70:71], v[4:5]
	s_mov_b32 s16, s22
	v_add_f64 v[4:5], v[4:5], -v[76:77]
	v_fma_f64 v[74:75], s[16:17], v[70:71], v[72:73]
	v_add_f64 v[4:5], v[4:5], v[72:73]
	v_add_f64 v[72:73], v[76:77], -v[6:7]
	v_add_f64 v[4:5], v[72:73], v[4:5]
	v_add_f64 v[72:73], v[4:5], -v[74:75]
	v_fmac_f64_e32 v[72:73], s[24:25], v[70:71]
	v_add_f64 v[4:5], v[6:7], v[72:73]
	v_add_f64 v[6:7], v[4:5], -v[6:7]
	v_add_f64 v[6:7], v[72:73], -v[6:7]
	v_cvt_i32_f64_e32 v74, v[70:71]
.LBB100_194:                            ;   in Loop: Header=BB100_180 Depth=1
	s_or_b64 exec, exec, s[0:1]
                                        ; implicit-def: $vgpr75
                                        ; implicit-def: $vgpr70_vgpr71
                                        ; implicit-def: $vgpr72_vgpr73
	s_and_saveexec_b64 s[0:1], s[88:89]
	s_xor_b64 s[88:89], exec, s[0:1]
	s_cbranch_execz .LBB100_196
; %bb.195:                              ;   in Loop: Header=BB100_180 Depth=1
	v_and_b32_e32 v21, 0x7fffffff, v13
	v_ldexp_f64 v[76:77], |v[12:13]|, s43
	v_cmp_ge_f64_e64 vcc, |v[12:13]|, s[6:7]
	v_trig_preop_f64 v[70:71], |v[12:13]|, 0
	v_cndmask_b32_e32 v77, v21, v77, vcc
	v_cndmask_b32_e32 v76, v12, v76, vcc
	v_trig_preop_f64 v[72:73], |v[12:13]|, 1
	v_mul_f64 v[80:81], v[70:71], v[76:77]
	v_mul_f64 v[78:79], v[72:73], v[76:77]
	v_fma_f64 v[70:71], v[70:71], v[76:77], -v[80:81]
	v_add_f64 v[88:89], v[78:79], v[70:71]
	v_add_f64 v[90:91], v[80:81], v[88:89]
	v_ldexp_f64 v[92:93], v[90:91], -2
	v_fract_f64_e32 v[94:95], v[92:93]
	v_cmp_neq_f64_e64 vcc, |v[92:93]|, s[8:9]
	v_cndmask_b32_e32 v93, 0, v95, vcc
	v_cndmask_b32_e32 v92, 0, v94, vcc
	v_add_f64 v[94:95], v[88:89], -v[78:79]
	v_add_f64 v[70:71], v[70:71], -v[94:95]
	v_add_f64 v[94:95], v[88:89], -v[94:95]
	v_add_f64 v[94:95], v[78:79], -v[94:95]
	v_fma_f64 v[72:73], v[72:73], v[76:77], -v[78:79]
	v_trig_preop_f64 v[78:79], |v[12:13]|, 2
	v_add_f64 v[70:71], v[70:71], v[94:95]
	v_mul_f64 v[94:95], v[78:79], v[76:77]
	v_add_f64 v[96:97], v[94:95], v[72:73]
	v_add_f64 v[98:99], v[96:97], v[70:71]
	v_add_f64 v[80:81], v[90:91], -v[80:81]
	v_add_f64 v[90:91], v[98:99], -v[96:97]
	;; [unrolled: 1-line block ×5, first 2 shown]
	v_add_f64 v[70:71], v[70:71], v[90:91]
	v_add_f64 v[90:91], v[96:97], -v[94:95]
	v_add_f64 v[72:73], v[72:73], -v[90:91]
	;; [unrolled: 1-line block ×4, first 2 shown]
	v_add_f64 v[72:73], v[72:73], v[90:91]
	v_add_f64 v[80:81], v[88:89], -v[80:81]
	v_add_f64 v[70:71], v[72:73], v[70:71]
	v_fma_f64 v[72:73], v[78:79], v[76:77], -v[94:95]
	v_add_f64 v[88:89], v[80:81], v[98:99]
	v_add_f64 v[70:71], v[72:73], v[70:71]
	v_ldexp_f64 v[72:73], v[92:93], 2
	v_add_f64 v[76:77], v[88:89], v[72:73]
	v_cmp_gt_f64_e32 vcc, 0, v[76:77]
	v_cndmask_b32_e32 v21, 0, v83, vcc
	v_add_f64 v[72:73], v[72:73], v[20:21]
	v_add_f64 v[76:77], v[88:89], v[72:73]
	v_cvt_i32_f64_e32 v21, v[76:77]
	v_cvt_f64_i32_e32 v[76:77], v21
	v_add_f64 v[72:73], v[72:73], -v[76:77]
	v_add_f64 v[80:81], v[88:89], -v[80:81]
	v_add_f64 v[76:77], v[88:89], v[72:73]
	v_add_f64 v[80:81], v[98:99], -v[80:81]
	v_add_f64 v[72:73], v[76:77], -v[72:73]
	v_cmp_le_f64_e32 vcc, 0.5, v[76:77]
	v_add_f64 v[70:71], v[80:81], v[70:71]
	v_add_f64 v[72:73], v[88:89], -v[72:73]
	v_addc_co_u32_e64 v75, s[0:1], 0, v21, vcc
	v_cndmask_b32_e32 v21, 0, v84, vcc
	v_add_f64 v[70:71], v[70:71], v[72:73]
	v_add_f64 v[72:73], v[76:77], -v[20:21]
	v_add_f64 v[76:77], v[72:73], v[70:71]
	v_add_f64 v[72:73], v[76:77], -v[72:73]
	s_mov_b32 s10, s14
	v_add_f64 v[70:71], v[70:71], -v[72:73]
	v_mul_f64 v[72:73], v[76:77], s[10:11]
	v_fma_f64 v[78:79], v[76:77], s[10:11], -v[72:73]
	s_mov_b32 s19, s17
	v_fmac_f64_e32 v[78:79], s[18:19], v[76:77]
	v_fmac_f64_e32 v[78:79], s[10:11], v[70:71]
	v_add_f64 v[70:71], v[72:73], v[78:79]
	v_add_f64 v[72:73], v[70:71], -v[72:73]
	v_add_f64 v[72:73], v[78:79], -v[72:73]
	s_andn2_saveexec_b64 s[0:1], s[88:89]
	s_cbranch_execnz .LBB100_197
	s_branch .LBB100_198
.LBB100_196:                            ;   in Loop: Header=BB100_180 Depth=1
	s_andn2_saveexec_b64 s[0:1], s[88:89]
	s_cbranch_execz .LBB100_198
.LBB100_197:                            ;   in Loop: Header=BB100_180 Depth=1
	v_mul_f64 v[70:71], |v[12:13]|, s[20:21]
	v_rndne_f64_e32 v[76:77], v[70:71]
	v_fma_f64 v[70:71], v[76:77], s[14:15], |v[12:13]|
	v_mul_f64 v[78:79], v[76:77], s[22:23]
	v_add_f64 v[88:89], v[70:71], v[78:79]
	v_fma_f64 v[72:73], s[22:23], v[76:77], v[70:71]
	s_mov_b32 s16, s22
	v_add_f64 v[70:71], v[70:71], -v[88:89]
	v_fma_f64 v[80:81], s[16:17], v[76:77], v[78:79]
	v_add_f64 v[70:71], v[70:71], v[78:79]
	v_add_f64 v[78:79], v[88:89], -v[72:73]
	v_add_f64 v[70:71], v[78:79], v[70:71]
	v_add_f64 v[78:79], v[70:71], -v[80:81]
	v_fmac_f64_e32 v[78:79], s[24:25], v[76:77]
	v_add_f64 v[70:71], v[72:73], v[78:79]
	v_add_f64 v[72:73], v[70:71], -v[72:73]
	v_add_f64 v[72:73], v[78:79], -v[72:73]
	v_cvt_i32_f64_e32 v75, v[76:77]
.LBB100_198:                            ;   in Loop: Header=BB100_180 Depth=1
	s_or_b64 exec, exec, s[0:1]
	v_mul_f64 v[76:77], v[4:5], v[4:5]
	v_pk_mov_b32 v[90:91], s[58:59], s[58:59] op_sel:[0,1]
	v_mul_f64 v[78:79], v[76:77], 0.5
	v_fma_f64 v[92:93], s[60:61], v[76:77], v[90:91]
	v_add_f64 v[80:81], -v[78:79], 1.0
	v_fma_f64 v[92:93], v[76:77], v[92:93], s[62:63]
	v_add_f64 v[88:89], -v[80:81], 1.0
	v_fma_f64 v[92:93], v[76:77], v[92:93], s[64:65]
	v_add_f64 v[78:79], v[88:89], -v[78:79]
	v_fma_f64 v[92:93], v[76:77], v[92:93], s[66:67]
	v_mul_f64 v[88:89], v[76:77], v[76:77]
	v_fma_f64 v[92:93], v[76:77], v[92:93], s[50:51]
	v_fma_f64 v[78:79], v[4:5], -v[6:7], v[78:79]
	v_fmac_f64_e32 v[78:79], v[88:89], v[92:93]
	v_add_f64 v[78:79], v[80:81], v[78:79]
	v_pk_mov_b32 v[80:81], s[68:69], s[68:69] op_sel:[0,1]
	v_fma_f64 v[88:89], s[70:71], v[76:77], v[80:81]
	v_fma_f64 v[88:89], v[76:77], v[88:89], s[72:73]
	;; [unrolled: 1-line block ×4, first 2 shown]
	v_mul_f64 v[92:93], v[4:5], -v[76:77]
	v_mul_f64 v[94:95], v[6:7], 0.5
	v_fmac_f64_e32 v[94:95], v[92:93], v[88:89]
	v_fma_f64 v[6:7], v[76:77], v[94:95], -v[6:7]
	s_mov_b32 s76, s50
	v_fmac_f64_e32 v[6:7], s[76:77], v[92:93]
	v_add_f64 v[4:5], v[4:5], -v[6:7]
	v_and_b32_e32 v6, 1, v74
	v_cmp_eq_u32_e32 vcc, 0, v6
	v_lshlrev_b32_e32 v6, 30, v74
	v_xor_b32_e32 v6, v6, v13
	v_cndmask_b32_e32 v5, v79, v5, vcc
	v_and_b32_e32 v6, 0x80000000, v6
	v_xor_b32_e32 v5, v5, v6
	v_mul_f64 v[6:7], |v[14:15]|, s[38:39]
	v_rndne_f64_e32 v[6:7], v[6:7]
	v_fma_f64 v[12:13], v[6:7], s[28:29], -|v[14:15]|
	v_fmac_f64_e32 v[12:13], s[34:35], v[6:7]
	v_pk_mov_b32 v[76:77], v[52:53], v[52:53] op_sel:[0,1]
	v_cndmask_b32_e32 v4, v78, v4, vcc
	v_fmac_f64_e32 v[76:77], s[46:47], v[12:13]
	v_pk_mov_b32 v[78:79], v[54:55], v[54:55] op_sel:[0,1]
	v_fmac_f64_e32 v[78:79], v[12:13], v[76:77]
	v_pk_mov_b32 v[76:77], v[56:57], v[56:57] op_sel:[0,1]
	;; [unrolled: 2-line block ×8, first 2 shown]
	v_fmac_f64_e32 v[76:77], v[12:13], v[78:79]
	v_fma_f64 v[76:77], v[12:13], v[76:77], 1.0
	v_fma_f64 v[12:13], v[12:13], v[76:77], 1.0
	v_cvt_i32_f64_e32 v6, v[6:7]
	v_ldexp_f64 v[6:7], v[12:13], v6
	v_xor_b32_e32 v12, 0x80000000, v15
	v_bfi_b32 v21, s95, v84, v12
	v_mul_f64 v[12:13], v[70:71], v[70:71]
	v_cmp_ngt_f64_e64 vcc, |v[14:15]|, s[78:79]
	v_mul_f64 v[14:15], v[12:13], 0.5
	v_fmac_f64_e32 v[90:91], s[60:61], v[12:13]
	v_add_f64 v[76:77], -v[14:15], 1.0
	v_fma_f64 v[88:89], v[12:13], v[90:91], s[62:63]
	v_add_f64 v[78:79], -v[76:77], 1.0
	v_fma_f64 v[88:89], v[12:13], v[88:89], s[64:65]
	v_add_f64 v[14:15], v[78:79], -v[14:15]
	v_fma_f64 v[88:89], v[12:13], v[88:89], s[66:67]
	v_mul_f64 v[78:79], v[12:13], v[12:13]
	v_fma_f64 v[88:89], v[12:13], v[88:89], s[50:51]
	v_fma_f64 v[14:15], v[70:71], -v[72:73], v[14:15]
	v_fmac_f64_e32 v[14:15], v[78:79], v[88:89]
	v_fmac_f64_e32 v[80:81], s[70:71], v[12:13]
	v_add_f64 v[14:15], v[76:77], v[14:15]
	v_fma_f64 v[76:77], v[12:13], v[80:81], s[72:73]
	v_fma_f64 v[76:77], v[12:13], v[76:77], s[74:75]
	;; [unrolled: 1-line block ×3, first 2 shown]
	v_mul_f64 v[78:79], v[70:71], -v[12:13]
	v_mul_f64 v[80:81], v[72:73], 0.5
	v_fmac_f64_e32 v[80:81], v[78:79], v[76:77]
	v_fma_f64 v[12:13], v[12:13], v[80:81], -v[72:73]
	v_fmac_f64_e32 v[12:13], s[76:77], v[78:79]
	v_add_f64 v[12:13], v[70:71], -v[12:13]
	v_and_b32_e32 v70, 1, v75
	v_cndmask_b32_e32 v7, 0, v7, vcc
	v_cndmask_b32_e32 v6, 0, v6, vcc
	v_cmp_eq_u32_e32 vcc, 0, v70
	v_xor_b32_e32 v13, 0x80000000, v13
	v_cndmask_b32_e32 v12, v12, v14, vcc
	v_lshlrev_b32_e32 v14, 30, v75
	v_cndmask_b32_e32 v13, v13, v15, vcc
	v_and_b32_e32 v14, 0x80000000, v14
	v_mul_f64 v[4:5], v[4:5], 4.0
	v_xor_b32_e32 v13, v13, v14
	v_mul_f64 v[4:5], v[4:5], v[12:13]
	v_mul_f64 v[4:5], v[6:7], v[4:5]
	;; [unrolled: 1-line block ×3, first 2 shown]
	v_pk_mov_b32 v[6:7], v[20:21], v[20:21] op_sel:[0,1]
	s_or_b64 exec, exec, s[86:87]
                                        ; implicit-def: $vgpr12_vgpr13
.LBB100_199:                            ;   in Loop: Header=BB100_180 Depth=1
	s_andn2_saveexec_b64 s[0:1], s[84:85]
.LBB100_200:                            ;   in Loop: Header=BB100_180 Depth=1
	v_add_f64 v[4:5], v[12:13], -v[12:13]
	v_pk_mov_b32 v[6:7], v[4:5], v[4:5] op_sel:[0,1]
.LBB100_201:                            ;   in Loop: Header=BB100_180 Depth=1
	s_or_b64 exec, exec, s[0:1]
                                        ; implicit-def: $vgpr12_vgpr13
.LBB100_202:                            ;   in Loop: Header=BB100_180 Depth=1
	s_andn2_saveexec_b64 s[82:83], s[82:83]
	s_cbranch_execz .LBB100_218
; %bb.203:                              ;   in Loop: Header=BB100_180 Depth=1
	v_and_or_b32 v4, v7, s44, v6
	v_cmp_ne_u32_e32 vcc, 0, v4
	s_and_saveexec_b64 s[0:1], vcc
	s_xor_b64 s[0:1], exec, s[0:1]
; %bb.204:                              ;   in Loop: Header=BB100_180 Depth=1
	v_mul_f64 v[4:5], v[12:13], -v[14:15]
	v_cmp_eq_f64_e32 vcc, 0, v[12:13]
	v_cndmask_b32_e32 v5, v5, v13, vcc
	v_cndmask_b32_e32 v4, v4, v12, vcc
                                        ; implicit-def: $vgpr12_vgpr13
; %bb.205:                              ;   in Loop: Header=BB100_180 Depth=1
	s_andn2_saveexec_b64 s[84:85], s[0:1]
	s_cbranch_execz .LBB100_217
; %bb.206:                              ;   in Loop: Header=BB100_180 Depth=1
	v_cmp_neq_f64_e64 s[0:1], |v[12:13]|, s[8:9]
	s_and_saveexec_b64 s[86:87], s[0:1]
	s_cbranch_execz .LBB100_216
; %bb.207:                              ;   in Loop: Header=BB100_180 Depth=1
	v_cmp_nlt_f64_e64 s[88:89], |v[12:13]|, s[4:5]
	v_trig_preop_f64 v[74:75], |v[12:13]|, 0
	v_trig_preop_f64 v[72:73], |v[12:13]|, 1
	v_ldexp_f64 v[76:77], |v[12:13]|, s43
	v_trig_preop_f64 v[70:71], |v[12:13]|, 2
	v_and_b32_e32 v89, 0x7fffffff, v13
                                        ; implicit-def: $vgpr88
                                        ; implicit-def: $vgpr4_vgpr5
                                        ; implicit-def: $vgpr14_vgpr15
	s_and_saveexec_b64 s[0:1], s[88:89]
	s_xor_b64 s[90:91], exec, s[0:1]
	s_cbranch_execz .LBB100_209
; %bb.208:                              ;   in Loop: Header=BB100_180 Depth=1
	v_cmp_ge_f64_e64 vcc, |v[12:13]|, s[6:7]
	v_cndmask_b32_e32 v5, v89, v77, vcc
	v_cndmask_b32_e32 v4, v12, v76, vcc
	v_mul_f64 v[78:79], v[74:75], v[4:5]
	v_mul_f64 v[14:15], v[72:73], v[4:5]
	v_fma_f64 v[80:81], v[74:75], v[4:5], -v[78:79]
	v_add_f64 v[90:91], v[14:15], v[80:81]
	v_add_f64 v[92:93], v[78:79], v[90:91]
	v_ldexp_f64 v[94:95], v[92:93], -2
	v_fract_f64_e32 v[96:97], v[94:95]
	v_cmp_neq_f64_e64 vcc, |v[94:95]|, s[8:9]
	v_cndmask_b32_e32 v95, 0, v97, vcc
	v_cndmask_b32_e32 v94, 0, v96, vcc
	v_add_f64 v[96:97], v[90:91], -v[14:15]
	v_add_f64 v[80:81], v[80:81], -v[96:97]
	;; [unrolled: 1-line block ×4, first 2 shown]
	v_add_f64 v[80:81], v[80:81], v[96:97]
	v_fma_f64 v[14:15], v[72:73], v[4:5], -v[14:15]
	v_mul_f64 v[96:97], v[70:71], v[4:5]
	v_add_f64 v[98:99], v[96:97], v[14:15]
	v_add_f64 v[100:101], v[98:99], v[80:81]
	v_add_f64 v[78:79], v[92:93], -v[78:79]
	v_add_f64 v[92:93], v[100:101], -v[98:99]
	;; [unrolled: 1-line block ×5, first 2 shown]
	v_add_f64 v[80:81], v[80:81], v[92:93]
	v_add_f64 v[92:93], v[98:99], -v[96:97]
	v_add_f64 v[14:15], v[14:15], -v[92:93]
	;; [unrolled: 1-line block ×5, first 2 shown]
	v_add_f64 v[90:91], v[78:79], v[100:101]
	v_add_f64 v[14:15], v[14:15], v[92:93]
	v_add_f64 v[78:79], v[90:91], -v[78:79]
	v_add_f64 v[14:15], v[14:15], v[80:81]
	v_fma_f64 v[4:5], v[70:71], v[4:5], -v[96:97]
	v_add_f64 v[78:79], v[100:101], -v[78:79]
	v_add_f64 v[4:5], v[4:5], v[14:15]
	v_ldexp_f64 v[14:15], v[94:95], 2
	v_add_f64 v[4:5], v[78:79], v[4:5]
	v_add_f64 v[78:79], v[90:91], v[14:15]
	v_cmp_gt_f64_e32 vcc, 0, v[78:79]
	v_cndmask_b32_e32 v21, 0, v83, vcc
	v_add_f64 v[14:15], v[14:15], v[20:21]
	v_add_f64 v[78:79], v[90:91], v[14:15]
	v_cvt_i32_f64_e32 v21, v[78:79]
	v_cvt_f64_i32_e32 v[78:79], v21
	v_add_f64 v[14:15], v[14:15], -v[78:79]
	v_add_f64 v[78:79], v[90:91], v[14:15]
	v_add_f64 v[14:15], v[78:79], -v[14:15]
	v_cmp_le_f64_e32 vcc, 0.5, v[78:79]
	v_add_f64 v[14:15], v[90:91], -v[14:15]
	v_addc_co_u32_e64 v88, s[0:1], 0, v21, vcc
	v_cndmask_b32_e32 v21, 0, v84, vcc
	v_add_f64 v[4:5], v[4:5], v[14:15]
	v_add_f64 v[14:15], v[78:79], -v[20:21]
	v_add_f64 v[78:79], v[14:15], v[4:5]
	v_add_f64 v[14:15], v[78:79], -v[14:15]
	s_mov_b32 s10, s14
	v_add_f64 v[4:5], v[4:5], -v[14:15]
	v_mul_f64 v[14:15], v[78:79], s[10:11]
	v_fma_f64 v[80:81], v[78:79], s[10:11], -v[14:15]
	s_mov_b32 s19, s17
	v_fmac_f64_e32 v[80:81], s[18:19], v[78:79]
	v_fmac_f64_e32 v[80:81], s[10:11], v[4:5]
	v_add_f64 v[4:5], v[14:15], v[80:81]
	v_add_f64 v[14:15], v[4:5], -v[14:15]
	v_add_f64 v[14:15], v[80:81], -v[14:15]
	s_andn2_saveexec_b64 s[0:1], s[90:91]
	s_cbranch_execz .LBB100_211
	s_branch .LBB100_210
.LBB100_209:                            ;   in Loop: Header=BB100_180 Depth=1
	s_andn2_saveexec_b64 s[0:1], s[90:91]
	s_cbranch_execz .LBB100_211
.LBB100_210:                            ;   in Loop: Header=BB100_180 Depth=1
	v_mul_f64 v[4:5], |v[12:13]|, s[20:21]
	v_rndne_f64_e32 v[78:79], v[4:5]
	v_fma_f64 v[4:5], v[78:79], s[14:15], |v[12:13]|
	v_mul_f64 v[80:81], v[78:79], s[22:23]
	v_add_f64 v[92:93], v[4:5], v[80:81]
	v_fma_f64 v[14:15], s[22:23], v[78:79], v[4:5]
	s_mov_b32 s16, s22
	v_add_f64 v[4:5], v[4:5], -v[92:93]
	v_fma_f64 v[90:91], s[16:17], v[78:79], v[80:81]
	v_add_f64 v[4:5], v[4:5], v[80:81]
	v_add_f64 v[80:81], v[92:93], -v[14:15]
	v_add_f64 v[4:5], v[80:81], v[4:5]
	v_add_f64 v[80:81], v[4:5], -v[90:91]
	v_fmac_f64_e32 v[80:81], s[24:25], v[78:79]
	v_add_f64 v[4:5], v[14:15], v[80:81]
	v_add_f64 v[14:15], v[4:5], -v[14:15]
	v_add_f64 v[14:15], v[80:81], -v[14:15]
	v_cvt_i32_f64_e32 v88, v[78:79]
.LBB100_211:                            ;   in Loop: Header=BB100_180 Depth=1
	s_or_b64 exec, exec, s[0:1]
                                        ; implicit-def: $vgpr90
                                        ; implicit-def: $vgpr78_vgpr79
                                        ; implicit-def: $vgpr80_vgpr81
	s_and_saveexec_b64 s[0:1], s[88:89]
	s_xor_b64 s[88:89], exec, s[0:1]
	s_cbranch_execz .LBB100_213
; %bb.212:                              ;   in Loop: Header=BB100_180 Depth=1
	v_cmp_ge_f64_e64 vcc, |v[12:13]|, s[6:7]
	v_cndmask_b32_e32 v77, v89, v77, vcc
	v_cndmask_b32_e32 v76, v12, v76, vcc
	v_mul_f64 v[80:81], v[74:75], v[76:77]
	v_mul_f64 v[78:79], v[72:73], v[76:77]
	v_fma_f64 v[74:75], v[74:75], v[76:77], -v[80:81]
	v_add_f64 v[90:91], v[78:79], v[74:75]
	v_add_f64 v[92:93], v[80:81], v[90:91]
	v_ldexp_f64 v[94:95], v[92:93], -2
	v_fract_f64_e32 v[96:97], v[94:95]
	v_cmp_neq_f64_e64 vcc, |v[94:95]|, s[8:9]
	v_cndmask_b32_e32 v95, 0, v97, vcc
	v_cndmask_b32_e32 v94, 0, v96, vcc
	v_add_f64 v[96:97], v[90:91], -v[78:79]
	v_add_f64 v[74:75], v[74:75], -v[96:97]
	;; [unrolled: 1-line block ×4, first 2 shown]
	v_fma_f64 v[72:73], v[72:73], v[76:77], -v[78:79]
	v_mul_f64 v[78:79], v[70:71], v[76:77]
	v_add_f64 v[74:75], v[74:75], v[96:97]
	v_add_f64 v[96:97], v[78:79], v[72:73]
	;; [unrolled: 1-line block ×3, first 2 shown]
	v_add_f64 v[80:81], v[92:93], -v[80:81]
	v_add_f64 v[92:93], v[98:99], -v[96:97]
	v_add_f64 v[74:75], v[74:75], -v[92:93]
	v_add_f64 v[92:93], v[98:99], -v[92:93]
	v_add_f64 v[92:93], v[96:97], -v[92:93]
	v_add_f64 v[74:75], v[74:75], v[92:93]
	v_add_f64 v[92:93], v[96:97], -v[78:79]
	v_add_f64 v[72:73], v[72:73], -v[92:93]
	v_add_f64 v[92:93], v[96:97], -v[92:93]
	v_add_f64 v[92:93], v[78:79], -v[92:93]
	v_add_f64 v[72:73], v[72:73], v[92:93]
	v_add_f64 v[80:81], v[90:91], -v[80:81]
	v_add_f64 v[72:73], v[72:73], v[74:75]
	v_fma_f64 v[70:71], v[70:71], v[76:77], -v[78:79]
	v_add_f64 v[90:91], v[80:81], v[98:99]
	v_add_f64 v[70:71], v[70:71], v[72:73]
	v_ldexp_f64 v[72:73], v[94:95], 2
	v_add_f64 v[74:75], v[90:91], v[72:73]
	v_cmp_gt_f64_e32 vcc, 0, v[74:75]
	v_cndmask_b32_e32 v21, 0, v83, vcc
	v_add_f64 v[72:73], v[72:73], v[20:21]
	v_add_f64 v[74:75], v[90:91], v[72:73]
	v_cvt_i32_f64_e32 v21, v[74:75]
	v_cvt_f64_i32_e32 v[74:75], v21
	v_add_f64 v[72:73], v[72:73], -v[74:75]
	v_add_f64 v[80:81], v[90:91], -v[80:81]
	v_add_f64 v[74:75], v[90:91], v[72:73]
	v_add_f64 v[80:81], v[98:99], -v[80:81]
	v_add_f64 v[72:73], v[74:75], -v[72:73]
	v_cmp_le_f64_e32 vcc, 0.5, v[74:75]
	v_add_f64 v[70:71], v[80:81], v[70:71]
	v_add_f64 v[72:73], v[90:91], -v[72:73]
	v_addc_co_u32_e64 v90, s[0:1], 0, v21, vcc
	v_cndmask_b32_e32 v21, 0, v84, vcc
	v_add_f64 v[70:71], v[70:71], v[72:73]
	v_add_f64 v[72:73], v[74:75], -v[20:21]
	v_add_f64 v[74:75], v[72:73], v[70:71]
	v_add_f64 v[72:73], v[74:75], -v[72:73]
	s_mov_b32 s10, s14
	v_add_f64 v[70:71], v[70:71], -v[72:73]
	v_mul_f64 v[72:73], v[74:75], s[10:11]
	v_fma_f64 v[76:77], v[74:75], s[10:11], -v[72:73]
	s_mov_b32 s19, s17
	v_fmac_f64_e32 v[76:77], s[18:19], v[74:75]
	v_fmac_f64_e32 v[76:77], s[10:11], v[70:71]
	v_add_f64 v[78:79], v[72:73], v[76:77]
	v_add_f64 v[70:71], v[78:79], -v[72:73]
	v_add_f64 v[80:81], v[76:77], -v[70:71]
	s_andn2_saveexec_b64 s[0:1], s[88:89]
	s_cbranch_execnz .LBB100_214
	s_branch .LBB100_215
.LBB100_213:                            ;   in Loop: Header=BB100_180 Depth=1
	s_andn2_saveexec_b64 s[0:1], s[88:89]
	s_cbranch_execz .LBB100_215
.LBB100_214:                            ;   in Loop: Header=BB100_180 Depth=1
	v_mul_f64 v[70:71], |v[12:13]|, s[20:21]
	v_rndne_f64_e32 v[70:71], v[70:71]
	v_fma_f64 v[72:73], v[70:71], s[14:15], |v[12:13]|
	v_mul_f64 v[76:77], v[70:71], s[22:23]
	v_add_f64 v[80:81], v[72:73], v[76:77]
	v_fma_f64 v[74:75], s[22:23], v[70:71], v[72:73]
	s_mov_b32 s16, s22
	v_add_f64 v[72:73], v[72:73], -v[80:81]
	v_fma_f64 v[78:79], s[16:17], v[70:71], v[76:77]
	v_add_f64 v[72:73], v[72:73], v[76:77]
	v_add_f64 v[76:77], v[80:81], -v[74:75]
	v_add_f64 v[72:73], v[76:77], v[72:73]
	v_add_f64 v[72:73], v[72:73], -v[78:79]
	v_fmac_f64_e32 v[72:73], s[24:25], v[70:71]
	v_add_f64 v[78:79], v[74:75], v[72:73]
	v_add_f64 v[74:75], v[78:79], -v[74:75]
	v_add_f64 v[80:81], v[72:73], -v[74:75]
	v_cvt_i32_f64_e32 v90, v[70:71]
.LBB100_215:                            ;   in Loop: Header=BB100_180 Depth=1
	s_or_b64 exec, exec, s[0:1]
	v_mul_f64 v[70:71], v[4:5], v[4:5]
	v_pk_mov_b32 v[92:93], s[58:59], s[58:59] op_sel:[0,1]
	v_mul_f64 v[72:73], v[70:71], 0.5
	v_fma_f64 v[94:95], s[60:61], v[70:71], v[92:93]
	v_add_f64 v[74:75], -v[72:73], 1.0
	v_fma_f64 v[94:95], v[70:71], v[94:95], s[62:63]
	v_add_f64 v[76:77], -v[74:75], 1.0
	v_fma_f64 v[94:95], v[70:71], v[94:95], s[64:65]
	v_add_f64 v[72:73], v[76:77], -v[72:73]
	v_fma_f64 v[94:95], v[70:71], v[94:95], s[66:67]
	v_mul_f64 v[76:77], v[70:71], v[70:71]
	v_fma_f64 v[94:95], v[70:71], v[94:95], s[50:51]
	v_fma_f64 v[72:73], v[4:5], -v[14:15], v[72:73]
	v_fmac_f64_e32 v[72:73], v[76:77], v[94:95]
	v_add_f64 v[72:73], v[74:75], v[72:73]
	v_pk_mov_b32 v[74:75], s[68:69], s[68:69] op_sel:[0,1]
	v_fma_f64 v[76:77], s[70:71], v[70:71], v[74:75]
	v_fma_f64 v[76:77], v[70:71], v[76:77], s[72:73]
	;; [unrolled: 1-line block ×4, first 2 shown]
	v_mul_f64 v[94:95], v[4:5], -v[70:71]
	v_mul_f64 v[96:97], v[14:15], 0.5
	v_fmac_f64_e32 v[96:97], v[94:95], v[76:77]
	v_fma_f64 v[14:15], v[70:71], v[96:97], -v[14:15]
	s_mov_b32 s76, s50
	v_fmac_f64_e32 v[14:15], s[76:77], v[94:95]
	v_add_f64 v[4:5], v[4:5], -v[14:15]
	v_and_b32_e32 v14, 1, v88
	v_cmp_eq_u32_e32 vcc, 0, v14
	v_lshlrev_b32_e32 v14, 30, v88
	v_xor_b32_e32 v14, v14, v13
	v_cndmask_b32_e32 v4, v72, v4, vcc
	v_cndmask_b32_e32 v5, v73, v5, vcc
	v_and_b32_e32 v14, 0x80000000, v14
	v_cmp_class_f64_e64 vcc, v[12:13], s27
	v_mul_f64 v[12:13], v[78:79], v[78:79]
	v_xor_b32_e32 v5, v5, v14
	v_mul_f64 v[14:15], v[12:13], 0.5
	v_fmac_f64_e32 v[92:93], s[60:61], v[12:13]
	v_add_f64 v[70:71], -v[14:15], 1.0
	v_fma_f64 v[76:77], v[12:13], v[92:93], s[62:63]
	v_add_f64 v[72:73], -v[70:71], 1.0
	v_fma_f64 v[76:77], v[12:13], v[76:77], s[64:65]
	v_add_f64 v[14:15], v[72:73], -v[14:15]
	v_fma_f64 v[76:77], v[12:13], v[76:77], s[66:67]
	v_mul_f64 v[72:73], v[12:13], v[12:13]
	v_fma_f64 v[76:77], v[12:13], v[76:77], s[50:51]
	v_fma_f64 v[14:15], v[78:79], -v[80:81], v[14:15]
	v_fmac_f64_e32 v[14:15], v[72:73], v[76:77]
	v_fmac_f64_e32 v[74:75], s[70:71], v[12:13]
	v_add_f64 v[14:15], v[70:71], v[14:15]
	v_fma_f64 v[70:71], v[12:13], v[74:75], s[72:73]
	v_fma_f64 v[70:71], v[12:13], v[70:71], s[74:75]
	;; [unrolled: 1-line block ×3, first 2 shown]
	v_mul_f64 v[72:73], v[78:79], -v[12:13]
	v_mul_f64 v[74:75], v[80:81], 0.5
	v_fmac_f64_e32 v[74:75], v[72:73], v[70:71]
	v_fma_f64 v[12:13], v[12:13], v[74:75], -v[80:81]
	v_fmac_f64_e32 v[12:13], s[76:77], v[72:73]
	v_and_b32_e32 v21, 1, v90
	v_add_f64 v[12:13], v[78:79], -v[12:13]
	v_cmp_eq_u32_e64 s[0:1], 0, v21
	v_xor_b32_e32 v13, 0x80000000, v13
	v_cndmask_b32_e64 v12, v12, v14, s[0:1]
	v_lshlrev_b32_e32 v14, 30, v90
	v_cndmask_b32_e64 v13, v13, v15, s[0:1]
	v_and_b32_e32 v14, 0x80000000, v14
	v_xor_b32_e32 v13, v13, v14
	v_cndmask_b32_e32 v4, 0, v4, vcc
	v_cndmask_b32_e32 v5, v87, v5, vcc
	;; [unrolled: 1-line block ×4, first 2 shown]
	v_mul_f64 v[12:13], v[4:5], v[12:13]
.LBB100_216:                            ;   in Loop: Header=BB100_180 Depth=1
	s_or_b64 exec, exec, s[86:87]
	v_add_co_u32_e32 v6, vcc, 0, v6
	v_bfi_b32 v21, s95, 0, v13
	v_addc_co_u32_e32 v7, vcc, -2.0, v7, vcc
	v_pk_mov_b32 v[4:5], v[20:21], v[20:21] op_sel:[0,1]
.LBB100_217:                            ;   in Loop: Header=BB100_180 Depth=1
	s_or_b64 exec, exec, s[84:85]
.LBB100_218:                            ;   in Loop: Header=BB100_180 Depth=1
	s_or_b64 exec, exec, s[82:83]
	s_waitcnt vmcnt(2)
	v_xor_b32_e32 v15, 0x80000000, v19
	v_and_b32_e32 v21, 0x7fffffff, v15
	v_mov_b32_e32 v14, v18
	v_cmp_gt_u32_e32 vcc, s26, v21
	s_and_saveexec_b64 s[0:1], vcc
	s_xor_b64 s[82:83], exec, s[0:1]
	s_cbranch_execz .LBB100_240
; %bb.219:                              ;   in Loop: Header=BB100_180 Depth=1
	v_cmp_class_f64_e64 s[0:1], v[16:17], s27
                                        ; implicit-def: $vgpr12_vgpr13
	s_and_saveexec_b64 s[84:85], s[0:1]
	s_xor_b64 s[84:85], exec, s[84:85]
	s_cbranch_execz .LBB100_237
; %bb.220:                              ;   in Loop: Header=BB100_180 Depth=1
	v_cmp_gt_u32_e32 vcc, s42, v21
                                        ; implicit-def: $vgpr12_vgpr13
	s_and_saveexec_b64 s[0:1], vcc
	s_xor_b64 s[86:87], exec, s[0:1]
	s_cbranch_execz .LBB100_226
; %bb.221:                              ;   in Loop: Header=BB100_180 Depth=1
	v_cmp_nlt_f64_e64 s[0:1], |v[16:17]|, s[4:5]
                                        ; implicit-def: $vgpr70
                                        ; implicit-def: $vgpr12_vgpr13
                                        ; implicit-def: $vgpr14_vgpr15
	s_and_saveexec_b64 s[88:89], s[0:1]
	s_xor_b64 s[88:89], exec, s[88:89]
	s_cbranch_execz .LBB100_223
; %bb.222:                              ;   in Loop: Header=BB100_180 Depth=1
	v_and_b32_e32 v21, 0x7fffffff, v17
	v_ldexp_f64 v[70:71], |v[16:17]|, s43
	v_cmp_ge_f64_e64 vcc, |v[16:17]|, s[6:7]
	v_trig_preop_f64 v[12:13], |v[16:17]|, 0
	v_cndmask_b32_e32 v71, v21, v71, vcc
	v_cndmask_b32_e32 v70, v16, v70, vcc
	v_trig_preop_f64 v[14:15], |v[16:17]|, 1
	v_mul_f64 v[74:75], v[12:13], v[70:71]
	v_mul_f64 v[72:73], v[14:15], v[70:71]
	v_fma_f64 v[12:13], v[12:13], v[70:71], -v[74:75]
	v_add_f64 v[76:77], v[72:73], v[12:13]
	v_add_f64 v[78:79], v[74:75], v[76:77]
	v_ldexp_f64 v[80:81], v[78:79], -2
	v_fract_f64_e32 v[88:89], v[80:81]
	v_cmp_neq_f64_e64 vcc, |v[80:81]|, s[8:9]
	v_cndmask_b32_e32 v81, 0, v89, vcc
	v_cndmask_b32_e32 v80, 0, v88, vcc
	v_add_f64 v[88:89], v[76:77], -v[72:73]
	v_add_f64 v[12:13], v[12:13], -v[88:89]
	;; [unrolled: 1-line block ×4, first 2 shown]
	v_fma_f64 v[14:15], v[14:15], v[70:71], -v[72:73]
	v_trig_preop_f64 v[72:73], |v[16:17]|, 2
	v_add_f64 v[12:13], v[12:13], v[88:89]
	v_mul_f64 v[88:89], v[72:73], v[70:71]
	v_add_f64 v[90:91], v[88:89], v[14:15]
	v_add_f64 v[92:93], v[90:91], v[12:13]
	v_add_f64 v[74:75], v[78:79], -v[74:75]
	v_add_f64 v[78:79], v[92:93], -v[90:91]
	;; [unrolled: 1-line block ×5, first 2 shown]
	v_add_f64 v[12:13], v[12:13], v[78:79]
	v_add_f64 v[78:79], v[90:91], -v[88:89]
	v_add_f64 v[14:15], v[14:15], -v[78:79]
	;; [unrolled: 1-line block ×4, first 2 shown]
	v_add_f64 v[14:15], v[14:15], v[78:79]
	v_add_f64 v[74:75], v[76:77], -v[74:75]
	v_add_f64 v[12:13], v[14:15], v[12:13]
	v_fma_f64 v[14:15], v[72:73], v[70:71], -v[88:89]
	v_add_f64 v[76:77], v[74:75], v[92:93]
	v_add_f64 v[12:13], v[14:15], v[12:13]
	v_ldexp_f64 v[14:15], v[80:81], 2
	v_add_f64 v[70:71], v[76:77], v[14:15]
	v_cmp_gt_f64_e32 vcc, 0, v[70:71]
	v_cndmask_b32_e32 v21, 0, v83, vcc
	v_add_f64 v[14:15], v[14:15], v[20:21]
	v_add_f64 v[70:71], v[76:77], v[14:15]
	v_cvt_i32_f64_e32 v21, v[70:71]
	v_cvt_f64_i32_e32 v[70:71], v21
	v_add_f64 v[14:15], v[14:15], -v[70:71]
	v_add_f64 v[74:75], v[76:77], -v[74:75]
	v_add_f64 v[72:73], v[76:77], v[14:15]
	v_add_f64 v[74:75], v[92:93], -v[74:75]
	v_add_f64 v[14:15], v[72:73], -v[14:15]
	v_cmp_le_f64_e32 vcc, 0.5, v[72:73]
	v_add_f64 v[12:13], v[74:75], v[12:13]
	v_add_f64 v[14:15], v[76:77], -v[14:15]
	v_addc_co_u32_e64 v70, s[0:1], 0, v21, vcc
	v_cndmask_b32_e32 v21, 0, v84, vcc
	v_add_f64 v[12:13], v[12:13], v[14:15]
	v_add_f64 v[14:15], v[72:73], -v[20:21]
	v_add_f64 v[72:73], v[14:15], v[12:13]
	v_add_f64 v[14:15], v[72:73], -v[14:15]
	s_mov_b32 s10, s14
	v_add_f64 v[12:13], v[12:13], -v[14:15]
	v_mul_f64 v[14:15], v[72:73], s[10:11]
	v_fma_f64 v[74:75], v[72:73], s[10:11], -v[14:15]
	s_mov_b32 s19, s17
	v_fmac_f64_e32 v[74:75], s[18:19], v[72:73]
	v_fmac_f64_e32 v[74:75], s[10:11], v[12:13]
	v_add_f64 v[12:13], v[14:15], v[74:75]
	v_add_f64 v[14:15], v[12:13], -v[14:15]
	v_add_f64 v[14:15], v[74:75], -v[14:15]
.LBB100_223:                            ;   in Loop: Header=BB100_180 Depth=1
	s_andn2_saveexec_b64 s[0:1], s[88:89]
	s_cbranch_execz .LBB100_225
; %bb.224:                              ;   in Loop: Header=BB100_180 Depth=1
	v_mul_f64 v[12:13], |v[16:17]|, s[20:21]
	v_rndne_f64_e32 v[70:71], v[12:13]
	v_fma_f64 v[12:13], v[70:71], s[14:15], |v[16:17]|
	v_mul_f64 v[72:73], v[70:71], s[22:23]
	v_add_f64 v[76:77], v[12:13], v[72:73]
	v_fma_f64 v[14:15], s[22:23], v[70:71], v[12:13]
	s_mov_b32 s16, s22
	v_add_f64 v[12:13], v[12:13], -v[76:77]
	v_fma_f64 v[74:75], s[16:17], v[70:71], v[72:73]
	v_add_f64 v[12:13], v[12:13], v[72:73]
	v_add_f64 v[72:73], v[76:77], -v[14:15]
	v_add_f64 v[12:13], v[72:73], v[12:13]
	v_add_f64 v[72:73], v[12:13], -v[74:75]
	v_fmac_f64_e32 v[72:73], s[24:25], v[70:71]
	v_add_f64 v[12:13], v[14:15], v[72:73]
	v_add_f64 v[14:15], v[12:13], -v[14:15]
	v_add_f64 v[14:15], v[72:73], -v[14:15]
	v_cvt_i32_f64_e32 v70, v[70:71]
.LBB100_225:                            ;   in Loop: Header=BB100_180 Depth=1
	s_or_b64 exec, exec, s[0:1]
	v_mul_f64 v[72:73], v[12:13], v[12:13]
	v_fma_f64 v[74:75], v[12:13], v[12:13], -v[72:73]
	v_add_f64 v[76:77], v[14:15], v[14:15]
	v_fmac_f64_e32 v[74:75], v[12:13], v[76:77]
	s_mov_b32 s0, 0xc751c08c
	v_add_f64 v[72:73], v[72:73], v[74:75]
	v_pk_mov_b32 v[74:75], v[26:27], v[26:27] op_sel:[0,1]
	s_mov_b32 s1, 0x3ef5e089
	v_fmac_f64_e32 v[74:75], s[0:1], v[72:73]
	v_pk_mov_b32 v[76:77], v[28:29], v[28:29] op_sel:[0,1]
	v_fmac_f64_e32 v[76:77], v[72:73], v[74:75]
	v_pk_mov_b32 v[74:75], v[30:31], v[30:31] op_sel:[0,1]
	v_fmac_f64_e32 v[74:75], v[72:73], v[76:77]
	v_pk_mov_b32 v[76:77], v[32:33], v[32:33] op_sel:[0,1]
	v_fmac_f64_e32 v[76:77], v[72:73], v[74:75]
	v_pk_mov_b32 v[74:75], v[34:35], v[34:35] op_sel:[0,1]
	v_fmac_f64_e32 v[74:75], v[72:73], v[76:77]
	v_pk_mov_b32 v[76:77], v[36:37], v[36:37] op_sel:[0,1]
	v_fmac_f64_e32 v[76:77], v[72:73], v[74:75]
	v_pk_mov_b32 v[74:75], v[38:39], v[38:39] op_sel:[0,1]
	v_fmac_f64_e32 v[74:75], v[72:73], v[76:77]
	v_pk_mov_b32 v[76:77], v[40:41], v[40:41] op_sel:[0,1]
	v_fmac_f64_e32 v[76:77], v[72:73], v[74:75]
	v_pk_mov_b32 v[74:75], v[42:43], v[42:43] op_sel:[0,1]
	v_fmac_f64_e32 v[74:75], v[72:73], v[76:77]
	v_pk_mov_b32 v[76:77], v[44:45], v[44:45] op_sel:[0,1]
	v_fmac_f64_e32 v[76:77], v[72:73], v[74:75]
	v_pk_mov_b32 v[74:75], v[46:47], v[46:47] op_sel:[0,1]
	v_fmac_f64_e32 v[74:75], v[72:73], v[76:77]
	v_pk_mov_b32 v[76:77], v[48:49], v[48:49] op_sel:[0,1]
	v_fmac_f64_e32 v[76:77], v[72:73], v[74:75]
	v_pk_mov_b32 v[74:75], v[50:51], v[50:51] op_sel:[0,1]
	v_fmac_f64_e32 v[74:75], v[72:73], v[76:77]
	v_mul_f64 v[72:73], v[72:73], v[74:75]
	v_mul_f64 v[74:75], v[12:13], v[72:73]
	v_add_f64 v[76:77], v[12:13], v[74:75]
	v_fma_f64 v[72:73], v[12:13], v[72:73], -v[74:75]
	v_add_f64 v[12:13], v[76:77], -v[12:13]
	v_add_f64 v[12:13], v[74:75], -v[12:13]
	v_add_f64 v[14:15], v[14:15], v[72:73]
	v_add_f64 v[12:13], v[14:15], v[12:13]
	;; [unrolled: 1-line block ×3, first 2 shown]
	v_rcp_f64_e32 v[72:73], v[14:15]
	v_and_b32_e32 v16, 1, v70
	v_add_f64 v[70:71], v[14:15], -v[76:77]
	v_add_f64 v[12:13], v[12:13], -v[70:71]
	v_fma_f64 v[70:71], -v[14:15], v[72:73], 1.0
	v_fmac_f64_e32 v[72:73], v[70:71], v[72:73]
	v_fma_f64 v[70:71], -v[14:15], v[72:73], 1.0
	v_fmac_f64_e32 v[72:73], v[70:71], v[72:73]
	v_mul_f64 v[70:71], v[14:15], v[72:73]
	v_fma_f64 v[74:75], v[72:73], v[14:15], -v[70:71]
	v_fmac_f64_e32 v[74:75], v[72:73], v[12:13]
	v_add_f64 v[12:13], v[70:71], v[74:75]
	v_add_f64 v[76:77], -v[12:13], 1.0
	v_add_f64 v[70:71], v[12:13], -v[70:71]
	v_add_f64 v[78:79], -v[76:77], 1.0
	v_add_f64 v[12:13], v[78:79], -v[12:13]
	v_add_f64 v[70:71], v[70:71], -v[74:75]
	v_add_f64 v[12:13], v[70:71], v[12:13]
	v_add_f64 v[12:13], v[76:77], v[12:13]
	v_mul_f64 v[12:13], v[72:73], v[12:13]
	v_add_f64 v[12:13], v[72:73], v[12:13]
	v_xor_b32_e32 v13, 0x80000000, v13
	v_cmp_eq_u32_e32 vcc, 0, v16
	v_cndmask_b32_e32 v12, v12, v14, vcc
	v_cndmask_b32_e32 v13, v13, v15, vcc
	v_add_f64 v[14:15], |v[18:19]|, s[28:29]
	v_add_f64 v[70:71], v[14:15], -|v[18:19]|
	v_add_f64 v[72:73], v[70:71], -v[14:15]
	s_mov_b32 s30, s28
	v_add_f64 v[72:73], |v[18:19]|, v[72:73]
	v_add_f64 v[70:71], v[70:71], s[30:31]
	v_add_f64 v[70:71], v[72:73], -v[70:71]
	v_add_f64 v[70:71], v[70:71], s[34:35]
	v_add_f64 v[72:73], v[14:15], v[70:71]
	v_add_f64 v[14:15], v[14:15], -v[72:73]
	s_mov_b32 s36, s38
	v_add_f64 v[14:15], v[70:71], v[14:15]
	v_mul_f64 v[70:71], v[72:73], s[36:37]
	v_rndne_f64_e32 v[70:71], v[70:71]
	s_mov_b32 s41, s29
	v_fmac_f64_e32 v[72:73], s[40:41], v[70:71]
	v_add_f64 v[74:75], v[14:15], v[72:73]
	s_mov_b32 s0, 0xf278e000
	v_add_f64 v[72:73], v[72:73], -v[74:75]
	s_mov_b32 s1, 0xbd53de6a
	v_add_f64 v[14:15], v[14:15], v[72:73]
	v_mul_f64 v[72:73], v[70:71], s[0:1]
	v_add_f64 v[76:77], v[74:75], v[72:73]
	v_add_f64 v[74:75], v[74:75], -v[76:77]
	v_add_f64 v[72:73], v[74:75], v[72:73]
	v_add_f64 v[14:15], v[14:15], v[72:73]
	;; [unrolled: 1-line block ×3, first 2 shown]
	s_mov_b32 s0, 0xf97b57a0
	v_add_f64 v[74:75], v[76:77], -v[72:73]
	s_mov_b32 s1, 0xbac9cc01
	v_add_f64 v[14:15], v[14:15], v[74:75]
	v_mul_f64 v[74:75], v[70:71], s[0:1]
	v_add_f64 v[76:77], v[72:73], v[74:75]
	v_add_f64 v[72:73], v[72:73], -v[76:77]
	v_add_f64 v[72:73], v[72:73], v[74:75]
	v_add_f64 v[14:15], v[14:15], v[72:73]
	;; [unrolled: 1-line block ×3, first 2 shown]
	v_add_f64 v[74:75], v[76:77], -v[72:73]
	v_add_f64 v[14:15], v[14:15], v[74:75]
	v_pk_mov_b32 v[74:75], v[52:53], v[52:53] op_sel:[0,1]
	v_fmac_f64_e32 v[74:75], s[46:47], v[72:73]
	v_pk_mov_b32 v[76:77], v[54:55], v[54:55] op_sel:[0,1]
	v_fmac_f64_e32 v[76:77], v[72:73], v[74:75]
	;; [unrolled: 2-line block ×9, first 2 shown]
	v_mul_f64 v[76:77], v[72:73], v[72:73]
	v_fma_f64 v[78:79], v[72:73], v[72:73], -v[76:77]
	v_add_f64 v[80:81], v[14:15], v[14:15]
	v_fmac_f64_e32 v[78:79], v[72:73], v[80:81]
	v_add_f64 v[80:81], v[76:77], v[78:79]
	v_add_f64 v[76:77], v[80:81], -v[76:77]
	v_add_f64 v[76:77], v[78:79], -v[76:77]
	v_mul_f64 v[78:79], v[80:81], v[74:75]
	v_fma_f64 v[80:81], v[80:81], v[74:75], -v[78:79]
	v_fmac_f64_e32 v[80:81], v[76:77], v[74:75]
	v_add_f64 v[74:75], v[78:79], v[80:81]
	v_add_f64 v[76:77], v[74:75], -v[78:79]
	v_add_f64 v[78:79], v[72:73], v[74:75]
	v_add_f64 v[76:77], v[80:81], -v[76:77]
	v_add_f64 v[72:73], v[78:79], -v[72:73]
	;; [unrolled: 1-line block ×3, first 2 shown]
	v_add_f64 v[14:15], v[14:15], v[76:77]
	v_add_f64 v[14:15], v[14:15], v[72:73]
	;; [unrolled: 1-line block ×3, first 2 shown]
	v_add_f64 v[74:75], v[72:73], -v[78:79]
	v_add_f64 v[14:15], v[14:15], -v[74:75]
	v_add_f64 v[74:75], v[72:73], 1.0
	v_add_f64 v[76:77], v[74:75], -1.0
	v_add_f64 v[72:73], v[72:73], -v[76:77]
	v_add_f64 v[14:15], v[14:15], v[72:73]
	v_add_f64 v[72:73], v[74:75], v[14:15]
	v_cvt_i32_f64_e32 v21, v[70:71]
	v_ldexp_f64 v[70:71], v[72:73], v21
	v_rcp_f64_e32 v[76:77], v[70:71]
	v_add_f64 v[72:73], v[72:73], -v[74:75]
	v_add_f64 v[14:15], v[14:15], -v[72:73]
	v_ldexp_f64 v[14:15], v[14:15], v21
	v_fma_f64 v[72:73], -v[70:71], v[76:77], 1.0
	v_fmac_f64_e32 v[76:77], v[72:73], v[76:77]
	v_fma_f64 v[72:73], -v[70:71], v[76:77], 1.0
	v_fmac_f64_e32 v[76:77], v[72:73], v[76:77]
	v_mul_f64 v[72:73], v[70:71], v[76:77]
	v_fma_f64 v[74:75], v[76:77], v[70:71], -v[72:73]
	v_fmac_f64_e32 v[74:75], v[76:77], v[14:15]
	v_add_f64 v[78:79], v[72:73], v[74:75]
	v_add_f64 v[80:81], -v[78:79], 1.0
	v_add_f64 v[72:73], v[78:79], -v[72:73]
	v_add_f64 v[88:89], -v[80:81], 1.0
	v_add_f64 v[78:79], v[88:89], -v[78:79]
	v_add_f64 v[72:73], v[72:73], -v[74:75]
	v_add_f64 v[72:73], v[72:73], v[78:79]
	v_add_f64 v[74:75], v[80:81], v[72:73]
	v_add_f64 v[78:79], v[80:81], -v[74:75]
	v_add_f64 v[72:73], v[72:73], v[78:79]
	v_mul_f64 v[78:79], v[76:77], v[74:75]
	v_mul_f64 v[80:81], v[70:71], v[78:79]
	v_fma_f64 v[88:89], v[78:79], v[70:71], -v[80:81]
	v_fmac_f64_e32 v[88:89], v[78:79], v[14:15]
	v_add_f64 v[90:91], v[80:81], v[88:89]
	v_add_f64 v[92:93], v[74:75], -v[90:91]
	v_add_f64 v[74:75], v[74:75], -v[92:93]
	;; [unrolled: 1-line block ×4, first 2 shown]
	v_add_f64 v[72:73], v[72:73], v[74:75]
	v_add_f64 v[74:75], v[80:81], -v[88:89]
	v_add_f64 v[72:73], v[74:75], v[72:73]
	v_add_f64 v[72:73], v[92:93], v[72:73]
	;; [unrolled: 1-line block ×3, first 2 shown]
	v_mul_f64 v[72:73], v[76:77], v[72:73]
	v_add_f64 v[76:77], v[74:75], -v[76:77]
	v_add_f64 v[76:77], v[78:79], -v[76:77]
	v_add_f64 v[72:73], v[76:77], v[72:73]
	v_add_f64 v[76:77], v[74:75], v[72:73]
	v_add_f64 v[74:75], v[76:77], -v[74:75]
	v_add_f64 v[72:73], v[72:73], -v[74:75]
	v_ldexp_f64 v[74:75], v[76:77], -2
	v_add_f64 v[76:77], v[70:71], -v[74:75]
	v_add_f64 v[70:71], v[70:71], -v[76:77]
	;; [unrolled: 1-line block ×3, first 2 shown]
	v_ldexp_f64 v[72:73], v[72:73], -2
	v_add_f64 v[14:15], v[14:15], v[70:71]
	v_add_f64 v[14:15], v[14:15], -v[72:73]
	v_add_f64 v[14:15], v[76:77], v[14:15]
	v_cmp_nge_f64_e64 vcc, |v[18:19]|, s[52:53]
	v_and_b32_e32 v16, 0x7fffffff, v19
	v_cndmask_b32_e32 v15, v85, v15, vcc
	v_cndmask_b32_e32 v14, 0, v14, vcc
	v_cmp_lt_f64_e64 vcc, |v[18:19]|, s[54:55]
	v_cndmask_b32_e32 v15, v15, v16, vcc
	v_xor_b32_e32 v16, 0x80000000, v19
	v_cndmask_b32_e32 v14, v14, v18, vcc
	v_bfi_b32 v15, s95, v15, v16
	v_fma_f64 v[18:19], v[14:15], v[14:15], 1.0
	v_cmp_gt_f64_e32 vcc, s[56:57], v[18:19]
	v_cndmask_b32_e64 v16, 0, 1, vcc
	v_lshlrev_b32_e32 v16, 8, v16
	v_ldexp_f64 v[18:19], v[18:19], v16
	v_rsq_f64_e32 v[70:71], v[18:19]
	v_and_b32_e32 v16, 0x80000000, v17
	v_cndmask_b32_e32 v21, 0, v86, vcc
	v_xor_b32_e32 v13, v13, v16
	v_mul_f64 v[72:73], v[18:19], v[70:71]
	v_mul_f64 v[70:71], v[70:71], 0.5
	v_fma_f64 v[74:75], -v[70:71], v[72:73], 0.5
	v_fmac_f64_e32 v[72:73], v[72:73], v[74:75]
	v_fma_f64 v[76:77], -v[72:73], v[72:73], v[18:19]
	v_fmac_f64_e32 v[70:71], v[70:71], v[74:75]
	v_fmac_f64_e32 v[72:73], v[76:77], v[70:71]
	v_fma_f64 v[74:75], -v[72:73], v[72:73], v[18:19]
	v_fmac_f64_e32 v[72:73], v[74:75], v[70:71]
	v_ldexp_f64 v[70:71], v[72:73], v21
	v_cmp_class_f64_e32 vcc, v[18:19], v82
	v_fma_f64 v[16:17], v[12:13], v[12:13], 1.0
	v_cndmask_b32_e32 v19, v71, v19, vcc
	v_cndmask_b32_e32 v18, v70, v18, vcc
	v_mul_f64 v[70:71], v[14:15], v[16:17]
	v_mul_f64 v[16:17], v[18:19], v[16:17]
	v_fma_f64 v[70:71], v[14:15], v[70:71], 1.0
	v_mul_f64 v[14:15], v[14:15], v[16:17]
	v_div_scale_f64 v[16:17], s[0:1], v[70:71], v[70:71], v[14:15]
	v_rcp_f64_e32 v[18:19], v[16:17]
	v_fma_f64 v[72:73], -v[16:17], v[18:19], 1.0
	v_fmac_f64_e32 v[18:19], v[18:19], v[72:73]
	v_fma_f64 v[72:73], -v[16:17], v[18:19], 1.0
	v_fmac_f64_e32 v[18:19], v[18:19], v[72:73]
	v_div_scale_f64 v[72:73], vcc, v[14:15], v[70:71], v[14:15]
	v_mul_f64 v[74:75], v[72:73], v[18:19]
	v_fma_f64 v[16:17], -v[16:17], v[74:75], v[72:73]
	v_div_scale_f64 v[72:73], s[0:1], v[70:71], v[70:71], v[12:13]
	v_rcp_f64_e32 v[76:77], v[72:73]
	v_div_fmas_f64 v[16:17], v[16:17], v[18:19], v[74:75]
	v_div_fixup_f64 v[14:15], v[16:17], v[70:71], v[14:15]
	v_fma_f64 v[16:17], -v[72:73], v[76:77], 1.0
	v_fmac_f64_e32 v[76:77], v[76:77], v[16:17]
	v_fma_f64 v[16:17], -v[72:73], v[76:77], 1.0
	v_fmac_f64_e32 v[76:77], v[76:77], v[16:17]
	v_div_scale_f64 v[16:17], vcc, v[12:13], v[70:71], v[12:13]
	v_mul_f64 v[18:19], v[16:17], v[76:77]
	v_fma_f64 v[16:17], -v[72:73], v[18:19], v[16:17]
	s_nop 1
	v_div_fmas_f64 v[16:17], v[16:17], v[76:77], v[18:19]
	v_div_fixup_f64 v[12:13], v[16:17], v[70:71], v[12:13]
                                        ; implicit-def: $vgpr16_vgpr17
.LBB100_226:                            ;   in Loop: Header=BB100_180 Depth=1
	s_andn2_saveexec_b64 s[86:87], s[86:87]
	s_cbranch_execz .LBB100_236
; %bb.227:                              ;   in Loop: Header=BB100_180 Depth=1
	v_cmp_nlt_f64_e64 s[88:89], |v[16:17]|, s[4:5]
                                        ; implicit-def: $vgpr74
                                        ; implicit-def: $vgpr12_vgpr13
                                        ; implicit-def: $vgpr14_vgpr15
	s_and_saveexec_b64 s[0:1], s[88:89]
	s_xor_b64 s[90:91], exec, s[0:1]
	s_cbranch_execz .LBB100_229
; %bb.228:                              ;   in Loop: Header=BB100_180 Depth=1
	v_and_b32_e32 v21, 0x7fffffff, v17
	v_ldexp_f64 v[70:71], |v[16:17]|, s43
	v_cmp_ge_f64_e64 vcc, |v[16:17]|, s[6:7]
	v_trig_preop_f64 v[12:13], |v[16:17]|, 0
	v_cndmask_b32_e32 v71, v21, v71, vcc
	v_cndmask_b32_e32 v70, v16, v70, vcc
	v_trig_preop_f64 v[14:15], |v[16:17]|, 1
	v_mul_f64 v[74:75], v[12:13], v[70:71]
	v_mul_f64 v[72:73], v[14:15], v[70:71]
	v_fma_f64 v[12:13], v[12:13], v[70:71], -v[74:75]
	v_add_f64 v[76:77], v[72:73], v[12:13]
	v_add_f64 v[78:79], v[74:75], v[76:77]
	v_ldexp_f64 v[80:81], v[78:79], -2
	v_fract_f64_e32 v[88:89], v[80:81]
	v_cmp_neq_f64_e64 vcc, |v[80:81]|, s[8:9]
	v_cndmask_b32_e32 v81, 0, v89, vcc
	v_cndmask_b32_e32 v80, 0, v88, vcc
	v_add_f64 v[88:89], v[76:77], -v[72:73]
	v_add_f64 v[12:13], v[12:13], -v[88:89]
	;; [unrolled: 1-line block ×4, first 2 shown]
	v_fma_f64 v[14:15], v[14:15], v[70:71], -v[72:73]
	v_trig_preop_f64 v[72:73], |v[16:17]|, 2
	v_add_f64 v[12:13], v[12:13], v[88:89]
	v_mul_f64 v[88:89], v[72:73], v[70:71]
	v_add_f64 v[90:91], v[88:89], v[14:15]
	v_add_f64 v[92:93], v[90:91], v[12:13]
	v_add_f64 v[74:75], v[78:79], -v[74:75]
	v_add_f64 v[78:79], v[92:93], -v[90:91]
	;; [unrolled: 1-line block ×5, first 2 shown]
	v_add_f64 v[12:13], v[12:13], v[78:79]
	v_add_f64 v[78:79], v[90:91], -v[88:89]
	v_add_f64 v[14:15], v[14:15], -v[78:79]
	;; [unrolled: 1-line block ×4, first 2 shown]
	v_add_f64 v[14:15], v[14:15], v[78:79]
	v_add_f64 v[74:75], v[76:77], -v[74:75]
	v_add_f64 v[12:13], v[14:15], v[12:13]
	v_fma_f64 v[14:15], v[72:73], v[70:71], -v[88:89]
	v_add_f64 v[76:77], v[74:75], v[92:93]
	v_add_f64 v[12:13], v[14:15], v[12:13]
	v_ldexp_f64 v[14:15], v[80:81], 2
	v_add_f64 v[70:71], v[76:77], v[14:15]
	v_cmp_gt_f64_e32 vcc, 0, v[70:71]
	v_cndmask_b32_e32 v21, 0, v83, vcc
	v_add_f64 v[14:15], v[14:15], v[20:21]
	v_add_f64 v[70:71], v[76:77], v[14:15]
	v_cvt_i32_f64_e32 v21, v[70:71]
	v_cvt_f64_i32_e32 v[70:71], v21
	v_add_f64 v[14:15], v[14:15], -v[70:71]
	v_add_f64 v[74:75], v[76:77], -v[74:75]
	v_add_f64 v[70:71], v[76:77], v[14:15]
	v_add_f64 v[74:75], v[92:93], -v[74:75]
	v_add_f64 v[14:15], v[70:71], -v[14:15]
	v_cmp_le_f64_e32 vcc, 0.5, v[70:71]
	v_add_f64 v[12:13], v[74:75], v[12:13]
	v_add_f64 v[14:15], v[76:77], -v[14:15]
	v_addc_co_u32_e64 v74, s[0:1], 0, v21, vcc
	v_cndmask_b32_e32 v21, 0, v84, vcc
	v_add_f64 v[12:13], v[12:13], v[14:15]
	v_add_f64 v[14:15], v[70:71], -v[20:21]
	v_add_f64 v[70:71], v[14:15], v[12:13]
	v_add_f64 v[14:15], v[70:71], -v[14:15]
	s_mov_b32 s10, s14
	v_add_f64 v[12:13], v[12:13], -v[14:15]
	v_mul_f64 v[14:15], v[70:71], s[10:11]
	v_fma_f64 v[72:73], v[70:71], s[10:11], -v[14:15]
	s_mov_b32 s19, s17
	v_fmac_f64_e32 v[72:73], s[18:19], v[70:71]
	v_fmac_f64_e32 v[72:73], s[10:11], v[12:13]
	v_add_f64 v[12:13], v[14:15], v[72:73]
	v_add_f64 v[14:15], v[12:13], -v[14:15]
	v_add_f64 v[14:15], v[72:73], -v[14:15]
	s_andn2_saveexec_b64 s[0:1], s[90:91]
	s_cbranch_execz .LBB100_231
	s_branch .LBB100_230
.LBB100_229:                            ;   in Loop: Header=BB100_180 Depth=1
	s_andn2_saveexec_b64 s[0:1], s[90:91]
	s_cbranch_execz .LBB100_231
.LBB100_230:                            ;   in Loop: Header=BB100_180 Depth=1
	v_mul_f64 v[12:13], |v[16:17]|, s[20:21]
	v_rndne_f64_e32 v[70:71], v[12:13]
	v_fma_f64 v[12:13], v[70:71], s[14:15], |v[16:17]|
	v_mul_f64 v[72:73], v[70:71], s[22:23]
	v_add_f64 v[76:77], v[12:13], v[72:73]
	v_fma_f64 v[14:15], s[22:23], v[70:71], v[12:13]
	s_mov_b32 s16, s22
	v_add_f64 v[12:13], v[12:13], -v[76:77]
	v_fma_f64 v[74:75], s[16:17], v[70:71], v[72:73]
	v_add_f64 v[12:13], v[12:13], v[72:73]
	v_add_f64 v[72:73], v[76:77], -v[14:15]
	v_add_f64 v[12:13], v[72:73], v[12:13]
	v_add_f64 v[72:73], v[12:13], -v[74:75]
	v_fmac_f64_e32 v[72:73], s[24:25], v[70:71]
	v_add_f64 v[12:13], v[14:15], v[72:73]
	v_add_f64 v[14:15], v[12:13], -v[14:15]
	v_add_f64 v[14:15], v[72:73], -v[14:15]
	v_cvt_i32_f64_e32 v74, v[70:71]
.LBB100_231:                            ;   in Loop: Header=BB100_180 Depth=1
	s_or_b64 exec, exec, s[0:1]
                                        ; implicit-def: $vgpr75
                                        ; implicit-def: $vgpr70_vgpr71
                                        ; implicit-def: $vgpr72_vgpr73
	s_and_saveexec_b64 s[0:1], s[88:89]
	s_xor_b64 s[88:89], exec, s[0:1]
	s_cbranch_execz .LBB100_233
; %bb.232:                              ;   in Loop: Header=BB100_180 Depth=1
	v_and_b32_e32 v21, 0x7fffffff, v17
	v_ldexp_f64 v[76:77], |v[16:17]|, s43
	v_cmp_ge_f64_e64 vcc, |v[16:17]|, s[6:7]
	v_trig_preop_f64 v[70:71], |v[16:17]|, 0
	v_cndmask_b32_e32 v77, v21, v77, vcc
	v_cndmask_b32_e32 v76, v16, v76, vcc
	v_trig_preop_f64 v[72:73], |v[16:17]|, 1
	v_mul_f64 v[80:81], v[70:71], v[76:77]
	v_mul_f64 v[78:79], v[72:73], v[76:77]
	v_fma_f64 v[70:71], v[70:71], v[76:77], -v[80:81]
	v_add_f64 v[88:89], v[78:79], v[70:71]
	v_add_f64 v[90:91], v[80:81], v[88:89]
	v_ldexp_f64 v[92:93], v[90:91], -2
	v_fract_f64_e32 v[94:95], v[92:93]
	v_cmp_neq_f64_e64 vcc, |v[92:93]|, s[8:9]
	v_cndmask_b32_e32 v93, 0, v95, vcc
	v_cndmask_b32_e32 v92, 0, v94, vcc
	v_add_f64 v[94:95], v[88:89], -v[78:79]
	v_add_f64 v[70:71], v[70:71], -v[94:95]
	;; [unrolled: 1-line block ×4, first 2 shown]
	v_fma_f64 v[72:73], v[72:73], v[76:77], -v[78:79]
	v_trig_preop_f64 v[78:79], |v[16:17]|, 2
	v_add_f64 v[70:71], v[70:71], v[94:95]
	v_mul_f64 v[94:95], v[78:79], v[76:77]
	v_add_f64 v[96:97], v[94:95], v[72:73]
	v_add_f64 v[98:99], v[96:97], v[70:71]
	v_add_f64 v[80:81], v[90:91], -v[80:81]
	v_add_f64 v[90:91], v[98:99], -v[96:97]
	;; [unrolled: 1-line block ×5, first 2 shown]
	v_add_f64 v[70:71], v[70:71], v[90:91]
	v_add_f64 v[90:91], v[96:97], -v[94:95]
	v_add_f64 v[72:73], v[72:73], -v[90:91]
	;; [unrolled: 1-line block ×4, first 2 shown]
	v_add_f64 v[72:73], v[72:73], v[90:91]
	v_add_f64 v[80:81], v[88:89], -v[80:81]
	v_add_f64 v[70:71], v[72:73], v[70:71]
	v_fma_f64 v[72:73], v[78:79], v[76:77], -v[94:95]
	v_add_f64 v[88:89], v[80:81], v[98:99]
	v_add_f64 v[70:71], v[72:73], v[70:71]
	v_ldexp_f64 v[72:73], v[92:93], 2
	v_add_f64 v[76:77], v[88:89], v[72:73]
	v_cmp_gt_f64_e32 vcc, 0, v[76:77]
	v_cndmask_b32_e32 v21, 0, v83, vcc
	v_add_f64 v[72:73], v[72:73], v[20:21]
	v_add_f64 v[76:77], v[88:89], v[72:73]
	v_cvt_i32_f64_e32 v21, v[76:77]
	v_cvt_f64_i32_e32 v[76:77], v21
	v_add_f64 v[72:73], v[72:73], -v[76:77]
	v_add_f64 v[80:81], v[88:89], -v[80:81]
	v_add_f64 v[76:77], v[88:89], v[72:73]
	v_add_f64 v[80:81], v[98:99], -v[80:81]
	v_add_f64 v[72:73], v[76:77], -v[72:73]
	v_cmp_le_f64_e32 vcc, 0.5, v[76:77]
	v_add_f64 v[70:71], v[80:81], v[70:71]
	v_add_f64 v[72:73], v[88:89], -v[72:73]
	v_addc_co_u32_e64 v75, s[0:1], 0, v21, vcc
	v_cndmask_b32_e32 v21, 0, v84, vcc
	v_add_f64 v[70:71], v[70:71], v[72:73]
	v_add_f64 v[72:73], v[76:77], -v[20:21]
	v_add_f64 v[76:77], v[72:73], v[70:71]
	v_add_f64 v[72:73], v[76:77], -v[72:73]
	s_mov_b32 s10, s14
	v_add_f64 v[70:71], v[70:71], -v[72:73]
	v_mul_f64 v[72:73], v[76:77], s[10:11]
	v_fma_f64 v[78:79], v[76:77], s[10:11], -v[72:73]
	s_mov_b32 s19, s17
	v_fmac_f64_e32 v[78:79], s[18:19], v[76:77]
	v_fmac_f64_e32 v[78:79], s[10:11], v[70:71]
	v_add_f64 v[70:71], v[72:73], v[78:79]
	v_add_f64 v[72:73], v[70:71], -v[72:73]
	v_add_f64 v[72:73], v[78:79], -v[72:73]
	s_andn2_saveexec_b64 s[0:1], s[88:89]
	s_cbranch_execnz .LBB100_234
	s_branch .LBB100_235
.LBB100_233:                            ;   in Loop: Header=BB100_180 Depth=1
	s_andn2_saveexec_b64 s[0:1], s[88:89]
	s_cbranch_execz .LBB100_235
.LBB100_234:                            ;   in Loop: Header=BB100_180 Depth=1
	v_mul_f64 v[70:71], |v[16:17]|, s[20:21]
	v_rndne_f64_e32 v[76:77], v[70:71]
	v_fma_f64 v[70:71], v[76:77], s[14:15], |v[16:17]|
	v_mul_f64 v[78:79], v[76:77], s[22:23]
	v_add_f64 v[88:89], v[70:71], v[78:79]
	v_fma_f64 v[72:73], s[22:23], v[76:77], v[70:71]
	s_mov_b32 s16, s22
	v_add_f64 v[70:71], v[70:71], -v[88:89]
	v_fma_f64 v[80:81], s[16:17], v[76:77], v[78:79]
	v_add_f64 v[70:71], v[70:71], v[78:79]
	v_add_f64 v[78:79], v[88:89], -v[72:73]
	v_add_f64 v[70:71], v[78:79], v[70:71]
	v_add_f64 v[78:79], v[70:71], -v[80:81]
	v_fmac_f64_e32 v[78:79], s[24:25], v[76:77]
	v_add_f64 v[70:71], v[72:73], v[78:79]
	v_add_f64 v[72:73], v[70:71], -v[72:73]
	v_add_f64 v[72:73], v[78:79], -v[72:73]
	v_cvt_i32_f64_e32 v75, v[76:77]
.LBB100_235:                            ;   in Loop: Header=BB100_180 Depth=1
	s_or_b64 exec, exec, s[0:1]
	v_mul_f64 v[76:77], v[12:13], v[12:13]
	v_pk_mov_b32 v[90:91], s[58:59], s[58:59] op_sel:[0,1]
	v_mul_f64 v[78:79], v[76:77], 0.5
	v_fma_f64 v[92:93], s[60:61], v[76:77], v[90:91]
	v_add_f64 v[80:81], -v[78:79], 1.0
	v_fma_f64 v[92:93], v[76:77], v[92:93], s[62:63]
	v_add_f64 v[88:89], -v[80:81], 1.0
	v_fma_f64 v[92:93], v[76:77], v[92:93], s[64:65]
	v_add_f64 v[78:79], v[88:89], -v[78:79]
	v_fma_f64 v[92:93], v[76:77], v[92:93], s[66:67]
	v_mul_f64 v[88:89], v[76:77], v[76:77]
	v_fma_f64 v[92:93], v[76:77], v[92:93], s[50:51]
	v_fma_f64 v[78:79], v[12:13], -v[14:15], v[78:79]
	v_fmac_f64_e32 v[78:79], v[88:89], v[92:93]
	v_add_f64 v[78:79], v[80:81], v[78:79]
	v_pk_mov_b32 v[80:81], s[68:69], s[68:69] op_sel:[0,1]
	v_fma_f64 v[88:89], s[70:71], v[76:77], v[80:81]
	v_fma_f64 v[88:89], v[76:77], v[88:89], s[72:73]
	;; [unrolled: 1-line block ×4, first 2 shown]
	v_mul_f64 v[92:93], v[12:13], -v[76:77]
	v_mul_f64 v[94:95], v[14:15], 0.5
	v_fmac_f64_e32 v[94:95], v[92:93], v[88:89]
	v_fma_f64 v[14:15], v[76:77], v[94:95], -v[14:15]
	s_mov_b32 s76, s50
	v_fmac_f64_e32 v[14:15], s[76:77], v[92:93]
	v_add_f64 v[12:13], v[12:13], -v[14:15]
	v_and_b32_e32 v14, 1, v74
	v_cmp_eq_u32_e32 vcc, 0, v14
	v_lshlrev_b32_e32 v14, 30, v74
	v_xor_b32_e32 v14, v14, v17
	v_cndmask_b32_e32 v13, v79, v13, vcc
	v_and_b32_e32 v14, 0x80000000, v14
	v_xor_b32_e32 v13, v13, v14
	v_mul_f64 v[14:15], |v[18:19]|, s[38:39]
	v_rndne_f64_e32 v[14:15], v[14:15]
	v_fma_f64 v[16:17], v[14:15], s[28:29], -|v[18:19]|
	v_fmac_f64_e32 v[16:17], s[34:35], v[14:15]
	v_pk_mov_b32 v[76:77], v[52:53], v[52:53] op_sel:[0,1]
	v_cndmask_b32_e32 v12, v78, v12, vcc
	v_fmac_f64_e32 v[76:77], s[46:47], v[16:17]
	v_pk_mov_b32 v[78:79], v[54:55], v[54:55] op_sel:[0,1]
	v_fmac_f64_e32 v[78:79], v[16:17], v[76:77]
	v_pk_mov_b32 v[76:77], v[56:57], v[56:57] op_sel:[0,1]
	;; [unrolled: 2-line block ×8, first 2 shown]
	v_fmac_f64_e32 v[76:77], v[16:17], v[78:79]
	v_fma_f64 v[76:77], v[16:17], v[76:77], 1.0
	v_fma_f64 v[16:17], v[16:17], v[76:77], 1.0
	v_cvt_i32_f64_e32 v14, v[14:15]
	v_ldexp_f64 v[14:15], v[16:17], v14
	v_xor_b32_e32 v16, 0x80000000, v19
	v_bfi_b32 v21, s95, v84, v16
	v_mul_f64 v[16:17], v[70:71], v[70:71]
	v_cmp_ngt_f64_e64 vcc, |v[18:19]|, s[78:79]
	v_mul_f64 v[18:19], v[16:17], 0.5
	v_fmac_f64_e32 v[90:91], s[60:61], v[16:17]
	v_add_f64 v[76:77], -v[18:19], 1.0
	v_fma_f64 v[88:89], v[16:17], v[90:91], s[62:63]
	v_add_f64 v[78:79], -v[76:77], 1.0
	v_fma_f64 v[88:89], v[16:17], v[88:89], s[64:65]
	v_add_f64 v[18:19], v[78:79], -v[18:19]
	v_fma_f64 v[88:89], v[16:17], v[88:89], s[66:67]
	v_mul_f64 v[78:79], v[16:17], v[16:17]
	v_fma_f64 v[88:89], v[16:17], v[88:89], s[50:51]
	v_fma_f64 v[18:19], v[70:71], -v[72:73], v[18:19]
	v_fmac_f64_e32 v[18:19], v[78:79], v[88:89]
	v_fmac_f64_e32 v[80:81], s[70:71], v[16:17]
	v_add_f64 v[18:19], v[76:77], v[18:19]
	v_fma_f64 v[76:77], v[16:17], v[80:81], s[72:73]
	v_fma_f64 v[76:77], v[16:17], v[76:77], s[74:75]
	;; [unrolled: 1-line block ×3, first 2 shown]
	v_mul_f64 v[78:79], v[70:71], -v[16:17]
	v_mul_f64 v[80:81], v[72:73], 0.5
	v_fmac_f64_e32 v[80:81], v[78:79], v[76:77]
	v_fma_f64 v[16:17], v[16:17], v[80:81], -v[72:73]
	v_fmac_f64_e32 v[16:17], s[76:77], v[78:79]
	v_add_f64 v[16:17], v[70:71], -v[16:17]
	v_and_b32_e32 v70, 1, v75
	v_cndmask_b32_e32 v15, 0, v15, vcc
	v_cndmask_b32_e32 v14, 0, v14, vcc
	v_cmp_eq_u32_e32 vcc, 0, v70
	v_xor_b32_e32 v17, 0x80000000, v17
	v_cndmask_b32_e32 v16, v16, v18, vcc
	v_lshlrev_b32_e32 v18, 30, v75
	v_cndmask_b32_e32 v17, v17, v19, vcc
	v_and_b32_e32 v18, 0x80000000, v18
	v_mul_f64 v[12:13], v[12:13], 4.0
	v_xor_b32_e32 v17, v17, v18
	v_mul_f64 v[12:13], v[12:13], v[16:17]
	v_mul_f64 v[12:13], v[14:15], v[12:13]
	;; [unrolled: 1-line block ×3, first 2 shown]
	v_pk_mov_b32 v[14:15], v[20:21], v[20:21] op_sel:[0,1]
.LBB100_236:                            ;   in Loop: Header=BB100_180 Depth=1
	s_or_b64 exec, exec, s[86:87]
                                        ; implicit-def: $vgpr16_vgpr17
.LBB100_237:                            ;   in Loop: Header=BB100_180 Depth=1
	s_andn2_saveexec_b64 s[0:1], s[84:85]
; %bb.238:                              ;   in Loop: Header=BB100_180 Depth=1
	v_add_f64 v[12:13], v[16:17], -v[16:17]
	v_pk_mov_b32 v[14:15], v[12:13], v[12:13] op_sel:[0,1]
; %bb.239:                              ;   in Loop: Header=BB100_180 Depth=1
	s_or_b64 exec, exec, s[0:1]
                                        ; implicit-def: $vgpr16_vgpr17
.LBB100_240:                            ;   in Loop: Header=BB100_180 Depth=1
	s_andn2_saveexec_b64 s[82:83], s[82:83]
	s_cbranch_execz .LBB100_256
; %bb.241:                              ;   in Loop: Header=BB100_180 Depth=1
	v_and_or_b32 v12, v15, s44, v14
	v_cmp_ne_u32_e32 vcc, 0, v12
	s_and_saveexec_b64 s[0:1], vcc
	s_xor_b64 s[0:1], exec, s[0:1]
; %bb.242:                              ;   in Loop: Header=BB100_180 Depth=1
	v_mul_f64 v[12:13], v[16:17], -v[18:19]
	v_cmp_eq_f64_e32 vcc, 0, v[16:17]
	v_cndmask_b32_e32 v13, v13, v17, vcc
	v_cndmask_b32_e32 v12, v12, v16, vcc
                                        ; implicit-def: $vgpr16_vgpr17
; %bb.243:                              ;   in Loop: Header=BB100_180 Depth=1
	s_andn2_saveexec_b64 s[84:85], s[0:1]
	s_cbranch_execz .LBB100_255
; %bb.244:                              ;   in Loop: Header=BB100_180 Depth=1
	v_cmp_neq_f64_e64 s[0:1], |v[16:17]|, s[8:9]
	s_and_saveexec_b64 s[86:87], s[0:1]
	s_cbranch_execz .LBB100_254
; %bb.245:                              ;   in Loop: Header=BB100_180 Depth=1
	v_cmp_nlt_f64_e64 s[88:89], |v[16:17]|, s[4:5]
	v_trig_preop_f64 v[74:75], |v[16:17]|, 0
	v_trig_preop_f64 v[72:73], |v[16:17]|, 1
	v_ldexp_f64 v[76:77], |v[16:17]|, s43
	v_trig_preop_f64 v[70:71], |v[16:17]|, 2
	v_and_b32_e32 v89, 0x7fffffff, v17
                                        ; implicit-def: $vgpr88
                                        ; implicit-def: $vgpr12_vgpr13
                                        ; implicit-def: $vgpr18_vgpr19
	s_and_saveexec_b64 s[0:1], s[88:89]
	s_xor_b64 s[90:91], exec, s[0:1]
	s_cbranch_execz .LBB100_247
; %bb.246:                              ;   in Loop: Header=BB100_180 Depth=1
	v_cmp_ge_f64_e64 vcc, |v[16:17]|, s[6:7]
	v_cndmask_b32_e32 v13, v89, v77, vcc
	v_cndmask_b32_e32 v12, v16, v76, vcc
	v_mul_f64 v[78:79], v[74:75], v[12:13]
	v_mul_f64 v[18:19], v[72:73], v[12:13]
	v_fma_f64 v[80:81], v[74:75], v[12:13], -v[78:79]
	v_add_f64 v[90:91], v[18:19], v[80:81]
	v_add_f64 v[92:93], v[78:79], v[90:91]
	v_ldexp_f64 v[94:95], v[92:93], -2
	v_fract_f64_e32 v[96:97], v[94:95]
	v_cmp_neq_f64_e64 vcc, |v[94:95]|, s[8:9]
	v_cndmask_b32_e32 v95, 0, v97, vcc
	v_cndmask_b32_e32 v94, 0, v96, vcc
	v_add_f64 v[96:97], v[90:91], -v[18:19]
	v_add_f64 v[80:81], v[80:81], -v[96:97]
	;; [unrolled: 1-line block ×4, first 2 shown]
	v_add_f64 v[80:81], v[80:81], v[96:97]
	v_fma_f64 v[18:19], v[72:73], v[12:13], -v[18:19]
	v_mul_f64 v[96:97], v[70:71], v[12:13]
	v_add_f64 v[98:99], v[96:97], v[18:19]
	v_add_f64 v[100:101], v[98:99], v[80:81]
	v_add_f64 v[78:79], v[92:93], -v[78:79]
	v_add_f64 v[92:93], v[100:101], -v[98:99]
	;; [unrolled: 1-line block ×5, first 2 shown]
	v_add_f64 v[80:81], v[80:81], v[92:93]
	v_add_f64 v[92:93], v[98:99], -v[96:97]
	v_add_f64 v[18:19], v[18:19], -v[92:93]
	;; [unrolled: 1-line block ×5, first 2 shown]
	v_add_f64 v[90:91], v[78:79], v[100:101]
	v_add_f64 v[18:19], v[18:19], v[92:93]
	v_add_f64 v[78:79], v[90:91], -v[78:79]
	v_add_f64 v[18:19], v[18:19], v[80:81]
	v_fma_f64 v[12:13], v[70:71], v[12:13], -v[96:97]
	v_add_f64 v[78:79], v[100:101], -v[78:79]
	v_add_f64 v[12:13], v[12:13], v[18:19]
	v_ldexp_f64 v[18:19], v[94:95], 2
	v_add_f64 v[12:13], v[78:79], v[12:13]
	v_add_f64 v[78:79], v[90:91], v[18:19]
	v_cmp_gt_f64_e32 vcc, 0, v[78:79]
	v_cndmask_b32_e32 v21, 0, v83, vcc
	v_add_f64 v[18:19], v[18:19], v[20:21]
	v_add_f64 v[78:79], v[90:91], v[18:19]
	v_cvt_i32_f64_e32 v21, v[78:79]
	v_cvt_f64_i32_e32 v[78:79], v21
	v_add_f64 v[18:19], v[18:19], -v[78:79]
	v_add_f64 v[78:79], v[90:91], v[18:19]
	v_add_f64 v[18:19], v[78:79], -v[18:19]
	v_cmp_le_f64_e32 vcc, 0.5, v[78:79]
	v_add_f64 v[18:19], v[90:91], -v[18:19]
	v_addc_co_u32_e64 v88, s[0:1], 0, v21, vcc
	v_cndmask_b32_e32 v21, 0, v84, vcc
	v_add_f64 v[12:13], v[12:13], v[18:19]
	v_add_f64 v[18:19], v[78:79], -v[20:21]
	v_add_f64 v[78:79], v[18:19], v[12:13]
	v_add_f64 v[18:19], v[78:79], -v[18:19]
	s_mov_b32 s10, s14
	v_add_f64 v[12:13], v[12:13], -v[18:19]
	v_mul_f64 v[18:19], v[78:79], s[10:11]
	v_fma_f64 v[80:81], v[78:79], s[10:11], -v[18:19]
	s_mov_b32 s19, s17
	v_fmac_f64_e32 v[80:81], s[18:19], v[78:79]
	v_fmac_f64_e32 v[80:81], s[10:11], v[12:13]
	v_add_f64 v[12:13], v[18:19], v[80:81]
	v_add_f64 v[18:19], v[12:13], -v[18:19]
	v_add_f64 v[18:19], v[80:81], -v[18:19]
	s_andn2_saveexec_b64 s[0:1], s[90:91]
	s_cbranch_execz .LBB100_249
	s_branch .LBB100_248
.LBB100_247:                            ;   in Loop: Header=BB100_180 Depth=1
	s_andn2_saveexec_b64 s[0:1], s[90:91]
	s_cbranch_execz .LBB100_249
.LBB100_248:                            ;   in Loop: Header=BB100_180 Depth=1
	v_mul_f64 v[12:13], |v[16:17]|, s[20:21]
	v_rndne_f64_e32 v[78:79], v[12:13]
	v_fma_f64 v[12:13], v[78:79], s[14:15], |v[16:17]|
	v_mul_f64 v[80:81], v[78:79], s[22:23]
	v_add_f64 v[92:93], v[12:13], v[80:81]
	v_fma_f64 v[18:19], s[22:23], v[78:79], v[12:13]
	s_mov_b32 s16, s22
	v_add_f64 v[12:13], v[12:13], -v[92:93]
	v_fma_f64 v[90:91], s[16:17], v[78:79], v[80:81]
	v_add_f64 v[12:13], v[12:13], v[80:81]
	v_add_f64 v[80:81], v[92:93], -v[18:19]
	v_add_f64 v[12:13], v[80:81], v[12:13]
	v_add_f64 v[80:81], v[12:13], -v[90:91]
	v_fmac_f64_e32 v[80:81], s[24:25], v[78:79]
	v_add_f64 v[12:13], v[18:19], v[80:81]
	v_add_f64 v[18:19], v[12:13], -v[18:19]
	v_add_f64 v[18:19], v[80:81], -v[18:19]
	v_cvt_i32_f64_e32 v88, v[78:79]
.LBB100_249:                            ;   in Loop: Header=BB100_180 Depth=1
	s_or_b64 exec, exec, s[0:1]
                                        ; implicit-def: $vgpr90
                                        ; implicit-def: $vgpr78_vgpr79
                                        ; implicit-def: $vgpr80_vgpr81
	s_and_saveexec_b64 s[0:1], s[88:89]
	s_xor_b64 s[88:89], exec, s[0:1]
	s_cbranch_execz .LBB100_251
; %bb.250:                              ;   in Loop: Header=BB100_180 Depth=1
	v_cmp_ge_f64_e64 vcc, |v[16:17]|, s[6:7]
	v_cndmask_b32_e32 v77, v89, v77, vcc
	v_cndmask_b32_e32 v76, v16, v76, vcc
	v_mul_f64 v[80:81], v[74:75], v[76:77]
	v_mul_f64 v[78:79], v[72:73], v[76:77]
	v_fma_f64 v[74:75], v[74:75], v[76:77], -v[80:81]
	v_add_f64 v[90:91], v[78:79], v[74:75]
	v_add_f64 v[92:93], v[80:81], v[90:91]
	v_ldexp_f64 v[94:95], v[92:93], -2
	v_fract_f64_e32 v[96:97], v[94:95]
	v_cmp_neq_f64_e64 vcc, |v[94:95]|, s[8:9]
	v_cndmask_b32_e32 v95, 0, v97, vcc
	v_cndmask_b32_e32 v94, 0, v96, vcc
	v_add_f64 v[96:97], v[90:91], -v[78:79]
	v_add_f64 v[74:75], v[74:75], -v[96:97]
	;; [unrolled: 1-line block ×4, first 2 shown]
	v_fma_f64 v[72:73], v[72:73], v[76:77], -v[78:79]
	v_mul_f64 v[78:79], v[70:71], v[76:77]
	v_add_f64 v[74:75], v[74:75], v[96:97]
	v_add_f64 v[96:97], v[78:79], v[72:73]
	;; [unrolled: 1-line block ×3, first 2 shown]
	v_add_f64 v[80:81], v[92:93], -v[80:81]
	v_add_f64 v[92:93], v[98:99], -v[96:97]
	;; [unrolled: 1-line block ×5, first 2 shown]
	v_add_f64 v[74:75], v[74:75], v[92:93]
	v_add_f64 v[92:93], v[96:97], -v[78:79]
	v_add_f64 v[72:73], v[72:73], -v[92:93]
	;; [unrolled: 1-line block ×4, first 2 shown]
	v_add_f64 v[72:73], v[72:73], v[92:93]
	v_add_f64 v[80:81], v[90:91], -v[80:81]
	v_add_f64 v[72:73], v[72:73], v[74:75]
	v_fma_f64 v[70:71], v[70:71], v[76:77], -v[78:79]
	v_add_f64 v[90:91], v[80:81], v[98:99]
	v_add_f64 v[70:71], v[70:71], v[72:73]
	v_ldexp_f64 v[72:73], v[94:95], 2
	v_add_f64 v[74:75], v[90:91], v[72:73]
	v_cmp_gt_f64_e32 vcc, 0, v[74:75]
	v_cndmask_b32_e32 v21, 0, v83, vcc
	v_add_f64 v[72:73], v[72:73], v[20:21]
	v_add_f64 v[74:75], v[90:91], v[72:73]
	v_cvt_i32_f64_e32 v21, v[74:75]
	v_cvt_f64_i32_e32 v[74:75], v21
	v_add_f64 v[72:73], v[72:73], -v[74:75]
	v_add_f64 v[80:81], v[90:91], -v[80:81]
	v_add_f64 v[74:75], v[90:91], v[72:73]
	v_add_f64 v[80:81], v[98:99], -v[80:81]
	v_add_f64 v[72:73], v[74:75], -v[72:73]
	v_cmp_le_f64_e32 vcc, 0.5, v[74:75]
	v_add_f64 v[70:71], v[80:81], v[70:71]
	v_add_f64 v[72:73], v[90:91], -v[72:73]
	v_addc_co_u32_e64 v90, s[0:1], 0, v21, vcc
	v_cndmask_b32_e32 v21, 0, v84, vcc
	v_add_f64 v[70:71], v[70:71], v[72:73]
	v_add_f64 v[72:73], v[74:75], -v[20:21]
	v_add_f64 v[74:75], v[72:73], v[70:71]
	v_add_f64 v[72:73], v[74:75], -v[72:73]
	s_mov_b32 s10, s14
	v_add_f64 v[70:71], v[70:71], -v[72:73]
	v_mul_f64 v[72:73], v[74:75], s[10:11]
	v_fma_f64 v[76:77], v[74:75], s[10:11], -v[72:73]
	s_mov_b32 s19, s17
	v_fmac_f64_e32 v[76:77], s[18:19], v[74:75]
	v_fmac_f64_e32 v[76:77], s[10:11], v[70:71]
	v_add_f64 v[78:79], v[72:73], v[76:77]
	v_add_f64 v[70:71], v[78:79], -v[72:73]
	v_add_f64 v[80:81], v[76:77], -v[70:71]
	s_andn2_saveexec_b64 s[0:1], s[88:89]
	s_cbranch_execnz .LBB100_252
	s_branch .LBB100_253
.LBB100_251:                            ;   in Loop: Header=BB100_180 Depth=1
	s_andn2_saveexec_b64 s[0:1], s[88:89]
	s_cbranch_execz .LBB100_253
.LBB100_252:                            ;   in Loop: Header=BB100_180 Depth=1
	v_mul_f64 v[70:71], |v[16:17]|, s[20:21]
	v_rndne_f64_e32 v[70:71], v[70:71]
	v_fma_f64 v[72:73], v[70:71], s[14:15], |v[16:17]|
	v_mul_f64 v[76:77], v[70:71], s[22:23]
	v_add_f64 v[80:81], v[72:73], v[76:77]
	v_fma_f64 v[74:75], s[22:23], v[70:71], v[72:73]
	s_mov_b32 s16, s22
	v_add_f64 v[72:73], v[72:73], -v[80:81]
	v_fma_f64 v[78:79], s[16:17], v[70:71], v[76:77]
	v_add_f64 v[72:73], v[72:73], v[76:77]
	v_add_f64 v[76:77], v[80:81], -v[74:75]
	v_add_f64 v[72:73], v[76:77], v[72:73]
	v_add_f64 v[72:73], v[72:73], -v[78:79]
	v_fmac_f64_e32 v[72:73], s[24:25], v[70:71]
	v_add_f64 v[78:79], v[74:75], v[72:73]
	v_add_f64 v[74:75], v[78:79], -v[74:75]
	v_add_f64 v[80:81], v[72:73], -v[74:75]
	v_cvt_i32_f64_e32 v90, v[70:71]
.LBB100_253:                            ;   in Loop: Header=BB100_180 Depth=1
	s_or_b64 exec, exec, s[0:1]
	v_mul_f64 v[70:71], v[12:13], v[12:13]
	v_pk_mov_b32 v[92:93], s[58:59], s[58:59] op_sel:[0,1]
	v_mul_f64 v[72:73], v[70:71], 0.5
	v_fma_f64 v[94:95], s[60:61], v[70:71], v[92:93]
	v_add_f64 v[74:75], -v[72:73], 1.0
	v_fma_f64 v[94:95], v[70:71], v[94:95], s[62:63]
	v_add_f64 v[76:77], -v[74:75], 1.0
	v_fma_f64 v[94:95], v[70:71], v[94:95], s[64:65]
	v_add_f64 v[72:73], v[76:77], -v[72:73]
	v_fma_f64 v[94:95], v[70:71], v[94:95], s[66:67]
	v_mul_f64 v[76:77], v[70:71], v[70:71]
	v_fma_f64 v[94:95], v[70:71], v[94:95], s[50:51]
	v_fma_f64 v[72:73], v[12:13], -v[18:19], v[72:73]
	v_fmac_f64_e32 v[72:73], v[76:77], v[94:95]
	v_add_f64 v[72:73], v[74:75], v[72:73]
	v_pk_mov_b32 v[74:75], s[68:69], s[68:69] op_sel:[0,1]
	v_fma_f64 v[76:77], s[70:71], v[70:71], v[74:75]
	v_fma_f64 v[76:77], v[70:71], v[76:77], s[72:73]
	;; [unrolled: 1-line block ×4, first 2 shown]
	v_mul_f64 v[94:95], v[12:13], -v[70:71]
	v_mul_f64 v[96:97], v[18:19], 0.5
	v_fmac_f64_e32 v[96:97], v[94:95], v[76:77]
	v_fma_f64 v[18:19], v[70:71], v[96:97], -v[18:19]
	s_mov_b32 s76, s50
	v_fmac_f64_e32 v[18:19], s[76:77], v[94:95]
	v_add_f64 v[12:13], v[12:13], -v[18:19]
	v_and_b32_e32 v18, 1, v88
	v_cmp_eq_u32_e32 vcc, 0, v18
	v_lshlrev_b32_e32 v18, 30, v88
	v_xor_b32_e32 v18, v18, v17
	v_cndmask_b32_e32 v12, v72, v12, vcc
	v_cndmask_b32_e32 v13, v73, v13, vcc
	v_and_b32_e32 v18, 0x80000000, v18
	v_cmp_class_f64_e64 vcc, v[16:17], s27
	v_mul_f64 v[16:17], v[78:79], v[78:79]
	v_xor_b32_e32 v13, v13, v18
	v_mul_f64 v[18:19], v[16:17], 0.5
	v_fmac_f64_e32 v[92:93], s[60:61], v[16:17]
	v_add_f64 v[70:71], -v[18:19], 1.0
	v_fma_f64 v[76:77], v[16:17], v[92:93], s[62:63]
	v_add_f64 v[72:73], -v[70:71], 1.0
	v_fma_f64 v[76:77], v[16:17], v[76:77], s[64:65]
	v_add_f64 v[18:19], v[72:73], -v[18:19]
	v_fma_f64 v[76:77], v[16:17], v[76:77], s[66:67]
	v_mul_f64 v[72:73], v[16:17], v[16:17]
	v_fma_f64 v[76:77], v[16:17], v[76:77], s[50:51]
	v_fma_f64 v[18:19], v[78:79], -v[80:81], v[18:19]
	v_fmac_f64_e32 v[18:19], v[72:73], v[76:77]
	v_fmac_f64_e32 v[74:75], s[70:71], v[16:17]
	v_add_f64 v[18:19], v[70:71], v[18:19]
	v_fma_f64 v[70:71], v[16:17], v[74:75], s[72:73]
	v_fma_f64 v[70:71], v[16:17], v[70:71], s[74:75]
	;; [unrolled: 1-line block ×3, first 2 shown]
	v_mul_f64 v[72:73], v[78:79], -v[16:17]
	v_mul_f64 v[74:75], v[80:81], 0.5
	v_fmac_f64_e32 v[74:75], v[72:73], v[70:71]
	v_fma_f64 v[16:17], v[16:17], v[74:75], -v[80:81]
	v_fmac_f64_e32 v[16:17], s[76:77], v[72:73]
	v_and_b32_e32 v21, 1, v90
	v_add_f64 v[16:17], v[78:79], -v[16:17]
	v_cmp_eq_u32_e64 s[0:1], 0, v21
	v_xor_b32_e32 v17, 0x80000000, v17
	v_cndmask_b32_e64 v16, v16, v18, s[0:1]
	v_lshlrev_b32_e32 v18, 30, v90
	v_cndmask_b32_e64 v17, v17, v19, s[0:1]
	v_and_b32_e32 v18, 0x80000000, v18
	v_xor_b32_e32 v17, v17, v18
	v_cndmask_b32_e32 v12, 0, v12, vcc
	v_cndmask_b32_e32 v13, v87, v13, vcc
	;; [unrolled: 1-line block ×4, first 2 shown]
	v_mul_f64 v[16:17], v[12:13], v[16:17]
.LBB100_254:                            ;   in Loop: Header=BB100_180 Depth=1
	s_or_b64 exec, exec, s[86:87]
	v_add_co_u32_e32 v14, vcc, 0, v14
	v_bfi_b32 v21, s95, 0, v17
	v_addc_co_u32_e32 v15, vcc, -2.0, v15, vcc
	v_pk_mov_b32 v[12:13], v[20:21], v[20:21] op_sel:[0,1]
.LBB100_255:                            ;   in Loop: Header=BB100_180 Depth=1
	s_or_b64 exec, exec, s[84:85]
.LBB100_256:                            ;   in Loop: Header=BB100_180 Depth=1
	s_or_b64 exec, exec, s[82:83]
	s_waitcnt vmcnt(0)
	v_xor_b32_e32 v19, 0x80000000, v11
	v_and_b32_e32 v21, 0x7fffffff, v19
	v_mov_b32_e32 v18, v10
	v_cmp_gt_u32_e32 vcc, s26, v21
	s_and_saveexec_b64 s[0:1], vcc
	s_xor_b64 s[82:83], exec, s[0:1]
	s_cbranch_execz .LBB100_278
; %bb.257:                              ;   in Loop: Header=BB100_180 Depth=1
	v_cmp_class_f64_e64 s[0:1], v[8:9], s27
                                        ; implicit-def: $vgpr16_vgpr17
	s_and_saveexec_b64 s[84:85], s[0:1]
	s_xor_b64 s[84:85], exec, s[84:85]
	s_cbranch_execz .LBB100_275
; %bb.258:                              ;   in Loop: Header=BB100_180 Depth=1
	v_cmp_gt_u32_e32 vcc, s42, v21
                                        ; implicit-def: $vgpr16_vgpr17
	s_and_saveexec_b64 s[0:1], vcc
	s_xor_b64 s[86:87], exec, s[0:1]
	s_cbranch_execz .LBB100_264
; %bb.259:                              ;   in Loop: Header=BB100_180 Depth=1
	v_cmp_nlt_f64_e64 s[0:1], |v[8:9]|, s[4:5]
                                        ; implicit-def: $vgpr70
                                        ; implicit-def: $vgpr16_vgpr17
                                        ; implicit-def: $vgpr18_vgpr19
	s_and_saveexec_b64 s[88:89], s[0:1]
	s_xor_b64 s[88:89], exec, s[88:89]
	s_cbranch_execz .LBB100_261
; %bb.260:                              ;   in Loop: Header=BB100_180 Depth=1
	v_and_b32_e32 v21, 0x7fffffff, v9
	v_ldexp_f64 v[70:71], |v[8:9]|, s43
	v_cmp_ge_f64_e64 vcc, |v[8:9]|, s[6:7]
	v_trig_preop_f64 v[16:17], |v[8:9]|, 0
	v_cndmask_b32_e32 v71, v21, v71, vcc
	v_cndmask_b32_e32 v70, v8, v70, vcc
	v_trig_preop_f64 v[18:19], |v[8:9]|, 1
	v_mul_f64 v[74:75], v[16:17], v[70:71]
	v_mul_f64 v[72:73], v[18:19], v[70:71]
	v_fma_f64 v[16:17], v[16:17], v[70:71], -v[74:75]
	v_add_f64 v[76:77], v[72:73], v[16:17]
	v_add_f64 v[78:79], v[74:75], v[76:77]
	v_ldexp_f64 v[80:81], v[78:79], -2
	v_fract_f64_e32 v[88:89], v[80:81]
	v_cmp_neq_f64_e64 vcc, |v[80:81]|, s[8:9]
	v_cndmask_b32_e32 v81, 0, v89, vcc
	v_cndmask_b32_e32 v80, 0, v88, vcc
	v_add_f64 v[88:89], v[76:77], -v[72:73]
	v_add_f64 v[16:17], v[16:17], -v[88:89]
	;; [unrolled: 1-line block ×4, first 2 shown]
	v_fma_f64 v[18:19], v[18:19], v[70:71], -v[72:73]
	v_trig_preop_f64 v[72:73], |v[8:9]|, 2
	v_add_f64 v[16:17], v[16:17], v[88:89]
	v_mul_f64 v[88:89], v[72:73], v[70:71]
	v_add_f64 v[90:91], v[88:89], v[18:19]
	v_add_f64 v[92:93], v[90:91], v[16:17]
	v_add_f64 v[74:75], v[78:79], -v[74:75]
	v_add_f64 v[78:79], v[92:93], -v[90:91]
	;; [unrolled: 1-line block ×5, first 2 shown]
	v_add_f64 v[16:17], v[16:17], v[78:79]
	v_add_f64 v[78:79], v[90:91], -v[88:89]
	v_add_f64 v[18:19], v[18:19], -v[78:79]
	;; [unrolled: 1-line block ×4, first 2 shown]
	v_add_f64 v[18:19], v[18:19], v[78:79]
	v_add_f64 v[74:75], v[76:77], -v[74:75]
	v_add_f64 v[16:17], v[18:19], v[16:17]
	v_fma_f64 v[18:19], v[72:73], v[70:71], -v[88:89]
	v_add_f64 v[76:77], v[74:75], v[92:93]
	v_add_f64 v[16:17], v[18:19], v[16:17]
	v_ldexp_f64 v[18:19], v[80:81], 2
	v_add_f64 v[70:71], v[76:77], v[18:19]
	v_cmp_gt_f64_e32 vcc, 0, v[70:71]
	v_cndmask_b32_e32 v21, 0, v83, vcc
	v_add_f64 v[18:19], v[18:19], v[20:21]
	v_add_f64 v[70:71], v[76:77], v[18:19]
	v_cvt_i32_f64_e32 v21, v[70:71]
	v_cvt_f64_i32_e32 v[70:71], v21
	v_add_f64 v[18:19], v[18:19], -v[70:71]
	v_add_f64 v[74:75], v[76:77], -v[74:75]
	v_add_f64 v[72:73], v[76:77], v[18:19]
	v_add_f64 v[74:75], v[92:93], -v[74:75]
	v_add_f64 v[18:19], v[72:73], -v[18:19]
	v_cmp_le_f64_e32 vcc, 0.5, v[72:73]
	v_add_f64 v[16:17], v[74:75], v[16:17]
	v_add_f64 v[18:19], v[76:77], -v[18:19]
	v_addc_co_u32_e64 v70, s[0:1], 0, v21, vcc
	v_cndmask_b32_e32 v21, 0, v84, vcc
	v_add_f64 v[16:17], v[16:17], v[18:19]
	v_add_f64 v[18:19], v[72:73], -v[20:21]
	v_add_f64 v[72:73], v[18:19], v[16:17]
	v_add_f64 v[18:19], v[72:73], -v[18:19]
	s_mov_b32 s10, s14
	v_add_f64 v[16:17], v[16:17], -v[18:19]
	v_mul_f64 v[18:19], v[72:73], s[10:11]
	v_fma_f64 v[74:75], v[72:73], s[10:11], -v[18:19]
	s_mov_b32 s19, s17
	v_fmac_f64_e32 v[74:75], s[18:19], v[72:73]
	v_fmac_f64_e32 v[74:75], s[10:11], v[16:17]
	v_add_f64 v[16:17], v[18:19], v[74:75]
	v_add_f64 v[18:19], v[16:17], -v[18:19]
	v_add_f64 v[18:19], v[74:75], -v[18:19]
.LBB100_261:                            ;   in Loop: Header=BB100_180 Depth=1
	s_andn2_saveexec_b64 s[0:1], s[88:89]
	s_cbranch_execz .LBB100_263
; %bb.262:                              ;   in Loop: Header=BB100_180 Depth=1
	v_mul_f64 v[16:17], |v[8:9]|, s[20:21]
	v_rndne_f64_e32 v[70:71], v[16:17]
	v_fma_f64 v[16:17], v[70:71], s[14:15], |v[8:9]|
	v_mul_f64 v[72:73], v[70:71], s[22:23]
	v_add_f64 v[76:77], v[16:17], v[72:73]
	v_fma_f64 v[18:19], s[22:23], v[70:71], v[16:17]
	s_mov_b32 s16, s22
	v_add_f64 v[16:17], v[16:17], -v[76:77]
	v_fma_f64 v[74:75], s[16:17], v[70:71], v[72:73]
	v_add_f64 v[16:17], v[16:17], v[72:73]
	v_add_f64 v[72:73], v[76:77], -v[18:19]
	v_add_f64 v[16:17], v[72:73], v[16:17]
	v_add_f64 v[72:73], v[16:17], -v[74:75]
	v_fmac_f64_e32 v[72:73], s[24:25], v[70:71]
	v_add_f64 v[16:17], v[18:19], v[72:73]
	v_add_f64 v[18:19], v[16:17], -v[18:19]
	v_add_f64 v[18:19], v[72:73], -v[18:19]
	v_cvt_i32_f64_e32 v70, v[70:71]
.LBB100_263:                            ;   in Loop: Header=BB100_180 Depth=1
	s_or_b64 exec, exec, s[0:1]
	v_mul_f64 v[72:73], v[16:17], v[16:17]
	v_fma_f64 v[74:75], v[16:17], v[16:17], -v[72:73]
	v_add_f64 v[76:77], v[18:19], v[18:19]
	v_fmac_f64_e32 v[74:75], v[16:17], v[76:77]
	s_mov_b32 s0, 0xc751c08c
	v_add_f64 v[72:73], v[72:73], v[74:75]
	v_pk_mov_b32 v[74:75], v[26:27], v[26:27] op_sel:[0,1]
	s_mov_b32 s1, 0x3ef5e089
	v_fmac_f64_e32 v[74:75], s[0:1], v[72:73]
	v_pk_mov_b32 v[76:77], v[28:29], v[28:29] op_sel:[0,1]
	v_fmac_f64_e32 v[76:77], v[72:73], v[74:75]
	v_pk_mov_b32 v[74:75], v[30:31], v[30:31] op_sel:[0,1]
	v_fmac_f64_e32 v[74:75], v[72:73], v[76:77]
	v_pk_mov_b32 v[76:77], v[32:33], v[32:33] op_sel:[0,1]
	v_fmac_f64_e32 v[76:77], v[72:73], v[74:75]
	v_pk_mov_b32 v[74:75], v[34:35], v[34:35] op_sel:[0,1]
	v_fmac_f64_e32 v[74:75], v[72:73], v[76:77]
	v_pk_mov_b32 v[76:77], v[36:37], v[36:37] op_sel:[0,1]
	v_fmac_f64_e32 v[76:77], v[72:73], v[74:75]
	v_pk_mov_b32 v[74:75], v[38:39], v[38:39] op_sel:[0,1]
	v_fmac_f64_e32 v[74:75], v[72:73], v[76:77]
	v_pk_mov_b32 v[76:77], v[40:41], v[40:41] op_sel:[0,1]
	v_fmac_f64_e32 v[76:77], v[72:73], v[74:75]
	v_pk_mov_b32 v[74:75], v[42:43], v[42:43] op_sel:[0,1]
	v_fmac_f64_e32 v[74:75], v[72:73], v[76:77]
	v_pk_mov_b32 v[76:77], v[44:45], v[44:45] op_sel:[0,1]
	v_fmac_f64_e32 v[76:77], v[72:73], v[74:75]
	v_pk_mov_b32 v[74:75], v[46:47], v[46:47] op_sel:[0,1]
	v_fmac_f64_e32 v[74:75], v[72:73], v[76:77]
	v_pk_mov_b32 v[76:77], v[48:49], v[48:49] op_sel:[0,1]
	v_fmac_f64_e32 v[76:77], v[72:73], v[74:75]
	v_pk_mov_b32 v[74:75], v[50:51], v[50:51] op_sel:[0,1]
	v_fmac_f64_e32 v[74:75], v[72:73], v[76:77]
	v_mul_f64 v[72:73], v[72:73], v[74:75]
	v_mul_f64 v[74:75], v[16:17], v[72:73]
	v_add_f64 v[76:77], v[16:17], v[74:75]
	v_fma_f64 v[72:73], v[16:17], v[72:73], -v[74:75]
	v_add_f64 v[16:17], v[76:77], -v[16:17]
	v_add_f64 v[16:17], v[74:75], -v[16:17]
	v_add_f64 v[18:19], v[18:19], v[72:73]
	v_add_f64 v[16:17], v[18:19], v[16:17]
	;; [unrolled: 1-line block ×3, first 2 shown]
	v_rcp_f64_e32 v[72:73], v[18:19]
	v_and_b32_e32 v8, 1, v70
	v_add_f64 v[70:71], v[18:19], -v[76:77]
	v_add_f64 v[16:17], v[16:17], -v[70:71]
	v_fma_f64 v[70:71], -v[18:19], v[72:73], 1.0
	v_fmac_f64_e32 v[72:73], v[70:71], v[72:73]
	v_fma_f64 v[70:71], -v[18:19], v[72:73], 1.0
	v_fmac_f64_e32 v[72:73], v[70:71], v[72:73]
	v_mul_f64 v[70:71], v[18:19], v[72:73]
	v_fma_f64 v[74:75], v[72:73], v[18:19], -v[70:71]
	v_fmac_f64_e32 v[74:75], v[72:73], v[16:17]
	v_add_f64 v[16:17], v[70:71], v[74:75]
	v_add_f64 v[76:77], -v[16:17], 1.0
	v_add_f64 v[70:71], v[16:17], -v[70:71]
	v_add_f64 v[78:79], -v[76:77], 1.0
	v_add_f64 v[16:17], v[78:79], -v[16:17]
	v_add_f64 v[70:71], v[70:71], -v[74:75]
	v_add_f64 v[16:17], v[70:71], v[16:17]
	v_add_f64 v[16:17], v[76:77], v[16:17]
	v_mul_f64 v[16:17], v[72:73], v[16:17]
	v_add_f64 v[16:17], v[72:73], v[16:17]
	v_xor_b32_e32 v17, 0x80000000, v17
	v_cmp_eq_u32_e32 vcc, 0, v8
	v_cndmask_b32_e32 v8, v16, v18, vcc
	v_cndmask_b32_e32 v21, v17, v19, vcc
	v_add_f64 v[16:17], |v[10:11]|, s[28:29]
	v_add_f64 v[18:19], v[16:17], -|v[10:11]|
	v_add_f64 v[70:71], v[18:19], -v[16:17]
	s_mov_b32 s30, s28
	v_add_f64 v[70:71], |v[10:11]|, v[70:71]
	v_add_f64 v[18:19], v[18:19], s[30:31]
	v_add_f64 v[18:19], v[70:71], -v[18:19]
	v_add_f64 v[18:19], v[18:19], s[34:35]
	v_add_f64 v[70:71], v[16:17], v[18:19]
	v_add_f64 v[16:17], v[16:17], -v[70:71]
	s_mov_b32 s36, s38
	v_add_f64 v[16:17], v[18:19], v[16:17]
	v_mul_f64 v[18:19], v[70:71], s[36:37]
	v_rndne_f64_e32 v[18:19], v[18:19]
	s_mov_b32 s41, s29
	v_fmac_f64_e32 v[70:71], s[40:41], v[18:19]
	v_add_f64 v[72:73], v[16:17], v[70:71]
	s_mov_b32 s0, 0xf278e000
	v_add_f64 v[70:71], v[70:71], -v[72:73]
	s_mov_b32 s1, 0xbd53de6a
	v_add_f64 v[16:17], v[16:17], v[70:71]
	v_mul_f64 v[70:71], v[18:19], s[0:1]
	v_add_f64 v[74:75], v[72:73], v[70:71]
	v_add_f64 v[72:73], v[72:73], -v[74:75]
	v_add_f64 v[70:71], v[72:73], v[70:71]
	v_add_f64 v[16:17], v[16:17], v[70:71]
	;; [unrolled: 1-line block ×3, first 2 shown]
	s_mov_b32 s0, 0xf97b57a0
	v_add_f64 v[72:73], v[74:75], -v[70:71]
	s_mov_b32 s1, 0xbac9cc01
	v_add_f64 v[16:17], v[16:17], v[72:73]
	v_mul_f64 v[72:73], v[18:19], s[0:1]
	v_add_f64 v[74:75], v[70:71], v[72:73]
	v_add_f64 v[70:71], v[70:71], -v[74:75]
	v_add_f64 v[70:71], v[70:71], v[72:73]
	v_add_f64 v[16:17], v[16:17], v[70:71]
	;; [unrolled: 1-line block ×3, first 2 shown]
	v_add_f64 v[72:73], v[74:75], -v[70:71]
	v_add_f64 v[16:17], v[16:17], v[72:73]
	v_pk_mov_b32 v[72:73], v[52:53], v[52:53] op_sel:[0,1]
	v_fmac_f64_e32 v[72:73], s[46:47], v[70:71]
	v_pk_mov_b32 v[74:75], v[54:55], v[54:55] op_sel:[0,1]
	v_fmac_f64_e32 v[74:75], v[70:71], v[72:73]
	;; [unrolled: 2-line block ×9, first 2 shown]
	v_mul_f64 v[74:75], v[70:71], v[70:71]
	v_fma_f64 v[76:77], v[70:71], v[70:71], -v[74:75]
	v_add_f64 v[78:79], v[16:17], v[16:17]
	v_fmac_f64_e32 v[76:77], v[70:71], v[78:79]
	v_add_f64 v[78:79], v[74:75], v[76:77]
	v_add_f64 v[74:75], v[78:79], -v[74:75]
	v_add_f64 v[74:75], v[76:77], -v[74:75]
	v_mul_f64 v[76:77], v[78:79], v[72:73]
	v_fma_f64 v[78:79], v[78:79], v[72:73], -v[76:77]
	v_fmac_f64_e32 v[78:79], v[74:75], v[72:73]
	v_add_f64 v[72:73], v[76:77], v[78:79]
	v_add_f64 v[74:75], v[72:73], -v[76:77]
	v_add_f64 v[76:77], v[70:71], v[72:73]
	v_add_f64 v[74:75], v[78:79], -v[74:75]
	v_add_f64 v[70:71], v[76:77], -v[70:71]
	;; [unrolled: 1-line block ×3, first 2 shown]
	v_add_f64 v[16:17], v[16:17], v[74:75]
	v_add_f64 v[16:17], v[16:17], v[70:71]
	;; [unrolled: 1-line block ×3, first 2 shown]
	v_add_f64 v[72:73], v[70:71], -v[76:77]
	v_add_f64 v[16:17], v[16:17], -v[72:73]
	v_add_f64 v[72:73], v[70:71], 1.0
	v_add_f64 v[74:75], v[72:73], -1.0
	v_add_f64 v[70:71], v[70:71], -v[74:75]
	v_add_f64 v[16:17], v[16:17], v[70:71]
	v_add_f64 v[70:71], v[72:73], v[16:17]
	v_cvt_i32_f64_e32 v76, v[18:19]
	v_ldexp_f64 v[18:19], v[70:71], v76
	v_rcp_f64_e32 v[74:75], v[18:19]
	v_add_f64 v[70:71], v[70:71], -v[72:73]
	v_add_f64 v[16:17], v[16:17], -v[70:71]
	v_ldexp_f64 v[16:17], v[16:17], v76
	v_fma_f64 v[70:71], -v[18:19], v[74:75], 1.0
	v_fmac_f64_e32 v[74:75], v[70:71], v[74:75]
	v_fma_f64 v[70:71], -v[18:19], v[74:75], 1.0
	v_fmac_f64_e32 v[74:75], v[70:71], v[74:75]
	v_mul_f64 v[70:71], v[18:19], v[74:75]
	v_fma_f64 v[72:73], v[74:75], v[18:19], -v[70:71]
	v_fmac_f64_e32 v[72:73], v[74:75], v[16:17]
	v_add_f64 v[76:77], v[70:71], v[72:73]
	v_add_f64 v[78:79], -v[76:77], 1.0
	v_add_f64 v[70:71], v[76:77], -v[70:71]
	v_add_f64 v[80:81], -v[78:79], 1.0
	v_add_f64 v[76:77], v[80:81], -v[76:77]
	v_add_f64 v[70:71], v[70:71], -v[72:73]
	v_add_f64 v[70:71], v[70:71], v[76:77]
	v_add_f64 v[72:73], v[78:79], v[70:71]
	v_add_f64 v[76:77], v[78:79], -v[72:73]
	v_add_f64 v[70:71], v[70:71], v[76:77]
	v_mul_f64 v[76:77], v[74:75], v[72:73]
	v_mul_f64 v[78:79], v[18:19], v[76:77]
	v_fma_f64 v[80:81], v[76:77], v[18:19], -v[78:79]
	v_fmac_f64_e32 v[80:81], v[76:77], v[16:17]
	v_add_f64 v[88:89], v[78:79], v[80:81]
	v_add_f64 v[90:91], v[72:73], -v[88:89]
	v_add_f64 v[72:73], v[72:73], -v[90:91]
	;; [unrolled: 1-line block ×4, first 2 shown]
	v_add_f64 v[70:71], v[70:71], v[72:73]
	v_add_f64 v[72:73], v[78:79], -v[80:81]
	v_add_f64 v[70:71], v[72:73], v[70:71]
	v_add_f64 v[70:71], v[90:91], v[70:71]
	;; [unrolled: 1-line block ×3, first 2 shown]
	v_mul_f64 v[70:71], v[74:75], v[70:71]
	v_add_f64 v[74:75], v[72:73], -v[74:75]
	v_add_f64 v[74:75], v[76:77], -v[74:75]
	v_add_f64 v[70:71], v[74:75], v[70:71]
	v_add_f64 v[74:75], v[72:73], v[70:71]
	v_add_f64 v[72:73], v[74:75], -v[72:73]
	v_add_f64 v[70:71], v[70:71], -v[72:73]
	v_ldexp_f64 v[72:73], v[74:75], -2
	v_add_f64 v[74:75], v[18:19], -v[72:73]
	v_add_f64 v[18:19], v[18:19], -v[74:75]
	;; [unrolled: 1-line block ×3, first 2 shown]
	v_ldexp_f64 v[70:71], v[70:71], -2
	v_add_f64 v[16:17], v[16:17], v[18:19]
	v_add_f64 v[16:17], v[16:17], -v[70:71]
	v_add_f64 v[16:17], v[74:75], v[16:17]
	v_cmp_nge_f64_e64 vcc, |v[10:11]|, s[52:53]
	v_and_b32_e32 v92, 0x7fffffff, v11
	v_cndmask_b32_e32 v17, v85, v17, vcc
	v_cndmask_b32_e32 v16, 0, v16, vcc
	v_cmp_lt_f64_e64 vcc, |v[10:11]|, s[54:55]
	v_cndmask_b32_e32 v10, v16, v10, vcc
	v_cndmask_b32_e32 v16, v17, v92, vcc
	v_xor_b32_e32 v11, 0x80000000, v11
	v_bfi_b32 v11, s95, v16, v11
	v_fma_f64 v[16:17], v[10:11], v[10:11], 1.0
	v_cmp_gt_f64_e32 vcc, s[56:57], v[16:17]
	v_cndmask_b32_e64 v18, 0, 1, vcc
	v_lshlrev_b32_e32 v18, 8, v18
	v_ldexp_f64 v[16:17], v[16:17], v18
	v_rsq_f64_e32 v[18:19], v[16:17]
	v_and_b32_e32 v9, 0x80000000, v9
	v_xor_b32_e32 v9, v21, v9
	v_fma_f64 v[70:71], v[8:9], v[8:9], 1.0
	v_mul_f64 v[72:73], v[16:17], v[18:19]
	v_mul_f64 v[18:19], v[18:19], 0.5
	v_fma_f64 v[74:75], -v[18:19], v[72:73], 0.5
	v_fmac_f64_e32 v[72:73], v[72:73], v[74:75]
	v_fma_f64 v[76:77], -v[72:73], v[72:73], v[16:17]
	v_fmac_f64_e32 v[18:19], v[18:19], v[74:75]
	v_fmac_f64_e32 v[72:73], v[76:77], v[18:19]
	v_fma_f64 v[74:75], -v[72:73], v[72:73], v[16:17]
	v_fmac_f64_e32 v[72:73], v[74:75], v[18:19]
	v_cndmask_b32_e32 v18, 0, v86, vcc
	v_ldexp_f64 v[18:19], v[72:73], v18
	v_cmp_class_f64_e32 vcc, v[16:17], v82
	v_cndmask_b32_e32 v17, v19, v17, vcc
	v_cndmask_b32_e32 v16, v18, v16, vcc
	v_mul_f64 v[18:19], v[10:11], v[70:71]
	v_mul_f64 v[16:17], v[16:17], v[70:71]
	v_fma_f64 v[72:73], v[10:11], v[18:19], 1.0
	v_mul_f64 v[10:11], v[10:11], v[16:17]
	v_div_scale_f64 v[16:17], s[0:1], v[72:73], v[72:73], v[10:11]
	v_rcp_f64_e32 v[18:19], v[16:17]
	v_fma_f64 v[70:71], -v[16:17], v[18:19], 1.0
	v_fmac_f64_e32 v[18:19], v[18:19], v[70:71]
	v_fma_f64 v[70:71], -v[16:17], v[18:19], 1.0
	v_fmac_f64_e32 v[18:19], v[18:19], v[70:71]
	v_div_scale_f64 v[70:71], vcc, v[10:11], v[72:73], v[10:11]
	v_mul_f64 v[74:75], v[70:71], v[18:19]
	v_fma_f64 v[16:17], -v[16:17], v[74:75], v[70:71]
	v_div_scale_f64 v[70:71], s[0:1], v[72:73], v[72:73], v[8:9]
	v_rcp_f64_e32 v[76:77], v[70:71]
	v_div_fmas_f64 v[16:17], v[16:17], v[18:19], v[74:75]
	v_div_fixup_f64 v[18:19], v[16:17], v[72:73], v[10:11]
	v_fma_f64 v[10:11], -v[70:71], v[76:77], 1.0
	v_fmac_f64_e32 v[76:77], v[76:77], v[10:11]
	v_fma_f64 v[10:11], -v[70:71], v[76:77], 1.0
	v_fmac_f64_e32 v[76:77], v[76:77], v[10:11]
	v_div_scale_f64 v[10:11], vcc, v[8:9], v[72:73], v[8:9]
	v_mul_f64 v[16:17], v[10:11], v[76:77]
	v_fma_f64 v[10:11], -v[70:71], v[16:17], v[10:11]
	s_nop 1
	v_div_fmas_f64 v[10:11], v[10:11], v[76:77], v[16:17]
	v_div_fixup_f64 v[16:17], v[10:11], v[72:73], v[8:9]
                                        ; implicit-def: $vgpr8_vgpr9
.LBB100_264:                            ;   in Loop: Header=BB100_180 Depth=1
	s_andn2_saveexec_b64 s[86:87], s[86:87]
	s_cbranch_execz .LBB100_274
; %bb.265:                              ;   in Loop: Header=BB100_180 Depth=1
	v_cmp_nlt_f64_e64 s[88:89], |v[8:9]|, s[4:5]
                                        ; implicit-def: $vgpr74
                                        ; implicit-def: $vgpr16_vgpr17
                                        ; implicit-def: $vgpr18_vgpr19
	s_and_saveexec_b64 s[0:1], s[88:89]
	s_xor_b64 s[90:91], exec, s[0:1]
	s_cbranch_execz .LBB100_267
; %bb.266:                              ;   in Loop: Header=BB100_180 Depth=1
	v_and_b32_e32 v21, 0x7fffffff, v9
	v_ldexp_f64 v[70:71], |v[8:9]|, s43
	v_cmp_ge_f64_e64 vcc, |v[8:9]|, s[6:7]
	v_trig_preop_f64 v[16:17], |v[8:9]|, 0
	v_cndmask_b32_e32 v71, v21, v71, vcc
	v_cndmask_b32_e32 v70, v8, v70, vcc
	v_trig_preop_f64 v[18:19], |v[8:9]|, 1
	v_mul_f64 v[74:75], v[16:17], v[70:71]
	v_mul_f64 v[72:73], v[18:19], v[70:71]
	v_fma_f64 v[16:17], v[16:17], v[70:71], -v[74:75]
	v_add_f64 v[76:77], v[72:73], v[16:17]
	v_add_f64 v[78:79], v[74:75], v[76:77]
	v_ldexp_f64 v[80:81], v[78:79], -2
	v_fract_f64_e32 v[88:89], v[80:81]
	v_cmp_neq_f64_e64 vcc, |v[80:81]|, s[8:9]
	v_cndmask_b32_e32 v81, 0, v89, vcc
	v_cndmask_b32_e32 v80, 0, v88, vcc
	v_add_f64 v[88:89], v[76:77], -v[72:73]
	v_add_f64 v[16:17], v[16:17], -v[88:89]
	;; [unrolled: 1-line block ×4, first 2 shown]
	v_fma_f64 v[18:19], v[18:19], v[70:71], -v[72:73]
	v_trig_preop_f64 v[72:73], |v[8:9]|, 2
	v_add_f64 v[16:17], v[16:17], v[88:89]
	v_mul_f64 v[88:89], v[72:73], v[70:71]
	v_add_f64 v[90:91], v[88:89], v[18:19]
	v_add_f64 v[92:93], v[90:91], v[16:17]
	v_add_f64 v[74:75], v[78:79], -v[74:75]
	v_add_f64 v[78:79], v[92:93], -v[90:91]
	;; [unrolled: 1-line block ×5, first 2 shown]
	v_add_f64 v[16:17], v[16:17], v[78:79]
	v_add_f64 v[78:79], v[90:91], -v[88:89]
	v_add_f64 v[18:19], v[18:19], -v[78:79]
	v_add_f64 v[78:79], v[90:91], -v[78:79]
	v_add_f64 v[78:79], v[88:89], -v[78:79]
	v_add_f64 v[18:19], v[18:19], v[78:79]
	v_add_f64 v[74:75], v[76:77], -v[74:75]
	v_add_f64 v[16:17], v[18:19], v[16:17]
	v_fma_f64 v[18:19], v[72:73], v[70:71], -v[88:89]
	v_add_f64 v[76:77], v[74:75], v[92:93]
	v_add_f64 v[16:17], v[18:19], v[16:17]
	v_ldexp_f64 v[18:19], v[80:81], 2
	v_add_f64 v[70:71], v[76:77], v[18:19]
	v_cmp_gt_f64_e32 vcc, 0, v[70:71]
	v_cndmask_b32_e32 v21, 0, v83, vcc
	v_add_f64 v[18:19], v[18:19], v[20:21]
	v_add_f64 v[70:71], v[76:77], v[18:19]
	v_cvt_i32_f64_e32 v21, v[70:71]
	v_cvt_f64_i32_e32 v[70:71], v21
	v_add_f64 v[18:19], v[18:19], -v[70:71]
	v_add_f64 v[74:75], v[76:77], -v[74:75]
	v_add_f64 v[70:71], v[76:77], v[18:19]
	v_add_f64 v[74:75], v[92:93], -v[74:75]
	v_add_f64 v[18:19], v[70:71], -v[18:19]
	v_cmp_le_f64_e32 vcc, 0.5, v[70:71]
	v_add_f64 v[16:17], v[74:75], v[16:17]
	v_add_f64 v[18:19], v[76:77], -v[18:19]
	v_addc_co_u32_e64 v74, s[0:1], 0, v21, vcc
	v_cndmask_b32_e32 v21, 0, v84, vcc
	v_add_f64 v[16:17], v[16:17], v[18:19]
	v_add_f64 v[18:19], v[70:71], -v[20:21]
	v_add_f64 v[70:71], v[18:19], v[16:17]
	v_add_f64 v[18:19], v[70:71], -v[18:19]
	s_mov_b32 s10, s14
	v_add_f64 v[16:17], v[16:17], -v[18:19]
	v_mul_f64 v[18:19], v[70:71], s[10:11]
	v_fma_f64 v[72:73], v[70:71], s[10:11], -v[18:19]
	s_mov_b32 s19, s17
	v_fmac_f64_e32 v[72:73], s[18:19], v[70:71]
	v_fmac_f64_e32 v[72:73], s[10:11], v[16:17]
	v_add_f64 v[16:17], v[18:19], v[72:73]
	v_add_f64 v[18:19], v[16:17], -v[18:19]
	v_add_f64 v[18:19], v[72:73], -v[18:19]
	s_andn2_saveexec_b64 s[0:1], s[90:91]
	s_cbranch_execz .LBB100_269
	s_branch .LBB100_268
.LBB100_267:                            ;   in Loop: Header=BB100_180 Depth=1
	s_andn2_saveexec_b64 s[0:1], s[90:91]
	s_cbranch_execz .LBB100_269
.LBB100_268:                            ;   in Loop: Header=BB100_180 Depth=1
	v_mul_f64 v[16:17], |v[8:9]|, s[20:21]
	v_rndne_f64_e32 v[70:71], v[16:17]
	v_fma_f64 v[16:17], v[70:71], s[14:15], |v[8:9]|
	v_mul_f64 v[72:73], v[70:71], s[22:23]
	v_add_f64 v[76:77], v[16:17], v[72:73]
	v_fma_f64 v[18:19], s[22:23], v[70:71], v[16:17]
	s_mov_b32 s16, s22
	v_add_f64 v[16:17], v[16:17], -v[76:77]
	v_fma_f64 v[74:75], s[16:17], v[70:71], v[72:73]
	v_add_f64 v[16:17], v[16:17], v[72:73]
	v_add_f64 v[72:73], v[76:77], -v[18:19]
	v_add_f64 v[16:17], v[72:73], v[16:17]
	v_add_f64 v[72:73], v[16:17], -v[74:75]
	v_fmac_f64_e32 v[72:73], s[24:25], v[70:71]
	v_add_f64 v[16:17], v[18:19], v[72:73]
	v_add_f64 v[18:19], v[16:17], -v[18:19]
	v_add_f64 v[18:19], v[72:73], -v[18:19]
	v_cvt_i32_f64_e32 v74, v[70:71]
.LBB100_269:                            ;   in Loop: Header=BB100_180 Depth=1
	s_or_b64 exec, exec, s[0:1]
                                        ; implicit-def: $vgpr75
                                        ; implicit-def: $vgpr70_vgpr71
                                        ; implicit-def: $vgpr72_vgpr73
	s_and_saveexec_b64 s[0:1], s[88:89]
	s_xor_b64 s[88:89], exec, s[0:1]
	s_cbranch_execz .LBB100_271
; %bb.270:                              ;   in Loop: Header=BB100_180 Depth=1
	v_and_b32_e32 v21, 0x7fffffff, v9
	v_ldexp_f64 v[76:77], |v[8:9]|, s43
	v_cmp_ge_f64_e64 vcc, |v[8:9]|, s[6:7]
	v_trig_preop_f64 v[70:71], |v[8:9]|, 0
	v_cndmask_b32_e32 v77, v21, v77, vcc
	v_cndmask_b32_e32 v76, v8, v76, vcc
	v_trig_preop_f64 v[72:73], |v[8:9]|, 1
	v_mul_f64 v[80:81], v[70:71], v[76:77]
	v_mul_f64 v[78:79], v[72:73], v[76:77]
	v_fma_f64 v[70:71], v[70:71], v[76:77], -v[80:81]
	v_add_f64 v[88:89], v[78:79], v[70:71]
	v_add_f64 v[90:91], v[80:81], v[88:89]
	v_ldexp_f64 v[92:93], v[90:91], -2
	v_fract_f64_e32 v[94:95], v[92:93]
	v_cmp_neq_f64_e64 vcc, |v[92:93]|, s[8:9]
	v_cndmask_b32_e32 v93, 0, v95, vcc
	v_cndmask_b32_e32 v92, 0, v94, vcc
	v_add_f64 v[94:95], v[88:89], -v[78:79]
	v_add_f64 v[70:71], v[70:71], -v[94:95]
	;; [unrolled: 1-line block ×4, first 2 shown]
	v_fma_f64 v[72:73], v[72:73], v[76:77], -v[78:79]
	v_trig_preop_f64 v[78:79], |v[8:9]|, 2
	v_add_f64 v[70:71], v[70:71], v[94:95]
	v_mul_f64 v[94:95], v[78:79], v[76:77]
	v_add_f64 v[96:97], v[94:95], v[72:73]
	v_add_f64 v[98:99], v[96:97], v[70:71]
	v_add_f64 v[80:81], v[90:91], -v[80:81]
	v_add_f64 v[90:91], v[98:99], -v[96:97]
	;; [unrolled: 1-line block ×5, first 2 shown]
	v_add_f64 v[70:71], v[70:71], v[90:91]
	v_add_f64 v[90:91], v[96:97], -v[94:95]
	v_add_f64 v[72:73], v[72:73], -v[90:91]
	;; [unrolled: 1-line block ×4, first 2 shown]
	v_add_f64 v[72:73], v[72:73], v[90:91]
	v_add_f64 v[80:81], v[88:89], -v[80:81]
	v_add_f64 v[70:71], v[72:73], v[70:71]
	v_fma_f64 v[72:73], v[78:79], v[76:77], -v[94:95]
	v_add_f64 v[88:89], v[80:81], v[98:99]
	v_add_f64 v[70:71], v[72:73], v[70:71]
	v_ldexp_f64 v[72:73], v[92:93], 2
	v_add_f64 v[76:77], v[88:89], v[72:73]
	v_cmp_gt_f64_e32 vcc, 0, v[76:77]
	v_cndmask_b32_e32 v21, 0, v83, vcc
	v_add_f64 v[72:73], v[72:73], v[20:21]
	v_add_f64 v[76:77], v[88:89], v[72:73]
	v_cvt_i32_f64_e32 v21, v[76:77]
	v_cvt_f64_i32_e32 v[76:77], v21
	v_add_f64 v[72:73], v[72:73], -v[76:77]
	v_add_f64 v[80:81], v[88:89], -v[80:81]
	v_add_f64 v[76:77], v[88:89], v[72:73]
	v_add_f64 v[80:81], v[98:99], -v[80:81]
	v_add_f64 v[72:73], v[76:77], -v[72:73]
	v_cmp_le_f64_e32 vcc, 0.5, v[76:77]
	v_add_f64 v[70:71], v[80:81], v[70:71]
	v_add_f64 v[72:73], v[88:89], -v[72:73]
	v_addc_co_u32_e64 v75, s[0:1], 0, v21, vcc
	v_cndmask_b32_e32 v21, 0, v84, vcc
	v_add_f64 v[70:71], v[70:71], v[72:73]
	v_add_f64 v[72:73], v[76:77], -v[20:21]
	v_add_f64 v[76:77], v[72:73], v[70:71]
	v_add_f64 v[72:73], v[76:77], -v[72:73]
	s_mov_b32 s10, s14
	v_add_f64 v[70:71], v[70:71], -v[72:73]
	v_mul_f64 v[72:73], v[76:77], s[10:11]
	v_fma_f64 v[78:79], v[76:77], s[10:11], -v[72:73]
	s_mov_b32 s19, s17
	v_fmac_f64_e32 v[78:79], s[18:19], v[76:77]
	v_fmac_f64_e32 v[78:79], s[10:11], v[70:71]
	v_add_f64 v[70:71], v[72:73], v[78:79]
	v_add_f64 v[72:73], v[70:71], -v[72:73]
	v_add_f64 v[72:73], v[78:79], -v[72:73]
	s_andn2_saveexec_b64 s[0:1], s[88:89]
	s_cbranch_execnz .LBB100_272
	s_branch .LBB100_273
.LBB100_271:                            ;   in Loop: Header=BB100_180 Depth=1
	s_andn2_saveexec_b64 s[0:1], s[88:89]
	s_cbranch_execz .LBB100_273
.LBB100_272:                            ;   in Loop: Header=BB100_180 Depth=1
	v_mul_f64 v[70:71], |v[8:9]|, s[20:21]
	v_rndne_f64_e32 v[76:77], v[70:71]
	v_fma_f64 v[70:71], v[76:77], s[14:15], |v[8:9]|
	v_mul_f64 v[78:79], v[76:77], s[22:23]
	v_add_f64 v[88:89], v[70:71], v[78:79]
	v_fma_f64 v[72:73], s[22:23], v[76:77], v[70:71]
	s_mov_b32 s16, s22
	v_add_f64 v[70:71], v[70:71], -v[88:89]
	v_fma_f64 v[80:81], s[16:17], v[76:77], v[78:79]
	v_add_f64 v[70:71], v[70:71], v[78:79]
	v_add_f64 v[78:79], v[88:89], -v[72:73]
	v_add_f64 v[70:71], v[78:79], v[70:71]
	v_add_f64 v[78:79], v[70:71], -v[80:81]
	v_fmac_f64_e32 v[78:79], s[24:25], v[76:77]
	v_add_f64 v[70:71], v[72:73], v[78:79]
	v_add_f64 v[72:73], v[70:71], -v[72:73]
	v_add_f64 v[72:73], v[78:79], -v[72:73]
	v_cvt_i32_f64_e32 v75, v[76:77]
.LBB100_273:                            ;   in Loop: Header=BB100_180 Depth=1
	s_or_b64 exec, exec, s[0:1]
	v_mul_f64 v[76:77], v[16:17], v[16:17]
	v_pk_mov_b32 v[90:91], s[58:59], s[58:59] op_sel:[0,1]
	v_mul_f64 v[78:79], v[76:77], 0.5
	v_fma_f64 v[92:93], s[60:61], v[76:77], v[90:91]
	v_add_f64 v[80:81], -v[78:79], 1.0
	v_fma_f64 v[92:93], v[76:77], v[92:93], s[62:63]
	v_add_f64 v[88:89], -v[80:81], 1.0
	v_fma_f64 v[92:93], v[76:77], v[92:93], s[64:65]
	v_add_f64 v[78:79], v[88:89], -v[78:79]
	v_fma_f64 v[92:93], v[76:77], v[92:93], s[66:67]
	v_mul_f64 v[88:89], v[76:77], v[76:77]
	v_fma_f64 v[92:93], v[76:77], v[92:93], s[50:51]
	v_fma_f64 v[78:79], v[16:17], -v[18:19], v[78:79]
	v_fmac_f64_e32 v[78:79], v[88:89], v[92:93]
	v_add_f64 v[78:79], v[80:81], v[78:79]
	v_pk_mov_b32 v[80:81], s[68:69], s[68:69] op_sel:[0,1]
	v_fma_f64 v[88:89], s[70:71], v[76:77], v[80:81]
	v_fma_f64 v[88:89], v[76:77], v[88:89], s[72:73]
	;; [unrolled: 1-line block ×4, first 2 shown]
	v_mul_f64 v[92:93], v[16:17], -v[76:77]
	v_mul_f64 v[94:95], v[18:19], 0.5
	v_fmac_f64_e32 v[94:95], v[92:93], v[88:89]
	v_fma_f64 v[18:19], v[76:77], v[94:95], -v[18:19]
	s_mov_b32 s76, s50
	v_fmac_f64_e32 v[18:19], s[76:77], v[92:93]
	v_and_b32_e32 v8, 1, v74
	v_add_f64 v[16:17], v[16:17], -v[18:19]
	v_cmp_eq_u32_e32 vcc, 0, v8
	v_cndmask_b32_e32 v8, v78, v16, vcc
	v_cndmask_b32_e32 v16, v79, v17, vcc
	v_lshlrev_b32_e32 v17, 30, v74
	v_xor_b32_e32 v9, v17, v9
	v_and_b32_e32 v9, 0x80000000, v9
	v_xor_b32_e32 v9, v16, v9
	v_mul_f64 v[16:17], |v[10:11]|, s[38:39]
	v_rndne_f64_e32 v[16:17], v[16:17]
	v_fma_f64 v[18:19], v[16:17], s[28:29], -|v[10:11]|
	v_fmac_f64_e32 v[18:19], s[34:35], v[16:17]
	v_pk_mov_b32 v[76:77], v[52:53], v[52:53] op_sel:[0,1]
	v_fmac_f64_e32 v[76:77], s[46:47], v[18:19]
	v_pk_mov_b32 v[78:79], v[54:55], v[54:55] op_sel:[0,1]
	;; [unrolled: 2-line block ×9, first 2 shown]
	v_fmac_f64_e32 v[76:77], v[18:19], v[78:79]
	v_fma_f64 v[76:77], v[18:19], v[76:77], 1.0
	v_cmp_ngt_f64_e64 vcc, |v[10:11]|, s[78:79]
	v_xor_b32_e32 v10, 0x80000000, v11
	v_fma_f64 v[18:19], v[18:19], v[76:77], 1.0
	v_cvt_i32_f64_e32 v16, v[16:17]
	v_bfi_b32 v21, s95, v84, v10
	v_mul_f64 v[10:11], v[70:71], v[70:71]
	v_ldexp_f64 v[16:17], v[18:19], v16
	v_mul_f64 v[18:19], v[10:11], 0.5
	v_fmac_f64_e32 v[90:91], s[60:61], v[10:11]
	v_add_f64 v[76:77], -v[18:19], 1.0
	v_fma_f64 v[88:89], v[10:11], v[90:91], s[62:63]
	v_add_f64 v[78:79], -v[76:77], 1.0
	v_fma_f64 v[88:89], v[10:11], v[88:89], s[64:65]
	v_add_f64 v[18:19], v[78:79], -v[18:19]
	v_fma_f64 v[88:89], v[10:11], v[88:89], s[66:67]
	v_mul_f64 v[78:79], v[10:11], v[10:11]
	v_fma_f64 v[88:89], v[10:11], v[88:89], s[50:51]
	v_fma_f64 v[18:19], v[70:71], -v[72:73], v[18:19]
	v_fmac_f64_e32 v[18:19], v[78:79], v[88:89]
	v_fmac_f64_e32 v[80:81], s[70:71], v[10:11]
	v_add_f64 v[18:19], v[76:77], v[18:19]
	v_fma_f64 v[76:77], v[10:11], v[80:81], s[72:73]
	v_fma_f64 v[76:77], v[10:11], v[76:77], s[74:75]
	;; [unrolled: 1-line block ×3, first 2 shown]
	v_mul_f64 v[78:79], v[70:71], -v[10:11]
	v_mul_f64 v[80:81], v[72:73], 0.5
	v_fmac_f64_e32 v[80:81], v[78:79], v[76:77]
	v_fma_f64 v[10:11], v[10:11], v[80:81], -v[72:73]
	v_fmac_f64_e32 v[10:11], s[76:77], v[78:79]
	v_add_f64 v[10:11], v[70:71], -v[10:11]
	v_and_b32_e32 v70, 1, v75
	v_cndmask_b32_e32 v17, 0, v17, vcc
	v_cndmask_b32_e32 v16, 0, v16, vcc
	v_cmp_eq_u32_e32 vcc, 0, v70
	v_xor_b32_e32 v11, 0x80000000, v11
	v_cndmask_b32_e32 v10, v10, v18, vcc
	v_lshlrev_b32_e32 v18, 30, v75
	v_cndmask_b32_e32 v11, v11, v19, vcc
	v_and_b32_e32 v18, 0x80000000, v18
	v_mul_f64 v[8:9], v[8:9], 4.0
	v_xor_b32_e32 v11, v11, v18
	v_mul_f64 v[8:9], v[8:9], v[10:11]
	v_mul_f64 v[8:9], v[16:17], v[8:9]
	;; [unrolled: 1-line block ×3, first 2 shown]
	v_pk_mov_b32 v[18:19], v[20:21], v[20:21] op_sel:[0,1]
.LBB100_274:                            ;   in Loop: Header=BB100_180 Depth=1
	s_or_b64 exec, exec, s[86:87]
                                        ; implicit-def: $vgpr8_vgpr9
.LBB100_275:                            ;   in Loop: Header=BB100_180 Depth=1
	s_andn2_saveexec_b64 s[0:1], s[84:85]
; %bb.276:                              ;   in Loop: Header=BB100_180 Depth=1
	v_add_f64 v[16:17], v[8:9], -v[8:9]
	v_pk_mov_b32 v[18:19], v[16:17], v[16:17] op_sel:[0,1]
; %bb.277:                              ;   in Loop: Header=BB100_180 Depth=1
	s_or_b64 exec, exec, s[0:1]
                                        ; implicit-def: $vgpr8_vgpr9
.LBB100_278:                            ;   in Loop: Header=BB100_180 Depth=1
	s_andn2_saveexec_b64 s[82:83], s[82:83]
	s_cbranch_execz .LBB100_294
; %bb.279:                              ;   in Loop: Header=BB100_180 Depth=1
	v_and_or_b32 v16, v19, s44, v18
	v_cmp_ne_u32_e32 vcc, 0, v16
	s_and_saveexec_b64 s[0:1], vcc
	s_xor_b64 s[0:1], exec, s[0:1]
; %bb.280:                              ;   in Loop: Header=BB100_180 Depth=1
	v_mul_f64 v[10:11], v[8:9], -v[10:11]
	v_cmp_eq_f64_e32 vcc, 0, v[8:9]
	v_cndmask_b32_e32 v17, v11, v9, vcc
	v_cndmask_b32_e32 v16, v10, v8, vcc
                                        ; implicit-def: $vgpr8_vgpr9
; %bb.281:                              ;   in Loop: Header=BB100_180 Depth=1
	s_andn2_saveexec_b64 s[84:85], s[0:1]
	s_cbranch_execz .LBB100_293
; %bb.282:                              ;   in Loop: Header=BB100_180 Depth=1
	v_cmp_neq_f64_e64 s[0:1], |v[8:9]|, s[8:9]
	s_and_saveexec_b64 s[86:87], s[0:1]
	s_cbranch_execz .LBB100_292
; %bb.283:                              ;   in Loop: Header=BB100_180 Depth=1
	v_cmp_nlt_f64_e64 s[88:89], |v[8:9]|, s[4:5]
	v_trig_preop_f64 v[74:75], |v[8:9]|, 0
	v_trig_preop_f64 v[72:73], |v[8:9]|, 1
	v_ldexp_f64 v[76:77], |v[8:9]|, s43
	v_trig_preop_f64 v[70:71], |v[8:9]|, 2
	v_and_b32_e32 v89, 0x7fffffff, v9
                                        ; implicit-def: $vgpr88
                                        ; implicit-def: $vgpr10_vgpr11
                                        ; implicit-def: $vgpr16_vgpr17
	s_and_saveexec_b64 s[0:1], s[88:89]
	s_xor_b64 s[90:91], exec, s[0:1]
	s_cbranch_execz .LBB100_285
; %bb.284:                              ;   in Loop: Header=BB100_180 Depth=1
	v_cmp_ge_f64_e64 vcc, |v[8:9]|, s[6:7]
	v_cndmask_b32_e32 v11, v89, v77, vcc
	v_cndmask_b32_e32 v10, v8, v76, vcc
	v_mul_f64 v[78:79], v[74:75], v[10:11]
	v_mul_f64 v[16:17], v[72:73], v[10:11]
	v_fma_f64 v[80:81], v[74:75], v[10:11], -v[78:79]
	v_add_f64 v[90:91], v[16:17], v[80:81]
	v_add_f64 v[92:93], v[78:79], v[90:91]
	v_ldexp_f64 v[94:95], v[92:93], -2
	v_fract_f64_e32 v[96:97], v[94:95]
	v_cmp_neq_f64_e64 vcc, |v[94:95]|, s[8:9]
	v_cndmask_b32_e32 v95, 0, v97, vcc
	v_cndmask_b32_e32 v94, 0, v96, vcc
	v_add_f64 v[96:97], v[90:91], -v[16:17]
	v_add_f64 v[80:81], v[80:81], -v[96:97]
	;; [unrolled: 1-line block ×4, first 2 shown]
	v_add_f64 v[80:81], v[80:81], v[96:97]
	v_fma_f64 v[16:17], v[72:73], v[10:11], -v[16:17]
	v_mul_f64 v[96:97], v[70:71], v[10:11]
	v_add_f64 v[98:99], v[96:97], v[16:17]
	v_add_f64 v[100:101], v[98:99], v[80:81]
	v_add_f64 v[78:79], v[92:93], -v[78:79]
	v_add_f64 v[92:93], v[100:101], -v[98:99]
	;; [unrolled: 1-line block ×5, first 2 shown]
	v_add_f64 v[80:81], v[80:81], v[92:93]
	v_add_f64 v[92:93], v[98:99], -v[96:97]
	v_add_f64 v[16:17], v[16:17], -v[92:93]
	;; [unrolled: 1-line block ×5, first 2 shown]
	v_add_f64 v[90:91], v[78:79], v[100:101]
	v_add_f64 v[16:17], v[16:17], v[92:93]
	v_add_f64 v[78:79], v[90:91], -v[78:79]
	v_add_f64 v[16:17], v[16:17], v[80:81]
	v_fma_f64 v[10:11], v[70:71], v[10:11], -v[96:97]
	v_add_f64 v[78:79], v[100:101], -v[78:79]
	v_add_f64 v[10:11], v[10:11], v[16:17]
	v_ldexp_f64 v[16:17], v[94:95], 2
	v_add_f64 v[10:11], v[78:79], v[10:11]
	v_add_f64 v[78:79], v[90:91], v[16:17]
	v_cmp_gt_f64_e32 vcc, 0, v[78:79]
	v_cndmask_b32_e32 v21, 0, v83, vcc
	v_add_f64 v[16:17], v[16:17], v[20:21]
	v_add_f64 v[78:79], v[90:91], v[16:17]
	v_cvt_i32_f64_e32 v21, v[78:79]
	v_cvt_f64_i32_e32 v[78:79], v21
	v_add_f64 v[16:17], v[16:17], -v[78:79]
	v_add_f64 v[78:79], v[90:91], v[16:17]
	v_add_f64 v[16:17], v[78:79], -v[16:17]
	v_cmp_le_f64_e32 vcc, 0.5, v[78:79]
	v_add_f64 v[16:17], v[90:91], -v[16:17]
	v_addc_co_u32_e64 v88, s[0:1], 0, v21, vcc
	v_cndmask_b32_e32 v21, 0, v84, vcc
	v_add_f64 v[10:11], v[10:11], v[16:17]
	v_add_f64 v[16:17], v[78:79], -v[20:21]
	v_add_f64 v[78:79], v[16:17], v[10:11]
	v_add_f64 v[16:17], v[78:79], -v[16:17]
	s_mov_b32 s10, s14
	v_add_f64 v[10:11], v[10:11], -v[16:17]
	v_mul_f64 v[16:17], v[78:79], s[10:11]
	v_fma_f64 v[80:81], v[78:79], s[10:11], -v[16:17]
	s_mov_b32 s19, s17
	v_fmac_f64_e32 v[80:81], s[18:19], v[78:79]
	v_fmac_f64_e32 v[80:81], s[10:11], v[10:11]
	v_add_f64 v[10:11], v[16:17], v[80:81]
	v_add_f64 v[16:17], v[10:11], -v[16:17]
	v_add_f64 v[16:17], v[80:81], -v[16:17]
	s_andn2_saveexec_b64 s[0:1], s[90:91]
	s_cbranch_execz .LBB100_287
	s_branch .LBB100_286
.LBB100_285:                            ;   in Loop: Header=BB100_180 Depth=1
	s_andn2_saveexec_b64 s[0:1], s[90:91]
	s_cbranch_execz .LBB100_287
.LBB100_286:                            ;   in Loop: Header=BB100_180 Depth=1
	v_mul_f64 v[10:11], |v[8:9]|, s[20:21]
	v_rndne_f64_e32 v[78:79], v[10:11]
	v_fma_f64 v[10:11], v[78:79], s[14:15], |v[8:9]|
	v_mul_f64 v[80:81], v[78:79], s[22:23]
	v_add_f64 v[92:93], v[10:11], v[80:81]
	v_fma_f64 v[16:17], s[22:23], v[78:79], v[10:11]
	s_mov_b32 s16, s22
	v_add_f64 v[10:11], v[10:11], -v[92:93]
	v_fma_f64 v[90:91], s[16:17], v[78:79], v[80:81]
	v_add_f64 v[10:11], v[10:11], v[80:81]
	v_add_f64 v[80:81], v[92:93], -v[16:17]
	v_add_f64 v[10:11], v[80:81], v[10:11]
	v_add_f64 v[80:81], v[10:11], -v[90:91]
	v_fmac_f64_e32 v[80:81], s[24:25], v[78:79]
	v_add_f64 v[10:11], v[16:17], v[80:81]
	v_add_f64 v[16:17], v[10:11], -v[16:17]
	v_add_f64 v[16:17], v[80:81], -v[16:17]
	v_cvt_i32_f64_e32 v88, v[78:79]
.LBB100_287:                            ;   in Loop: Header=BB100_180 Depth=1
	s_or_b64 exec, exec, s[0:1]
                                        ; implicit-def: $vgpr90
                                        ; implicit-def: $vgpr78_vgpr79
                                        ; implicit-def: $vgpr80_vgpr81
	s_and_saveexec_b64 s[0:1], s[88:89]
	s_xor_b64 s[88:89], exec, s[0:1]
	s_cbranch_execz .LBB100_289
; %bb.288:                              ;   in Loop: Header=BB100_180 Depth=1
	v_cmp_ge_f64_e64 vcc, |v[8:9]|, s[6:7]
	v_cndmask_b32_e32 v77, v89, v77, vcc
	v_cndmask_b32_e32 v76, v8, v76, vcc
	v_mul_f64 v[80:81], v[74:75], v[76:77]
	v_mul_f64 v[78:79], v[72:73], v[76:77]
	v_fma_f64 v[74:75], v[74:75], v[76:77], -v[80:81]
	v_add_f64 v[90:91], v[78:79], v[74:75]
	v_add_f64 v[92:93], v[80:81], v[90:91]
	v_ldexp_f64 v[94:95], v[92:93], -2
	v_fract_f64_e32 v[96:97], v[94:95]
	v_cmp_neq_f64_e64 vcc, |v[94:95]|, s[8:9]
	v_cndmask_b32_e32 v95, 0, v97, vcc
	v_cndmask_b32_e32 v94, 0, v96, vcc
	v_add_f64 v[96:97], v[90:91], -v[78:79]
	v_add_f64 v[74:75], v[74:75], -v[96:97]
	;; [unrolled: 1-line block ×4, first 2 shown]
	v_fma_f64 v[72:73], v[72:73], v[76:77], -v[78:79]
	v_mul_f64 v[78:79], v[70:71], v[76:77]
	v_add_f64 v[74:75], v[74:75], v[96:97]
	v_add_f64 v[96:97], v[78:79], v[72:73]
	;; [unrolled: 1-line block ×3, first 2 shown]
	v_add_f64 v[80:81], v[92:93], -v[80:81]
	v_add_f64 v[92:93], v[98:99], -v[96:97]
	;; [unrolled: 1-line block ×5, first 2 shown]
	v_add_f64 v[74:75], v[74:75], v[92:93]
	v_add_f64 v[92:93], v[96:97], -v[78:79]
	v_add_f64 v[72:73], v[72:73], -v[92:93]
	;; [unrolled: 1-line block ×4, first 2 shown]
	v_add_f64 v[72:73], v[72:73], v[92:93]
	v_add_f64 v[80:81], v[90:91], -v[80:81]
	v_add_f64 v[72:73], v[72:73], v[74:75]
	v_fma_f64 v[70:71], v[70:71], v[76:77], -v[78:79]
	v_add_f64 v[90:91], v[80:81], v[98:99]
	v_add_f64 v[70:71], v[70:71], v[72:73]
	v_ldexp_f64 v[72:73], v[94:95], 2
	v_add_f64 v[74:75], v[90:91], v[72:73]
	v_cmp_gt_f64_e32 vcc, 0, v[74:75]
	v_cndmask_b32_e32 v21, 0, v83, vcc
	v_add_f64 v[72:73], v[72:73], v[20:21]
	v_add_f64 v[74:75], v[90:91], v[72:73]
	v_cvt_i32_f64_e32 v21, v[74:75]
	v_cvt_f64_i32_e32 v[74:75], v21
	v_add_f64 v[72:73], v[72:73], -v[74:75]
	v_add_f64 v[80:81], v[90:91], -v[80:81]
	v_add_f64 v[74:75], v[90:91], v[72:73]
	v_add_f64 v[80:81], v[98:99], -v[80:81]
	v_add_f64 v[72:73], v[74:75], -v[72:73]
	v_cmp_le_f64_e32 vcc, 0.5, v[74:75]
	v_add_f64 v[70:71], v[80:81], v[70:71]
	v_add_f64 v[72:73], v[90:91], -v[72:73]
	v_addc_co_u32_e64 v90, s[0:1], 0, v21, vcc
	v_cndmask_b32_e32 v21, 0, v84, vcc
	v_add_f64 v[70:71], v[70:71], v[72:73]
	v_add_f64 v[72:73], v[74:75], -v[20:21]
	v_add_f64 v[74:75], v[72:73], v[70:71]
	v_add_f64 v[72:73], v[74:75], -v[72:73]
	s_mov_b32 s10, s14
	v_add_f64 v[70:71], v[70:71], -v[72:73]
	v_mul_f64 v[72:73], v[74:75], s[10:11]
	v_fma_f64 v[76:77], v[74:75], s[10:11], -v[72:73]
	s_mov_b32 s19, s17
	v_fmac_f64_e32 v[76:77], s[18:19], v[74:75]
	v_fmac_f64_e32 v[76:77], s[10:11], v[70:71]
	v_add_f64 v[78:79], v[72:73], v[76:77]
	v_add_f64 v[70:71], v[78:79], -v[72:73]
	v_add_f64 v[80:81], v[76:77], -v[70:71]
	s_andn2_saveexec_b64 s[0:1], s[88:89]
	s_cbranch_execnz .LBB100_290
	s_branch .LBB100_291
.LBB100_289:                            ;   in Loop: Header=BB100_180 Depth=1
	s_andn2_saveexec_b64 s[0:1], s[88:89]
	s_cbranch_execz .LBB100_291
.LBB100_290:                            ;   in Loop: Header=BB100_180 Depth=1
	v_mul_f64 v[70:71], |v[8:9]|, s[20:21]
	v_rndne_f64_e32 v[70:71], v[70:71]
	v_fma_f64 v[72:73], v[70:71], s[14:15], |v[8:9]|
	v_mul_f64 v[76:77], v[70:71], s[22:23]
	v_add_f64 v[80:81], v[72:73], v[76:77]
	v_fma_f64 v[74:75], s[22:23], v[70:71], v[72:73]
	s_mov_b32 s16, s22
	v_add_f64 v[72:73], v[72:73], -v[80:81]
	v_fma_f64 v[78:79], s[16:17], v[70:71], v[76:77]
	v_add_f64 v[72:73], v[72:73], v[76:77]
	v_add_f64 v[76:77], v[80:81], -v[74:75]
	v_add_f64 v[72:73], v[76:77], v[72:73]
	v_add_f64 v[72:73], v[72:73], -v[78:79]
	v_fmac_f64_e32 v[72:73], s[24:25], v[70:71]
	v_add_f64 v[78:79], v[74:75], v[72:73]
	v_add_f64 v[74:75], v[78:79], -v[74:75]
	v_add_f64 v[80:81], v[72:73], -v[74:75]
	v_cvt_i32_f64_e32 v90, v[70:71]
.LBB100_291:                            ;   in Loop: Header=BB100_180 Depth=1
	s_or_b64 exec, exec, s[0:1]
	v_mul_f64 v[70:71], v[10:11], v[10:11]
	v_pk_mov_b32 v[92:93], s[58:59], s[58:59] op_sel:[0,1]
	v_mul_f64 v[72:73], v[70:71], 0.5
	v_fma_f64 v[94:95], s[60:61], v[70:71], v[92:93]
	v_add_f64 v[74:75], -v[72:73], 1.0
	v_fma_f64 v[94:95], v[70:71], v[94:95], s[62:63]
	v_add_f64 v[76:77], -v[74:75], 1.0
	v_fma_f64 v[94:95], v[70:71], v[94:95], s[64:65]
	v_add_f64 v[72:73], v[76:77], -v[72:73]
	v_fma_f64 v[94:95], v[70:71], v[94:95], s[66:67]
	v_mul_f64 v[76:77], v[70:71], v[70:71]
	v_fma_f64 v[94:95], v[70:71], v[94:95], s[50:51]
	v_fma_f64 v[72:73], v[10:11], -v[16:17], v[72:73]
	v_fmac_f64_e32 v[72:73], v[76:77], v[94:95]
	v_add_f64 v[72:73], v[74:75], v[72:73]
	v_pk_mov_b32 v[74:75], s[68:69], s[68:69] op_sel:[0,1]
	v_fma_f64 v[76:77], s[70:71], v[70:71], v[74:75]
	v_fma_f64 v[76:77], v[70:71], v[76:77], s[72:73]
	;; [unrolled: 1-line block ×4, first 2 shown]
	v_mul_f64 v[94:95], v[10:11], -v[70:71]
	v_mul_f64 v[96:97], v[16:17], 0.5
	v_fmac_f64_e32 v[96:97], v[94:95], v[76:77]
	v_fma_f64 v[16:17], v[70:71], v[96:97], -v[16:17]
	s_mov_b32 s76, s50
	v_fmac_f64_e32 v[16:17], s[76:77], v[94:95]
	v_add_f64 v[10:11], v[10:11], -v[16:17]
	v_and_b32_e32 v16, 1, v88
	v_cmp_eq_u32_e32 vcc, 0, v16
	v_lshlrev_b32_e32 v16, 30, v88
	v_xor_b32_e32 v16, v16, v9
	v_cndmask_b32_e32 v11, v73, v11, vcc
	v_and_b32_e32 v16, 0x80000000, v16
	v_cndmask_b32_e32 v10, v72, v10, vcc
	v_xor_b32_e32 v11, v11, v16
	v_cmp_class_f64_e64 vcc, v[8:9], s27
	v_cndmask_b32_e32 v8, 0, v10, vcc
	v_cndmask_b32_e32 v9, v87, v11, vcc
	v_mul_f64 v[10:11], v[78:79], v[78:79]
	v_mul_f64 v[16:17], v[10:11], 0.5
	v_fmac_f64_e32 v[92:93], s[60:61], v[10:11]
	v_add_f64 v[70:71], -v[16:17], 1.0
	v_fma_f64 v[76:77], v[10:11], v[92:93], s[62:63]
	v_add_f64 v[72:73], -v[70:71], 1.0
	v_fma_f64 v[76:77], v[10:11], v[76:77], s[64:65]
	v_add_f64 v[16:17], v[72:73], -v[16:17]
	v_fma_f64 v[76:77], v[10:11], v[76:77], s[66:67]
	v_mul_f64 v[72:73], v[10:11], v[10:11]
	v_fma_f64 v[76:77], v[10:11], v[76:77], s[50:51]
	v_fma_f64 v[16:17], v[78:79], -v[80:81], v[16:17]
	v_fmac_f64_e32 v[16:17], v[72:73], v[76:77]
	v_fmac_f64_e32 v[74:75], s[70:71], v[10:11]
	v_add_f64 v[16:17], v[70:71], v[16:17]
	v_fma_f64 v[70:71], v[10:11], v[74:75], s[72:73]
	v_fma_f64 v[70:71], v[10:11], v[70:71], s[74:75]
	;; [unrolled: 1-line block ×3, first 2 shown]
	v_mul_f64 v[72:73], v[78:79], -v[10:11]
	v_mul_f64 v[74:75], v[80:81], 0.5
	v_fmac_f64_e32 v[74:75], v[72:73], v[70:71]
	v_fma_f64 v[10:11], v[10:11], v[74:75], -v[80:81]
	v_fmac_f64_e32 v[10:11], s[76:77], v[72:73]
	v_and_b32_e32 v21, 1, v90
	v_add_f64 v[10:11], v[78:79], -v[10:11]
	v_cmp_eq_u32_e64 s[0:1], 0, v21
	v_xor_b32_e32 v11, 0x80000000, v11
	v_cndmask_b32_e64 v10, v10, v16, s[0:1]
	v_lshlrev_b32_e32 v16, 30, v90
	v_cndmask_b32_e64 v11, v11, v17, s[0:1]
	v_and_b32_e32 v16, 0x80000000, v16
	v_xor_b32_e32 v11, v11, v16
	v_cndmask_b32_e32 v10, 0, v10, vcc
	v_cndmask_b32_e32 v11, v87, v11, vcc
	v_mul_f64 v[8:9], v[8:9], v[10:11]
.LBB100_292:                            ;   in Loop: Header=BB100_180 Depth=1
	s_or_b64 exec, exec, s[86:87]
	v_add_co_u32_e32 v18, vcc, 0, v18
	v_bfi_b32 v21, s95, 0, v9
	v_addc_co_u32_e32 v19, vcc, -2.0, v19, vcc
	v_pk_mov_b32 v[16:17], v[20:21], v[20:21] op_sel:[0,1]
.LBB100_293:                            ;   in Loop: Header=BB100_180 Depth=1
	s_or_b64 exec, exec, s[84:85]
.LBB100_294:                            ;   in Loop: Header=BB100_180 Depth=1
	s_or_b64 exec, exec, s[82:83]
	v_xor_b32_e32 v11, 0x80000000, v3
	v_and_b32_e32 v21, 0x7fffffff, v11
	v_mov_b32_e32 v10, v2
	v_cmp_gt_u32_e32 vcc, s26, v21
	s_and_saveexec_b64 s[0:1], vcc
	s_xor_b64 s[82:83], exec, s[0:1]
	s_cbranch_execz .LBB100_316
; %bb.295:                              ;   in Loop: Header=BB100_180 Depth=1
	v_cmp_class_f64_e64 s[0:1], v[0:1], s27
                                        ; implicit-def: $vgpr8_vgpr9
	s_and_saveexec_b64 s[84:85], s[0:1]
	s_xor_b64 s[84:85], exec, s[84:85]
	s_cbranch_execz .LBB100_313
; %bb.296:                              ;   in Loop: Header=BB100_180 Depth=1
	v_cmp_gt_u32_e32 vcc, s42, v21
                                        ; implicit-def: $vgpr8_vgpr9
	s_and_saveexec_b64 s[0:1], vcc
	s_xor_b64 s[86:87], exec, s[0:1]
	s_cbranch_execz .LBB100_302
; %bb.297:                              ;   in Loop: Header=BB100_180 Depth=1
	v_cmp_nlt_f64_e64 s[0:1], |v[0:1]|, s[4:5]
                                        ; implicit-def: $vgpr70
                                        ; implicit-def: $vgpr8_vgpr9
                                        ; implicit-def: $vgpr10_vgpr11
	s_and_saveexec_b64 s[88:89], s[0:1]
	s_xor_b64 s[88:89], exec, s[88:89]
	s_cbranch_execz .LBB100_299
; %bb.298:                              ;   in Loop: Header=BB100_180 Depth=1
	v_and_b32_e32 v21, 0x7fffffff, v1
	v_ldexp_f64 v[70:71], |v[0:1]|, s43
	v_cmp_ge_f64_e64 vcc, |v[0:1]|, s[6:7]
	v_trig_preop_f64 v[8:9], |v[0:1]|, 0
	v_cndmask_b32_e32 v71, v21, v71, vcc
	v_cndmask_b32_e32 v70, v0, v70, vcc
	v_trig_preop_f64 v[10:11], |v[0:1]|, 1
	v_mul_f64 v[74:75], v[8:9], v[70:71]
	v_mul_f64 v[72:73], v[10:11], v[70:71]
	v_fma_f64 v[8:9], v[8:9], v[70:71], -v[74:75]
	v_add_f64 v[76:77], v[72:73], v[8:9]
	v_add_f64 v[78:79], v[74:75], v[76:77]
	v_ldexp_f64 v[80:81], v[78:79], -2
	v_fract_f64_e32 v[88:89], v[80:81]
	v_cmp_neq_f64_e64 vcc, |v[80:81]|, s[8:9]
	v_cndmask_b32_e32 v81, 0, v89, vcc
	v_cndmask_b32_e32 v80, 0, v88, vcc
	v_add_f64 v[88:89], v[76:77], -v[72:73]
	v_add_f64 v[8:9], v[8:9], -v[88:89]
	;; [unrolled: 1-line block ×4, first 2 shown]
	v_fma_f64 v[10:11], v[10:11], v[70:71], -v[72:73]
	v_trig_preop_f64 v[72:73], |v[0:1]|, 2
	v_add_f64 v[8:9], v[8:9], v[88:89]
	v_mul_f64 v[88:89], v[72:73], v[70:71]
	v_add_f64 v[90:91], v[88:89], v[10:11]
	v_add_f64 v[92:93], v[90:91], v[8:9]
	v_add_f64 v[74:75], v[78:79], -v[74:75]
	v_add_f64 v[78:79], v[92:93], -v[90:91]
	;; [unrolled: 1-line block ×5, first 2 shown]
	v_add_f64 v[8:9], v[8:9], v[78:79]
	v_add_f64 v[78:79], v[90:91], -v[88:89]
	v_add_f64 v[10:11], v[10:11], -v[78:79]
	;; [unrolled: 1-line block ×4, first 2 shown]
	v_add_f64 v[10:11], v[10:11], v[78:79]
	v_add_f64 v[74:75], v[76:77], -v[74:75]
	v_add_f64 v[8:9], v[10:11], v[8:9]
	v_fma_f64 v[10:11], v[72:73], v[70:71], -v[88:89]
	v_add_f64 v[76:77], v[74:75], v[92:93]
	v_add_f64 v[8:9], v[10:11], v[8:9]
	v_ldexp_f64 v[10:11], v[80:81], 2
	v_add_f64 v[70:71], v[76:77], v[10:11]
	v_cmp_gt_f64_e32 vcc, 0, v[70:71]
	v_cndmask_b32_e32 v21, 0, v83, vcc
	v_add_f64 v[10:11], v[10:11], v[20:21]
	v_add_f64 v[70:71], v[76:77], v[10:11]
	v_cvt_i32_f64_e32 v21, v[70:71]
	v_cvt_f64_i32_e32 v[70:71], v21
	v_add_f64 v[10:11], v[10:11], -v[70:71]
	v_add_f64 v[74:75], v[76:77], -v[74:75]
	v_add_f64 v[72:73], v[76:77], v[10:11]
	v_add_f64 v[74:75], v[92:93], -v[74:75]
	v_add_f64 v[10:11], v[72:73], -v[10:11]
	v_cmp_le_f64_e32 vcc, 0.5, v[72:73]
	v_add_f64 v[8:9], v[74:75], v[8:9]
	v_add_f64 v[10:11], v[76:77], -v[10:11]
	v_addc_co_u32_e64 v70, s[0:1], 0, v21, vcc
	v_cndmask_b32_e32 v21, 0, v84, vcc
	v_add_f64 v[8:9], v[8:9], v[10:11]
	v_add_f64 v[10:11], v[72:73], -v[20:21]
	v_add_f64 v[72:73], v[10:11], v[8:9]
	v_add_f64 v[10:11], v[72:73], -v[10:11]
	s_mov_b32 s10, s14
	v_add_f64 v[8:9], v[8:9], -v[10:11]
	v_mul_f64 v[10:11], v[72:73], s[10:11]
	v_fma_f64 v[74:75], v[72:73], s[10:11], -v[10:11]
	s_mov_b32 s19, s17
	v_fmac_f64_e32 v[74:75], s[18:19], v[72:73]
	v_fmac_f64_e32 v[74:75], s[10:11], v[8:9]
	v_add_f64 v[8:9], v[10:11], v[74:75]
	v_add_f64 v[10:11], v[8:9], -v[10:11]
	v_add_f64 v[10:11], v[74:75], -v[10:11]
.LBB100_299:                            ;   in Loop: Header=BB100_180 Depth=1
	s_andn2_saveexec_b64 s[0:1], s[88:89]
	s_cbranch_execz .LBB100_301
; %bb.300:                              ;   in Loop: Header=BB100_180 Depth=1
	v_mul_f64 v[8:9], |v[0:1]|, s[20:21]
	v_rndne_f64_e32 v[70:71], v[8:9]
	v_fma_f64 v[8:9], v[70:71], s[14:15], |v[0:1]|
	v_mul_f64 v[72:73], v[70:71], s[22:23]
	v_add_f64 v[76:77], v[8:9], v[72:73]
	v_fma_f64 v[10:11], s[22:23], v[70:71], v[8:9]
	s_mov_b32 s16, s22
	v_add_f64 v[8:9], v[8:9], -v[76:77]
	v_fma_f64 v[74:75], s[16:17], v[70:71], v[72:73]
	v_add_f64 v[8:9], v[8:9], v[72:73]
	v_add_f64 v[72:73], v[76:77], -v[10:11]
	v_add_f64 v[8:9], v[72:73], v[8:9]
	v_add_f64 v[72:73], v[8:9], -v[74:75]
	v_fmac_f64_e32 v[72:73], s[24:25], v[70:71]
	v_add_f64 v[8:9], v[10:11], v[72:73]
	v_add_f64 v[10:11], v[8:9], -v[10:11]
	v_add_f64 v[10:11], v[72:73], -v[10:11]
	v_cvt_i32_f64_e32 v70, v[70:71]
.LBB100_301:                            ;   in Loop: Header=BB100_180 Depth=1
	s_or_b64 exec, exec, s[0:1]
	v_mul_f64 v[72:73], v[8:9], v[8:9]
	v_fma_f64 v[74:75], v[8:9], v[8:9], -v[72:73]
	v_add_f64 v[76:77], v[10:11], v[10:11]
	v_fmac_f64_e32 v[74:75], v[8:9], v[76:77]
	s_mov_b32 s0, 0xc751c08c
	v_add_f64 v[72:73], v[72:73], v[74:75]
	v_pk_mov_b32 v[74:75], v[26:27], v[26:27] op_sel:[0,1]
	s_mov_b32 s1, 0x3ef5e089
	v_fmac_f64_e32 v[74:75], s[0:1], v[72:73]
	v_pk_mov_b32 v[76:77], v[28:29], v[28:29] op_sel:[0,1]
	v_fmac_f64_e32 v[76:77], v[72:73], v[74:75]
	v_pk_mov_b32 v[74:75], v[30:31], v[30:31] op_sel:[0,1]
	;; [unrolled: 2-line block ×12, first 2 shown]
	v_fmac_f64_e32 v[74:75], v[72:73], v[76:77]
	v_mul_f64 v[72:73], v[72:73], v[74:75]
	v_mul_f64 v[74:75], v[8:9], v[72:73]
	v_add_f64 v[76:77], v[8:9], v[74:75]
	v_fma_f64 v[72:73], v[8:9], v[72:73], -v[74:75]
	v_add_f64 v[8:9], v[76:77], -v[8:9]
	v_add_f64 v[8:9], v[74:75], -v[8:9]
	v_add_f64 v[10:11], v[10:11], v[72:73]
	v_add_f64 v[8:9], v[10:11], v[8:9]
	;; [unrolled: 1-line block ×3, first 2 shown]
	v_rcp_f64_e32 v[72:73], v[10:11]
	v_and_b32_e32 v0, 1, v70
	v_add_f64 v[70:71], v[10:11], -v[76:77]
	v_add_f64 v[8:9], v[8:9], -v[70:71]
	v_fma_f64 v[70:71], -v[10:11], v[72:73], 1.0
	v_fmac_f64_e32 v[72:73], v[70:71], v[72:73]
	v_fma_f64 v[70:71], -v[10:11], v[72:73], 1.0
	v_fmac_f64_e32 v[72:73], v[70:71], v[72:73]
	v_mul_f64 v[70:71], v[10:11], v[72:73]
	v_fma_f64 v[74:75], v[72:73], v[10:11], -v[70:71]
	v_fmac_f64_e32 v[74:75], v[72:73], v[8:9]
	v_add_f64 v[8:9], v[70:71], v[74:75]
	v_add_f64 v[76:77], -v[8:9], 1.0
	v_add_f64 v[70:71], v[8:9], -v[70:71]
	v_add_f64 v[78:79], -v[76:77], 1.0
	v_add_f64 v[8:9], v[78:79], -v[8:9]
	v_add_f64 v[70:71], v[70:71], -v[74:75]
	v_add_f64 v[8:9], v[70:71], v[8:9]
	v_add_f64 v[8:9], v[76:77], v[8:9]
	v_mul_f64 v[8:9], v[72:73], v[8:9]
	v_add_f64 v[8:9], v[72:73], v[8:9]
	v_xor_b32_e32 v9, 0x80000000, v9
	v_cmp_eq_u32_e32 vcc, 0, v0
	v_cndmask_b32_e32 v0, v8, v10, vcc
	v_cndmask_b32_e32 v21, v9, v11, vcc
	v_add_f64 v[8:9], |v[2:3]|, s[28:29]
	v_add_f64 v[10:11], v[8:9], -|v[2:3]|
	v_add_f64 v[70:71], v[10:11], -v[8:9]
	s_mov_b32 s30, s28
	v_add_f64 v[70:71], |v[2:3]|, v[70:71]
	v_add_f64 v[10:11], v[10:11], s[30:31]
	v_add_f64 v[10:11], v[70:71], -v[10:11]
	v_add_f64 v[10:11], v[10:11], s[34:35]
	v_add_f64 v[70:71], v[8:9], v[10:11]
	v_add_f64 v[8:9], v[8:9], -v[70:71]
	s_mov_b32 s36, s38
	v_add_f64 v[8:9], v[10:11], v[8:9]
	v_mul_f64 v[10:11], v[70:71], s[36:37]
	v_rndne_f64_e32 v[10:11], v[10:11]
	s_mov_b32 s41, s29
	v_fmac_f64_e32 v[70:71], s[40:41], v[10:11]
	v_add_f64 v[72:73], v[8:9], v[70:71]
	s_mov_b32 s0, 0xf278e000
	v_add_f64 v[70:71], v[70:71], -v[72:73]
	s_mov_b32 s1, 0xbd53de6a
	v_add_f64 v[8:9], v[8:9], v[70:71]
	v_mul_f64 v[70:71], v[10:11], s[0:1]
	v_add_f64 v[74:75], v[72:73], v[70:71]
	v_add_f64 v[72:73], v[72:73], -v[74:75]
	v_add_f64 v[70:71], v[72:73], v[70:71]
	v_add_f64 v[8:9], v[8:9], v[70:71]
	;; [unrolled: 1-line block ×3, first 2 shown]
	s_mov_b32 s0, 0xf97b57a0
	v_add_f64 v[72:73], v[74:75], -v[70:71]
	s_mov_b32 s1, 0xbac9cc01
	v_add_f64 v[8:9], v[8:9], v[72:73]
	v_mul_f64 v[72:73], v[10:11], s[0:1]
	v_add_f64 v[74:75], v[70:71], v[72:73]
	v_add_f64 v[70:71], v[70:71], -v[74:75]
	v_add_f64 v[70:71], v[70:71], v[72:73]
	v_add_f64 v[8:9], v[8:9], v[70:71]
	;; [unrolled: 1-line block ×3, first 2 shown]
	v_add_f64 v[72:73], v[74:75], -v[70:71]
	v_add_f64 v[8:9], v[8:9], v[72:73]
	v_pk_mov_b32 v[72:73], v[52:53], v[52:53] op_sel:[0,1]
	v_fmac_f64_e32 v[72:73], s[46:47], v[70:71]
	v_pk_mov_b32 v[74:75], v[54:55], v[54:55] op_sel:[0,1]
	v_fmac_f64_e32 v[74:75], v[70:71], v[72:73]
	;; [unrolled: 2-line block ×9, first 2 shown]
	v_mul_f64 v[74:75], v[70:71], v[70:71]
	v_fma_f64 v[76:77], v[70:71], v[70:71], -v[74:75]
	v_add_f64 v[78:79], v[8:9], v[8:9]
	v_fmac_f64_e32 v[76:77], v[70:71], v[78:79]
	v_add_f64 v[78:79], v[74:75], v[76:77]
	v_add_f64 v[74:75], v[78:79], -v[74:75]
	v_add_f64 v[74:75], v[76:77], -v[74:75]
	v_mul_f64 v[76:77], v[78:79], v[72:73]
	v_fma_f64 v[78:79], v[78:79], v[72:73], -v[76:77]
	v_fmac_f64_e32 v[78:79], v[74:75], v[72:73]
	v_add_f64 v[72:73], v[76:77], v[78:79]
	v_add_f64 v[74:75], v[72:73], -v[76:77]
	v_add_f64 v[76:77], v[70:71], v[72:73]
	v_add_f64 v[74:75], v[78:79], -v[74:75]
	v_add_f64 v[70:71], v[76:77], -v[70:71]
	;; [unrolled: 1-line block ×3, first 2 shown]
	v_add_f64 v[8:9], v[8:9], v[74:75]
	v_add_f64 v[8:9], v[8:9], v[70:71]
	;; [unrolled: 1-line block ×3, first 2 shown]
	v_add_f64 v[72:73], v[70:71], -v[76:77]
	v_add_f64 v[8:9], v[8:9], -v[72:73]
	v_add_f64 v[72:73], v[70:71], 1.0
	v_add_f64 v[74:75], v[72:73], -1.0
	v_add_f64 v[70:71], v[70:71], -v[74:75]
	v_add_f64 v[8:9], v[8:9], v[70:71]
	v_add_f64 v[70:71], v[72:73], v[8:9]
	v_cvt_i32_f64_e32 v76, v[10:11]
	v_ldexp_f64 v[10:11], v[70:71], v76
	v_rcp_f64_e32 v[74:75], v[10:11]
	v_add_f64 v[70:71], v[70:71], -v[72:73]
	v_add_f64 v[8:9], v[8:9], -v[70:71]
	v_ldexp_f64 v[8:9], v[8:9], v76
	v_fma_f64 v[70:71], -v[10:11], v[74:75], 1.0
	v_fmac_f64_e32 v[74:75], v[70:71], v[74:75]
	v_fma_f64 v[70:71], -v[10:11], v[74:75], 1.0
	v_fmac_f64_e32 v[74:75], v[70:71], v[74:75]
	v_mul_f64 v[70:71], v[10:11], v[74:75]
	v_fma_f64 v[72:73], v[74:75], v[10:11], -v[70:71]
	v_fmac_f64_e32 v[72:73], v[74:75], v[8:9]
	v_add_f64 v[76:77], v[70:71], v[72:73]
	v_add_f64 v[78:79], -v[76:77], 1.0
	v_add_f64 v[70:71], v[76:77], -v[70:71]
	v_add_f64 v[80:81], -v[78:79], 1.0
	v_add_f64 v[76:77], v[80:81], -v[76:77]
	v_add_f64 v[70:71], v[70:71], -v[72:73]
	v_add_f64 v[70:71], v[70:71], v[76:77]
	v_add_f64 v[72:73], v[78:79], v[70:71]
	v_add_f64 v[76:77], v[78:79], -v[72:73]
	v_add_f64 v[70:71], v[70:71], v[76:77]
	v_mul_f64 v[76:77], v[74:75], v[72:73]
	v_mul_f64 v[78:79], v[10:11], v[76:77]
	v_fma_f64 v[80:81], v[76:77], v[10:11], -v[78:79]
	v_fmac_f64_e32 v[80:81], v[76:77], v[8:9]
	v_add_f64 v[88:89], v[78:79], v[80:81]
	v_add_f64 v[90:91], v[72:73], -v[88:89]
	v_add_f64 v[72:73], v[72:73], -v[90:91]
	;; [unrolled: 1-line block ×4, first 2 shown]
	v_add_f64 v[70:71], v[70:71], v[72:73]
	v_add_f64 v[72:73], v[78:79], -v[80:81]
	v_add_f64 v[70:71], v[72:73], v[70:71]
	v_add_f64 v[70:71], v[90:91], v[70:71]
	v_add_f64 v[72:73], v[74:75], v[76:77]
	v_mul_f64 v[70:71], v[74:75], v[70:71]
	v_add_f64 v[74:75], v[72:73], -v[74:75]
	v_add_f64 v[74:75], v[76:77], -v[74:75]
	v_add_f64 v[70:71], v[74:75], v[70:71]
	v_add_f64 v[74:75], v[72:73], v[70:71]
	v_add_f64 v[72:73], v[74:75], -v[72:73]
	v_add_f64 v[70:71], v[70:71], -v[72:73]
	v_ldexp_f64 v[72:73], v[74:75], -2
	v_add_f64 v[74:75], v[10:11], -v[72:73]
	v_add_f64 v[10:11], v[10:11], -v[74:75]
	;; [unrolled: 1-line block ×3, first 2 shown]
	v_ldexp_f64 v[70:71], v[70:71], -2
	v_add_f64 v[8:9], v[8:9], v[10:11]
	v_add_f64 v[8:9], v[8:9], -v[70:71]
	v_add_f64 v[8:9], v[74:75], v[8:9]
	v_cmp_nge_f64_e64 vcc, |v[2:3]|, s[52:53]
	v_and_b32_e32 v92, 0x7fffffff, v3
	v_cndmask_b32_e32 v9, v85, v9, vcc
	v_cndmask_b32_e32 v8, 0, v8, vcc
	v_cmp_lt_f64_e64 vcc, |v[2:3]|, s[54:55]
	v_cndmask_b32_e32 v2, v8, v2, vcc
	v_cndmask_b32_e32 v8, v9, v92, vcc
	v_xor_b32_e32 v3, 0x80000000, v3
	v_bfi_b32 v3, s95, v8, v3
	v_fma_f64 v[8:9], v[2:3], v[2:3], 1.0
	v_cmp_gt_f64_e32 vcc, s[56:57], v[8:9]
	v_cndmask_b32_e64 v10, 0, 1, vcc
	v_lshlrev_b32_e32 v10, 8, v10
	v_ldexp_f64 v[8:9], v[8:9], v10
	v_rsq_f64_e32 v[10:11], v[8:9]
	v_and_b32_e32 v1, 0x80000000, v1
	v_xor_b32_e32 v1, v21, v1
	v_fma_f64 v[70:71], v[0:1], v[0:1], 1.0
	v_mul_f64 v[72:73], v[8:9], v[10:11]
	v_mul_f64 v[10:11], v[10:11], 0.5
	v_fma_f64 v[74:75], -v[10:11], v[72:73], 0.5
	v_fmac_f64_e32 v[72:73], v[72:73], v[74:75]
	v_fma_f64 v[76:77], -v[72:73], v[72:73], v[8:9]
	v_fmac_f64_e32 v[10:11], v[10:11], v[74:75]
	v_fmac_f64_e32 v[72:73], v[76:77], v[10:11]
	v_fma_f64 v[74:75], -v[72:73], v[72:73], v[8:9]
	v_fmac_f64_e32 v[72:73], v[74:75], v[10:11]
	v_cndmask_b32_e32 v10, 0, v86, vcc
	v_ldexp_f64 v[10:11], v[72:73], v10
	v_cmp_class_f64_e32 vcc, v[8:9], v82
	v_cndmask_b32_e32 v9, v11, v9, vcc
	v_cndmask_b32_e32 v8, v10, v8, vcc
	v_mul_f64 v[10:11], v[2:3], v[70:71]
	v_mul_f64 v[8:9], v[8:9], v[70:71]
	v_fma_f64 v[72:73], v[2:3], v[10:11], 1.0
	v_mul_f64 v[2:3], v[2:3], v[8:9]
	v_div_scale_f64 v[8:9], s[0:1], v[72:73], v[72:73], v[2:3]
	v_rcp_f64_e32 v[10:11], v[8:9]
	v_fma_f64 v[70:71], -v[8:9], v[10:11], 1.0
	v_fmac_f64_e32 v[10:11], v[10:11], v[70:71]
	v_fma_f64 v[70:71], -v[8:9], v[10:11], 1.0
	v_fmac_f64_e32 v[10:11], v[10:11], v[70:71]
	v_div_scale_f64 v[70:71], vcc, v[2:3], v[72:73], v[2:3]
	v_mul_f64 v[74:75], v[70:71], v[10:11]
	v_fma_f64 v[8:9], -v[8:9], v[74:75], v[70:71]
	v_div_scale_f64 v[70:71], s[0:1], v[72:73], v[72:73], v[0:1]
	v_rcp_f64_e32 v[76:77], v[70:71]
	v_div_fmas_f64 v[8:9], v[8:9], v[10:11], v[74:75]
	v_div_fixup_f64 v[10:11], v[8:9], v[72:73], v[2:3]
	v_fma_f64 v[2:3], -v[70:71], v[76:77], 1.0
	v_fmac_f64_e32 v[76:77], v[76:77], v[2:3]
	v_fma_f64 v[2:3], -v[70:71], v[76:77], 1.0
	v_fmac_f64_e32 v[76:77], v[76:77], v[2:3]
	v_div_scale_f64 v[2:3], vcc, v[0:1], v[72:73], v[0:1]
	v_mul_f64 v[8:9], v[2:3], v[76:77]
	v_fma_f64 v[2:3], -v[70:71], v[8:9], v[2:3]
	s_nop 1
	v_div_fmas_f64 v[2:3], v[2:3], v[76:77], v[8:9]
	v_div_fixup_f64 v[8:9], v[2:3], v[72:73], v[0:1]
                                        ; implicit-def: $vgpr0_vgpr1
.LBB100_302:                            ;   in Loop: Header=BB100_180 Depth=1
	s_andn2_saveexec_b64 s[86:87], s[86:87]
	s_cbranch_execz .LBB100_312
; %bb.303:                              ;   in Loop: Header=BB100_180 Depth=1
	v_cmp_nlt_f64_e64 s[88:89], |v[0:1]|, s[4:5]
                                        ; implicit-def: $vgpr74
                                        ; implicit-def: $vgpr8_vgpr9
                                        ; implicit-def: $vgpr10_vgpr11
	s_and_saveexec_b64 s[0:1], s[88:89]
	s_xor_b64 s[90:91], exec, s[0:1]
	s_cbranch_execz .LBB100_305
; %bb.304:                              ;   in Loop: Header=BB100_180 Depth=1
	v_and_b32_e32 v21, 0x7fffffff, v1
	v_ldexp_f64 v[70:71], |v[0:1]|, s43
	v_cmp_ge_f64_e64 vcc, |v[0:1]|, s[6:7]
	v_trig_preop_f64 v[8:9], |v[0:1]|, 0
	v_cndmask_b32_e32 v71, v21, v71, vcc
	v_cndmask_b32_e32 v70, v0, v70, vcc
	v_trig_preop_f64 v[10:11], |v[0:1]|, 1
	v_mul_f64 v[74:75], v[8:9], v[70:71]
	v_mul_f64 v[72:73], v[10:11], v[70:71]
	v_fma_f64 v[8:9], v[8:9], v[70:71], -v[74:75]
	v_add_f64 v[76:77], v[72:73], v[8:9]
	v_add_f64 v[78:79], v[74:75], v[76:77]
	v_ldexp_f64 v[80:81], v[78:79], -2
	v_fract_f64_e32 v[88:89], v[80:81]
	v_cmp_neq_f64_e64 vcc, |v[80:81]|, s[8:9]
	v_cndmask_b32_e32 v81, 0, v89, vcc
	v_cndmask_b32_e32 v80, 0, v88, vcc
	v_add_f64 v[88:89], v[76:77], -v[72:73]
	v_add_f64 v[8:9], v[8:9], -v[88:89]
	;; [unrolled: 1-line block ×4, first 2 shown]
	v_fma_f64 v[10:11], v[10:11], v[70:71], -v[72:73]
	v_trig_preop_f64 v[72:73], |v[0:1]|, 2
	v_add_f64 v[8:9], v[8:9], v[88:89]
	v_mul_f64 v[88:89], v[72:73], v[70:71]
	v_add_f64 v[90:91], v[88:89], v[10:11]
	v_add_f64 v[92:93], v[90:91], v[8:9]
	v_add_f64 v[74:75], v[78:79], -v[74:75]
	v_add_f64 v[78:79], v[92:93], -v[90:91]
	;; [unrolled: 1-line block ×5, first 2 shown]
	v_add_f64 v[8:9], v[8:9], v[78:79]
	v_add_f64 v[78:79], v[90:91], -v[88:89]
	v_add_f64 v[10:11], v[10:11], -v[78:79]
	;; [unrolled: 1-line block ×4, first 2 shown]
	v_add_f64 v[10:11], v[10:11], v[78:79]
	v_add_f64 v[74:75], v[76:77], -v[74:75]
	v_add_f64 v[8:9], v[10:11], v[8:9]
	v_fma_f64 v[10:11], v[72:73], v[70:71], -v[88:89]
	v_add_f64 v[76:77], v[74:75], v[92:93]
	v_add_f64 v[8:9], v[10:11], v[8:9]
	v_ldexp_f64 v[10:11], v[80:81], 2
	v_add_f64 v[70:71], v[76:77], v[10:11]
	v_cmp_gt_f64_e32 vcc, 0, v[70:71]
	v_cndmask_b32_e32 v21, 0, v83, vcc
	v_add_f64 v[10:11], v[10:11], v[20:21]
	v_add_f64 v[70:71], v[76:77], v[10:11]
	v_cvt_i32_f64_e32 v21, v[70:71]
	v_cvt_f64_i32_e32 v[70:71], v21
	v_add_f64 v[10:11], v[10:11], -v[70:71]
	v_add_f64 v[74:75], v[76:77], -v[74:75]
	v_add_f64 v[70:71], v[76:77], v[10:11]
	v_add_f64 v[74:75], v[92:93], -v[74:75]
	v_add_f64 v[10:11], v[70:71], -v[10:11]
	v_cmp_le_f64_e32 vcc, 0.5, v[70:71]
	v_add_f64 v[8:9], v[74:75], v[8:9]
	v_add_f64 v[10:11], v[76:77], -v[10:11]
	v_addc_co_u32_e64 v74, s[0:1], 0, v21, vcc
	v_cndmask_b32_e32 v21, 0, v84, vcc
	v_add_f64 v[8:9], v[8:9], v[10:11]
	v_add_f64 v[10:11], v[70:71], -v[20:21]
	v_add_f64 v[70:71], v[10:11], v[8:9]
	v_add_f64 v[10:11], v[70:71], -v[10:11]
	s_mov_b32 s10, s14
	v_add_f64 v[8:9], v[8:9], -v[10:11]
	v_mul_f64 v[10:11], v[70:71], s[10:11]
	v_fma_f64 v[72:73], v[70:71], s[10:11], -v[10:11]
	s_mov_b32 s19, s17
	v_fmac_f64_e32 v[72:73], s[18:19], v[70:71]
	v_fmac_f64_e32 v[72:73], s[10:11], v[8:9]
	v_add_f64 v[8:9], v[10:11], v[72:73]
	v_add_f64 v[10:11], v[8:9], -v[10:11]
	v_add_f64 v[10:11], v[72:73], -v[10:11]
	s_andn2_saveexec_b64 s[0:1], s[90:91]
	s_cbranch_execz .LBB100_307
	s_branch .LBB100_306
.LBB100_305:                            ;   in Loop: Header=BB100_180 Depth=1
	s_andn2_saveexec_b64 s[0:1], s[90:91]
	s_cbranch_execz .LBB100_307
.LBB100_306:                            ;   in Loop: Header=BB100_180 Depth=1
	v_mul_f64 v[8:9], |v[0:1]|, s[20:21]
	v_rndne_f64_e32 v[70:71], v[8:9]
	v_fma_f64 v[8:9], v[70:71], s[14:15], |v[0:1]|
	v_mul_f64 v[72:73], v[70:71], s[22:23]
	v_add_f64 v[76:77], v[8:9], v[72:73]
	v_fma_f64 v[10:11], s[22:23], v[70:71], v[8:9]
	s_mov_b32 s16, s22
	v_add_f64 v[8:9], v[8:9], -v[76:77]
	v_fma_f64 v[74:75], s[16:17], v[70:71], v[72:73]
	v_add_f64 v[8:9], v[8:9], v[72:73]
	v_add_f64 v[72:73], v[76:77], -v[10:11]
	v_add_f64 v[8:9], v[72:73], v[8:9]
	v_add_f64 v[72:73], v[8:9], -v[74:75]
	v_fmac_f64_e32 v[72:73], s[24:25], v[70:71]
	v_add_f64 v[8:9], v[10:11], v[72:73]
	v_add_f64 v[10:11], v[8:9], -v[10:11]
	v_add_f64 v[10:11], v[72:73], -v[10:11]
	v_cvt_i32_f64_e32 v74, v[70:71]
.LBB100_307:                            ;   in Loop: Header=BB100_180 Depth=1
	s_or_b64 exec, exec, s[0:1]
                                        ; implicit-def: $vgpr75
                                        ; implicit-def: $vgpr70_vgpr71
                                        ; implicit-def: $vgpr72_vgpr73
	s_and_saveexec_b64 s[0:1], s[88:89]
	s_xor_b64 s[88:89], exec, s[0:1]
	s_cbranch_execz .LBB100_309
; %bb.308:                              ;   in Loop: Header=BB100_180 Depth=1
	v_and_b32_e32 v21, 0x7fffffff, v1
	v_ldexp_f64 v[76:77], |v[0:1]|, s43
	v_cmp_ge_f64_e64 vcc, |v[0:1]|, s[6:7]
	v_trig_preop_f64 v[70:71], |v[0:1]|, 0
	v_cndmask_b32_e32 v77, v21, v77, vcc
	v_cndmask_b32_e32 v76, v0, v76, vcc
	v_trig_preop_f64 v[72:73], |v[0:1]|, 1
	v_mul_f64 v[80:81], v[70:71], v[76:77]
	v_mul_f64 v[78:79], v[72:73], v[76:77]
	v_fma_f64 v[70:71], v[70:71], v[76:77], -v[80:81]
	v_add_f64 v[88:89], v[78:79], v[70:71]
	v_add_f64 v[90:91], v[80:81], v[88:89]
	v_ldexp_f64 v[92:93], v[90:91], -2
	v_fract_f64_e32 v[94:95], v[92:93]
	v_cmp_neq_f64_e64 vcc, |v[92:93]|, s[8:9]
	v_cndmask_b32_e32 v93, 0, v95, vcc
	v_cndmask_b32_e32 v92, 0, v94, vcc
	v_add_f64 v[94:95], v[88:89], -v[78:79]
	v_add_f64 v[70:71], v[70:71], -v[94:95]
	;; [unrolled: 1-line block ×4, first 2 shown]
	v_fma_f64 v[72:73], v[72:73], v[76:77], -v[78:79]
	v_trig_preop_f64 v[78:79], |v[0:1]|, 2
	v_add_f64 v[70:71], v[70:71], v[94:95]
	v_mul_f64 v[94:95], v[78:79], v[76:77]
	v_add_f64 v[96:97], v[94:95], v[72:73]
	v_add_f64 v[98:99], v[96:97], v[70:71]
	v_add_f64 v[80:81], v[90:91], -v[80:81]
	v_add_f64 v[90:91], v[98:99], -v[96:97]
	;; [unrolled: 1-line block ×5, first 2 shown]
	v_add_f64 v[70:71], v[70:71], v[90:91]
	v_add_f64 v[90:91], v[96:97], -v[94:95]
	v_add_f64 v[72:73], v[72:73], -v[90:91]
	;; [unrolled: 1-line block ×4, first 2 shown]
	v_add_f64 v[72:73], v[72:73], v[90:91]
	v_add_f64 v[80:81], v[88:89], -v[80:81]
	v_add_f64 v[70:71], v[72:73], v[70:71]
	v_fma_f64 v[72:73], v[78:79], v[76:77], -v[94:95]
	v_add_f64 v[88:89], v[80:81], v[98:99]
	v_add_f64 v[70:71], v[72:73], v[70:71]
	v_ldexp_f64 v[72:73], v[92:93], 2
	v_add_f64 v[76:77], v[88:89], v[72:73]
	v_cmp_gt_f64_e32 vcc, 0, v[76:77]
	v_cndmask_b32_e32 v21, 0, v83, vcc
	v_add_f64 v[72:73], v[72:73], v[20:21]
	v_add_f64 v[76:77], v[88:89], v[72:73]
	v_cvt_i32_f64_e32 v21, v[76:77]
	v_cvt_f64_i32_e32 v[76:77], v21
	v_add_f64 v[72:73], v[72:73], -v[76:77]
	v_add_f64 v[80:81], v[88:89], -v[80:81]
	v_add_f64 v[76:77], v[88:89], v[72:73]
	v_add_f64 v[80:81], v[98:99], -v[80:81]
	v_add_f64 v[72:73], v[76:77], -v[72:73]
	v_cmp_le_f64_e32 vcc, 0.5, v[76:77]
	v_add_f64 v[70:71], v[80:81], v[70:71]
	v_add_f64 v[72:73], v[88:89], -v[72:73]
	v_addc_co_u32_e64 v75, s[0:1], 0, v21, vcc
	v_cndmask_b32_e32 v21, 0, v84, vcc
	v_add_f64 v[70:71], v[70:71], v[72:73]
	v_add_f64 v[72:73], v[76:77], -v[20:21]
	v_add_f64 v[76:77], v[72:73], v[70:71]
	v_add_f64 v[72:73], v[76:77], -v[72:73]
	s_mov_b32 s10, s14
	v_add_f64 v[70:71], v[70:71], -v[72:73]
	v_mul_f64 v[72:73], v[76:77], s[10:11]
	v_fma_f64 v[78:79], v[76:77], s[10:11], -v[72:73]
	s_mov_b32 s19, s17
	v_fmac_f64_e32 v[78:79], s[18:19], v[76:77]
	v_fmac_f64_e32 v[78:79], s[10:11], v[70:71]
	v_add_f64 v[70:71], v[72:73], v[78:79]
	v_add_f64 v[72:73], v[70:71], -v[72:73]
	v_add_f64 v[72:73], v[78:79], -v[72:73]
	s_andn2_saveexec_b64 s[0:1], s[88:89]
	s_cbranch_execnz .LBB100_310
	s_branch .LBB100_311
.LBB100_309:                            ;   in Loop: Header=BB100_180 Depth=1
	s_andn2_saveexec_b64 s[0:1], s[88:89]
	s_cbranch_execz .LBB100_311
.LBB100_310:                            ;   in Loop: Header=BB100_180 Depth=1
	v_mul_f64 v[70:71], |v[0:1]|, s[20:21]
	v_rndne_f64_e32 v[76:77], v[70:71]
	v_fma_f64 v[70:71], v[76:77], s[14:15], |v[0:1]|
	v_mul_f64 v[78:79], v[76:77], s[22:23]
	v_add_f64 v[88:89], v[70:71], v[78:79]
	v_fma_f64 v[72:73], s[22:23], v[76:77], v[70:71]
	s_mov_b32 s16, s22
	v_add_f64 v[70:71], v[70:71], -v[88:89]
	v_fma_f64 v[80:81], s[16:17], v[76:77], v[78:79]
	v_add_f64 v[70:71], v[70:71], v[78:79]
	v_add_f64 v[78:79], v[88:89], -v[72:73]
	v_add_f64 v[70:71], v[78:79], v[70:71]
	v_add_f64 v[78:79], v[70:71], -v[80:81]
	v_fmac_f64_e32 v[78:79], s[24:25], v[76:77]
	v_add_f64 v[70:71], v[72:73], v[78:79]
	v_add_f64 v[72:73], v[70:71], -v[72:73]
	v_add_f64 v[72:73], v[78:79], -v[72:73]
	v_cvt_i32_f64_e32 v75, v[76:77]
.LBB100_311:                            ;   in Loop: Header=BB100_180 Depth=1
	s_or_b64 exec, exec, s[0:1]
	v_mul_f64 v[76:77], v[8:9], v[8:9]
	v_pk_mov_b32 v[90:91], s[58:59], s[58:59] op_sel:[0,1]
	v_mul_f64 v[78:79], v[76:77], 0.5
	v_fma_f64 v[92:93], s[60:61], v[76:77], v[90:91]
	v_add_f64 v[80:81], -v[78:79], 1.0
	v_fma_f64 v[92:93], v[76:77], v[92:93], s[62:63]
	v_add_f64 v[88:89], -v[80:81], 1.0
	v_fma_f64 v[92:93], v[76:77], v[92:93], s[64:65]
	v_add_f64 v[78:79], v[88:89], -v[78:79]
	v_fma_f64 v[92:93], v[76:77], v[92:93], s[66:67]
	v_mul_f64 v[88:89], v[76:77], v[76:77]
	v_fma_f64 v[92:93], v[76:77], v[92:93], s[50:51]
	v_fma_f64 v[78:79], v[8:9], -v[10:11], v[78:79]
	v_fmac_f64_e32 v[78:79], v[88:89], v[92:93]
	v_add_f64 v[78:79], v[80:81], v[78:79]
	v_pk_mov_b32 v[80:81], s[68:69], s[68:69] op_sel:[0,1]
	v_fma_f64 v[88:89], s[70:71], v[76:77], v[80:81]
	v_fma_f64 v[88:89], v[76:77], v[88:89], s[72:73]
	;; [unrolled: 1-line block ×4, first 2 shown]
	v_mul_f64 v[92:93], v[8:9], -v[76:77]
	v_mul_f64 v[94:95], v[10:11], 0.5
	v_fmac_f64_e32 v[94:95], v[92:93], v[88:89]
	v_fma_f64 v[10:11], v[76:77], v[94:95], -v[10:11]
	s_mov_b32 s76, s50
	v_fmac_f64_e32 v[10:11], s[76:77], v[92:93]
	v_and_b32_e32 v0, 1, v74
	v_add_f64 v[8:9], v[8:9], -v[10:11]
	v_cmp_eq_u32_e32 vcc, 0, v0
	v_cndmask_b32_e32 v0, v78, v8, vcc
	v_cndmask_b32_e32 v8, v79, v9, vcc
	v_lshlrev_b32_e32 v9, 30, v74
	v_xor_b32_e32 v1, v9, v1
	v_and_b32_e32 v1, 0x80000000, v1
	v_xor_b32_e32 v1, v8, v1
	v_mul_f64 v[8:9], |v[2:3]|, s[38:39]
	v_rndne_f64_e32 v[8:9], v[8:9]
	v_fma_f64 v[10:11], v[8:9], s[28:29], -|v[2:3]|
	v_fmac_f64_e32 v[10:11], s[34:35], v[8:9]
	v_pk_mov_b32 v[76:77], v[52:53], v[52:53] op_sel:[0,1]
	v_fmac_f64_e32 v[76:77], s[46:47], v[10:11]
	v_pk_mov_b32 v[78:79], v[54:55], v[54:55] op_sel:[0,1]
	;; [unrolled: 2-line block ×9, first 2 shown]
	v_fmac_f64_e32 v[76:77], v[10:11], v[78:79]
	v_fma_f64 v[76:77], v[10:11], v[76:77], 1.0
	v_cmp_ngt_f64_e64 vcc, |v[2:3]|, s[78:79]
	v_xor_b32_e32 v2, 0x80000000, v3
	v_fma_f64 v[10:11], v[10:11], v[76:77], 1.0
	v_cvt_i32_f64_e32 v8, v[8:9]
	v_bfi_b32 v21, s95, v84, v2
	v_mul_f64 v[2:3], v[70:71], v[70:71]
	v_ldexp_f64 v[8:9], v[10:11], v8
	v_mul_f64 v[10:11], v[2:3], 0.5
	v_fmac_f64_e32 v[90:91], s[60:61], v[2:3]
	v_add_f64 v[76:77], -v[10:11], 1.0
	v_fma_f64 v[88:89], v[2:3], v[90:91], s[62:63]
	v_add_f64 v[78:79], -v[76:77], 1.0
	v_fma_f64 v[88:89], v[2:3], v[88:89], s[64:65]
	v_add_f64 v[10:11], v[78:79], -v[10:11]
	v_fma_f64 v[88:89], v[2:3], v[88:89], s[66:67]
	v_mul_f64 v[78:79], v[2:3], v[2:3]
	v_fma_f64 v[88:89], v[2:3], v[88:89], s[50:51]
	v_fma_f64 v[10:11], v[70:71], -v[72:73], v[10:11]
	v_fmac_f64_e32 v[10:11], v[78:79], v[88:89]
	v_fmac_f64_e32 v[80:81], s[70:71], v[2:3]
	v_add_f64 v[10:11], v[76:77], v[10:11]
	v_fma_f64 v[76:77], v[2:3], v[80:81], s[72:73]
	v_fma_f64 v[76:77], v[2:3], v[76:77], s[74:75]
	;; [unrolled: 1-line block ×3, first 2 shown]
	v_mul_f64 v[78:79], v[70:71], -v[2:3]
	v_mul_f64 v[80:81], v[72:73], 0.5
	v_fmac_f64_e32 v[80:81], v[78:79], v[76:77]
	v_fma_f64 v[2:3], v[2:3], v[80:81], -v[72:73]
	v_fmac_f64_e32 v[2:3], s[76:77], v[78:79]
	v_add_f64 v[2:3], v[70:71], -v[2:3]
	v_and_b32_e32 v70, 1, v75
	v_cndmask_b32_e32 v9, 0, v9, vcc
	v_cndmask_b32_e32 v8, 0, v8, vcc
	v_cmp_eq_u32_e32 vcc, 0, v70
	v_xor_b32_e32 v3, 0x80000000, v3
	v_cndmask_b32_e32 v2, v2, v10, vcc
	v_lshlrev_b32_e32 v10, 30, v75
	v_cndmask_b32_e32 v3, v3, v11, vcc
	v_and_b32_e32 v10, 0x80000000, v10
	v_mul_f64 v[0:1], v[0:1], 4.0
	v_xor_b32_e32 v3, v3, v10
	v_mul_f64 v[0:1], v[0:1], v[2:3]
	v_mul_f64 v[0:1], v[8:9], v[0:1]
	;; [unrolled: 1-line block ×3, first 2 shown]
	v_pk_mov_b32 v[10:11], v[20:21], v[20:21] op_sel:[0,1]
.LBB100_312:                            ;   in Loop: Header=BB100_180 Depth=1
	s_or_b64 exec, exec, s[86:87]
                                        ; implicit-def: $vgpr0_vgpr1
.LBB100_313:                            ;   in Loop: Header=BB100_180 Depth=1
	s_andn2_saveexec_b64 s[0:1], s[84:85]
; %bb.314:                              ;   in Loop: Header=BB100_180 Depth=1
	v_add_f64 v[8:9], v[0:1], -v[0:1]
	v_pk_mov_b32 v[10:11], v[8:9], v[8:9] op_sel:[0,1]
; %bb.315:                              ;   in Loop: Header=BB100_180 Depth=1
	s_or_b64 exec, exec, s[0:1]
                                        ; implicit-def: $vgpr0_vgpr1
.LBB100_316:                            ;   in Loop: Header=BB100_180 Depth=1
	s_andn2_saveexec_b64 s[82:83], s[82:83]
	s_cbranch_execz .LBB100_179
; %bb.317:                              ;   in Loop: Header=BB100_180 Depth=1
	v_and_or_b32 v8, v11, s44, v10
	v_cmp_ne_u32_e32 vcc, 0, v8
	s_and_saveexec_b64 s[0:1], vcc
	s_xor_b64 s[0:1], exec, s[0:1]
; %bb.318:                              ;   in Loop: Header=BB100_180 Depth=1
	v_mul_f64 v[2:3], v[0:1], -v[2:3]
	v_cmp_eq_f64_e32 vcc, 0, v[0:1]
	v_cndmask_b32_e32 v9, v3, v1, vcc
	v_cndmask_b32_e32 v8, v2, v0, vcc
                                        ; implicit-def: $vgpr0_vgpr1
; %bb.319:                              ;   in Loop: Header=BB100_180 Depth=1
	s_andn2_saveexec_b64 s[84:85], s[0:1]
	s_cbranch_execz .LBB100_178
; %bb.320:                              ;   in Loop: Header=BB100_180 Depth=1
	v_cmp_neq_f64_e64 s[0:1], |v[0:1]|, s[8:9]
	s_and_saveexec_b64 s[86:87], s[0:1]
	s_cbranch_execz .LBB100_177
; %bb.321:                              ;   in Loop: Header=BB100_180 Depth=1
	v_cmp_nlt_f64_e64 s[88:89], |v[0:1]|, s[4:5]
	v_trig_preop_f64 v[74:75], |v[0:1]|, 0
	v_trig_preop_f64 v[72:73], |v[0:1]|, 1
	v_ldexp_f64 v[76:77], |v[0:1]|, s43
	v_trig_preop_f64 v[70:71], |v[0:1]|, 2
	v_and_b32_e32 v89, 0x7fffffff, v1
                                        ; implicit-def: $vgpr88
                                        ; implicit-def: $vgpr2_vgpr3
                                        ; implicit-def: $vgpr8_vgpr9
	s_and_saveexec_b64 s[0:1], s[88:89]
	s_xor_b64 s[90:91], exec, s[0:1]
	s_cbranch_execz .LBB100_323
; %bb.322:                              ;   in Loop: Header=BB100_180 Depth=1
	v_cmp_ge_f64_e64 vcc, |v[0:1]|, s[6:7]
	v_cndmask_b32_e32 v3, v89, v77, vcc
	v_cndmask_b32_e32 v2, v0, v76, vcc
	v_mul_f64 v[78:79], v[74:75], v[2:3]
	v_mul_f64 v[8:9], v[72:73], v[2:3]
	v_fma_f64 v[80:81], v[74:75], v[2:3], -v[78:79]
	v_add_f64 v[90:91], v[8:9], v[80:81]
	v_add_f64 v[92:93], v[78:79], v[90:91]
	v_ldexp_f64 v[94:95], v[92:93], -2
	v_fract_f64_e32 v[96:97], v[94:95]
	v_cmp_neq_f64_e64 vcc, |v[94:95]|, s[8:9]
	v_cndmask_b32_e32 v95, 0, v97, vcc
	v_cndmask_b32_e32 v94, 0, v96, vcc
	v_add_f64 v[96:97], v[90:91], -v[8:9]
	v_add_f64 v[80:81], v[80:81], -v[96:97]
	;; [unrolled: 1-line block ×4, first 2 shown]
	v_add_f64 v[80:81], v[80:81], v[96:97]
	v_fma_f64 v[8:9], v[72:73], v[2:3], -v[8:9]
	v_mul_f64 v[96:97], v[70:71], v[2:3]
	v_add_f64 v[98:99], v[96:97], v[8:9]
	v_add_f64 v[100:101], v[98:99], v[80:81]
	v_add_f64 v[78:79], v[92:93], -v[78:79]
	v_add_f64 v[92:93], v[100:101], -v[98:99]
	;; [unrolled: 1-line block ×5, first 2 shown]
	v_add_f64 v[80:81], v[80:81], v[92:93]
	v_add_f64 v[92:93], v[98:99], -v[96:97]
	v_add_f64 v[8:9], v[8:9], -v[92:93]
	;; [unrolled: 1-line block ×5, first 2 shown]
	v_add_f64 v[90:91], v[78:79], v[100:101]
	v_add_f64 v[8:9], v[8:9], v[92:93]
	v_add_f64 v[78:79], v[90:91], -v[78:79]
	v_add_f64 v[8:9], v[8:9], v[80:81]
	v_fma_f64 v[2:3], v[70:71], v[2:3], -v[96:97]
	v_add_f64 v[78:79], v[100:101], -v[78:79]
	v_add_f64 v[2:3], v[2:3], v[8:9]
	v_ldexp_f64 v[8:9], v[94:95], 2
	v_add_f64 v[2:3], v[78:79], v[2:3]
	v_add_f64 v[78:79], v[90:91], v[8:9]
	v_cmp_gt_f64_e32 vcc, 0, v[78:79]
	v_cndmask_b32_e32 v21, 0, v83, vcc
	v_add_f64 v[8:9], v[8:9], v[20:21]
	v_add_f64 v[78:79], v[90:91], v[8:9]
	v_cvt_i32_f64_e32 v21, v[78:79]
	v_cvt_f64_i32_e32 v[78:79], v21
	v_add_f64 v[8:9], v[8:9], -v[78:79]
	v_add_f64 v[78:79], v[90:91], v[8:9]
	v_add_f64 v[8:9], v[78:79], -v[8:9]
	v_cmp_le_f64_e32 vcc, 0.5, v[78:79]
	v_add_f64 v[8:9], v[90:91], -v[8:9]
	v_addc_co_u32_e64 v88, s[0:1], 0, v21, vcc
	v_cndmask_b32_e32 v21, 0, v84, vcc
	v_add_f64 v[2:3], v[2:3], v[8:9]
	v_add_f64 v[8:9], v[78:79], -v[20:21]
	v_add_f64 v[78:79], v[8:9], v[2:3]
	v_add_f64 v[8:9], v[78:79], -v[8:9]
	s_mov_b32 s10, s14
	v_add_f64 v[2:3], v[2:3], -v[8:9]
	v_mul_f64 v[8:9], v[78:79], s[10:11]
	v_fma_f64 v[80:81], v[78:79], s[10:11], -v[8:9]
	s_mov_b32 s19, s17
	v_fmac_f64_e32 v[80:81], s[18:19], v[78:79]
	v_fmac_f64_e32 v[80:81], s[10:11], v[2:3]
	v_add_f64 v[2:3], v[8:9], v[80:81]
	v_add_f64 v[8:9], v[2:3], -v[8:9]
	v_add_f64 v[8:9], v[80:81], -v[8:9]
	s_andn2_saveexec_b64 s[0:1], s[90:91]
	s_cbranch_execz .LBB100_325
	s_branch .LBB100_324
.LBB100_323:                            ;   in Loop: Header=BB100_180 Depth=1
	s_andn2_saveexec_b64 s[0:1], s[90:91]
	s_cbranch_execz .LBB100_325
.LBB100_324:                            ;   in Loop: Header=BB100_180 Depth=1
	v_mul_f64 v[2:3], |v[0:1]|, s[20:21]
	v_rndne_f64_e32 v[78:79], v[2:3]
	v_fma_f64 v[2:3], v[78:79], s[14:15], |v[0:1]|
	v_mul_f64 v[80:81], v[78:79], s[22:23]
	v_add_f64 v[92:93], v[2:3], v[80:81]
	v_fma_f64 v[8:9], s[22:23], v[78:79], v[2:3]
	s_mov_b32 s16, s22
	v_add_f64 v[2:3], v[2:3], -v[92:93]
	v_fma_f64 v[90:91], s[16:17], v[78:79], v[80:81]
	v_add_f64 v[2:3], v[2:3], v[80:81]
	v_add_f64 v[80:81], v[92:93], -v[8:9]
	v_add_f64 v[2:3], v[80:81], v[2:3]
	v_add_f64 v[80:81], v[2:3], -v[90:91]
	v_fmac_f64_e32 v[80:81], s[24:25], v[78:79]
	v_add_f64 v[2:3], v[8:9], v[80:81]
	v_add_f64 v[8:9], v[2:3], -v[8:9]
	v_add_f64 v[8:9], v[80:81], -v[8:9]
	v_cvt_i32_f64_e32 v88, v[78:79]
.LBB100_325:                            ;   in Loop: Header=BB100_180 Depth=1
	s_or_b64 exec, exec, s[0:1]
                                        ; implicit-def: $vgpr90
                                        ; implicit-def: $vgpr78_vgpr79
                                        ; implicit-def: $vgpr80_vgpr81
	s_and_saveexec_b64 s[0:1], s[88:89]
	s_xor_b64 s[88:89], exec, s[0:1]
	s_cbranch_execz .LBB100_327
; %bb.326:                              ;   in Loop: Header=BB100_180 Depth=1
	v_cmp_ge_f64_e64 vcc, |v[0:1]|, s[6:7]
	v_cndmask_b32_e32 v77, v89, v77, vcc
	v_cndmask_b32_e32 v76, v0, v76, vcc
	v_mul_f64 v[80:81], v[74:75], v[76:77]
	v_mul_f64 v[78:79], v[72:73], v[76:77]
	v_fma_f64 v[74:75], v[74:75], v[76:77], -v[80:81]
	v_add_f64 v[90:91], v[78:79], v[74:75]
	v_add_f64 v[92:93], v[80:81], v[90:91]
	v_ldexp_f64 v[94:95], v[92:93], -2
	v_fract_f64_e32 v[96:97], v[94:95]
	v_cmp_neq_f64_e64 vcc, |v[94:95]|, s[8:9]
	v_cndmask_b32_e32 v95, 0, v97, vcc
	v_cndmask_b32_e32 v94, 0, v96, vcc
	v_add_f64 v[96:97], v[90:91], -v[78:79]
	v_add_f64 v[74:75], v[74:75], -v[96:97]
	;; [unrolled: 1-line block ×4, first 2 shown]
	v_fma_f64 v[72:73], v[72:73], v[76:77], -v[78:79]
	v_mul_f64 v[78:79], v[70:71], v[76:77]
	v_add_f64 v[74:75], v[74:75], v[96:97]
	v_add_f64 v[96:97], v[78:79], v[72:73]
	;; [unrolled: 1-line block ×3, first 2 shown]
	v_add_f64 v[80:81], v[92:93], -v[80:81]
	v_add_f64 v[92:93], v[98:99], -v[96:97]
	;; [unrolled: 1-line block ×5, first 2 shown]
	v_add_f64 v[74:75], v[74:75], v[92:93]
	v_add_f64 v[92:93], v[96:97], -v[78:79]
	v_add_f64 v[72:73], v[72:73], -v[92:93]
	v_add_f64 v[92:93], v[96:97], -v[92:93]
	v_add_f64 v[92:93], v[78:79], -v[92:93]
	v_add_f64 v[72:73], v[72:73], v[92:93]
	v_add_f64 v[80:81], v[90:91], -v[80:81]
	v_add_f64 v[72:73], v[72:73], v[74:75]
	v_fma_f64 v[70:71], v[70:71], v[76:77], -v[78:79]
	v_add_f64 v[90:91], v[80:81], v[98:99]
	v_add_f64 v[70:71], v[70:71], v[72:73]
	v_ldexp_f64 v[72:73], v[94:95], 2
	v_add_f64 v[74:75], v[90:91], v[72:73]
	v_cmp_gt_f64_e32 vcc, 0, v[74:75]
	v_cndmask_b32_e32 v21, 0, v83, vcc
	v_add_f64 v[72:73], v[72:73], v[20:21]
	v_add_f64 v[74:75], v[90:91], v[72:73]
	v_cvt_i32_f64_e32 v21, v[74:75]
	v_cvt_f64_i32_e32 v[74:75], v21
	v_add_f64 v[72:73], v[72:73], -v[74:75]
	v_add_f64 v[80:81], v[90:91], -v[80:81]
	v_add_f64 v[74:75], v[90:91], v[72:73]
	v_add_f64 v[80:81], v[98:99], -v[80:81]
	v_add_f64 v[72:73], v[74:75], -v[72:73]
	v_cmp_le_f64_e32 vcc, 0.5, v[74:75]
	v_add_f64 v[70:71], v[80:81], v[70:71]
	v_add_f64 v[72:73], v[90:91], -v[72:73]
	v_addc_co_u32_e64 v90, s[0:1], 0, v21, vcc
	v_cndmask_b32_e32 v21, 0, v84, vcc
	v_add_f64 v[70:71], v[70:71], v[72:73]
	v_add_f64 v[72:73], v[74:75], -v[20:21]
	v_add_f64 v[74:75], v[72:73], v[70:71]
	v_add_f64 v[72:73], v[74:75], -v[72:73]
	s_mov_b32 s10, s14
	v_add_f64 v[70:71], v[70:71], -v[72:73]
	v_mul_f64 v[72:73], v[74:75], s[10:11]
	v_fma_f64 v[76:77], v[74:75], s[10:11], -v[72:73]
	s_mov_b32 s19, s17
	v_fmac_f64_e32 v[76:77], s[18:19], v[74:75]
	v_fmac_f64_e32 v[76:77], s[10:11], v[70:71]
	v_add_f64 v[78:79], v[72:73], v[76:77]
	v_add_f64 v[70:71], v[78:79], -v[72:73]
	v_add_f64 v[80:81], v[76:77], -v[70:71]
	s_andn2_saveexec_b64 s[0:1], s[88:89]
	s_cbranch_execz .LBB100_176
	s_branch .LBB100_328
.LBB100_327:                            ;   in Loop: Header=BB100_180 Depth=1
	s_andn2_saveexec_b64 s[0:1], s[88:89]
	s_cbranch_execz .LBB100_176
.LBB100_328:                            ;   in Loop: Header=BB100_180 Depth=1
	v_mul_f64 v[70:71], |v[0:1]|, s[20:21]
	v_rndne_f64_e32 v[70:71], v[70:71]
	v_fma_f64 v[72:73], v[70:71], s[14:15], |v[0:1]|
	v_mul_f64 v[76:77], v[70:71], s[22:23]
	v_add_f64 v[80:81], v[72:73], v[76:77]
	v_fma_f64 v[74:75], s[22:23], v[70:71], v[72:73]
	s_mov_b32 s16, s22
	v_add_f64 v[72:73], v[72:73], -v[80:81]
	v_fma_f64 v[78:79], s[16:17], v[70:71], v[76:77]
	v_add_f64 v[72:73], v[72:73], v[76:77]
	v_add_f64 v[76:77], v[80:81], -v[74:75]
	v_add_f64 v[72:73], v[76:77], v[72:73]
	v_add_f64 v[72:73], v[72:73], -v[78:79]
	v_fmac_f64_e32 v[72:73], s[24:25], v[70:71]
	v_add_f64 v[78:79], v[74:75], v[72:73]
	v_add_f64 v[74:75], v[78:79], -v[74:75]
	v_add_f64 v[80:81], v[72:73], -v[74:75]
	v_cvt_i32_f64_e32 v90, v[70:71]
	s_branch .LBB100_176
.LBB100_329:
	s_endpgm
	.section	.rodata,"a",@progbits
	.p2align	6, 0x0
	.amdhsa_kernel _ZN2at6native12_GLOBAL__N_125multi_tensor_apply_kernelINS1_18TensorListMetadataILi1EEENS1_14UnaryOpFunctorIN3c107complexIdEELi1ELi1ELi0EEEJNS0_3TanIS8_EEEEEvT_T0_DpT1_
		.amdhsa_group_segment_fixed_size 0
		.amdhsa_private_segment_fixed_size 0
		.amdhsa_kernarg_size 3632
		.amdhsa_user_sgpr_count 6
		.amdhsa_user_sgpr_private_segment_buffer 1
		.amdhsa_user_sgpr_dispatch_ptr 0
		.amdhsa_user_sgpr_queue_ptr 0
		.amdhsa_user_sgpr_kernarg_segment_ptr 1
		.amdhsa_user_sgpr_dispatch_id 0
		.amdhsa_user_sgpr_flat_scratch_init 0
		.amdhsa_user_sgpr_kernarg_preload_length 0
		.amdhsa_user_sgpr_kernarg_preload_offset 0
		.amdhsa_user_sgpr_private_segment_size 0
		.amdhsa_uses_dynamic_stack 0
		.amdhsa_system_sgpr_private_segment_wavefront_offset 0
		.amdhsa_system_sgpr_workgroup_id_x 1
		.amdhsa_system_sgpr_workgroup_id_y 0
		.amdhsa_system_sgpr_workgroup_id_z 0
		.amdhsa_system_sgpr_workgroup_info 0
		.amdhsa_system_vgpr_workitem_id 0
		.amdhsa_next_free_vgpr 113
		.amdhsa_next_free_sgpr 96
		.amdhsa_accum_offset 116
		.amdhsa_reserve_vcc 1
		.amdhsa_reserve_flat_scratch 0
		.amdhsa_float_round_mode_32 0
		.amdhsa_float_round_mode_16_64 0
		.amdhsa_float_denorm_mode_32 3
		.amdhsa_float_denorm_mode_16_64 3
		.amdhsa_dx10_clamp 1
		.amdhsa_ieee_mode 1
		.amdhsa_fp16_overflow 0
		.amdhsa_tg_split 0
		.amdhsa_exception_fp_ieee_invalid_op 0
		.amdhsa_exception_fp_denorm_src 0
		.amdhsa_exception_fp_ieee_div_zero 0
		.amdhsa_exception_fp_ieee_overflow 0
		.amdhsa_exception_fp_ieee_underflow 0
		.amdhsa_exception_fp_ieee_inexact 0
		.amdhsa_exception_int_div_zero 0
	.end_amdhsa_kernel
	.section	.text._ZN2at6native12_GLOBAL__N_125multi_tensor_apply_kernelINS1_18TensorListMetadataILi1EEENS1_14UnaryOpFunctorIN3c107complexIdEELi1ELi1ELi0EEEJNS0_3TanIS8_EEEEEvT_T0_DpT1_,"axG",@progbits,_ZN2at6native12_GLOBAL__N_125multi_tensor_apply_kernelINS1_18TensorListMetadataILi1EEENS1_14UnaryOpFunctorIN3c107complexIdEELi1ELi1ELi0EEEJNS0_3TanIS8_EEEEEvT_T0_DpT1_,comdat
.Lfunc_end100:
	.size	_ZN2at6native12_GLOBAL__N_125multi_tensor_apply_kernelINS1_18TensorListMetadataILi1EEENS1_14UnaryOpFunctorIN3c107complexIdEELi1ELi1ELi0EEEJNS0_3TanIS8_EEEEEvT_T0_DpT1_, .Lfunc_end100-_ZN2at6native12_GLOBAL__N_125multi_tensor_apply_kernelINS1_18TensorListMetadataILi1EEENS1_14UnaryOpFunctorIN3c107complexIdEELi1ELi1ELi0EEEJNS0_3TanIS8_EEEEEvT_T0_DpT1_
                                        ; -- End function
	.section	.AMDGPU.csdata,"",@progbits
; Kernel info:
; codeLenInByte = 56720
; NumSgprs: 100
; NumVgprs: 113
; NumAgprs: 0
; TotalNumVgprs: 113
; ScratchSize: 0
; MemoryBound: 1
; FloatMode: 240
; IeeeMode: 1
; LDSByteSize: 0 bytes/workgroup (compile time only)
; SGPRBlocks: 12
; VGPRBlocks: 14
; NumSGPRsForWavesPerEU: 100
; NumVGPRsForWavesPerEU: 113
; AccumOffset: 116
; Occupancy: 4
; WaveLimiterHint : 0
; COMPUTE_PGM_RSRC2:SCRATCH_EN: 0
; COMPUTE_PGM_RSRC2:USER_SGPR: 6
; COMPUTE_PGM_RSRC2:TRAP_HANDLER: 0
; COMPUTE_PGM_RSRC2:TGID_X_EN: 1
; COMPUTE_PGM_RSRC2:TGID_Y_EN: 0
; COMPUTE_PGM_RSRC2:TGID_Z_EN: 0
; COMPUTE_PGM_RSRC2:TIDIG_COMP_CNT: 0
; COMPUTE_PGM_RSRC3_GFX90A:ACCUM_OFFSET: 28
; COMPUTE_PGM_RSRC3_GFX90A:TG_SPLIT: 0
	.section	.text._ZN2at6native12_GLOBAL__N_125multi_tensor_apply_kernelINS1_18TensorListMetadataILi1EEENS1_14UnaryOpFunctorIN3c107complexIfEELi1ELi1ELi0EEEJNS0_3TanIS8_EEEEEvT_T0_DpT1_,"axG",@progbits,_ZN2at6native12_GLOBAL__N_125multi_tensor_apply_kernelINS1_18TensorListMetadataILi1EEENS1_14UnaryOpFunctorIN3c107complexIfEELi1ELi1ELi0EEEJNS0_3TanIS8_EEEEEvT_T0_DpT1_,comdat
	.globl	_ZN2at6native12_GLOBAL__N_125multi_tensor_apply_kernelINS1_18TensorListMetadataILi1EEENS1_14UnaryOpFunctorIN3c107complexIfEELi1ELi1ELi0EEEJNS0_3TanIS8_EEEEEvT_T0_DpT1_ ; -- Begin function _ZN2at6native12_GLOBAL__N_125multi_tensor_apply_kernelINS1_18TensorListMetadataILi1EEENS1_14UnaryOpFunctorIN3c107complexIfEELi1ELi1ELi0EEEJNS0_3TanIS8_EEEEEvT_T0_DpT1_
	.p2align	8
	.type	_ZN2at6native12_GLOBAL__N_125multi_tensor_apply_kernelINS1_18TensorListMetadataILi1EEENS1_14UnaryOpFunctorIN3c107complexIfEELi1ELi1ELi0EEEJNS0_3TanIS8_EEEEEvT_T0_DpT1_,@function
_ZN2at6native12_GLOBAL__N_125multi_tensor_apply_kernelINS1_18TensorListMetadataILi1EEENS1_14UnaryOpFunctorIN3c107complexIfEELi1ELi1ELi0EEEJNS0_3TanIS8_EEEEEvT_T0_DpT1_: ; @_ZN2at6native12_GLOBAL__N_125multi_tensor_apply_kernelINS1_18TensorListMetadataILi1EEENS1_14UnaryOpFunctorIN3c107complexIfEELi1ELi1ELi0EEEJNS0_3TanIS8_EEEEEvT_T0_DpT1_
; %bb.0:
	v_mov_b32_e32 v1, s6
	global_load_ubyte v1, v1, s[4:5] offset:1760
	s_add_u32 s0, s4, s6
	s_mul_hi_u32 s1, s6, 3
	s_mul_i32 s6, s6, 3
	s_addc_u32 s2, s5, 0
	s_add_u32 s0, s0, s6
	s_addc_u32 s1, s2, s1
	s_load_dword s0, s[0:1], 0x820
	s_mov_b32 s7, 0
	s_waitcnt vmcnt(0)
	v_readfirstlane_b32 s1, v1
	s_lshl_b32 s1, s1, 3
	s_load_dwordx2 s[18:19], s[4:5], s1 offset:0x0
	s_load_dwordx2 s[2:3], s[4:5], s1 offset:0x370
	s_waitcnt lgkmcnt(0)
	s_ashr_i32 s1, s0, 31
	s_lshl_b64 s[20:21], s[0:1], 19
	s_add_u32 s26, s18, s20
	s_addc_u32 s33, s19, s21
	s_lshl_b64 s[0:1], s[0:1], 16
	s_and_b32 s6, s26, 31
	s_sub_u32 s16, s2, s0
	s_subb_u32 s17, s3, s1
	s_and_b32 s0, s2, 3
	s_mov_b32 s1, s7
	s_or_b64 s[0:1], s[6:7], s[0:1]
	s_cmp_eq_u64 s[0:1], 0
	s_cbranch_scc1 .LBB101_173
; %bb.1:
	v_cmp_lt_i64_e64 s[0:1], s[16:17], 1
	s_and_b64 vcc, exec, s[0:1]
	s_cbranch_vccnz .LBB101_172
; %bb.2:
	s_load_dword s0, s[4:5], 0xd3c
	v_mov_b32_e32 v4, 0x10000
	v_mov_b32_e32 v5, 0
	v_mov_b32_e32 v3, 0
	v_cmp_lt_u64_e32 vcc, s[16:17], v[4:5]
	s_waitcnt lgkmcnt(0)
	s_and_b32 s2, s0, 0xffff
	s_mul_i32 s6, s2, 3
	s_and_b64 s[0:1], vcc, exec
	v_lshlrev_b32_e32 v4, 3, v0
	v_mov_b32_e32 v5, v3
	v_add_co_u32_e32 v1, vcc, s6, v0
	v_mad_u64_u32 v[6:7], s[0:1], s2, 24, v[4:5]
	v_addc_co_u32_e64 v5, s[0:1], 0, 0, vcc
	s_cselect_b32 s23, s17, 0
	s_cselect_b32 s22, s16, 0x10000
	s_lshl_b32 s0, s2, 4
	s_lshl_b32 s3, s2, 1
	v_add_co_u32_e32 v9, vcc, s0, v4
	v_addc_co_u32_e64 v24, s[0:1], 0, 0, vcc
	v_add_co_u32_e32 v25, vcc, s3, v0
	v_addc_co_u32_e64 v26, s[0:1], 0, 0, vcc
	v_add_co_u32_e32 v27, vcc, s2, v0
	s_lshl_b32 s40, s2, 2
	s_lshl_b32 s41, s2, 5
	v_addc_co_u32_e64 v28, s[0:1], 0, 0, vcc
	v_lshlrev_b32_e32 v8, 3, v27
	s_mov_b64 s[24:25], 0
	s_brev_b32 s42, -2
	s_mov_b32 s43, 0x7f800000
	s_movk_i32 s44, 0x1f8
	s_mov_b32 s45, 0x41300000
	s_brev_b32 s46, 18
	s_mov_b32 s47, 0xfe5163ab
	s_mov_b32 s48, 0x3c439041
	;; [unrolled: 1-line block ×10, first 2 shown]
	v_mov_b32_e32 v29, 0x3f93f425
	s_mov_b32 s57, 0xbf317218
	v_mov_b32_e32 v11, 0x3f317218
	v_mov_b32_e32 v30, 0x3d2aadcc
	;; [unrolled: 1-line block ×4, first 2 shown]
	s_mov_b32 s27, -1.0
	s_mov_b32 s58, 0x42b2d4fc
	s_mov_b32 s59, 0x39800000
	;; [unrolled: 1-line block ×3, first 2 shown]
	v_mov_b32_e32 v33, 0x260
	v_mov_b32_e32 v34, 0xbe2aaa9d
	;; [unrolled: 1-line block ×4, first 2 shown]
	s_mov_b32 s61, 0xbfb8aa3b
	s_mov_b32 s62, 0xb2a5705f
	;; [unrolled: 1-line block ×4, first 2 shown]
	v_not_b32_e32 v37, 63
	v_not_b32_e32 v38, 31
	v_mov_b32_e32 v13, -1.0
	v_mov_b32_e32 v39, 0x7f800000
	v_mov_b32_e32 v40, 0x7fc00000
	s_branch .LBB101_4
.LBB101_3:                              ;   in Loop: Header=BB101_4 Depth=1
	s_or_b64 exec, exec, s[0:1]
	s_add_u32 s24, s24, s40
	s_addc_u32 s25, s25, 0
	v_pk_mov_b32 v[14:15], s[16:17], s[16:17] op_sel:[0,1]
	v_cmp_ge_i64_e32 vcc, s[24:25], v[14:15]
	v_mov_b32_e32 v14, 0xffff
	v_mov_b32_e32 v15, 0
	v_cmp_gt_u64_e64 s[0:1], s[24:25], v[14:15]
	s_or_b64 s[0:1], vcc, s[0:1]
	s_add_u32 s26, s26, s41
	s_addc_u32 s33, s33, 0
	s_and_b64 vcc, exec, s[0:1]
	s_cbranch_vccnz .LBB101_172
.LBB101_4:                              ; =>This Inner Loop Header: Depth=1
	v_mov_b32_e32 v2, s25
	v_add_co_u32_e32 v14, vcc, s24, v0
	v_addc_co_u32_e32 v15, vcc, 0, v2, vcc
	v_cmp_gt_u64_e64 s[0:1], s[22:23], v[14:15]
	v_mov_b32_e32 v20, 0
	v_mov_b32_e32 v21, 0
	s_and_saveexec_b64 s[2:3], s[0:1]
	s_cbranch_execz .LBB101_6
; %bb.5:                                ;   in Loop: Header=BB101_4 Depth=1
	v_mov_b32_e32 v2, s33
	v_add_co_u32_e32 v14, vcc, s26, v4
	v_addc_co_u32_e32 v15, vcc, 0, v2, vcc
	global_load_dwordx2 v[20:21], v[14:15], off
.LBB101_6:                              ;   in Loop: Header=BB101_4 Depth=1
	s_or_b64 exec, exec, s[2:3]
	v_mov_b32_e32 v2, s25
	v_add_co_u32_e32 v14, vcc, s24, v27
	v_addc_co_u32_e32 v15, vcc, v28, v2, vcc
	v_cmp_gt_u64_e64 s[2:3], s[22:23], v[14:15]
	v_mov_b32_e32 v18, 0
	v_mov_b32_e32 v22, 0
	;; [unrolled: 1-line block ×3, first 2 shown]
	s_and_saveexec_b64 s[6:7], s[2:3]
	s_cbranch_execz .LBB101_8
; %bb.7:                                ;   in Loop: Header=BB101_4 Depth=1
	v_mov_b32_e32 v2, s33
	v_add_co_u32_e32 v14, vcc, s26, v8
	v_addc_co_u32_e32 v15, vcc, 0, v2, vcc
	global_load_dwordx2 v[22:23], v[14:15], off
.LBB101_8:                              ;   in Loop: Header=BB101_4 Depth=1
	s_or_b64 exec, exec, s[6:7]
	v_mov_b32_e32 v2, s25
	v_add_co_u32_e32 v14, vcc, s24, v25
	v_addc_co_u32_e32 v15, vcc, v26, v2, vcc
	v_cmp_gt_u64_e64 s[6:7], s[22:23], v[14:15]
	v_mov_b32_e32 v19, 0
	s_and_saveexec_b64 s[8:9], s[6:7]
	s_cbranch_execz .LBB101_10
; %bb.9:                                ;   in Loop: Header=BB101_4 Depth=1
	v_mov_b32_e32 v2, s33
	v_add_co_u32_e32 v14, vcc, s26, v9
	v_addc_co_u32_e32 v15, vcc, v2, v24, vcc
	global_load_dwordx2 v[18:19], v[14:15], off
.LBB101_10:                             ;   in Loop: Header=BB101_4 Depth=1
	s_or_b64 exec, exec, s[8:9]
	v_mov_b32_e32 v2, s25
	v_add_co_u32_e32 v14, vcc, s24, v1
	v_addc_co_u32_e32 v15, vcc, v5, v2, vcc
	v_cmp_gt_u64_e64 s[8:9], s[22:23], v[14:15]
	v_mov_b32_e32 v14, 0
	v_mov_b32_e32 v15, 0
	s_and_saveexec_b64 s[10:11], s[8:9]
	s_cbranch_execz .LBB101_12
; %bb.11:                               ;   in Loop: Header=BB101_4 Depth=1
	v_mov_b32_e32 v2, s33
	v_add_co_u32_e32 v14, vcc, s26, v6
	v_addc_co_u32_e32 v15, vcc, v2, v7, vcc
	global_load_dwordx2 v[14:15], v[14:15], off
.LBB101_12:                             ;   in Loop: Header=BB101_4 Depth=1
	s_or_b64 exec, exec, s[10:11]
	s_waitcnt vmcnt(0)
	v_and_b32_e32 v10, 0x7fffffff, v21
	v_cmp_gt_u32_e32 vcc, s43, v10
                                        ; implicit-def: $vgpr16
                                        ; implicit-def: $vgpr17
	s_and_saveexec_b64 s[10:11], vcc
	s_xor_b64 s[28:29], exec, s[10:11]
	s_cbranch_execz .LBB101_34
; %bb.13:                               ;   in Loop: Header=BB101_4 Depth=1
	v_cmp_class_f32_e64 s[10:11], v20, s44
                                        ; implicit-def: $vgpr16
                                        ; implicit-def: $vgpr17
	s_and_saveexec_b64 s[12:13], s[10:11]
	s_xor_b64 s[30:31], exec, s[12:13]
	s_cbranch_execz .LBB101_31
; %bb.14:                               ;   in Loop: Header=BB101_4 Depth=1
	v_and_b32_e32 v41, 0x7fffffff, v20
	v_cmp_gt_u32_e32 vcc, s45, v10
                                        ; implicit-def: $vgpr16
                                        ; implicit-def: $vgpr17
	s_and_saveexec_b64 s[10:11], vcc
	s_xor_b64 s[34:35], exec, s[10:11]
	s_cbranch_execz .LBB101_20
; %bb.15:                               ;   in Loop: Header=BB101_4 Depth=1
	v_cmp_nlt_f32_e64 s[10:11], |v20|, s46
                                        ; implicit-def: $vgpr12
                                        ; implicit-def: $vgpr2
	s_and_saveexec_b64 s[12:13], s[10:11]
	s_xor_b64 s[36:37], exec, s[12:13]
	s_cbranch_execz .LBB101_17
; %bb.16:                               ;   in Loop: Header=BB101_4 Depth=1
	v_lshrrev_b32_e32 v2, 23, v41
	v_add_u32_e32 v2, 0xffffff88, v2
	v_cmp_lt_u32_e32 vcc, 63, v2
	v_cndmask_b32_e32 v12, 0, v37, vcc
	v_add_u32_e32 v2, v12, v2
	v_cmp_lt_u32_e64 s[10:11], 31, v2
	v_cndmask_b32_e64 v12, 0, v38, s[10:11]
	v_add_u32_e32 v2, v12, v2
	v_cmp_lt_u32_e64 s[12:13], 31, v2
	v_cndmask_b32_e64 v12, 0, v38, s[12:13]
	v_add_u32_e32 v12, v12, v2
	v_and_b32_e32 v2, 0x7fffff, v41
	v_or_b32_e32 v52, 0x800000, v2
	v_mad_u64_u32 v[16:17], s[14:15], v52, s47, 0
	v_mov_b32_e32 v2, v17
	v_mad_u64_u32 v[42:43], s[14:15], v52, s48, v[2:3]
	v_mov_b32_e32 v2, v43
	;; [unrolled: 2-line block ×6, first 2 shown]
	v_mad_u64_u32 v[52:53], s[14:15], v52, s53, v[2:3]
	v_cndmask_b32_e32 v17, v50, v46, vcc
	v_cndmask_b32_e32 v2, v52, v48, vcc
	;; [unrolled: 1-line block ×3, first 2 shown]
	v_cndmask_b32_e64 v43, v2, v17, s[10:11]
	v_cndmask_b32_e64 v2, v45, v2, s[10:11]
	v_cndmask_b32_e32 v45, v48, v44, vcc
	v_cndmask_b32_e64 v17, v17, v45, s[10:11]
	v_cndmask_b32_e64 v2, v2, v43, s[12:13]
	;; [unrolled: 1-line block ×3, first 2 shown]
	v_sub_u32_e32 v47, 32, v12
	v_alignbit_b32 v48, v2, v43, v47
	v_cmp_eq_u32_e64 s[14:15], 0, v12
	v_cndmask_b32_e64 v12, v48, v2, s[14:15]
	v_cndmask_b32_e32 v2, v46, v42, vcc
	v_cndmask_b32_e64 v42, v45, v2, s[10:11]
	v_cndmask_b32_e64 v17, v17, v42, s[12:13]
	v_alignbit_b32 v45, v43, v17, v47
	v_cndmask_b32_e64 v43, v45, v43, s[14:15]
	v_bfe_u32 v48, v12, 29, 1
	v_cndmask_b32_e32 v16, v44, v16, vcc
	v_alignbit_b32 v45, v12, v43, 30
	v_sub_u32_e32 v49, 0, v48
	v_cndmask_b32_e64 v2, v2, v16, s[10:11]
	v_xor_b32_e32 v50, v45, v49
	v_cndmask_b32_e64 v2, v42, v2, s[12:13]
	v_alignbit_b32 v16, v17, v2, v47
	v_ffbh_u32_e32 v42, v50
	v_cndmask_b32_e64 v16, v16, v17, s[14:15]
	v_add_u32_e32 v42, 1, v42
	v_cmp_ne_u32_e32 vcc, v45, v49
	v_alignbit_b32 v17, v43, v16, 30
	v_cndmask_b32_e32 v42, 33, v42, vcc
	v_alignbit_b32 v2, v16, v2, 30
	v_xor_b32_e32 v17, v17, v49
	v_sub_u32_e32 v43, 32, v42
	v_xor_b32_e32 v2, v2, v49
	v_alignbit_b32 v44, v50, v17, v43
	v_alignbit_b32 v2, v17, v2, v43
	;; [unrolled: 1-line block ×3, first 2 shown]
	v_ffbh_u32_e32 v17, v16
	v_min_u32_e32 v17, 32, v17
	v_lshrrev_b32_e32 v46, 29, v12
	v_sub_u32_e32 v43, 31, v17
	v_alignbit_b32 v2, v16, v2, v43
	v_lshlrev_b32_e32 v16, 31, v46
	v_or_b32_e32 v43, 0x33800000, v16
	v_add_lshl_u32 v17, v17, v42, 23
	v_lshrrev_b32_e32 v2, 9, v2
	v_sub_u32_e32 v17, v43, v17
	v_or_b32_e32 v2, v17, v2
	v_alignbit_b32 v17, v42, v44, 9
	v_or_b32_e32 v16, v17, v16
	v_xor_b32_e32 v16, 1.0, v16
	v_mul_f32_e32 v17, 0x3fc90fda, v16
	v_fma_f32 v42, v16, s54, -v17
	v_fmac_f32_e32 v42, 0x33a22168, v16
	v_fmac_f32_e32 v42, 0x3fc90fda, v2
	v_lshrrev_b32_e32 v12, 30, v12
	v_add_f32_e32 v2, v17, v42
	v_add_u32_e32 v12, v48, v12
.LBB101_17:                             ;   in Loop: Header=BB101_4 Depth=1
	s_andn2_saveexec_b64 s[10:11], s[36:37]
; %bb.18:                               ;   in Loop: Header=BB101_4 Depth=1
	v_mul_f32_e64 v2, |v20|, s55
	v_rndne_f32_e32 v16, v2
	v_cvt_i32_f32_e32 v12, v16
	v_fma_f32 v2, v16, s56, |v20|
	v_fmac_f32_e32 v2, 0xb3a22168, v16
	v_fmac_f32_e32 v2, 0xa7c234c4, v16
; %bb.19:                               ;   in Loop: Header=BB101_4 Depth=1
	s_or_b64 exec, exec, s[10:11]
	v_mul_f32_e32 v16, v2, v2
	v_mov_b32_e32 v17, 0xbf039337
	v_fmac_f32_e32 v17, 0x3c971480, v16
	v_fma_f32 v17, v16, v17, v29
	v_rcp_f32_e32 v17, v17
	v_mov_b32_e32 v42, 0x3ec54587
	v_fmac_f32_e32 v42, 0xbc8cedd3, v16
	v_and_b32_e32 v12, 1, v12
	v_mul_f32_e32 v17, v42, v17
	v_mul_f32_e32 v16, v16, v17
	v_fma_f32 v17, v16, v2, v2
	v_rcp_f32_e32 v42, v17
	v_sub_f32_e32 v43, v17, v2
	v_fma_f32 v2, v16, v2, -v43
	v_cmp_eq_u32_e32 vcc, 0, v12
	v_fma_f32 v16, v17, -v42, 1.0
	v_fma_f32 v2, v2, -v42, v16
	v_fma_f32 v2, v2, -v42, -v42
	v_add_f32_e64 v12, |v21|, s57
	v_cndmask_b32_e32 v2, v2, v17, vcc
	v_sub_f32_e64 v17, v12, |v21|
	v_sub_f32_e32 v16, v17, v12
	v_pk_add_f32 v[16:17], v[10:11], v[16:17]
	v_sub_f32_e32 v10, v16, v17
	v_add_f32_e32 v10, 0x3102e308, v10
	v_add_f32_e32 v16, v12, v10
	v_sub_f32_e32 v12, v12, v16
	v_add_f32_e32 v10, v10, v12
	v_mul_f32_e32 v12, 0x3fb8aa3b, v16
	v_rndne_f32_e32 v48, v12
	v_fmac_f32_e32 v16, 0xbf317200, v48
	v_add_f32_e32 v12, v10, v16
	v_sub_f32_e32 v16, v16, v12
	v_add_f32_e32 v10, v10, v16
	v_mul_f32_e32 v16, 0x35bfbc00, v48
	v_sub_f32_e32 v42, v12, v16
	v_sub_f32_e32 v12, v12, v42
	;; [unrolled: 1-line block ×3, first 2 shown]
	v_add_f32_e32 v10, v10, v12
	v_add_f32_e32 v43, v42, v10
	v_mul_f32_e32 v17, 0x2ea39ef3, v48
	v_mov_b32_e32 v16, v43
	v_pk_add_f32 v[44:45], v[42:43], v[16:17] neg_lo:[0,1] neg_hi:[0,1]
	v_sub_f32_e32 v12, v43, v45
	v_sub_f32_e32 v12, v12, v17
	v_add_f32_e32 v10, v10, v44
	v_add_f32_e32 v10, v10, v12
	;; [unrolled: 1-line block ×3, first 2 shown]
	v_sub_f32_e32 v17, v45, v16
	v_mov_b32_e32 v12, 0x3c091de6
	v_add_f32_e32 v10, v10, v17
	v_mul_f32_e32 v42, v16, v16
	v_fmac_f32_e32 v12, 0x3ab42872, v16
	v_add_f32_e32 v17, v10, v10
	v_fma_f32 v43, v16, v16, -v42
	v_fma_f32 v12, v16, v12, v30
	v_fmac_f32_e32 v43, v16, v17
	v_fma_f32 v12, v16, v12, v31
	v_add_f32_e32 v17, v42, v43
	v_fma_f32 v12, v16, v12, v32
	v_sub_f32_e32 v42, v17, v42
	v_sub_f32_e32 v42, v43, v42
	v_mul_f32_e32 v43, v12, v17
	v_fma_f32 v17, v17, v12, -v43
	v_fmac_f32_e32 v17, v42, v12
	v_add_f32_e32 v42, v43, v17
	v_sub_f32_e32 v12, v42, v43
	v_sub_f32_e32 v17, v17, v12
	v_add_f32_e32 v12, v16, v42
	v_sub_f32_e32 v16, v12, v16
	v_sub_f32_e32 v16, v42, v16
	v_add_f32_e32 v10, v10, v17
	v_add_f32_e32 v16, v10, v16
	;; [unrolled: 1-line block ×3, first 2 shown]
	v_add_f32_e32 v43, 1.0, v42
	v_pk_add_f32 v[44:45], v[42:43], v[12:13] neg_lo:[0,1] neg_hi:[0,1]
	v_pk_add_f32 v[46:47], v[42:43], s[26:27]
	v_mov_b32_e32 v45, v47
	v_mov_b32_e32 v17, v42
	v_cvt_i32_f32_e32 v10, v48
	v_pk_add_f32 v[16:17], v[16:17], v[44:45] neg_lo:[0,1] neg_hi:[0,1]
	v_add_f32_e32 v12, v16, v17
	v_add_f32_e32 v16, v43, v12
	v_ldexp_f32 v17, v16, v10
	v_rcp_f32_e32 v42, v17
	v_sub_f32_e32 v16, v16, v43
	v_sub_f32_e32 v12, v12, v16
	v_ldexp_f32 v10, v12, v10
	v_mul_f32_e32 v12, v17, v42
	v_fma_f32 v16, v42, v17, -v12
	v_fmac_f32_e32 v16, v42, v10
	v_add_f32_e32 v43, v12, v16
	v_sub_f32_e32 v44, 1.0, v43
	v_sub_f32_e32 v45, 1.0, v44
	v_sub_f32_e32 v12, v43, v12
	v_sub_f32_e32 v45, v45, v43
	;; [unrolled: 1-line block ×3, first 2 shown]
	v_add_f32_e32 v12, v12, v45
	v_add_f32_e32 v16, v44, v12
	v_mul_f32_e32 v43, v42, v16
	v_mul_f32_e32 v45, v17, v43
	v_fma_f32 v46, v43, v17, -v45
	v_fmac_f32_e32 v46, v43, v10
	v_sub_f32_e32 v44, v44, v16
	v_add_f32_e32 v12, v12, v44
	v_add_f32_e32 v44, v45, v46
	v_sub_f32_e32 v47, v16, v44
	v_sub_f32_e32 v16, v16, v47
	v_sub_f32_e32 v45, v44, v45
	v_sub_f32_e32 v16, v16, v44
	v_add_f32_e32 v12, v12, v16
	v_sub_f32_e32 v16, v45, v46
	v_add_f32_e32 v12, v16, v12
	v_add_f32_e32 v12, v47, v12
	;; [unrolled: 1-line block ×3, first 2 shown]
	v_mul_f32_e32 v12, v42, v12
	v_sub_f32_e32 v42, v16, v42
	v_sub_f32_e32 v42, v43, v42
	v_add_f32_e32 v12, v42, v12
	v_add_f32_e32 v42, v16, v12
	v_sub_f32_e32 v16, v42, v16
	v_sub_f32_e32 v12, v12, v16
	v_ldexp_f32 v16, v42, -2
	v_sub_f32_e32 v42, v17, v16
	v_sub_f32_e32 v17, v17, v42
	v_sub_f32_e32 v16, v17, v16
	v_ldexp_f32 v12, v12, -2
	v_add_f32_e32 v10, v10, v16
	v_sub_f32_e32 v10, v10, v12
	v_add_f32_e32 v10, v42, v10
	v_cmp_ngt_f32_e64 vcc, |v21|, s58
	v_cndmask_b32_e32 v10, v39, v10, vcc
	v_cmp_lt_f32_e64 s[10:11], |v21|, s59
	v_cndmask_b32_e64 v10, v10, |v21|, s[10:11]
	v_xor_b32_e32 v12, 0x80000000, v21
	v_bfi_b32 v10, s42, v10, v12
	v_fma_f32 v12, v10, v10, 1.0
	v_mul_f32_e32 v16, 0x4f800000, v12
	v_cmp_gt_f32_e32 vcc, s60, v12
	v_cndmask_b32_e32 v12, v12, v16, vcc
	v_sqrt_f32_e32 v16, v12
	v_xor_b32_e32 v2, v41, v2
	v_xor_b32_e32 v2, v2, v20
	v_fma_f32 v17, v2, v2, 1.0
	v_add_u32_e32 v20, -1, v16
	v_fma_f32 v21, -v20, v16, v12
	v_cmp_ge_f32_e64 s[10:11], 0, v21
	v_add_u32_e32 v21, 1, v16
	v_cndmask_b32_e64 v20, v16, v20, s[10:11]
	v_fma_f32 v16, -v21, v16, v12
	v_cmp_lt_f32_e64 s[10:11], 0, v16
	v_cndmask_b32_e64 v16, v20, v21, s[10:11]
	v_mul_f32_e32 v20, 0x37800000, v16
	v_cndmask_b32_e32 v16, v16, v20, vcc
	v_cmp_class_f32_e32 vcc, v12, v33
	v_cndmask_b32_e32 v12, v16, v12, vcc
	v_mul_f32_e32 v16, v10, v17
	v_mul_f32_e32 v12, v12, v17
	v_fma_f32 v16, v10, v16, 1.0
	v_mul_f32_e32 v10, v10, v12
	v_div_scale_f32 v12, s[10:11], v16, v16, v10
	v_rcp_f32_e32 v17, v12
	v_fma_f32 v20, -v12, v17, 1.0
	v_fmac_f32_e32 v17, v20, v17
	v_div_scale_f32 v20, vcc, v10, v16, v10
	v_mul_f32_e32 v21, v20, v17
	v_fma_f32 v41, -v12, v21, v20
	v_fmac_f32_e32 v21, v41, v17
	v_fma_f32 v12, -v12, v21, v20
	v_div_scale_f32 v20, s[10:11], v16, v16, v2
	v_rcp_f32_e32 v41, v20
	v_div_fmas_f32 v12, v12, v17, v21
	v_div_fixup_f32 v17, v12, v16, v10
	v_fma_f32 v10, -v20, v41, 1.0
	v_fmac_f32_e32 v41, v10, v41
	v_div_scale_f32 v10, vcc, v2, v16, v2
	v_mul_f32_e32 v12, v10, v41
	v_fma_f32 v21, -v20, v12, v10
	v_fmac_f32_e32 v12, v21, v41
	v_fma_f32 v10, -v20, v12, v10
	v_div_fmas_f32 v10, v10, v41, v12
	v_div_fixup_f32 v16, v10, v16, v2
                                        ; implicit-def: $vgpr20
                                        ; implicit-def: $vgpr41
.LBB101_20:                             ;   in Loop: Header=BB101_4 Depth=1
	s_andn2_saveexec_b64 s[34:35], s[34:35]
	s_cbranch_execz .LBB101_23
; %bb.21:                               ;   in Loop: Header=BB101_4 Depth=1
	v_lshrrev_b32_e32 v2, 23, v41
	v_and_b32_e32 v10, 0x7fffff, v41
	v_cmp_nlt_f32_e64 s[36:37], |v20|, s46
	v_add_u32_e32 v17, 0xffffff88, v2
	v_or_b32_e32 v16, 0x800000, v10
                                        ; implicit-def: $vgpr10
                                        ; implicit-def: $vgpr12
	s_and_saveexec_b64 s[10:11], s[36:37]
	s_xor_b64 s[38:39], exec, s[10:11]
	s_cbranch_execz .LBB101_24
; %bb.22:                               ;   in Loop: Header=BB101_4 Depth=1
	v_cmp_lt_u32_e32 vcc, 63, v17
	v_cndmask_b32_e32 v2, 0, v37, vcc
	v_add_u32_e32 v2, v2, v17
	v_cmp_lt_u32_e64 s[10:11], 31, v2
	v_cndmask_b32_e64 v10, 0, v38, s[10:11]
	v_add_u32_e32 v2, v10, v2
	v_cmp_lt_u32_e64 s[12:13], 31, v2
	v_cndmask_b32_e64 v10, 0, v38, s[12:13]
	v_mad_u64_u32 v[42:43], s[14:15], v16, s47, 0
	v_add_u32_e32 v10, v10, v2
	v_mov_b32_e32 v2, v43
	v_mad_u64_u32 v[44:45], s[14:15], v16, s48, v[2:3]
	v_mov_b32_e32 v2, v45
	v_mad_u64_u32 v[46:47], s[14:15], v16, s49, v[2:3]
	;; [unrolled: 2-line block ×6, first 2 shown]
	v_cndmask_b32_e32 v12, v52, v48, vcc
	v_cndmask_b32_e32 v2, v54, v50, vcc
	;; [unrolled: 1-line block ×3, first 2 shown]
	v_cndmask_b32_e64 v43, v2, v12, s[10:11]
	v_cndmask_b32_e64 v2, v45, v2, s[10:11]
	v_cndmask_b32_e32 v45, v50, v46, vcc
	v_cndmask_b32_e64 v12, v12, v45, s[10:11]
	v_sub_u32_e32 v47, 32, v10
	v_cmp_eq_u32_e64 s[14:15], 0, v10
	v_cndmask_b32_e32 v10, v48, v44, vcc
	v_cndmask_b32_e64 v2, v2, v43, s[12:13]
	v_cndmask_b32_e64 v43, v43, v12, s[12:13]
	;; [unrolled: 1-line block ×3, first 2 shown]
	v_alignbit_b32 v49, v2, v43, v47
	v_cndmask_b32_e64 v12, v12, v44, s[12:13]
	v_cndmask_b32_e32 v42, v46, v42, vcc
	v_cndmask_b32_e64 v2, v49, v2, s[14:15]
	v_alignbit_b32 v45, v43, v12, v47
	v_cndmask_b32_e64 v10, v10, v42, s[10:11]
	v_cndmask_b32_e64 v43, v45, v43, s[14:15]
	v_bfe_u32 v49, v2, 29, 1
	v_cndmask_b32_e64 v10, v44, v10, s[12:13]
	v_alignbit_b32 v45, v2, v43, 30
	v_sub_u32_e32 v50, 0, v49
	v_alignbit_b32 v42, v12, v10, v47
	v_xor_b32_e32 v51, v45, v50
	v_cndmask_b32_e64 v12, v42, v12, s[14:15]
	v_alignbit_b32 v42, v43, v12, 30
	v_ffbh_u32_e32 v43, v51
	v_add_u32_e32 v43, 1, v43
	v_cmp_ne_u32_e32 vcc, v45, v50
	v_cndmask_b32_e32 v43, 33, v43, vcc
	v_alignbit_b32 v10, v12, v10, 30
	v_xor_b32_e32 v42, v42, v50
	v_sub_u32_e32 v44, 32, v43
	v_xor_b32_e32 v10, v10, v50
	v_alignbit_b32 v45, v51, v42, v44
	v_alignbit_b32 v10, v42, v10, v44
	;; [unrolled: 1-line block ×3, first 2 shown]
	v_ffbh_u32_e32 v42, v12
	v_min_u32_e32 v42, 32, v42
	v_lshrrev_b32_e32 v48, 29, v2
	v_sub_u32_e32 v44, 31, v42
	v_alignbit_b32 v10, v12, v10, v44
	v_lshlrev_b32_e32 v12, 31, v48
	v_or_b32_e32 v44, 0x33800000, v12
	v_add_lshl_u32 v42, v42, v43, 23
	v_lshrrev_b32_e32 v10, 9, v10
	v_sub_u32_e32 v42, v44, v42
	v_or_b32_e32 v10, v42, v10
	v_alignbit_b32 v42, v43, v45, 9
	v_or_b32_e32 v12, v42, v12
	v_xor_b32_e32 v12, 1.0, v12
	v_mul_f32_e32 v42, 0x3fc90fda, v12
	v_fma_f32 v43, v12, s54, -v42
	v_fmac_f32_e32 v43, 0x33a22168, v12
	v_fmac_f32_e32 v43, 0x3fc90fda, v10
	v_lshrrev_b32_e32 v2, 30, v2
	v_add_f32_e32 v12, v42, v43
	v_add_u32_e32 v10, v49, v2
	s_andn2_saveexec_b64 s[10:11], s[38:39]
	s_branch .LBB101_25
.LBB101_23:                             ;   in Loop: Header=BB101_4 Depth=1
	s_or_b64 exec, exec, s[34:35]
                                        ; implicit-def: $vgpr20
	s_andn2_saveexec_b64 s[10:11], s[30:31]
	s_cbranch_execnz .LBB101_32
	s_branch .LBB101_33
.LBB101_24:                             ;   in Loop: Header=BB101_4 Depth=1
	s_andn2_saveexec_b64 s[10:11], s[38:39]
.LBB101_25:                             ;   in Loop: Header=BB101_4 Depth=1
	v_mul_f32_e64 v2, |v20|, s55
	v_rndne_f32_e32 v2, v2
	v_cvt_i32_f32_e32 v10, v2
	v_fma_f32 v12, v2, s56, |v20|
	v_fmac_f32_e32 v12, 0xb3a22168, v2
	v_fmac_f32_e32 v12, 0xa7c234c4, v2
; %bb.26:                               ;   in Loop: Header=BB101_4 Depth=1
	s_or_b64 exec, exec, s[10:11]
                                        ; implicit-def: $vgpr2
                                        ; implicit-def: $vgpr42
	s_and_saveexec_b64 s[10:11], s[36:37]
	s_xor_b64 s[36:37], exec, s[10:11]
	s_cbranch_execz .LBB101_28
; %bb.27:                               ;   in Loop: Header=BB101_4 Depth=1
	v_cmp_lt_u32_e32 vcc, 63, v17
	v_cndmask_b32_e32 v2, 0, v37, vcc
	v_add_u32_e32 v2, v2, v17
	v_cmp_lt_u32_e64 s[10:11], 31, v2
	v_cndmask_b32_e64 v17, 0, v38, s[10:11]
	v_add_u32_e32 v2, v17, v2
	v_cmp_lt_u32_e64 s[12:13], 31, v2
	v_cndmask_b32_e64 v17, 0, v38, s[12:13]
	v_mad_u64_u32 v[42:43], s[14:15], v16, s47, 0
	v_add_u32_e32 v54, v17, v2
	v_mov_b32_e32 v2, v43
	v_mad_u64_u32 v[44:45], s[14:15], v16, s48, v[2:3]
	v_mov_b32_e32 v2, v45
	v_mad_u64_u32 v[46:47], s[14:15], v16, s49, v[2:3]
	;; [unrolled: 2-line block ×6, first 2 shown]
	v_cndmask_b32_e32 v43, v52, v48, vcc
	v_cndmask_b32_e32 v2, v16, v50, vcc
	;; [unrolled: 1-line block ×3, first 2 shown]
	v_cndmask_b32_e64 v16, v2, v43, s[10:11]
	v_cndmask_b32_e64 v2, v17, v2, s[10:11]
	v_cndmask_b32_e32 v17, v50, v46, vcc
	v_cndmask_b32_e64 v43, v43, v17, s[10:11]
	v_cndmask_b32_e32 v44, v48, v44, vcc
	v_cndmask_b32_e64 v2, v2, v16, s[12:13]
	v_cndmask_b32_e64 v16, v16, v43, s[12:13]
	v_sub_u32_e32 v45, 32, v54
	v_cndmask_b32_e64 v17, v17, v44, s[10:11]
	v_alignbit_b32 v47, v2, v16, v45
	v_cmp_eq_u32_e64 s[14:15], 0, v54
	v_cndmask_b32_e64 v43, v43, v17, s[12:13]
	v_cndmask_b32_e64 v2, v47, v2, s[14:15]
	v_alignbit_b32 v47, v16, v43, v45
	v_cndmask_b32_e32 v42, v46, v42, vcc
	v_cndmask_b32_e64 v16, v47, v16, s[14:15]
	v_bfe_u32 v49, v2, 29, 1
	v_cndmask_b32_e64 v42, v44, v42, s[10:11]
	v_alignbit_b32 v47, v2, v16, 30
	v_sub_u32_e32 v50, 0, v49
	v_cndmask_b32_e64 v17, v17, v42, s[12:13]
	v_xor_b32_e32 v51, v47, v50
	v_alignbit_b32 v42, v43, v17, v45
	v_cndmask_b32_e64 v42, v42, v43, s[14:15]
	v_ffbh_u32_e32 v43, v51
	v_add_u32_e32 v43, 1, v43
	v_cmp_ne_u32_e32 vcc, v47, v50
	v_alignbit_b32 v16, v16, v42, 30
	v_cndmask_b32_e32 v43, 33, v43, vcc
	v_alignbit_b32 v17, v42, v17, 30
	v_xor_b32_e32 v16, v16, v50
	v_sub_u32_e32 v44, 32, v43
	v_xor_b32_e32 v17, v17, v50
	v_alignbit_b32 v45, v51, v16, v44
	v_alignbit_b32 v16, v16, v17, v44
	;; [unrolled: 1-line block ×3, first 2 shown]
	v_ffbh_u32_e32 v42, v17
	v_min_u32_e32 v42, 32, v42
	v_lshrrev_b32_e32 v48, 29, v2
	v_sub_u32_e32 v44, 31, v42
	v_alignbit_b32 v16, v17, v16, v44
	v_lshlrev_b32_e32 v17, 31, v48
	v_or_b32_e32 v44, 0x33800000, v17
	v_add_lshl_u32 v42, v42, v43, 23
	v_lshrrev_b32_e32 v16, 9, v16
	v_sub_u32_e32 v42, v44, v42
	v_or_b32_e32 v16, v42, v16
	v_alignbit_b32 v42, v43, v45, 9
	v_or_b32_e32 v17, v42, v17
	v_xor_b32_e32 v17, 1.0, v17
	v_mul_f32_e32 v42, 0x3fc90fda, v17
	v_fma_f32 v43, v17, s54, -v42
	v_fmac_f32_e32 v43, 0x33a22168, v17
	v_fmac_f32_e32 v43, 0x3fc90fda, v16
	v_lshrrev_b32_e32 v2, 30, v2
	v_add_f32_e32 v42, v42, v43
	v_add_u32_e32 v2, v49, v2
	s_andn2_saveexec_b64 s[10:11], s[36:37]
	s_cbranch_execnz .LBB101_29
	s_branch .LBB101_30
.LBB101_28:                             ;   in Loop: Header=BB101_4 Depth=1
	s_andn2_saveexec_b64 s[10:11], s[36:37]
.LBB101_29:                             ;   in Loop: Header=BB101_4 Depth=1
	v_mul_f32_e64 v2, |v20|, s55
	v_rndne_f32_e32 v16, v2
	v_cvt_i32_f32_e32 v2, v16
	v_fma_f32 v42, v16, s56, |v20|
	v_fmac_f32_e32 v42, 0xb3a22168, v16
	v_fmac_f32_e32 v42, 0xa7c234c4, v16
.LBB101_30:                             ;   in Loop: Header=BB101_4 Depth=1
	s_or_b64 exec, exec, s[10:11]
	v_mul_f32_e32 v16, v12, v12
	v_mov_b32_e32 v17, 0x3c0881c4
	v_fmac_f32_e32 v17, 0xb94c1982, v16
	v_fma_f32 v17, v16, v17, v34
	v_mul_f32_e32 v17, v16, v17
	v_fmac_f32_e32 v12, v12, v17
	v_mov_b32_e32 v17, 0xbab64f3b
	v_fmac_f32_e32 v17, 0x37d75334, v16
	v_fma_f32 v17, v16, v17, v35
	v_fma_f32 v17, v16, v17, v36
	v_fma_f32 v16, v16, v17, 1.0
	v_and_b32_e32 v17, 1, v10
	v_cmp_eq_u32_e32 vcc, 0, v17
	v_cndmask_b32_e32 v12, v16, v12, vcc
	v_lshlrev_b32_e32 v10, 30, v10
	v_mul_f32_e64 v16, |v21|, s61
	v_and_b32_e32 v10, 0x80000000, v10
	v_rndne_f32_e32 v17, v16
	v_xor_b32_e32 v10, v41, v10
	v_sub_f32_e32 v41, v16, v17
	v_fma_f32 v16, |v21|, s61, -v16
	v_fma_f32 v16, |v21|, s62, v16
	v_add_f32_e32 v16, v41, v16
	v_exp_f32_e32 v16, v16
	v_cvt_i32_f32_e32 v17, v17
	v_xor_b32_e32 v10, v10, v12
	v_xor_b32_e32 v10, v10, v20
	v_mov_b32_e32 v20, 0x3c0881c4
	v_ldexp_f32 v12, v16, v17
	v_xor_b32_e32 v16, 0x80000000, v21
	v_bfi_b32 v17, s42, 1.0, v16
	v_mul_f32_e32 v16, v42, v42
	v_fmac_f32_e32 v20, 0xb94c1982, v16
	v_fma_f32 v20, v16, v20, v34
	v_mul_f32_e32 v20, v16, v20
	v_fmac_f32_e32 v42, v42, v20
	v_mov_b32_e32 v20, 0xbab64f3b
	v_fmac_f32_e32 v20, 0x37d75334, v16
	v_fma_f32 v20, v16, v20, v35
	v_cmp_ngt_f32_e64 vcc, |v21|, s63
	v_fma_f32 v20, v16, v20, v36
	v_cndmask_b32_e32 v12, 0, v12, vcc
	v_cmp_nlt_f32_e64 vcc, |v21|, s64
	v_fma_f32 v16, v16, v20, 1.0
	v_and_b32_e32 v20, 1, v2
	v_cndmask_b32_e32 v12, v39, v12, vcc
	v_cmp_eq_u32_e32 vcc, 0, v20
	v_lshlrev_b32_e32 v2, 30, v2
	v_cndmask_b32_e64 v16, -v42, v16, vcc
	v_and_b32_e32 v2, 0x80000000, v2
	v_mul_f32_e32 v10, 4.0, v10
	v_xor_b32_e32 v2, v2, v16
	v_mul_f32_e32 v2, v10, v2
	v_mul_f32_e32 v2, v12, v2
	;; [unrolled: 1-line block ×3, first 2 shown]
	s_or_b64 exec, exec, s[34:35]
                                        ; implicit-def: $vgpr20
.LBB101_31:                             ;   in Loop: Header=BB101_4 Depth=1
	s_andn2_saveexec_b64 s[10:11], s[30:31]
.LBB101_32:                             ;   in Loop: Header=BB101_4 Depth=1
	v_sub_f32_e32 v16, v20, v20
	v_mov_b32_e32 v17, v16
.LBB101_33:                             ;   in Loop: Header=BB101_4 Depth=1
	s_or_b64 exec, exec, s[10:11]
                                        ; implicit-def: $vgpr21
.LBB101_34:                             ;   in Loop: Header=BB101_4 Depth=1
	s_andn2_saveexec_b64 s[28:29], s[28:29]
	s_cbranch_execz .LBB101_50
; %bb.35:                               ;   in Loop: Header=BB101_4 Depth=1
	v_xor_b32_e32 v17, 0x80000000, v21
	v_and_b32_e32 v2, 0x7fffff, v17
	v_cmp_ne_u32_e32 vcc, 0, v2
                                        ; implicit-def: $vgpr16
	s_and_saveexec_b64 s[10:11], vcc
	s_xor_b64 s[10:11], exec, s[10:11]
; %bb.36:                               ;   in Loop: Header=BB101_4 Depth=1
	v_mul_f32_e64 v2, v20, -v21
	v_cmp_eq_f32_e32 vcc, 0, v20
	v_cndmask_b32_e32 v16, v2, v20, vcc
                                        ; implicit-def: $vgpr20
; %bb.37:                               ;   in Loop: Header=BB101_4 Depth=1
	s_andn2_saveexec_b64 s[30:31], s[10:11]
	s_cbranch_execz .LBB101_49
; %bb.38:                               ;   in Loop: Header=BB101_4 Depth=1
	v_cmp_neq_f32_e64 s[10:11], |v20|, s43
	s_and_saveexec_b64 s[34:35], s[10:11]
	s_cbranch_execz .LBB101_48
; %bb.39:                               ;   in Loop: Header=BB101_4 Depth=1
	v_and_b32_e32 v10, 0x7fffffff, v20
	v_lshrrev_b32_e32 v2, 23, v10
	v_and_b32_e32 v12, 0x7fffff, v10
	v_cmp_nlt_f32_e64 s[36:37], |v20|, s46
	v_add_u32_e32 v41, 0xffffff88, v2
	v_or_b32_e32 v21, 0x800000, v12
                                        ; implicit-def: $vgpr12
                                        ; implicit-def: $vgpr16
	s_and_saveexec_b64 s[10:11], s[36:37]
	s_xor_b64 s[38:39], exec, s[10:11]
	s_cbranch_execz .LBB101_41
; %bb.40:                               ;   in Loop: Header=BB101_4 Depth=1
	v_cmp_lt_u32_e32 vcc, 63, v41
	v_cndmask_b32_e32 v2, 0, v37, vcc
	v_add_u32_e32 v2, v2, v41
	v_cmp_lt_u32_e64 s[10:11], 31, v2
	v_cndmask_b32_e64 v12, 0, v38, s[10:11]
	v_add_u32_e32 v2, v12, v2
	v_cmp_lt_u32_e64 s[12:13], 31, v2
	v_cndmask_b32_e64 v12, 0, v38, s[12:13]
	v_mad_u64_u32 v[42:43], s[14:15], v21, s47, 0
	v_add_u32_e32 v12, v12, v2
	v_mov_b32_e32 v2, v43
	v_mad_u64_u32 v[44:45], s[14:15], v21, s48, v[2:3]
	v_mov_b32_e32 v2, v45
	v_mad_u64_u32 v[46:47], s[14:15], v21, s49, v[2:3]
	;; [unrolled: 2-line block ×6, first 2 shown]
	v_cndmask_b32_e32 v16, v52, v48, vcc
	v_cndmask_b32_e32 v2, v54, v50, vcc
	;; [unrolled: 1-line block ×3, first 2 shown]
	v_cndmask_b32_e64 v43, v2, v16, s[10:11]
	v_cndmask_b32_e64 v2, v45, v2, s[10:11]
	v_cndmask_b32_e32 v45, v50, v46, vcc
	v_cndmask_b32_e64 v16, v16, v45, s[10:11]
	v_sub_u32_e32 v47, 32, v12
	v_cmp_eq_u32_e64 s[14:15], 0, v12
	v_cndmask_b32_e32 v12, v48, v44, vcc
	v_cndmask_b32_e64 v2, v2, v43, s[12:13]
	v_cndmask_b32_e64 v43, v43, v16, s[12:13]
	;; [unrolled: 1-line block ×3, first 2 shown]
	v_alignbit_b32 v49, v2, v43, v47
	v_cndmask_b32_e64 v16, v16, v44, s[12:13]
	v_cndmask_b32_e32 v42, v46, v42, vcc
	v_cndmask_b32_e64 v2, v49, v2, s[14:15]
	v_alignbit_b32 v45, v43, v16, v47
	v_cndmask_b32_e64 v12, v12, v42, s[10:11]
	v_cndmask_b32_e64 v43, v45, v43, s[14:15]
	v_bfe_u32 v49, v2, 29, 1
	v_cndmask_b32_e64 v12, v44, v12, s[12:13]
	v_alignbit_b32 v45, v2, v43, 30
	v_sub_u32_e32 v50, 0, v49
	v_alignbit_b32 v42, v16, v12, v47
	v_xor_b32_e32 v51, v45, v50
	v_cndmask_b32_e64 v16, v42, v16, s[14:15]
	v_alignbit_b32 v42, v43, v16, 30
	v_ffbh_u32_e32 v43, v51
	v_add_u32_e32 v43, 1, v43
	v_cmp_ne_u32_e32 vcc, v45, v50
	v_cndmask_b32_e32 v43, 33, v43, vcc
	v_alignbit_b32 v12, v16, v12, 30
	v_xor_b32_e32 v42, v42, v50
	v_sub_u32_e32 v44, 32, v43
	v_xor_b32_e32 v12, v12, v50
	v_alignbit_b32 v45, v51, v42, v44
	v_alignbit_b32 v12, v42, v12, v44
	v_alignbit_b32 v16, v45, v12, 9
	v_ffbh_u32_e32 v42, v16
	v_min_u32_e32 v42, 32, v42
	v_lshrrev_b32_e32 v48, 29, v2
	v_sub_u32_e32 v44, 31, v42
	v_alignbit_b32 v12, v16, v12, v44
	v_lshlrev_b32_e32 v16, 31, v48
	v_or_b32_e32 v44, 0x33800000, v16
	v_add_lshl_u32 v42, v42, v43, 23
	v_lshrrev_b32_e32 v12, 9, v12
	v_sub_u32_e32 v42, v44, v42
	v_or_b32_e32 v12, v42, v12
	v_alignbit_b32 v42, v43, v45, 9
	v_or_b32_e32 v16, v42, v16
	v_xor_b32_e32 v16, 1.0, v16
	v_mul_f32_e32 v42, 0x3fc90fda, v16
	v_fma_f32 v43, v16, s54, -v42
	v_fmac_f32_e32 v43, 0x33a22168, v16
	v_fmac_f32_e32 v43, 0x3fc90fda, v12
	v_lshrrev_b32_e32 v2, 30, v2
	v_add_f32_e32 v16, v42, v43
	v_add_u32_e32 v12, v49, v2
.LBB101_41:                             ;   in Loop: Header=BB101_4 Depth=1
	s_or_saveexec_b64 s[10:11], s[38:39]
	v_mul_f32_e64 v2, |v20|, s55
	v_rndne_f32_e32 v43, v2
	s_xor_b64 exec, exec, s[10:11]
; %bb.42:                               ;   in Loop: Header=BB101_4 Depth=1
	v_cvt_i32_f32_e32 v12, v43
	v_fma_f32 v16, v43, s56, |v20|
	v_fmac_f32_e32 v16, 0xb3a22168, v43
	v_fmac_f32_e32 v16, 0xa7c234c4, v43
; %bb.43:                               ;   in Loop: Header=BB101_4 Depth=1
	s_or_b64 exec, exec, s[10:11]
                                        ; implicit-def: $vgpr2
                                        ; implicit-def: $vgpr42
	s_and_saveexec_b64 s[10:11], s[36:37]
	s_xor_b64 s[36:37], exec, s[10:11]
	s_cbranch_execz .LBB101_45
; %bb.44:                               ;   in Loop: Header=BB101_4 Depth=1
	v_cmp_lt_u32_e32 vcc, 63, v41
	v_cndmask_b32_e32 v2, 0, v37, vcc
	v_add_u32_e32 v2, v2, v41
	v_cmp_lt_u32_e64 s[10:11], 31, v2
	v_cndmask_b32_e64 v41, 0, v38, s[10:11]
	v_add_u32_e32 v2, v41, v2
	v_cmp_lt_u32_e64 s[12:13], 31, v2
	v_cndmask_b32_e64 v41, 0, v38, s[12:13]
	v_mad_u64_u32 v[42:43], s[14:15], v21, s47, 0
	v_add_u32_e32 v41, v41, v2
	v_mov_b32_e32 v2, v43
	v_mad_u64_u32 v[44:45], s[14:15], v21, s48, v[2:3]
	v_mov_b32_e32 v2, v45
	v_mad_u64_u32 v[46:47], s[14:15], v21, s49, v[2:3]
	v_mov_b32_e32 v2, v47
	v_mad_u64_u32 v[48:49], s[14:15], v21, s50, v[2:3]
	v_mov_b32_e32 v2, v49
	v_mad_u64_u32 v[50:51], s[14:15], v21, s51, v[2:3]
	v_mov_b32_e32 v2, v51
	v_mad_u64_u32 v[52:53], s[14:15], v21, s52, v[2:3]
	v_mov_b32_e32 v2, v53
	v_mad_u64_u32 v[54:55], s[14:15], v21, s53, v[2:3]
	v_cndmask_b32_e32 v43, v52, v48, vcc
	v_cndmask_b32_e32 v2, v54, v50, vcc
	;; [unrolled: 1-line block ×3, first 2 shown]
	v_cndmask_b32_e64 v21, v2, v43, s[10:11]
	v_cndmask_b32_e64 v2, v45, v2, s[10:11]
	v_cndmask_b32_e32 v45, v50, v46, vcc
	v_cndmask_b32_e64 v43, v43, v45, s[10:11]
	v_sub_u32_e32 v47, 32, v41
	v_cmp_eq_u32_e64 s[14:15], 0, v41
	v_cndmask_b32_e32 v41, v48, v44, vcc
	v_cndmask_b32_e64 v2, v2, v21, s[12:13]
	v_cndmask_b32_e64 v21, v21, v43, s[12:13]
	;; [unrolled: 1-line block ×3, first 2 shown]
	v_alignbit_b32 v49, v2, v21, v47
	v_cndmask_b32_e64 v43, v43, v44, s[12:13]
	v_cndmask_b32_e64 v2, v49, v2, s[14:15]
	v_alignbit_b32 v45, v21, v43, v47
	v_cndmask_b32_e32 v42, v46, v42, vcc
	v_cndmask_b32_e64 v21, v45, v21, s[14:15]
	v_bfe_u32 v49, v2, 29, 1
	v_cndmask_b32_e64 v41, v41, v42, s[10:11]
	v_alignbit_b32 v45, v2, v21, 30
	v_sub_u32_e32 v50, 0, v49
	v_cndmask_b32_e64 v41, v44, v41, s[12:13]
	v_xor_b32_e32 v51, v45, v50
	v_alignbit_b32 v42, v43, v41, v47
	v_cndmask_b32_e64 v42, v42, v43, s[14:15]
	v_ffbh_u32_e32 v43, v51
	v_add_u32_e32 v43, 1, v43
	v_cmp_ne_u32_e32 vcc, v45, v50
	v_alignbit_b32 v21, v21, v42, 30
	v_cndmask_b32_e32 v43, 33, v43, vcc
	v_alignbit_b32 v41, v42, v41, 30
	v_xor_b32_e32 v21, v21, v50
	v_sub_u32_e32 v44, 32, v43
	v_xor_b32_e32 v41, v41, v50
	v_alignbit_b32 v45, v51, v21, v44
	v_alignbit_b32 v21, v21, v41, v44
	;; [unrolled: 1-line block ×3, first 2 shown]
	v_ffbh_u32_e32 v42, v41
	v_min_u32_e32 v42, 32, v42
	v_lshrrev_b32_e32 v48, 29, v2
	v_sub_u32_e32 v44, 31, v42
	v_alignbit_b32 v21, v41, v21, v44
	v_lshlrev_b32_e32 v41, 31, v48
	v_or_b32_e32 v44, 0x33800000, v41
	v_add_lshl_u32 v42, v42, v43, 23
	v_lshrrev_b32_e32 v21, 9, v21
	v_sub_u32_e32 v42, v44, v42
	v_or_b32_e32 v21, v42, v21
	v_alignbit_b32 v42, v43, v45, 9
	v_or_b32_e32 v41, v42, v41
	v_xor_b32_e32 v41, 1.0, v41
	v_mul_f32_e32 v42, 0x3fc90fda, v41
	v_fma_f32 v43, v41, s54, -v42
	v_fmac_f32_e32 v43, 0x33a22168, v41
	v_fmac_f32_e32 v43, 0x3fc90fda, v21
	v_lshrrev_b32_e32 v2, 30, v2
	v_add_f32_e32 v42, v42, v43
	v_add_u32_e32 v2, v49, v2
                                        ; implicit-def: $vgpr43
	s_andn2_saveexec_b64 s[10:11], s[36:37]
	s_cbranch_execnz .LBB101_46
	s_branch .LBB101_47
.LBB101_45:                             ;   in Loop: Header=BB101_4 Depth=1
	s_andn2_saveexec_b64 s[10:11], s[36:37]
.LBB101_46:                             ;   in Loop: Header=BB101_4 Depth=1
	v_cvt_i32_f32_e32 v2, v43
	v_fma_f32 v42, v43, s56, |v20|
	v_fmac_f32_e32 v42, 0xb3a22168, v43
	v_fmac_f32_e32 v42, 0xa7c234c4, v43
.LBB101_47:                             ;   in Loop: Header=BB101_4 Depth=1
	s_or_b64 exec, exec, s[10:11]
	v_mul_f32_e32 v21, v16, v16
	v_mov_b32_e32 v41, 0x3c0881c4
	v_fmac_f32_e32 v41, 0xb94c1982, v21
	v_fma_f32 v41, v21, v41, v34
	v_mul_f32_e32 v41, v21, v41
	v_fmac_f32_e32 v16, v16, v41
	v_mov_b32_e32 v41, 0xbab64f3b
	v_fmac_f32_e32 v41, 0x37d75334, v21
	v_fma_f32 v41, v21, v41, v35
	v_fma_f32 v41, v21, v41, v36
	v_fma_f32 v21, v21, v41, 1.0
	v_and_b32_e32 v41, 1, v12
	v_lshlrev_b32_e32 v12, 30, v12
	v_cmp_eq_u32_e32 vcc, 0, v41
	v_and_b32_e32 v12, 0x80000000, v12
	v_cndmask_b32_e32 v16, v21, v16, vcc
	v_xor_b32_e32 v10, v10, v12
	v_xor_b32_e32 v10, v10, v16
	v_mul_f32_e32 v12, v42, v42
	v_mov_b32_e32 v16, 0x3c0881c4
	v_fmac_f32_e32 v16, 0xb94c1982, v12
	v_fma_f32 v16, v12, v16, v34
	v_mul_f32_e32 v16, v12, v16
	v_fmac_f32_e32 v42, v42, v16
	v_mov_b32_e32 v16, 0xbab64f3b
	v_fmac_f32_e32 v16, 0x37d75334, v12
	v_fma_f32 v16, v12, v16, v35
	v_fma_f32 v16, v12, v16, v36
	v_fma_f32 v12, v12, v16, 1.0
	v_and_b32_e32 v16, 1, v2
	v_cmp_eq_u32_e32 vcc, 0, v16
	v_lshlrev_b32_e32 v2, 30, v2
	v_cndmask_b32_e64 v12, -v42, v12, vcc
	v_and_b32_e32 v2, 0x80000000, v2
	v_xor_b32_e32 v10, v10, v20
	v_xor_b32_e32 v2, v2, v12
	v_mul_f32_e32 v2, v10, v2
	v_cmp_class_f32_e64 vcc, v20, s44
	v_cndmask_b32_e32 v20, v40, v2, vcc
.LBB101_48:                             ;   in Loop: Header=BB101_4 Depth=1
	s_or_b64 exec, exec, s[34:35]
	v_add_u32_e32 v17, -2.0, v17
	v_bfi_b32 v16, s42, 0, v20
.LBB101_49:                             ;   in Loop: Header=BB101_4 Depth=1
	s_or_b64 exec, exec, s[30:31]
.LBB101_50:                             ;   in Loop: Header=BB101_4 Depth=1
	s_or_b64 exec, exec, s[28:29]
	v_and_b32_e32 v10, 0x7fffffff, v23
	v_cmp_gt_u32_e32 vcc, s43, v10
                                        ; implicit-def: $vgpr20
                                        ; implicit-def: $vgpr21
	s_and_saveexec_b64 s[10:11], vcc
	s_xor_b64 s[28:29], exec, s[10:11]
	s_cbranch_execz .LBB101_72
; %bb.51:                               ;   in Loop: Header=BB101_4 Depth=1
	v_cmp_class_f32_e64 s[10:11], v22, s44
                                        ; implicit-def: $vgpr20
                                        ; implicit-def: $vgpr21
	s_and_saveexec_b64 s[12:13], s[10:11]
	s_xor_b64 s[30:31], exec, s[12:13]
	s_cbranch_execz .LBB101_69
; %bb.52:                               ;   in Loop: Header=BB101_4 Depth=1
	v_and_b32_e32 v41, 0x7fffffff, v22
	v_cmp_gt_u32_e32 vcc, s45, v10
                                        ; implicit-def: $vgpr20
                                        ; implicit-def: $vgpr21
	s_and_saveexec_b64 s[10:11], vcc
	s_xor_b64 s[34:35], exec, s[10:11]
	s_cbranch_execz .LBB101_58
; %bb.53:                               ;   in Loop: Header=BB101_4 Depth=1
	v_cmp_nlt_f32_e64 s[10:11], |v22|, s46
                                        ; implicit-def: $vgpr12
                                        ; implicit-def: $vgpr2
	s_and_saveexec_b64 s[12:13], s[10:11]
	s_xor_b64 s[36:37], exec, s[12:13]
	s_cbranch_execz .LBB101_55
; %bb.54:                               ;   in Loop: Header=BB101_4 Depth=1
	v_lshrrev_b32_e32 v2, 23, v41
	v_add_u32_e32 v2, 0xffffff88, v2
	v_cmp_lt_u32_e32 vcc, 63, v2
	v_cndmask_b32_e32 v12, 0, v37, vcc
	v_add_u32_e32 v2, v12, v2
	v_cmp_lt_u32_e64 s[10:11], 31, v2
	v_cndmask_b32_e64 v12, 0, v38, s[10:11]
	v_add_u32_e32 v2, v12, v2
	v_cmp_lt_u32_e64 s[12:13], 31, v2
	v_cndmask_b32_e64 v12, 0, v38, s[12:13]
	v_add_u32_e32 v12, v12, v2
	v_and_b32_e32 v2, 0x7fffff, v41
	v_or_b32_e32 v52, 0x800000, v2
	v_mad_u64_u32 v[20:21], s[14:15], v52, s47, 0
	v_mov_b32_e32 v2, v21
	v_mad_u64_u32 v[42:43], s[14:15], v52, s48, v[2:3]
	v_mov_b32_e32 v2, v43
	;; [unrolled: 2-line block ×6, first 2 shown]
	v_mad_u64_u32 v[52:53], s[14:15], v52, s53, v[2:3]
	v_cndmask_b32_e32 v21, v50, v46, vcc
	v_cndmask_b32_e32 v2, v52, v48, vcc
	;; [unrolled: 1-line block ×3, first 2 shown]
	v_cndmask_b32_e64 v43, v2, v21, s[10:11]
	v_cndmask_b32_e64 v2, v45, v2, s[10:11]
	v_cndmask_b32_e32 v45, v48, v44, vcc
	v_cndmask_b32_e64 v21, v21, v45, s[10:11]
	v_cndmask_b32_e64 v2, v2, v43, s[12:13]
	;; [unrolled: 1-line block ×3, first 2 shown]
	v_sub_u32_e32 v47, 32, v12
	v_alignbit_b32 v48, v2, v43, v47
	v_cmp_eq_u32_e64 s[14:15], 0, v12
	v_cndmask_b32_e64 v12, v48, v2, s[14:15]
	v_cndmask_b32_e32 v2, v46, v42, vcc
	v_cndmask_b32_e64 v42, v45, v2, s[10:11]
	v_cndmask_b32_e64 v21, v21, v42, s[12:13]
	v_alignbit_b32 v45, v43, v21, v47
	v_cndmask_b32_e64 v43, v45, v43, s[14:15]
	v_bfe_u32 v48, v12, 29, 1
	v_cndmask_b32_e32 v20, v44, v20, vcc
	v_alignbit_b32 v45, v12, v43, 30
	v_sub_u32_e32 v49, 0, v48
	v_cndmask_b32_e64 v2, v2, v20, s[10:11]
	v_xor_b32_e32 v50, v45, v49
	v_cndmask_b32_e64 v2, v42, v2, s[12:13]
	v_alignbit_b32 v20, v21, v2, v47
	v_ffbh_u32_e32 v42, v50
	v_cndmask_b32_e64 v20, v20, v21, s[14:15]
	v_add_u32_e32 v42, 1, v42
	v_cmp_ne_u32_e32 vcc, v45, v49
	v_alignbit_b32 v21, v43, v20, 30
	v_cndmask_b32_e32 v42, 33, v42, vcc
	v_alignbit_b32 v2, v20, v2, 30
	v_xor_b32_e32 v21, v21, v49
	v_sub_u32_e32 v43, 32, v42
	v_xor_b32_e32 v2, v2, v49
	v_alignbit_b32 v44, v50, v21, v43
	v_alignbit_b32 v2, v21, v2, v43
	v_alignbit_b32 v20, v44, v2, 9
	v_ffbh_u32_e32 v21, v20
	v_min_u32_e32 v21, 32, v21
	v_lshrrev_b32_e32 v46, 29, v12
	v_sub_u32_e32 v43, 31, v21
	v_alignbit_b32 v2, v20, v2, v43
	v_lshlrev_b32_e32 v20, 31, v46
	v_or_b32_e32 v43, 0x33800000, v20
	v_add_lshl_u32 v21, v21, v42, 23
	v_lshrrev_b32_e32 v2, 9, v2
	v_sub_u32_e32 v21, v43, v21
	v_or_b32_e32 v2, v21, v2
	v_alignbit_b32 v21, v42, v44, 9
	v_or_b32_e32 v20, v21, v20
	v_xor_b32_e32 v20, 1.0, v20
	v_mul_f32_e32 v21, 0x3fc90fda, v20
	v_fma_f32 v42, v20, s54, -v21
	v_fmac_f32_e32 v42, 0x33a22168, v20
	v_fmac_f32_e32 v42, 0x3fc90fda, v2
	v_lshrrev_b32_e32 v12, 30, v12
	v_add_f32_e32 v2, v21, v42
	v_add_u32_e32 v12, v48, v12
.LBB101_55:                             ;   in Loop: Header=BB101_4 Depth=1
	s_andn2_saveexec_b64 s[10:11], s[36:37]
; %bb.56:                               ;   in Loop: Header=BB101_4 Depth=1
	v_mul_f32_e64 v2, |v22|, s55
	v_rndne_f32_e32 v20, v2
	v_cvt_i32_f32_e32 v12, v20
	v_fma_f32 v2, v20, s56, |v22|
	v_fmac_f32_e32 v2, 0xb3a22168, v20
	v_fmac_f32_e32 v2, 0xa7c234c4, v20
; %bb.57:                               ;   in Loop: Header=BB101_4 Depth=1
	s_or_b64 exec, exec, s[10:11]
	v_mul_f32_e32 v20, v2, v2
	v_mov_b32_e32 v21, 0xbf039337
	v_fmac_f32_e32 v21, 0x3c971480, v20
	v_fma_f32 v21, v20, v21, v29
	v_rcp_f32_e32 v21, v21
	v_mov_b32_e32 v42, 0x3ec54587
	v_fmac_f32_e32 v42, 0xbc8cedd3, v20
	v_and_b32_e32 v12, 1, v12
	v_mul_f32_e32 v21, v42, v21
	v_mul_f32_e32 v20, v20, v21
	v_fma_f32 v21, v20, v2, v2
	v_rcp_f32_e32 v42, v21
	v_sub_f32_e32 v43, v21, v2
	v_fma_f32 v2, v20, v2, -v43
	v_cmp_eq_u32_e32 vcc, 0, v12
	v_fma_f32 v20, v21, -v42, 1.0
	v_fma_f32 v2, v2, -v42, v20
	v_fma_f32 v2, v2, -v42, -v42
	v_add_f32_e64 v12, |v23|, s57
	v_cndmask_b32_e32 v2, v2, v21, vcc
	v_sub_f32_e64 v21, v12, |v23|
	v_sub_f32_e32 v20, v21, v12
	v_pk_add_f32 v[20:21], v[10:11], v[20:21]
	v_sub_f32_e32 v10, v20, v21
	v_add_f32_e32 v10, 0x3102e308, v10
	v_add_f32_e32 v20, v12, v10
	v_sub_f32_e32 v12, v12, v20
	v_add_f32_e32 v10, v10, v12
	v_mul_f32_e32 v12, 0x3fb8aa3b, v20
	v_rndne_f32_e32 v48, v12
	v_fmac_f32_e32 v20, 0xbf317200, v48
	v_add_f32_e32 v12, v10, v20
	v_sub_f32_e32 v20, v20, v12
	v_add_f32_e32 v10, v10, v20
	v_mul_f32_e32 v20, 0x35bfbc00, v48
	v_sub_f32_e32 v42, v12, v20
	v_sub_f32_e32 v12, v12, v42
	;; [unrolled: 1-line block ×3, first 2 shown]
	v_add_f32_e32 v10, v10, v12
	v_add_f32_e32 v43, v42, v10
	v_mul_f32_e32 v21, 0x2ea39ef3, v48
	v_mov_b32_e32 v20, v43
	v_pk_add_f32 v[44:45], v[42:43], v[20:21] neg_lo:[0,1] neg_hi:[0,1]
	v_sub_f32_e32 v12, v43, v45
	v_sub_f32_e32 v12, v12, v21
	v_add_f32_e32 v10, v10, v44
	v_add_f32_e32 v10, v10, v12
	;; [unrolled: 1-line block ×3, first 2 shown]
	v_sub_f32_e32 v21, v45, v20
	v_mov_b32_e32 v12, 0x3c091de6
	v_add_f32_e32 v10, v10, v21
	v_mul_f32_e32 v42, v20, v20
	v_fmac_f32_e32 v12, 0x3ab42872, v20
	v_add_f32_e32 v21, v10, v10
	v_fma_f32 v43, v20, v20, -v42
	v_fma_f32 v12, v20, v12, v30
	v_fmac_f32_e32 v43, v20, v21
	v_fma_f32 v12, v20, v12, v31
	v_add_f32_e32 v21, v42, v43
	v_fma_f32 v12, v20, v12, v32
	v_sub_f32_e32 v42, v21, v42
	v_sub_f32_e32 v42, v43, v42
	v_mul_f32_e32 v43, v12, v21
	v_fma_f32 v21, v21, v12, -v43
	v_fmac_f32_e32 v21, v42, v12
	v_add_f32_e32 v42, v43, v21
	v_sub_f32_e32 v12, v42, v43
	v_sub_f32_e32 v21, v21, v12
	v_add_f32_e32 v12, v20, v42
	v_sub_f32_e32 v20, v12, v20
	v_sub_f32_e32 v20, v42, v20
	v_add_f32_e32 v10, v10, v21
	v_add_f32_e32 v20, v10, v20
	;; [unrolled: 1-line block ×3, first 2 shown]
	v_add_f32_e32 v43, 1.0, v42
	v_pk_add_f32 v[44:45], v[42:43], v[12:13] neg_lo:[0,1] neg_hi:[0,1]
	v_pk_add_f32 v[46:47], v[42:43], s[26:27]
	v_mov_b32_e32 v45, v47
	v_mov_b32_e32 v21, v42
	v_cvt_i32_f32_e32 v10, v48
	v_pk_add_f32 v[20:21], v[20:21], v[44:45] neg_lo:[0,1] neg_hi:[0,1]
	v_add_f32_e32 v12, v20, v21
	v_add_f32_e32 v20, v43, v12
	v_ldexp_f32 v21, v20, v10
	v_rcp_f32_e32 v42, v21
	v_sub_f32_e32 v20, v20, v43
	v_sub_f32_e32 v12, v12, v20
	v_ldexp_f32 v10, v12, v10
	v_mul_f32_e32 v12, v21, v42
	v_fma_f32 v20, v42, v21, -v12
	v_fmac_f32_e32 v20, v42, v10
	v_add_f32_e32 v43, v12, v20
	v_sub_f32_e32 v44, 1.0, v43
	v_sub_f32_e32 v45, 1.0, v44
	v_sub_f32_e32 v12, v43, v12
	v_sub_f32_e32 v45, v45, v43
	;; [unrolled: 1-line block ×3, first 2 shown]
	v_add_f32_e32 v12, v12, v45
	v_add_f32_e32 v20, v44, v12
	v_mul_f32_e32 v43, v42, v20
	v_mul_f32_e32 v45, v21, v43
	v_fma_f32 v46, v43, v21, -v45
	v_fmac_f32_e32 v46, v43, v10
	v_sub_f32_e32 v44, v44, v20
	v_add_f32_e32 v12, v12, v44
	v_add_f32_e32 v44, v45, v46
	v_sub_f32_e32 v47, v20, v44
	v_sub_f32_e32 v20, v20, v47
	;; [unrolled: 1-line block ×4, first 2 shown]
	v_add_f32_e32 v12, v12, v20
	v_sub_f32_e32 v20, v45, v46
	v_add_f32_e32 v12, v20, v12
	v_add_f32_e32 v12, v47, v12
	;; [unrolled: 1-line block ×3, first 2 shown]
	v_mul_f32_e32 v12, v42, v12
	v_sub_f32_e32 v42, v20, v42
	v_sub_f32_e32 v42, v43, v42
	v_add_f32_e32 v12, v42, v12
	v_add_f32_e32 v42, v20, v12
	v_sub_f32_e32 v20, v42, v20
	v_sub_f32_e32 v12, v12, v20
	v_ldexp_f32 v20, v42, -2
	v_sub_f32_e32 v42, v21, v20
	v_sub_f32_e32 v21, v21, v42
	;; [unrolled: 1-line block ×3, first 2 shown]
	v_ldexp_f32 v12, v12, -2
	v_add_f32_e32 v10, v10, v20
	v_sub_f32_e32 v10, v10, v12
	v_add_f32_e32 v10, v42, v10
	v_cmp_ngt_f32_e64 vcc, |v23|, s58
	v_cndmask_b32_e32 v10, v39, v10, vcc
	v_cmp_lt_f32_e64 s[10:11], |v23|, s59
	v_cndmask_b32_e64 v10, v10, |v23|, s[10:11]
	v_xor_b32_e32 v12, 0x80000000, v23
	v_bfi_b32 v10, s42, v10, v12
	v_fma_f32 v12, v10, v10, 1.0
	v_mul_f32_e32 v20, 0x4f800000, v12
	v_cmp_gt_f32_e32 vcc, s60, v12
	v_cndmask_b32_e32 v12, v12, v20, vcc
	v_sqrt_f32_e32 v20, v12
	v_xor_b32_e32 v2, v41, v2
	v_xor_b32_e32 v2, v2, v22
	v_fma_f32 v21, v2, v2, 1.0
	v_add_u32_e32 v22, -1, v20
	v_fma_f32 v23, -v22, v20, v12
	v_cmp_ge_f32_e64 s[10:11], 0, v23
	v_add_u32_e32 v23, 1, v20
	v_cndmask_b32_e64 v22, v20, v22, s[10:11]
	v_fma_f32 v20, -v23, v20, v12
	v_cmp_lt_f32_e64 s[10:11], 0, v20
	v_cndmask_b32_e64 v20, v22, v23, s[10:11]
	v_mul_f32_e32 v22, 0x37800000, v20
	v_cndmask_b32_e32 v20, v20, v22, vcc
	v_cmp_class_f32_e32 vcc, v12, v33
	v_cndmask_b32_e32 v12, v20, v12, vcc
	v_mul_f32_e32 v20, v10, v21
	v_mul_f32_e32 v12, v12, v21
	v_fma_f32 v20, v10, v20, 1.0
	v_mul_f32_e32 v10, v10, v12
	v_div_scale_f32 v12, s[10:11], v20, v20, v10
	v_rcp_f32_e32 v21, v12
	v_fma_f32 v22, -v12, v21, 1.0
	v_fmac_f32_e32 v21, v22, v21
	v_div_scale_f32 v22, vcc, v10, v20, v10
	v_mul_f32_e32 v23, v22, v21
	v_fma_f32 v41, -v12, v23, v22
	v_fmac_f32_e32 v23, v41, v21
	v_fma_f32 v12, -v12, v23, v22
	v_div_scale_f32 v22, s[10:11], v20, v20, v2
	v_rcp_f32_e32 v41, v22
	v_div_fmas_f32 v12, v12, v21, v23
	v_div_fixup_f32 v21, v12, v20, v10
	v_fma_f32 v10, -v22, v41, 1.0
	v_fmac_f32_e32 v41, v10, v41
	v_div_scale_f32 v10, vcc, v2, v20, v2
	v_mul_f32_e32 v12, v10, v41
	v_fma_f32 v23, -v22, v12, v10
	v_fmac_f32_e32 v12, v23, v41
	v_fma_f32 v10, -v22, v12, v10
	v_div_fmas_f32 v10, v10, v41, v12
	v_div_fixup_f32 v20, v10, v20, v2
                                        ; implicit-def: $vgpr22
                                        ; implicit-def: $vgpr41
.LBB101_58:                             ;   in Loop: Header=BB101_4 Depth=1
	s_andn2_saveexec_b64 s[34:35], s[34:35]
	s_cbranch_execz .LBB101_68
; %bb.59:                               ;   in Loop: Header=BB101_4 Depth=1
	v_lshrrev_b32_e32 v2, 23, v41
	v_and_b32_e32 v10, 0x7fffff, v41
	v_cmp_nlt_f32_e64 s[36:37], |v22|, s46
	v_add_u32_e32 v21, 0xffffff88, v2
	v_or_b32_e32 v20, 0x800000, v10
                                        ; implicit-def: $vgpr10
                                        ; implicit-def: $vgpr12
	s_and_saveexec_b64 s[10:11], s[36:37]
	s_xor_b64 s[38:39], exec, s[10:11]
	s_cbranch_execz .LBB101_61
; %bb.60:                               ;   in Loop: Header=BB101_4 Depth=1
	v_cmp_lt_u32_e32 vcc, 63, v21
	v_cndmask_b32_e32 v2, 0, v37, vcc
	v_add_u32_e32 v2, v2, v21
	v_cmp_lt_u32_e64 s[10:11], 31, v2
	v_cndmask_b32_e64 v10, 0, v38, s[10:11]
	v_add_u32_e32 v2, v10, v2
	v_cmp_lt_u32_e64 s[12:13], 31, v2
	v_cndmask_b32_e64 v10, 0, v38, s[12:13]
	v_mad_u64_u32 v[42:43], s[14:15], v20, s47, 0
	v_add_u32_e32 v10, v10, v2
	v_mov_b32_e32 v2, v43
	v_mad_u64_u32 v[44:45], s[14:15], v20, s48, v[2:3]
	v_mov_b32_e32 v2, v45
	v_mad_u64_u32 v[46:47], s[14:15], v20, s49, v[2:3]
	;; [unrolled: 2-line block ×6, first 2 shown]
	v_cndmask_b32_e32 v12, v52, v48, vcc
	v_cndmask_b32_e32 v2, v54, v50, vcc
	;; [unrolled: 1-line block ×3, first 2 shown]
	v_cndmask_b32_e64 v43, v2, v12, s[10:11]
	v_cndmask_b32_e64 v2, v45, v2, s[10:11]
	v_cndmask_b32_e32 v45, v50, v46, vcc
	v_cndmask_b32_e64 v12, v12, v45, s[10:11]
	v_sub_u32_e32 v47, 32, v10
	v_cmp_eq_u32_e64 s[14:15], 0, v10
	v_cndmask_b32_e32 v10, v48, v44, vcc
	v_cndmask_b32_e64 v2, v2, v43, s[12:13]
	v_cndmask_b32_e64 v43, v43, v12, s[12:13]
	;; [unrolled: 1-line block ×3, first 2 shown]
	v_alignbit_b32 v49, v2, v43, v47
	v_cndmask_b32_e64 v12, v12, v44, s[12:13]
	v_cndmask_b32_e32 v42, v46, v42, vcc
	v_cndmask_b32_e64 v2, v49, v2, s[14:15]
	v_alignbit_b32 v45, v43, v12, v47
	v_cndmask_b32_e64 v10, v10, v42, s[10:11]
	v_cndmask_b32_e64 v43, v45, v43, s[14:15]
	v_bfe_u32 v49, v2, 29, 1
	v_cndmask_b32_e64 v10, v44, v10, s[12:13]
	v_alignbit_b32 v45, v2, v43, 30
	v_sub_u32_e32 v50, 0, v49
	v_alignbit_b32 v42, v12, v10, v47
	v_xor_b32_e32 v51, v45, v50
	v_cndmask_b32_e64 v12, v42, v12, s[14:15]
	v_alignbit_b32 v42, v43, v12, 30
	v_ffbh_u32_e32 v43, v51
	v_add_u32_e32 v43, 1, v43
	v_cmp_ne_u32_e32 vcc, v45, v50
	v_cndmask_b32_e32 v43, 33, v43, vcc
	v_alignbit_b32 v10, v12, v10, 30
	v_xor_b32_e32 v42, v42, v50
	v_sub_u32_e32 v44, 32, v43
	v_xor_b32_e32 v10, v10, v50
	v_alignbit_b32 v45, v51, v42, v44
	v_alignbit_b32 v10, v42, v10, v44
	;; [unrolled: 1-line block ×3, first 2 shown]
	v_ffbh_u32_e32 v42, v12
	v_min_u32_e32 v42, 32, v42
	v_lshrrev_b32_e32 v48, 29, v2
	v_sub_u32_e32 v44, 31, v42
	v_alignbit_b32 v10, v12, v10, v44
	v_lshlrev_b32_e32 v12, 31, v48
	v_or_b32_e32 v44, 0x33800000, v12
	v_add_lshl_u32 v42, v42, v43, 23
	v_lshrrev_b32_e32 v10, 9, v10
	v_sub_u32_e32 v42, v44, v42
	v_or_b32_e32 v10, v42, v10
	v_alignbit_b32 v42, v43, v45, 9
	v_or_b32_e32 v12, v42, v12
	v_xor_b32_e32 v12, 1.0, v12
	v_mul_f32_e32 v42, 0x3fc90fda, v12
	v_fma_f32 v43, v12, s54, -v42
	v_fmac_f32_e32 v43, 0x33a22168, v12
	v_fmac_f32_e32 v43, 0x3fc90fda, v10
	v_lshrrev_b32_e32 v2, 30, v2
	v_add_f32_e32 v12, v42, v43
	v_add_u32_e32 v10, v49, v2
	s_andn2_saveexec_b64 s[10:11], s[38:39]
	s_branch .LBB101_62
.LBB101_61:                             ;   in Loop: Header=BB101_4 Depth=1
	s_andn2_saveexec_b64 s[10:11], s[38:39]
.LBB101_62:                             ;   in Loop: Header=BB101_4 Depth=1
	v_mul_f32_e64 v2, |v22|, s55
	v_rndne_f32_e32 v2, v2
	v_cvt_i32_f32_e32 v10, v2
	v_fma_f32 v12, v2, s56, |v22|
	v_fmac_f32_e32 v12, 0xb3a22168, v2
	v_fmac_f32_e32 v12, 0xa7c234c4, v2
; %bb.63:                               ;   in Loop: Header=BB101_4 Depth=1
	s_or_b64 exec, exec, s[10:11]
                                        ; implicit-def: $vgpr2
                                        ; implicit-def: $vgpr42
	s_and_saveexec_b64 s[10:11], s[36:37]
	s_xor_b64 s[36:37], exec, s[10:11]
	s_cbranch_execz .LBB101_65
; %bb.64:                               ;   in Loop: Header=BB101_4 Depth=1
	v_cmp_lt_u32_e32 vcc, 63, v21
	v_cndmask_b32_e32 v2, 0, v37, vcc
	v_add_u32_e32 v2, v2, v21
	v_cmp_lt_u32_e64 s[10:11], 31, v2
	v_cndmask_b32_e64 v21, 0, v38, s[10:11]
	v_add_u32_e32 v2, v21, v2
	v_cmp_lt_u32_e64 s[12:13], 31, v2
	v_cndmask_b32_e64 v21, 0, v38, s[12:13]
	v_mad_u64_u32 v[42:43], s[14:15], v20, s47, 0
	v_add_u32_e32 v54, v21, v2
	v_mov_b32_e32 v2, v43
	v_mad_u64_u32 v[44:45], s[14:15], v20, s48, v[2:3]
	v_mov_b32_e32 v2, v45
	v_mad_u64_u32 v[46:47], s[14:15], v20, s49, v[2:3]
	;; [unrolled: 2-line block ×6, first 2 shown]
	v_cndmask_b32_e32 v43, v52, v48, vcc
	v_cndmask_b32_e32 v2, v20, v50, vcc
	v_cndmask_b32_e32 v21, v21, v52, vcc
	v_cndmask_b32_e64 v20, v2, v43, s[10:11]
	v_cndmask_b32_e64 v2, v21, v2, s[10:11]
	v_cndmask_b32_e32 v21, v50, v46, vcc
	v_cndmask_b32_e64 v43, v43, v21, s[10:11]
	v_cndmask_b32_e32 v44, v48, v44, vcc
	v_cndmask_b32_e64 v2, v2, v20, s[12:13]
	v_cndmask_b32_e64 v20, v20, v43, s[12:13]
	v_sub_u32_e32 v45, 32, v54
	v_cndmask_b32_e64 v21, v21, v44, s[10:11]
	v_alignbit_b32 v47, v2, v20, v45
	v_cmp_eq_u32_e64 s[14:15], 0, v54
	v_cndmask_b32_e64 v43, v43, v21, s[12:13]
	v_cndmask_b32_e64 v2, v47, v2, s[14:15]
	v_alignbit_b32 v47, v20, v43, v45
	v_cndmask_b32_e32 v42, v46, v42, vcc
	v_cndmask_b32_e64 v20, v47, v20, s[14:15]
	v_bfe_u32 v49, v2, 29, 1
	v_cndmask_b32_e64 v42, v44, v42, s[10:11]
	v_alignbit_b32 v47, v2, v20, 30
	v_sub_u32_e32 v50, 0, v49
	v_cndmask_b32_e64 v21, v21, v42, s[12:13]
	v_xor_b32_e32 v51, v47, v50
	v_alignbit_b32 v42, v43, v21, v45
	v_cndmask_b32_e64 v42, v42, v43, s[14:15]
	v_ffbh_u32_e32 v43, v51
	v_add_u32_e32 v43, 1, v43
	v_cmp_ne_u32_e32 vcc, v47, v50
	v_alignbit_b32 v20, v20, v42, 30
	v_cndmask_b32_e32 v43, 33, v43, vcc
	v_alignbit_b32 v21, v42, v21, 30
	v_xor_b32_e32 v20, v20, v50
	v_sub_u32_e32 v44, 32, v43
	v_xor_b32_e32 v21, v21, v50
	v_alignbit_b32 v45, v51, v20, v44
	v_alignbit_b32 v20, v20, v21, v44
	v_alignbit_b32 v21, v45, v20, 9
	v_ffbh_u32_e32 v42, v21
	v_min_u32_e32 v42, 32, v42
	v_lshrrev_b32_e32 v48, 29, v2
	v_sub_u32_e32 v44, 31, v42
	v_alignbit_b32 v20, v21, v20, v44
	v_lshlrev_b32_e32 v21, 31, v48
	v_or_b32_e32 v44, 0x33800000, v21
	v_add_lshl_u32 v42, v42, v43, 23
	v_lshrrev_b32_e32 v20, 9, v20
	v_sub_u32_e32 v42, v44, v42
	v_or_b32_e32 v20, v42, v20
	v_alignbit_b32 v42, v43, v45, 9
	v_or_b32_e32 v21, v42, v21
	v_xor_b32_e32 v21, 1.0, v21
	v_mul_f32_e32 v42, 0x3fc90fda, v21
	v_fma_f32 v43, v21, s54, -v42
	v_fmac_f32_e32 v43, 0x33a22168, v21
	v_fmac_f32_e32 v43, 0x3fc90fda, v20
	v_lshrrev_b32_e32 v2, 30, v2
	v_add_f32_e32 v42, v42, v43
	v_add_u32_e32 v2, v49, v2
	s_andn2_saveexec_b64 s[10:11], s[36:37]
	s_cbranch_execnz .LBB101_66
	s_branch .LBB101_67
.LBB101_65:                             ;   in Loop: Header=BB101_4 Depth=1
	s_andn2_saveexec_b64 s[10:11], s[36:37]
.LBB101_66:                             ;   in Loop: Header=BB101_4 Depth=1
	v_mul_f32_e64 v2, |v22|, s55
	v_rndne_f32_e32 v20, v2
	v_cvt_i32_f32_e32 v2, v20
	v_fma_f32 v42, v20, s56, |v22|
	v_fmac_f32_e32 v42, 0xb3a22168, v20
	v_fmac_f32_e32 v42, 0xa7c234c4, v20
.LBB101_67:                             ;   in Loop: Header=BB101_4 Depth=1
	s_or_b64 exec, exec, s[10:11]
	v_mul_f32_e32 v20, v12, v12
	v_mov_b32_e32 v21, 0x3c0881c4
	v_fmac_f32_e32 v21, 0xb94c1982, v20
	v_fma_f32 v21, v20, v21, v34
	v_mul_f32_e32 v21, v20, v21
	v_fmac_f32_e32 v12, v12, v21
	v_mov_b32_e32 v21, 0xbab64f3b
	v_fmac_f32_e32 v21, 0x37d75334, v20
	v_fma_f32 v21, v20, v21, v35
	v_fma_f32 v21, v20, v21, v36
	v_fma_f32 v20, v20, v21, 1.0
	v_and_b32_e32 v21, 1, v10
	v_cmp_eq_u32_e32 vcc, 0, v21
	v_cndmask_b32_e32 v12, v20, v12, vcc
	v_lshlrev_b32_e32 v10, 30, v10
	v_mul_f32_e64 v20, |v23|, s61
	v_and_b32_e32 v10, 0x80000000, v10
	v_rndne_f32_e32 v21, v20
	v_xor_b32_e32 v10, v41, v10
	v_sub_f32_e32 v41, v20, v21
	v_fma_f32 v20, |v23|, s61, -v20
	v_fma_f32 v20, |v23|, s62, v20
	v_add_f32_e32 v20, v41, v20
	v_exp_f32_e32 v20, v20
	v_cvt_i32_f32_e32 v21, v21
	v_xor_b32_e32 v10, v10, v12
	v_xor_b32_e32 v10, v10, v22
	v_mov_b32_e32 v22, 0x3c0881c4
	v_ldexp_f32 v12, v20, v21
	v_xor_b32_e32 v20, 0x80000000, v23
	v_bfi_b32 v21, s42, 1.0, v20
	v_mul_f32_e32 v20, v42, v42
	v_fmac_f32_e32 v22, 0xb94c1982, v20
	v_fma_f32 v22, v20, v22, v34
	v_mul_f32_e32 v22, v20, v22
	v_fmac_f32_e32 v42, v42, v22
	v_mov_b32_e32 v22, 0xbab64f3b
	v_fmac_f32_e32 v22, 0x37d75334, v20
	v_fma_f32 v22, v20, v22, v35
	v_cmp_ngt_f32_e64 vcc, |v23|, s63
	v_fma_f32 v22, v20, v22, v36
	v_cndmask_b32_e32 v12, 0, v12, vcc
	v_cmp_nlt_f32_e64 vcc, |v23|, s64
	v_fma_f32 v20, v20, v22, 1.0
	v_and_b32_e32 v22, 1, v2
	v_cndmask_b32_e32 v12, v39, v12, vcc
	v_cmp_eq_u32_e32 vcc, 0, v22
	v_lshlrev_b32_e32 v2, 30, v2
	v_cndmask_b32_e64 v20, -v42, v20, vcc
	v_and_b32_e32 v2, 0x80000000, v2
	v_mul_f32_e32 v10, 4.0, v10
	v_xor_b32_e32 v2, v2, v20
	v_mul_f32_e32 v2, v10, v2
	v_mul_f32_e32 v2, v12, v2
	;; [unrolled: 1-line block ×3, first 2 shown]
.LBB101_68:                             ;   in Loop: Header=BB101_4 Depth=1
	s_or_b64 exec, exec, s[34:35]
                                        ; implicit-def: $vgpr22
.LBB101_69:                             ;   in Loop: Header=BB101_4 Depth=1
	s_andn2_saveexec_b64 s[10:11], s[30:31]
; %bb.70:                               ;   in Loop: Header=BB101_4 Depth=1
	v_sub_f32_e32 v20, v22, v22
	v_mov_b32_e32 v21, v20
; %bb.71:                               ;   in Loop: Header=BB101_4 Depth=1
	s_or_b64 exec, exec, s[10:11]
                                        ; implicit-def: $vgpr23
.LBB101_72:                             ;   in Loop: Header=BB101_4 Depth=1
	s_andn2_saveexec_b64 s[28:29], s[28:29]
	s_cbranch_execz .LBB101_88
; %bb.73:                               ;   in Loop: Header=BB101_4 Depth=1
	v_xor_b32_e32 v21, 0x80000000, v23
	v_and_b32_e32 v2, 0x7fffff, v21
	v_cmp_ne_u32_e32 vcc, 0, v2
                                        ; implicit-def: $vgpr20
	s_and_saveexec_b64 s[10:11], vcc
	s_xor_b64 s[10:11], exec, s[10:11]
; %bb.74:                               ;   in Loop: Header=BB101_4 Depth=1
	v_mul_f32_e64 v2, v22, -v23
	v_cmp_eq_f32_e32 vcc, 0, v22
	v_cndmask_b32_e32 v20, v2, v22, vcc
                                        ; implicit-def: $vgpr22
; %bb.75:                               ;   in Loop: Header=BB101_4 Depth=1
	s_andn2_saveexec_b64 s[30:31], s[10:11]
	s_cbranch_execz .LBB101_87
; %bb.76:                               ;   in Loop: Header=BB101_4 Depth=1
	v_cmp_neq_f32_e64 s[10:11], |v22|, s43
	s_and_saveexec_b64 s[34:35], s[10:11]
	s_cbranch_execz .LBB101_86
; %bb.77:                               ;   in Loop: Header=BB101_4 Depth=1
	v_and_b32_e32 v10, 0x7fffffff, v22
	v_lshrrev_b32_e32 v2, 23, v10
	v_and_b32_e32 v12, 0x7fffff, v10
	v_cmp_nlt_f32_e64 s[36:37], |v22|, s46
	v_add_u32_e32 v41, 0xffffff88, v2
	v_or_b32_e32 v23, 0x800000, v12
                                        ; implicit-def: $vgpr12
                                        ; implicit-def: $vgpr20
	s_and_saveexec_b64 s[10:11], s[36:37]
	s_xor_b64 s[38:39], exec, s[10:11]
	s_cbranch_execz .LBB101_79
; %bb.78:                               ;   in Loop: Header=BB101_4 Depth=1
	v_cmp_lt_u32_e32 vcc, 63, v41
	v_cndmask_b32_e32 v2, 0, v37, vcc
	v_add_u32_e32 v2, v2, v41
	v_cmp_lt_u32_e64 s[10:11], 31, v2
	v_cndmask_b32_e64 v12, 0, v38, s[10:11]
	v_add_u32_e32 v2, v12, v2
	v_cmp_lt_u32_e64 s[12:13], 31, v2
	v_cndmask_b32_e64 v12, 0, v38, s[12:13]
	v_mad_u64_u32 v[42:43], s[14:15], v23, s47, 0
	v_add_u32_e32 v12, v12, v2
	v_mov_b32_e32 v2, v43
	v_mad_u64_u32 v[44:45], s[14:15], v23, s48, v[2:3]
	v_mov_b32_e32 v2, v45
	v_mad_u64_u32 v[46:47], s[14:15], v23, s49, v[2:3]
	;; [unrolled: 2-line block ×6, first 2 shown]
	v_cndmask_b32_e32 v20, v52, v48, vcc
	v_cndmask_b32_e32 v2, v54, v50, vcc
	;; [unrolled: 1-line block ×3, first 2 shown]
	v_cndmask_b32_e64 v43, v2, v20, s[10:11]
	v_cndmask_b32_e64 v2, v45, v2, s[10:11]
	v_cndmask_b32_e32 v45, v50, v46, vcc
	v_cndmask_b32_e64 v20, v20, v45, s[10:11]
	v_sub_u32_e32 v47, 32, v12
	v_cmp_eq_u32_e64 s[14:15], 0, v12
	v_cndmask_b32_e32 v12, v48, v44, vcc
	v_cndmask_b32_e64 v2, v2, v43, s[12:13]
	v_cndmask_b32_e64 v43, v43, v20, s[12:13]
	;; [unrolled: 1-line block ×3, first 2 shown]
	v_alignbit_b32 v49, v2, v43, v47
	v_cndmask_b32_e64 v20, v20, v44, s[12:13]
	v_cndmask_b32_e32 v42, v46, v42, vcc
	v_cndmask_b32_e64 v2, v49, v2, s[14:15]
	v_alignbit_b32 v45, v43, v20, v47
	v_cndmask_b32_e64 v12, v12, v42, s[10:11]
	v_cndmask_b32_e64 v43, v45, v43, s[14:15]
	v_bfe_u32 v49, v2, 29, 1
	v_cndmask_b32_e64 v12, v44, v12, s[12:13]
	v_alignbit_b32 v45, v2, v43, 30
	v_sub_u32_e32 v50, 0, v49
	v_alignbit_b32 v42, v20, v12, v47
	v_xor_b32_e32 v51, v45, v50
	v_cndmask_b32_e64 v20, v42, v20, s[14:15]
	v_alignbit_b32 v42, v43, v20, 30
	v_ffbh_u32_e32 v43, v51
	v_add_u32_e32 v43, 1, v43
	v_cmp_ne_u32_e32 vcc, v45, v50
	v_cndmask_b32_e32 v43, 33, v43, vcc
	v_alignbit_b32 v12, v20, v12, 30
	v_xor_b32_e32 v42, v42, v50
	v_sub_u32_e32 v44, 32, v43
	v_xor_b32_e32 v12, v12, v50
	v_alignbit_b32 v45, v51, v42, v44
	v_alignbit_b32 v12, v42, v12, v44
	;; [unrolled: 1-line block ×3, first 2 shown]
	v_ffbh_u32_e32 v42, v20
	v_min_u32_e32 v42, 32, v42
	v_lshrrev_b32_e32 v48, 29, v2
	v_sub_u32_e32 v44, 31, v42
	v_alignbit_b32 v12, v20, v12, v44
	v_lshlrev_b32_e32 v20, 31, v48
	v_or_b32_e32 v44, 0x33800000, v20
	v_add_lshl_u32 v42, v42, v43, 23
	v_lshrrev_b32_e32 v12, 9, v12
	v_sub_u32_e32 v42, v44, v42
	v_or_b32_e32 v12, v42, v12
	v_alignbit_b32 v42, v43, v45, 9
	v_or_b32_e32 v20, v42, v20
	v_xor_b32_e32 v20, 1.0, v20
	v_mul_f32_e32 v42, 0x3fc90fda, v20
	v_fma_f32 v43, v20, s54, -v42
	v_fmac_f32_e32 v43, 0x33a22168, v20
	v_fmac_f32_e32 v43, 0x3fc90fda, v12
	v_lshrrev_b32_e32 v2, 30, v2
	v_add_f32_e32 v20, v42, v43
	v_add_u32_e32 v12, v49, v2
.LBB101_79:                             ;   in Loop: Header=BB101_4 Depth=1
	s_or_saveexec_b64 s[10:11], s[38:39]
	v_mul_f32_e64 v2, |v22|, s55
	v_rndne_f32_e32 v43, v2
	s_xor_b64 exec, exec, s[10:11]
; %bb.80:                               ;   in Loop: Header=BB101_4 Depth=1
	v_cvt_i32_f32_e32 v12, v43
	v_fma_f32 v20, v43, s56, |v22|
	v_fmac_f32_e32 v20, 0xb3a22168, v43
	v_fmac_f32_e32 v20, 0xa7c234c4, v43
; %bb.81:                               ;   in Loop: Header=BB101_4 Depth=1
	s_or_b64 exec, exec, s[10:11]
                                        ; implicit-def: $vgpr2
                                        ; implicit-def: $vgpr42
	s_and_saveexec_b64 s[10:11], s[36:37]
	s_xor_b64 s[36:37], exec, s[10:11]
	s_cbranch_execz .LBB101_83
; %bb.82:                               ;   in Loop: Header=BB101_4 Depth=1
	v_cmp_lt_u32_e32 vcc, 63, v41
	v_cndmask_b32_e32 v2, 0, v37, vcc
	v_add_u32_e32 v2, v2, v41
	v_cmp_lt_u32_e64 s[10:11], 31, v2
	v_cndmask_b32_e64 v41, 0, v38, s[10:11]
	v_add_u32_e32 v2, v41, v2
	v_cmp_lt_u32_e64 s[12:13], 31, v2
	v_cndmask_b32_e64 v41, 0, v38, s[12:13]
	v_mad_u64_u32 v[42:43], s[14:15], v23, s47, 0
	v_add_u32_e32 v41, v41, v2
	v_mov_b32_e32 v2, v43
	v_mad_u64_u32 v[44:45], s[14:15], v23, s48, v[2:3]
	v_mov_b32_e32 v2, v45
	v_mad_u64_u32 v[46:47], s[14:15], v23, s49, v[2:3]
	;; [unrolled: 2-line block ×6, first 2 shown]
	v_cndmask_b32_e32 v43, v52, v48, vcc
	v_cndmask_b32_e32 v2, v54, v50, vcc
	;; [unrolled: 1-line block ×3, first 2 shown]
	v_cndmask_b32_e64 v23, v2, v43, s[10:11]
	v_cndmask_b32_e64 v2, v45, v2, s[10:11]
	v_cndmask_b32_e32 v45, v50, v46, vcc
	v_cndmask_b32_e64 v43, v43, v45, s[10:11]
	v_sub_u32_e32 v47, 32, v41
	v_cmp_eq_u32_e64 s[14:15], 0, v41
	v_cndmask_b32_e32 v41, v48, v44, vcc
	v_cndmask_b32_e64 v2, v2, v23, s[12:13]
	v_cndmask_b32_e64 v23, v23, v43, s[12:13]
	;; [unrolled: 1-line block ×3, first 2 shown]
	v_alignbit_b32 v49, v2, v23, v47
	v_cndmask_b32_e64 v43, v43, v44, s[12:13]
	v_cndmask_b32_e64 v2, v49, v2, s[14:15]
	v_alignbit_b32 v45, v23, v43, v47
	v_cndmask_b32_e32 v42, v46, v42, vcc
	v_cndmask_b32_e64 v23, v45, v23, s[14:15]
	v_bfe_u32 v49, v2, 29, 1
	v_cndmask_b32_e64 v41, v41, v42, s[10:11]
	v_alignbit_b32 v45, v2, v23, 30
	v_sub_u32_e32 v50, 0, v49
	v_cndmask_b32_e64 v41, v44, v41, s[12:13]
	v_xor_b32_e32 v51, v45, v50
	v_alignbit_b32 v42, v43, v41, v47
	v_cndmask_b32_e64 v42, v42, v43, s[14:15]
	v_ffbh_u32_e32 v43, v51
	v_add_u32_e32 v43, 1, v43
	v_cmp_ne_u32_e32 vcc, v45, v50
	v_alignbit_b32 v23, v23, v42, 30
	v_cndmask_b32_e32 v43, 33, v43, vcc
	v_alignbit_b32 v41, v42, v41, 30
	v_xor_b32_e32 v23, v23, v50
	v_sub_u32_e32 v44, 32, v43
	v_xor_b32_e32 v41, v41, v50
	v_alignbit_b32 v45, v51, v23, v44
	v_alignbit_b32 v23, v23, v41, v44
	;; [unrolled: 1-line block ×3, first 2 shown]
	v_ffbh_u32_e32 v42, v41
	v_min_u32_e32 v42, 32, v42
	v_lshrrev_b32_e32 v48, 29, v2
	v_sub_u32_e32 v44, 31, v42
	v_alignbit_b32 v23, v41, v23, v44
	v_lshlrev_b32_e32 v41, 31, v48
	v_or_b32_e32 v44, 0x33800000, v41
	v_add_lshl_u32 v42, v42, v43, 23
	v_lshrrev_b32_e32 v23, 9, v23
	v_sub_u32_e32 v42, v44, v42
	v_or_b32_e32 v23, v42, v23
	v_alignbit_b32 v42, v43, v45, 9
	v_or_b32_e32 v41, v42, v41
	v_xor_b32_e32 v41, 1.0, v41
	v_mul_f32_e32 v42, 0x3fc90fda, v41
	v_fma_f32 v43, v41, s54, -v42
	v_fmac_f32_e32 v43, 0x33a22168, v41
	v_fmac_f32_e32 v43, 0x3fc90fda, v23
	v_lshrrev_b32_e32 v2, 30, v2
	v_add_f32_e32 v42, v42, v43
	v_add_u32_e32 v2, v49, v2
                                        ; implicit-def: $vgpr43
	s_andn2_saveexec_b64 s[10:11], s[36:37]
	s_cbranch_execnz .LBB101_84
	s_branch .LBB101_85
.LBB101_83:                             ;   in Loop: Header=BB101_4 Depth=1
	s_andn2_saveexec_b64 s[10:11], s[36:37]
.LBB101_84:                             ;   in Loop: Header=BB101_4 Depth=1
	v_cvt_i32_f32_e32 v2, v43
	v_fma_f32 v42, v43, s56, |v22|
	v_fmac_f32_e32 v42, 0xb3a22168, v43
	v_fmac_f32_e32 v42, 0xa7c234c4, v43
.LBB101_85:                             ;   in Loop: Header=BB101_4 Depth=1
	s_or_b64 exec, exec, s[10:11]
	v_mul_f32_e32 v23, v20, v20
	v_mov_b32_e32 v41, 0x3c0881c4
	v_fmac_f32_e32 v41, 0xb94c1982, v23
	v_fma_f32 v41, v23, v41, v34
	v_mul_f32_e32 v41, v23, v41
	v_fmac_f32_e32 v20, v20, v41
	v_mov_b32_e32 v41, 0xbab64f3b
	v_fmac_f32_e32 v41, 0x37d75334, v23
	v_fma_f32 v41, v23, v41, v35
	v_fma_f32 v41, v23, v41, v36
	v_fma_f32 v23, v23, v41, 1.0
	v_and_b32_e32 v41, 1, v12
	v_lshlrev_b32_e32 v12, 30, v12
	v_cmp_eq_u32_e32 vcc, 0, v41
	v_and_b32_e32 v12, 0x80000000, v12
	v_cndmask_b32_e32 v20, v23, v20, vcc
	v_xor_b32_e32 v10, v10, v12
	v_xor_b32_e32 v10, v10, v20
	v_mul_f32_e32 v12, v42, v42
	v_mov_b32_e32 v20, 0x3c0881c4
	v_fmac_f32_e32 v20, 0xb94c1982, v12
	v_fma_f32 v20, v12, v20, v34
	v_mul_f32_e32 v20, v12, v20
	v_fmac_f32_e32 v42, v42, v20
	v_mov_b32_e32 v20, 0xbab64f3b
	v_fmac_f32_e32 v20, 0x37d75334, v12
	v_fma_f32 v20, v12, v20, v35
	v_fma_f32 v20, v12, v20, v36
	v_fma_f32 v12, v12, v20, 1.0
	v_and_b32_e32 v20, 1, v2
	v_cmp_eq_u32_e32 vcc, 0, v20
	v_lshlrev_b32_e32 v2, 30, v2
	v_cndmask_b32_e64 v12, -v42, v12, vcc
	v_and_b32_e32 v2, 0x80000000, v2
	v_xor_b32_e32 v10, v10, v22
	v_xor_b32_e32 v2, v2, v12
	v_mul_f32_e32 v2, v10, v2
	v_cmp_class_f32_e64 vcc, v22, s44
	v_cndmask_b32_e32 v22, v40, v2, vcc
.LBB101_86:                             ;   in Loop: Header=BB101_4 Depth=1
	s_or_b64 exec, exec, s[34:35]
	v_add_u32_e32 v21, -2.0, v21
	v_bfi_b32 v20, s42, 0, v22
.LBB101_87:                             ;   in Loop: Header=BB101_4 Depth=1
	s_or_b64 exec, exec, s[30:31]
.LBB101_88:                             ;   in Loop: Header=BB101_4 Depth=1
	s_or_b64 exec, exec, s[28:29]
	v_and_b32_e32 v10, 0x7fffffff, v19
	v_cmp_gt_u32_e32 vcc, s43, v10
                                        ; implicit-def: $vgpr22
                                        ; implicit-def: $vgpr23
	s_and_saveexec_b64 s[10:11], vcc
	s_xor_b64 s[28:29], exec, s[10:11]
	s_cbranch_execz .LBB101_110
; %bb.89:                               ;   in Loop: Header=BB101_4 Depth=1
	v_cmp_class_f32_e64 s[10:11], v18, s44
                                        ; implicit-def: $vgpr22
                                        ; implicit-def: $vgpr23
	s_and_saveexec_b64 s[12:13], s[10:11]
	s_xor_b64 s[30:31], exec, s[12:13]
	s_cbranch_execz .LBB101_107
; %bb.90:                               ;   in Loop: Header=BB101_4 Depth=1
	v_and_b32_e32 v41, 0x7fffffff, v18
	v_cmp_gt_u32_e32 vcc, s45, v10
                                        ; implicit-def: $vgpr22
                                        ; implicit-def: $vgpr23
	s_and_saveexec_b64 s[10:11], vcc
	s_xor_b64 s[34:35], exec, s[10:11]
	s_cbranch_execz .LBB101_96
; %bb.91:                               ;   in Loop: Header=BB101_4 Depth=1
	v_cmp_nlt_f32_e64 s[10:11], |v18|, s46
                                        ; implicit-def: $vgpr12
                                        ; implicit-def: $vgpr2
	s_and_saveexec_b64 s[12:13], s[10:11]
	s_xor_b64 s[36:37], exec, s[12:13]
	s_cbranch_execz .LBB101_93
; %bb.92:                               ;   in Loop: Header=BB101_4 Depth=1
	v_lshrrev_b32_e32 v2, 23, v41
	v_add_u32_e32 v2, 0xffffff88, v2
	v_cmp_lt_u32_e32 vcc, 63, v2
	v_cndmask_b32_e32 v12, 0, v37, vcc
	v_add_u32_e32 v2, v12, v2
	v_cmp_lt_u32_e64 s[10:11], 31, v2
	v_cndmask_b32_e64 v12, 0, v38, s[10:11]
	v_add_u32_e32 v2, v12, v2
	v_cmp_lt_u32_e64 s[12:13], 31, v2
	v_cndmask_b32_e64 v12, 0, v38, s[12:13]
	v_add_u32_e32 v12, v12, v2
	v_and_b32_e32 v2, 0x7fffff, v41
	v_or_b32_e32 v52, 0x800000, v2
	v_mad_u64_u32 v[22:23], s[14:15], v52, s47, 0
	v_mov_b32_e32 v2, v23
	v_mad_u64_u32 v[42:43], s[14:15], v52, s48, v[2:3]
	v_mov_b32_e32 v2, v43
	;; [unrolled: 2-line block ×6, first 2 shown]
	v_mad_u64_u32 v[52:53], s[14:15], v52, s53, v[2:3]
	v_cndmask_b32_e32 v23, v50, v46, vcc
	v_cndmask_b32_e32 v2, v52, v48, vcc
	;; [unrolled: 1-line block ×3, first 2 shown]
	v_cndmask_b32_e64 v43, v2, v23, s[10:11]
	v_cndmask_b32_e64 v2, v45, v2, s[10:11]
	v_cndmask_b32_e32 v45, v48, v44, vcc
	v_cndmask_b32_e64 v23, v23, v45, s[10:11]
	v_cndmask_b32_e64 v2, v2, v43, s[12:13]
	;; [unrolled: 1-line block ×3, first 2 shown]
	v_sub_u32_e32 v47, 32, v12
	v_alignbit_b32 v48, v2, v43, v47
	v_cmp_eq_u32_e64 s[14:15], 0, v12
	v_cndmask_b32_e64 v12, v48, v2, s[14:15]
	v_cndmask_b32_e32 v2, v46, v42, vcc
	v_cndmask_b32_e64 v42, v45, v2, s[10:11]
	v_cndmask_b32_e64 v23, v23, v42, s[12:13]
	v_alignbit_b32 v45, v43, v23, v47
	v_cndmask_b32_e64 v43, v45, v43, s[14:15]
	v_bfe_u32 v48, v12, 29, 1
	v_cndmask_b32_e32 v22, v44, v22, vcc
	v_alignbit_b32 v45, v12, v43, 30
	v_sub_u32_e32 v49, 0, v48
	v_cndmask_b32_e64 v2, v2, v22, s[10:11]
	v_xor_b32_e32 v50, v45, v49
	v_cndmask_b32_e64 v2, v42, v2, s[12:13]
	v_alignbit_b32 v22, v23, v2, v47
	v_ffbh_u32_e32 v42, v50
	v_cndmask_b32_e64 v22, v22, v23, s[14:15]
	v_add_u32_e32 v42, 1, v42
	v_cmp_ne_u32_e32 vcc, v45, v49
	v_alignbit_b32 v23, v43, v22, 30
	v_cndmask_b32_e32 v42, 33, v42, vcc
	v_alignbit_b32 v2, v22, v2, 30
	v_xor_b32_e32 v23, v23, v49
	v_sub_u32_e32 v43, 32, v42
	v_xor_b32_e32 v2, v2, v49
	v_alignbit_b32 v44, v50, v23, v43
	v_alignbit_b32 v2, v23, v2, v43
	;; [unrolled: 1-line block ×3, first 2 shown]
	v_ffbh_u32_e32 v23, v22
	v_min_u32_e32 v23, 32, v23
	v_lshrrev_b32_e32 v46, 29, v12
	v_sub_u32_e32 v43, 31, v23
	v_alignbit_b32 v2, v22, v2, v43
	v_lshlrev_b32_e32 v22, 31, v46
	v_or_b32_e32 v43, 0x33800000, v22
	v_add_lshl_u32 v23, v23, v42, 23
	v_lshrrev_b32_e32 v2, 9, v2
	v_sub_u32_e32 v23, v43, v23
	v_or_b32_e32 v2, v23, v2
	v_alignbit_b32 v23, v42, v44, 9
	v_or_b32_e32 v22, v23, v22
	v_xor_b32_e32 v22, 1.0, v22
	v_mul_f32_e32 v23, 0x3fc90fda, v22
	v_fma_f32 v42, v22, s54, -v23
	v_fmac_f32_e32 v42, 0x33a22168, v22
	v_fmac_f32_e32 v42, 0x3fc90fda, v2
	v_lshrrev_b32_e32 v12, 30, v12
	v_add_f32_e32 v2, v23, v42
	v_add_u32_e32 v12, v48, v12
.LBB101_93:                             ;   in Loop: Header=BB101_4 Depth=1
	s_andn2_saveexec_b64 s[10:11], s[36:37]
; %bb.94:                               ;   in Loop: Header=BB101_4 Depth=1
	v_mul_f32_e64 v2, |v18|, s55
	v_rndne_f32_e32 v22, v2
	v_cvt_i32_f32_e32 v12, v22
	v_fma_f32 v2, v22, s56, |v18|
	v_fmac_f32_e32 v2, 0xb3a22168, v22
	v_fmac_f32_e32 v2, 0xa7c234c4, v22
; %bb.95:                               ;   in Loop: Header=BB101_4 Depth=1
	s_or_b64 exec, exec, s[10:11]
	v_mul_f32_e32 v22, v2, v2
	v_mov_b32_e32 v23, 0xbf039337
	v_fmac_f32_e32 v23, 0x3c971480, v22
	v_fma_f32 v23, v22, v23, v29
	v_rcp_f32_e32 v23, v23
	v_mov_b32_e32 v42, 0x3ec54587
	v_fmac_f32_e32 v42, 0xbc8cedd3, v22
	v_and_b32_e32 v12, 1, v12
	v_mul_f32_e32 v23, v42, v23
	v_mul_f32_e32 v22, v22, v23
	v_fma_f32 v23, v22, v2, v2
	v_rcp_f32_e32 v42, v23
	v_sub_f32_e32 v43, v23, v2
	v_fma_f32 v2, v22, v2, -v43
	v_cmp_eq_u32_e32 vcc, 0, v12
	v_fma_f32 v22, v23, -v42, 1.0
	v_fma_f32 v2, v2, -v42, v22
	v_fma_f32 v2, v2, -v42, -v42
	v_add_f32_e64 v12, |v19|, s57
	v_cndmask_b32_e32 v2, v2, v23, vcc
	v_sub_f32_e64 v23, v12, |v19|
	v_sub_f32_e32 v22, v23, v12
	v_pk_add_f32 v[22:23], v[10:11], v[22:23]
	v_sub_f32_e32 v10, v22, v23
	v_add_f32_e32 v10, 0x3102e308, v10
	v_add_f32_e32 v22, v12, v10
	v_sub_f32_e32 v12, v12, v22
	v_add_f32_e32 v10, v10, v12
	v_mul_f32_e32 v12, 0x3fb8aa3b, v22
	v_rndne_f32_e32 v48, v12
	v_fmac_f32_e32 v22, 0xbf317200, v48
	v_add_f32_e32 v12, v10, v22
	v_sub_f32_e32 v22, v22, v12
	v_add_f32_e32 v10, v10, v22
	v_mul_f32_e32 v22, 0x35bfbc00, v48
	v_sub_f32_e32 v42, v12, v22
	v_sub_f32_e32 v12, v12, v42
	;; [unrolled: 1-line block ×3, first 2 shown]
	v_add_f32_e32 v10, v10, v12
	v_add_f32_e32 v43, v42, v10
	v_mul_f32_e32 v23, 0x2ea39ef3, v48
	v_mov_b32_e32 v22, v43
	v_pk_add_f32 v[44:45], v[42:43], v[22:23] neg_lo:[0,1] neg_hi:[0,1]
	v_sub_f32_e32 v12, v43, v45
	v_sub_f32_e32 v12, v12, v23
	v_add_f32_e32 v10, v10, v44
	v_add_f32_e32 v10, v10, v12
	;; [unrolled: 1-line block ×3, first 2 shown]
	v_sub_f32_e32 v23, v45, v22
	v_mov_b32_e32 v12, 0x3c091de6
	v_add_f32_e32 v10, v10, v23
	v_mul_f32_e32 v42, v22, v22
	v_fmac_f32_e32 v12, 0x3ab42872, v22
	v_add_f32_e32 v23, v10, v10
	v_fma_f32 v43, v22, v22, -v42
	v_fma_f32 v12, v22, v12, v30
	v_fmac_f32_e32 v43, v22, v23
	v_fma_f32 v12, v22, v12, v31
	v_add_f32_e32 v23, v42, v43
	v_fma_f32 v12, v22, v12, v32
	v_sub_f32_e32 v42, v23, v42
	v_sub_f32_e32 v42, v43, v42
	v_mul_f32_e32 v43, v12, v23
	v_fma_f32 v23, v23, v12, -v43
	v_fmac_f32_e32 v23, v42, v12
	v_add_f32_e32 v42, v43, v23
	v_sub_f32_e32 v12, v42, v43
	v_sub_f32_e32 v23, v23, v12
	v_add_f32_e32 v12, v22, v42
	v_sub_f32_e32 v22, v12, v22
	v_sub_f32_e32 v22, v42, v22
	v_add_f32_e32 v10, v10, v23
	v_add_f32_e32 v22, v10, v22
	;; [unrolled: 1-line block ×3, first 2 shown]
	v_add_f32_e32 v43, 1.0, v42
	v_pk_add_f32 v[44:45], v[42:43], v[12:13] neg_lo:[0,1] neg_hi:[0,1]
	v_pk_add_f32 v[46:47], v[42:43], s[26:27]
	v_mov_b32_e32 v45, v47
	v_mov_b32_e32 v23, v42
	v_cvt_i32_f32_e32 v10, v48
	v_pk_add_f32 v[22:23], v[22:23], v[44:45] neg_lo:[0,1] neg_hi:[0,1]
	v_add_f32_e32 v12, v22, v23
	v_add_f32_e32 v22, v43, v12
	v_ldexp_f32 v23, v22, v10
	v_rcp_f32_e32 v42, v23
	v_sub_f32_e32 v22, v22, v43
	v_sub_f32_e32 v12, v12, v22
	v_ldexp_f32 v10, v12, v10
	v_mul_f32_e32 v12, v23, v42
	v_fma_f32 v22, v42, v23, -v12
	v_fmac_f32_e32 v22, v42, v10
	v_add_f32_e32 v43, v12, v22
	v_sub_f32_e32 v44, 1.0, v43
	v_sub_f32_e32 v45, 1.0, v44
	v_sub_f32_e32 v12, v43, v12
	v_sub_f32_e32 v45, v45, v43
	;; [unrolled: 1-line block ×3, first 2 shown]
	v_add_f32_e32 v12, v12, v45
	v_add_f32_e32 v22, v44, v12
	v_mul_f32_e32 v43, v42, v22
	v_mul_f32_e32 v45, v23, v43
	v_fma_f32 v46, v43, v23, -v45
	v_fmac_f32_e32 v46, v43, v10
	v_sub_f32_e32 v44, v44, v22
	v_add_f32_e32 v12, v12, v44
	v_add_f32_e32 v44, v45, v46
	v_sub_f32_e32 v47, v22, v44
	v_sub_f32_e32 v22, v22, v47
	;; [unrolled: 1-line block ×4, first 2 shown]
	v_add_f32_e32 v12, v12, v22
	v_sub_f32_e32 v22, v45, v46
	v_add_f32_e32 v12, v22, v12
	v_add_f32_e32 v12, v47, v12
	;; [unrolled: 1-line block ×3, first 2 shown]
	v_mul_f32_e32 v12, v42, v12
	v_sub_f32_e32 v42, v22, v42
	v_sub_f32_e32 v42, v43, v42
	v_add_f32_e32 v12, v42, v12
	v_add_f32_e32 v42, v22, v12
	v_sub_f32_e32 v22, v42, v22
	v_sub_f32_e32 v12, v12, v22
	v_ldexp_f32 v22, v42, -2
	v_sub_f32_e32 v42, v23, v22
	v_sub_f32_e32 v23, v23, v42
	;; [unrolled: 1-line block ×3, first 2 shown]
	v_ldexp_f32 v12, v12, -2
	v_add_f32_e32 v10, v10, v22
	v_sub_f32_e32 v10, v10, v12
	v_add_f32_e32 v10, v42, v10
	v_cmp_ngt_f32_e64 vcc, |v19|, s58
	v_cndmask_b32_e32 v10, v39, v10, vcc
	v_cmp_lt_f32_e64 s[10:11], |v19|, s59
	v_cndmask_b32_e64 v10, v10, |v19|, s[10:11]
	v_xor_b32_e32 v12, 0x80000000, v19
	v_bfi_b32 v10, s42, v10, v12
	v_fma_f32 v12, v10, v10, 1.0
	v_mul_f32_e32 v19, 0x4f800000, v12
	v_cmp_gt_f32_e32 vcc, s60, v12
	v_cndmask_b32_e32 v12, v12, v19, vcc
	v_sqrt_f32_e32 v19, v12
	v_xor_b32_e32 v2, v41, v2
	v_xor_b32_e32 v2, v2, v18
	v_fma_f32 v18, v2, v2, 1.0
	v_add_u32_e32 v22, -1, v19
	v_fma_f32 v23, -v22, v19, v12
	v_cmp_ge_f32_e64 s[10:11], 0, v23
	v_add_u32_e32 v23, 1, v19
	v_cndmask_b32_e64 v22, v19, v22, s[10:11]
	v_fma_f32 v19, -v23, v19, v12
	v_cmp_lt_f32_e64 s[10:11], 0, v19
	v_cndmask_b32_e64 v19, v22, v23, s[10:11]
	v_mul_f32_e32 v22, 0x37800000, v19
	v_cndmask_b32_e32 v19, v19, v22, vcc
	v_cmp_class_f32_e32 vcc, v12, v33
	v_cndmask_b32_e32 v12, v19, v12, vcc
	v_mul_f32_e32 v19, v10, v18
	v_mul_f32_e32 v12, v12, v18
	v_fma_f32 v19, v10, v19, 1.0
	v_mul_f32_e32 v10, v10, v12
	v_div_scale_f32 v12, s[10:11], v19, v19, v10
	v_rcp_f32_e32 v18, v12
	v_fma_f32 v22, -v12, v18, 1.0
	v_fmac_f32_e32 v18, v22, v18
	v_div_scale_f32 v22, vcc, v10, v19, v10
	v_mul_f32_e32 v23, v22, v18
	v_fma_f32 v41, -v12, v23, v22
	v_fmac_f32_e32 v23, v41, v18
	v_fma_f32 v12, -v12, v23, v22
	v_div_scale_f32 v22, s[10:11], v19, v19, v2
	v_rcp_f32_e32 v41, v22
	v_div_fmas_f32 v12, v12, v18, v23
	v_div_fixup_f32 v23, v12, v19, v10
	v_fma_f32 v10, -v22, v41, 1.0
	v_fmac_f32_e32 v41, v10, v41
	v_div_scale_f32 v10, vcc, v2, v19, v2
	v_mul_f32_e32 v12, v10, v41
	v_fma_f32 v18, -v22, v12, v10
	v_fmac_f32_e32 v12, v18, v41
	v_fma_f32 v10, -v22, v12, v10
	v_div_fmas_f32 v10, v10, v41, v12
	v_div_fixup_f32 v22, v10, v19, v2
                                        ; implicit-def: $vgpr18
                                        ; implicit-def: $vgpr41
.LBB101_96:                             ;   in Loop: Header=BB101_4 Depth=1
	s_andn2_saveexec_b64 s[34:35], s[34:35]
	s_cbranch_execz .LBB101_106
; %bb.97:                               ;   in Loop: Header=BB101_4 Depth=1
	v_lshrrev_b32_e32 v2, 23, v41
	v_and_b32_e32 v10, 0x7fffff, v41
	v_cmp_nlt_f32_e64 s[36:37], |v18|, s46
	v_add_u32_e32 v23, 0xffffff88, v2
	v_or_b32_e32 v22, 0x800000, v10
                                        ; implicit-def: $vgpr10
                                        ; implicit-def: $vgpr12
	s_and_saveexec_b64 s[10:11], s[36:37]
	s_xor_b64 s[38:39], exec, s[10:11]
	s_cbranch_execz .LBB101_99
; %bb.98:                               ;   in Loop: Header=BB101_4 Depth=1
	v_cmp_lt_u32_e32 vcc, 63, v23
	v_cndmask_b32_e32 v2, 0, v37, vcc
	v_add_u32_e32 v2, v2, v23
	v_cmp_lt_u32_e64 s[10:11], 31, v2
	v_cndmask_b32_e64 v10, 0, v38, s[10:11]
	v_add_u32_e32 v2, v10, v2
	v_cmp_lt_u32_e64 s[12:13], 31, v2
	v_cndmask_b32_e64 v10, 0, v38, s[12:13]
	v_mad_u64_u32 v[42:43], s[14:15], v22, s47, 0
	v_add_u32_e32 v10, v10, v2
	v_mov_b32_e32 v2, v43
	v_mad_u64_u32 v[44:45], s[14:15], v22, s48, v[2:3]
	v_mov_b32_e32 v2, v45
	v_mad_u64_u32 v[46:47], s[14:15], v22, s49, v[2:3]
	;; [unrolled: 2-line block ×6, first 2 shown]
	v_cndmask_b32_e32 v12, v52, v48, vcc
	v_cndmask_b32_e32 v2, v54, v50, vcc
	;; [unrolled: 1-line block ×3, first 2 shown]
	v_cndmask_b32_e64 v43, v2, v12, s[10:11]
	v_cndmask_b32_e64 v2, v45, v2, s[10:11]
	v_cndmask_b32_e32 v45, v50, v46, vcc
	v_cndmask_b32_e64 v12, v12, v45, s[10:11]
	v_sub_u32_e32 v47, 32, v10
	v_cmp_eq_u32_e64 s[14:15], 0, v10
	v_cndmask_b32_e32 v10, v48, v44, vcc
	v_cndmask_b32_e64 v2, v2, v43, s[12:13]
	v_cndmask_b32_e64 v43, v43, v12, s[12:13]
	v_cndmask_b32_e64 v44, v45, v10, s[10:11]
	v_alignbit_b32 v49, v2, v43, v47
	v_cndmask_b32_e64 v12, v12, v44, s[12:13]
	v_cndmask_b32_e32 v42, v46, v42, vcc
	v_cndmask_b32_e64 v2, v49, v2, s[14:15]
	v_alignbit_b32 v45, v43, v12, v47
	v_cndmask_b32_e64 v10, v10, v42, s[10:11]
	v_cndmask_b32_e64 v43, v45, v43, s[14:15]
	v_bfe_u32 v49, v2, 29, 1
	v_cndmask_b32_e64 v10, v44, v10, s[12:13]
	v_alignbit_b32 v45, v2, v43, 30
	v_sub_u32_e32 v50, 0, v49
	v_alignbit_b32 v42, v12, v10, v47
	v_xor_b32_e32 v51, v45, v50
	v_cndmask_b32_e64 v12, v42, v12, s[14:15]
	v_alignbit_b32 v42, v43, v12, 30
	v_ffbh_u32_e32 v43, v51
	v_add_u32_e32 v43, 1, v43
	v_cmp_ne_u32_e32 vcc, v45, v50
	v_cndmask_b32_e32 v43, 33, v43, vcc
	v_alignbit_b32 v10, v12, v10, 30
	v_xor_b32_e32 v42, v42, v50
	v_sub_u32_e32 v44, 32, v43
	v_xor_b32_e32 v10, v10, v50
	v_alignbit_b32 v45, v51, v42, v44
	v_alignbit_b32 v10, v42, v10, v44
	;; [unrolled: 1-line block ×3, first 2 shown]
	v_ffbh_u32_e32 v42, v12
	v_min_u32_e32 v42, 32, v42
	v_lshrrev_b32_e32 v48, 29, v2
	v_sub_u32_e32 v44, 31, v42
	v_alignbit_b32 v10, v12, v10, v44
	v_lshlrev_b32_e32 v12, 31, v48
	v_or_b32_e32 v44, 0x33800000, v12
	v_add_lshl_u32 v42, v42, v43, 23
	v_lshrrev_b32_e32 v10, 9, v10
	v_sub_u32_e32 v42, v44, v42
	v_or_b32_e32 v10, v42, v10
	v_alignbit_b32 v42, v43, v45, 9
	v_or_b32_e32 v12, v42, v12
	v_xor_b32_e32 v12, 1.0, v12
	v_mul_f32_e32 v42, 0x3fc90fda, v12
	v_fma_f32 v43, v12, s54, -v42
	v_fmac_f32_e32 v43, 0x33a22168, v12
	v_fmac_f32_e32 v43, 0x3fc90fda, v10
	v_lshrrev_b32_e32 v2, 30, v2
	v_add_f32_e32 v12, v42, v43
	v_add_u32_e32 v10, v49, v2
	s_andn2_saveexec_b64 s[10:11], s[38:39]
	s_branch .LBB101_100
.LBB101_99:                             ;   in Loop: Header=BB101_4 Depth=1
	s_andn2_saveexec_b64 s[10:11], s[38:39]
.LBB101_100:                            ;   in Loop: Header=BB101_4 Depth=1
	v_mul_f32_e64 v2, |v18|, s55
	v_rndne_f32_e32 v2, v2
	v_cvt_i32_f32_e32 v10, v2
	v_fma_f32 v12, v2, s56, |v18|
	v_fmac_f32_e32 v12, 0xb3a22168, v2
	v_fmac_f32_e32 v12, 0xa7c234c4, v2
; %bb.101:                              ;   in Loop: Header=BB101_4 Depth=1
	s_or_b64 exec, exec, s[10:11]
                                        ; implicit-def: $vgpr2
                                        ; implicit-def: $vgpr42
	s_and_saveexec_b64 s[10:11], s[36:37]
	s_xor_b64 s[36:37], exec, s[10:11]
	s_cbranch_execz .LBB101_103
; %bb.102:                              ;   in Loop: Header=BB101_4 Depth=1
	v_cmp_lt_u32_e32 vcc, 63, v23
	v_cndmask_b32_e32 v2, 0, v37, vcc
	v_add_u32_e32 v2, v2, v23
	v_cmp_lt_u32_e64 s[10:11], 31, v2
	v_cndmask_b32_e64 v23, 0, v38, s[10:11]
	v_add_u32_e32 v2, v23, v2
	v_cmp_lt_u32_e64 s[12:13], 31, v2
	v_cndmask_b32_e64 v23, 0, v38, s[12:13]
	v_mad_u64_u32 v[42:43], s[14:15], v22, s47, 0
	v_add_u32_e32 v54, v23, v2
	v_mov_b32_e32 v2, v43
	v_mad_u64_u32 v[44:45], s[14:15], v22, s48, v[2:3]
	v_mov_b32_e32 v2, v45
	v_mad_u64_u32 v[46:47], s[14:15], v22, s49, v[2:3]
	;; [unrolled: 2-line block ×6, first 2 shown]
	v_cndmask_b32_e32 v43, v52, v48, vcc
	v_cndmask_b32_e32 v2, v22, v50, vcc
	v_cndmask_b32_e32 v23, v23, v52, vcc
	v_cndmask_b32_e64 v22, v2, v43, s[10:11]
	v_cndmask_b32_e64 v2, v23, v2, s[10:11]
	v_cndmask_b32_e32 v23, v50, v46, vcc
	v_cndmask_b32_e64 v43, v43, v23, s[10:11]
	v_cndmask_b32_e32 v44, v48, v44, vcc
	v_cndmask_b32_e64 v2, v2, v22, s[12:13]
	v_cndmask_b32_e64 v22, v22, v43, s[12:13]
	v_sub_u32_e32 v45, 32, v54
	v_cndmask_b32_e64 v23, v23, v44, s[10:11]
	v_alignbit_b32 v47, v2, v22, v45
	v_cmp_eq_u32_e64 s[14:15], 0, v54
	v_cndmask_b32_e64 v43, v43, v23, s[12:13]
	v_cndmask_b32_e64 v2, v47, v2, s[14:15]
	v_alignbit_b32 v47, v22, v43, v45
	v_cndmask_b32_e32 v42, v46, v42, vcc
	v_cndmask_b32_e64 v22, v47, v22, s[14:15]
	v_bfe_u32 v49, v2, 29, 1
	v_cndmask_b32_e64 v42, v44, v42, s[10:11]
	v_alignbit_b32 v47, v2, v22, 30
	v_sub_u32_e32 v50, 0, v49
	v_cndmask_b32_e64 v23, v23, v42, s[12:13]
	v_xor_b32_e32 v51, v47, v50
	v_alignbit_b32 v42, v43, v23, v45
	v_cndmask_b32_e64 v42, v42, v43, s[14:15]
	v_ffbh_u32_e32 v43, v51
	v_add_u32_e32 v43, 1, v43
	v_cmp_ne_u32_e32 vcc, v47, v50
	v_alignbit_b32 v22, v22, v42, 30
	v_cndmask_b32_e32 v43, 33, v43, vcc
	v_alignbit_b32 v23, v42, v23, 30
	v_xor_b32_e32 v22, v22, v50
	v_sub_u32_e32 v44, 32, v43
	v_xor_b32_e32 v23, v23, v50
	v_alignbit_b32 v45, v51, v22, v44
	v_alignbit_b32 v22, v22, v23, v44
	v_alignbit_b32 v23, v45, v22, 9
	v_ffbh_u32_e32 v42, v23
	v_min_u32_e32 v42, 32, v42
	v_lshrrev_b32_e32 v48, 29, v2
	v_sub_u32_e32 v44, 31, v42
	v_alignbit_b32 v22, v23, v22, v44
	v_lshlrev_b32_e32 v23, 31, v48
	v_or_b32_e32 v44, 0x33800000, v23
	v_add_lshl_u32 v42, v42, v43, 23
	v_lshrrev_b32_e32 v22, 9, v22
	v_sub_u32_e32 v42, v44, v42
	v_or_b32_e32 v22, v42, v22
	v_alignbit_b32 v42, v43, v45, 9
	v_or_b32_e32 v23, v42, v23
	v_xor_b32_e32 v23, 1.0, v23
	v_mul_f32_e32 v42, 0x3fc90fda, v23
	v_fma_f32 v43, v23, s54, -v42
	v_fmac_f32_e32 v43, 0x33a22168, v23
	v_fmac_f32_e32 v43, 0x3fc90fda, v22
	v_lshrrev_b32_e32 v2, 30, v2
	v_add_f32_e32 v42, v42, v43
	v_add_u32_e32 v2, v49, v2
	s_andn2_saveexec_b64 s[10:11], s[36:37]
	s_cbranch_execnz .LBB101_104
	s_branch .LBB101_105
.LBB101_103:                            ;   in Loop: Header=BB101_4 Depth=1
	s_andn2_saveexec_b64 s[10:11], s[36:37]
.LBB101_104:                            ;   in Loop: Header=BB101_4 Depth=1
	v_mul_f32_e64 v2, |v18|, s55
	v_rndne_f32_e32 v22, v2
	v_cvt_i32_f32_e32 v2, v22
	v_fma_f32 v42, v22, s56, |v18|
	v_fmac_f32_e32 v42, 0xb3a22168, v22
	v_fmac_f32_e32 v42, 0xa7c234c4, v22
.LBB101_105:                            ;   in Loop: Header=BB101_4 Depth=1
	s_or_b64 exec, exec, s[10:11]
	v_mul_f32_e32 v22, v12, v12
	v_mov_b32_e32 v23, 0x3c0881c4
	v_fmac_f32_e32 v23, 0xb94c1982, v22
	v_fma_f32 v23, v22, v23, v34
	v_mul_f32_e32 v23, v22, v23
	v_fmac_f32_e32 v12, v12, v23
	v_mov_b32_e32 v23, 0xbab64f3b
	v_fmac_f32_e32 v23, 0x37d75334, v22
	v_fma_f32 v23, v22, v23, v35
	v_fma_f32 v23, v22, v23, v36
	v_fma_f32 v22, v22, v23, 1.0
	v_and_b32_e32 v23, 1, v10
	v_cmp_eq_u32_e32 vcc, 0, v23
	v_cndmask_b32_e32 v12, v22, v12, vcc
	v_lshlrev_b32_e32 v10, 30, v10
	v_mul_f32_e64 v22, |v19|, s61
	v_and_b32_e32 v10, 0x80000000, v10
	v_rndne_f32_e32 v23, v22
	v_xor_b32_e32 v10, v41, v10
	v_sub_f32_e32 v41, v22, v23
	v_fma_f32 v22, |v19|, s61, -v22
	v_fma_f32 v22, |v19|, s62, v22
	v_add_f32_e32 v22, v41, v22
	v_exp_f32_e32 v22, v22
	v_cvt_i32_f32_e32 v23, v23
	v_xor_b32_e32 v10, v10, v12
	v_xor_b32_e32 v10, v10, v18
	v_cmp_ngt_f32_e64 vcc, |v19|, s63
	v_ldexp_f32 v12, v22, v23
	v_xor_b32_e32 v18, 0x80000000, v19
	v_cndmask_b32_e32 v12, 0, v12, vcc
	v_cmp_nlt_f32_e64 vcc, |v19|, s64
	v_bfi_b32 v23, s42, 1.0, v18
	v_mul_f32_e32 v18, v42, v42
	v_mov_b32_e32 v19, 0x3c0881c4
	v_fmac_f32_e32 v19, 0xb94c1982, v18
	v_fma_f32 v19, v18, v19, v34
	v_mul_f32_e32 v19, v18, v19
	v_fmac_f32_e32 v42, v42, v19
	v_mov_b32_e32 v19, 0xbab64f3b
	v_fmac_f32_e32 v19, 0x37d75334, v18
	v_fma_f32 v19, v18, v19, v35
	v_fma_f32 v19, v18, v19, v36
	v_fma_f32 v18, v18, v19, 1.0
	v_and_b32_e32 v19, 1, v2
	v_cndmask_b32_e32 v12, v39, v12, vcc
	v_cmp_eq_u32_e32 vcc, 0, v19
	v_lshlrev_b32_e32 v2, 30, v2
	v_cndmask_b32_e64 v18, -v42, v18, vcc
	v_and_b32_e32 v2, 0x80000000, v2
	v_mul_f32_e32 v10, 4.0, v10
	v_xor_b32_e32 v2, v2, v18
	v_mul_f32_e32 v2, v10, v2
	v_mul_f32_e32 v2, v12, v2
	;; [unrolled: 1-line block ×3, first 2 shown]
.LBB101_106:                            ;   in Loop: Header=BB101_4 Depth=1
	s_or_b64 exec, exec, s[34:35]
                                        ; implicit-def: $vgpr18
.LBB101_107:                            ;   in Loop: Header=BB101_4 Depth=1
	s_andn2_saveexec_b64 s[10:11], s[30:31]
; %bb.108:                              ;   in Loop: Header=BB101_4 Depth=1
	v_sub_f32_e32 v22, v18, v18
	v_mov_b32_e32 v23, v22
; %bb.109:                              ;   in Loop: Header=BB101_4 Depth=1
	s_or_b64 exec, exec, s[10:11]
                                        ; implicit-def: $vgpr19
.LBB101_110:                            ;   in Loop: Header=BB101_4 Depth=1
	s_andn2_saveexec_b64 s[28:29], s[28:29]
	s_cbranch_execz .LBB101_126
; %bb.111:                              ;   in Loop: Header=BB101_4 Depth=1
	v_xor_b32_e32 v23, 0x80000000, v19
	v_and_b32_e32 v2, 0x7fffff, v23
	v_cmp_ne_u32_e32 vcc, 0, v2
                                        ; implicit-def: $vgpr22
	s_and_saveexec_b64 s[10:11], vcc
	s_xor_b64 s[10:11], exec, s[10:11]
; %bb.112:                              ;   in Loop: Header=BB101_4 Depth=1
	v_mul_f32_e64 v2, v18, -v19
	v_cmp_eq_f32_e32 vcc, 0, v18
	v_cndmask_b32_e32 v22, v2, v18, vcc
                                        ; implicit-def: $vgpr18
; %bb.113:                              ;   in Loop: Header=BB101_4 Depth=1
	s_andn2_saveexec_b64 s[30:31], s[10:11]
	s_cbranch_execz .LBB101_125
; %bb.114:                              ;   in Loop: Header=BB101_4 Depth=1
	v_cmp_neq_f32_e64 s[10:11], |v18|, s43
	s_and_saveexec_b64 s[34:35], s[10:11]
	s_cbranch_execz .LBB101_124
; %bb.115:                              ;   in Loop: Header=BB101_4 Depth=1
	v_and_b32_e32 v10, 0x7fffffff, v18
	v_lshrrev_b32_e32 v2, 23, v10
	v_and_b32_e32 v12, 0x7fffff, v10
	v_cmp_nlt_f32_e64 s[36:37], |v18|, s46
	v_add_u32_e32 v41, 0xffffff88, v2
	v_or_b32_e32 v22, 0x800000, v12
                                        ; implicit-def: $vgpr12
                                        ; implicit-def: $vgpr19
	s_and_saveexec_b64 s[10:11], s[36:37]
	s_xor_b64 s[38:39], exec, s[10:11]
	s_cbranch_execz .LBB101_117
; %bb.116:                              ;   in Loop: Header=BB101_4 Depth=1
	v_cmp_lt_u32_e32 vcc, 63, v41
	v_cndmask_b32_e32 v2, 0, v37, vcc
	v_add_u32_e32 v2, v2, v41
	v_cmp_lt_u32_e64 s[10:11], 31, v2
	v_cndmask_b32_e64 v12, 0, v38, s[10:11]
	v_add_u32_e32 v2, v12, v2
	v_cmp_lt_u32_e64 s[12:13], 31, v2
	v_cndmask_b32_e64 v12, 0, v38, s[12:13]
	v_mad_u64_u32 v[42:43], s[14:15], v22, s47, 0
	v_add_u32_e32 v12, v12, v2
	v_mov_b32_e32 v2, v43
	v_mad_u64_u32 v[44:45], s[14:15], v22, s48, v[2:3]
	v_mov_b32_e32 v2, v45
	v_mad_u64_u32 v[46:47], s[14:15], v22, s49, v[2:3]
	;; [unrolled: 2-line block ×6, first 2 shown]
	v_cndmask_b32_e32 v19, v52, v48, vcc
	v_cndmask_b32_e32 v2, v54, v50, vcc
	;; [unrolled: 1-line block ×3, first 2 shown]
	v_cndmask_b32_e64 v43, v2, v19, s[10:11]
	v_cndmask_b32_e64 v2, v45, v2, s[10:11]
	v_cndmask_b32_e32 v45, v50, v46, vcc
	v_cndmask_b32_e64 v19, v19, v45, s[10:11]
	v_sub_u32_e32 v47, 32, v12
	v_cmp_eq_u32_e64 s[14:15], 0, v12
	v_cndmask_b32_e32 v12, v48, v44, vcc
	v_cndmask_b32_e64 v2, v2, v43, s[12:13]
	v_cndmask_b32_e64 v43, v43, v19, s[12:13]
	;; [unrolled: 1-line block ×3, first 2 shown]
	v_alignbit_b32 v49, v2, v43, v47
	v_cndmask_b32_e64 v19, v19, v44, s[12:13]
	v_cndmask_b32_e32 v42, v46, v42, vcc
	v_cndmask_b32_e64 v2, v49, v2, s[14:15]
	v_alignbit_b32 v45, v43, v19, v47
	v_cndmask_b32_e64 v12, v12, v42, s[10:11]
	v_cndmask_b32_e64 v43, v45, v43, s[14:15]
	v_bfe_u32 v49, v2, 29, 1
	v_cndmask_b32_e64 v12, v44, v12, s[12:13]
	v_alignbit_b32 v45, v2, v43, 30
	v_sub_u32_e32 v50, 0, v49
	v_alignbit_b32 v42, v19, v12, v47
	v_xor_b32_e32 v51, v45, v50
	v_cndmask_b32_e64 v19, v42, v19, s[14:15]
	v_alignbit_b32 v42, v43, v19, 30
	v_ffbh_u32_e32 v43, v51
	v_add_u32_e32 v43, 1, v43
	v_cmp_ne_u32_e32 vcc, v45, v50
	v_cndmask_b32_e32 v43, 33, v43, vcc
	v_alignbit_b32 v12, v19, v12, 30
	v_xor_b32_e32 v42, v42, v50
	v_sub_u32_e32 v44, 32, v43
	v_xor_b32_e32 v12, v12, v50
	v_alignbit_b32 v45, v51, v42, v44
	v_alignbit_b32 v12, v42, v12, v44
	;; [unrolled: 1-line block ×3, first 2 shown]
	v_ffbh_u32_e32 v42, v19
	v_min_u32_e32 v42, 32, v42
	v_lshrrev_b32_e32 v48, 29, v2
	v_sub_u32_e32 v44, 31, v42
	v_alignbit_b32 v12, v19, v12, v44
	v_lshlrev_b32_e32 v19, 31, v48
	v_or_b32_e32 v44, 0x33800000, v19
	v_add_lshl_u32 v42, v42, v43, 23
	v_lshrrev_b32_e32 v12, 9, v12
	v_sub_u32_e32 v42, v44, v42
	v_or_b32_e32 v12, v42, v12
	v_alignbit_b32 v42, v43, v45, 9
	v_or_b32_e32 v19, v42, v19
	v_xor_b32_e32 v19, 1.0, v19
	v_mul_f32_e32 v42, 0x3fc90fda, v19
	v_fma_f32 v43, v19, s54, -v42
	v_fmac_f32_e32 v43, 0x33a22168, v19
	v_fmac_f32_e32 v43, 0x3fc90fda, v12
	v_lshrrev_b32_e32 v2, 30, v2
	v_add_f32_e32 v19, v42, v43
	v_add_u32_e32 v12, v49, v2
.LBB101_117:                            ;   in Loop: Header=BB101_4 Depth=1
	s_or_saveexec_b64 s[10:11], s[38:39]
	v_mul_f32_e64 v2, |v18|, s55
	v_rndne_f32_e32 v43, v2
	s_xor_b64 exec, exec, s[10:11]
; %bb.118:                              ;   in Loop: Header=BB101_4 Depth=1
	v_cvt_i32_f32_e32 v12, v43
	v_fma_f32 v19, v43, s56, |v18|
	v_fmac_f32_e32 v19, 0xb3a22168, v43
	v_fmac_f32_e32 v19, 0xa7c234c4, v43
; %bb.119:                              ;   in Loop: Header=BB101_4 Depth=1
	s_or_b64 exec, exec, s[10:11]
                                        ; implicit-def: $vgpr2
                                        ; implicit-def: $vgpr42
	s_and_saveexec_b64 s[10:11], s[36:37]
	s_xor_b64 s[36:37], exec, s[10:11]
	s_cbranch_execz .LBB101_121
; %bb.120:                              ;   in Loop: Header=BB101_4 Depth=1
	v_cmp_lt_u32_e32 vcc, 63, v41
	v_cndmask_b32_e32 v2, 0, v37, vcc
	v_add_u32_e32 v2, v2, v41
	v_cmp_lt_u32_e64 s[10:11], 31, v2
	v_cndmask_b32_e64 v41, 0, v38, s[10:11]
	v_add_u32_e32 v2, v41, v2
	v_cmp_lt_u32_e64 s[12:13], 31, v2
	v_cndmask_b32_e64 v41, 0, v38, s[12:13]
	v_mad_u64_u32 v[42:43], s[14:15], v22, s47, 0
	v_add_u32_e32 v41, v41, v2
	v_mov_b32_e32 v2, v43
	v_mad_u64_u32 v[44:45], s[14:15], v22, s48, v[2:3]
	v_mov_b32_e32 v2, v45
	v_mad_u64_u32 v[46:47], s[14:15], v22, s49, v[2:3]
	;; [unrolled: 2-line block ×6, first 2 shown]
	v_cndmask_b32_e32 v43, v52, v48, vcc
	v_cndmask_b32_e32 v2, v54, v50, vcc
	;; [unrolled: 1-line block ×3, first 2 shown]
	v_cndmask_b32_e64 v22, v2, v43, s[10:11]
	v_cndmask_b32_e64 v2, v45, v2, s[10:11]
	v_cndmask_b32_e32 v45, v50, v46, vcc
	v_cndmask_b32_e64 v43, v43, v45, s[10:11]
	v_sub_u32_e32 v47, 32, v41
	v_cmp_eq_u32_e64 s[14:15], 0, v41
	v_cndmask_b32_e32 v41, v48, v44, vcc
	v_cndmask_b32_e64 v2, v2, v22, s[12:13]
	v_cndmask_b32_e64 v22, v22, v43, s[12:13]
	;; [unrolled: 1-line block ×3, first 2 shown]
	v_alignbit_b32 v49, v2, v22, v47
	v_cndmask_b32_e64 v43, v43, v44, s[12:13]
	v_cndmask_b32_e64 v2, v49, v2, s[14:15]
	v_alignbit_b32 v45, v22, v43, v47
	v_cndmask_b32_e32 v42, v46, v42, vcc
	v_cndmask_b32_e64 v22, v45, v22, s[14:15]
	v_bfe_u32 v49, v2, 29, 1
	v_cndmask_b32_e64 v41, v41, v42, s[10:11]
	v_alignbit_b32 v45, v2, v22, 30
	v_sub_u32_e32 v50, 0, v49
	v_cndmask_b32_e64 v41, v44, v41, s[12:13]
	v_xor_b32_e32 v51, v45, v50
	v_alignbit_b32 v42, v43, v41, v47
	v_cndmask_b32_e64 v42, v42, v43, s[14:15]
	v_ffbh_u32_e32 v43, v51
	v_add_u32_e32 v43, 1, v43
	v_cmp_ne_u32_e32 vcc, v45, v50
	v_alignbit_b32 v22, v22, v42, 30
	v_cndmask_b32_e32 v43, 33, v43, vcc
	v_alignbit_b32 v41, v42, v41, 30
	v_xor_b32_e32 v22, v22, v50
	v_sub_u32_e32 v44, 32, v43
	v_xor_b32_e32 v41, v41, v50
	v_alignbit_b32 v45, v51, v22, v44
	v_alignbit_b32 v22, v22, v41, v44
	;; [unrolled: 1-line block ×3, first 2 shown]
	v_ffbh_u32_e32 v42, v41
	v_min_u32_e32 v42, 32, v42
	v_lshrrev_b32_e32 v48, 29, v2
	v_sub_u32_e32 v44, 31, v42
	v_alignbit_b32 v22, v41, v22, v44
	v_lshlrev_b32_e32 v41, 31, v48
	v_or_b32_e32 v44, 0x33800000, v41
	v_add_lshl_u32 v42, v42, v43, 23
	v_lshrrev_b32_e32 v22, 9, v22
	v_sub_u32_e32 v42, v44, v42
	v_or_b32_e32 v22, v42, v22
	v_alignbit_b32 v42, v43, v45, 9
	v_or_b32_e32 v41, v42, v41
	v_xor_b32_e32 v41, 1.0, v41
	v_mul_f32_e32 v42, 0x3fc90fda, v41
	v_fma_f32 v43, v41, s54, -v42
	v_fmac_f32_e32 v43, 0x33a22168, v41
	v_fmac_f32_e32 v43, 0x3fc90fda, v22
	v_lshrrev_b32_e32 v2, 30, v2
	v_add_f32_e32 v42, v42, v43
	v_add_u32_e32 v2, v49, v2
                                        ; implicit-def: $vgpr43
	s_andn2_saveexec_b64 s[10:11], s[36:37]
	s_cbranch_execnz .LBB101_122
	s_branch .LBB101_123
.LBB101_121:                            ;   in Loop: Header=BB101_4 Depth=1
	s_andn2_saveexec_b64 s[10:11], s[36:37]
.LBB101_122:                            ;   in Loop: Header=BB101_4 Depth=1
	v_cvt_i32_f32_e32 v2, v43
	v_fma_f32 v42, v43, s56, |v18|
	v_fmac_f32_e32 v42, 0xb3a22168, v43
	v_fmac_f32_e32 v42, 0xa7c234c4, v43
.LBB101_123:                            ;   in Loop: Header=BB101_4 Depth=1
	s_or_b64 exec, exec, s[10:11]
	v_mul_f32_e32 v22, v19, v19
	v_mov_b32_e32 v41, 0x3c0881c4
	v_fmac_f32_e32 v41, 0xb94c1982, v22
	v_fma_f32 v41, v22, v41, v34
	v_mul_f32_e32 v41, v22, v41
	v_fmac_f32_e32 v19, v19, v41
	v_mov_b32_e32 v41, 0xbab64f3b
	v_fmac_f32_e32 v41, 0x37d75334, v22
	v_fma_f32 v41, v22, v41, v35
	v_fma_f32 v41, v22, v41, v36
	v_fma_f32 v22, v22, v41, 1.0
	v_and_b32_e32 v41, 1, v12
	v_lshlrev_b32_e32 v12, 30, v12
	v_cmp_eq_u32_e32 vcc, 0, v41
	v_and_b32_e32 v12, 0x80000000, v12
	v_cndmask_b32_e32 v19, v22, v19, vcc
	v_xor_b32_e32 v10, v10, v12
	v_xor_b32_e32 v10, v10, v19
	v_mul_f32_e32 v12, v42, v42
	v_mov_b32_e32 v19, 0x3c0881c4
	v_fmac_f32_e32 v19, 0xb94c1982, v12
	v_fma_f32 v19, v12, v19, v34
	v_mul_f32_e32 v19, v12, v19
	v_fmac_f32_e32 v42, v42, v19
	v_mov_b32_e32 v19, 0xbab64f3b
	v_fmac_f32_e32 v19, 0x37d75334, v12
	v_fma_f32 v19, v12, v19, v35
	v_fma_f32 v19, v12, v19, v36
	v_fma_f32 v12, v12, v19, 1.0
	v_and_b32_e32 v19, 1, v2
	v_cmp_eq_u32_e32 vcc, 0, v19
	v_lshlrev_b32_e32 v2, 30, v2
	v_cndmask_b32_e64 v12, -v42, v12, vcc
	v_and_b32_e32 v2, 0x80000000, v2
	v_xor_b32_e32 v10, v10, v18
	v_xor_b32_e32 v2, v2, v12
	v_mul_f32_e32 v2, v10, v2
	v_cmp_class_f32_e64 vcc, v18, s44
	v_cndmask_b32_e32 v18, v40, v2, vcc
.LBB101_124:                            ;   in Loop: Header=BB101_4 Depth=1
	s_or_b64 exec, exec, s[34:35]
	v_add_u32_e32 v23, -2.0, v23
	v_bfi_b32 v22, s42, 0, v18
.LBB101_125:                            ;   in Loop: Header=BB101_4 Depth=1
	s_or_b64 exec, exec, s[30:31]
.LBB101_126:                            ;   in Loop: Header=BB101_4 Depth=1
	s_or_b64 exec, exec, s[28:29]
	v_and_b32_e32 v10, 0x7fffffff, v15
	v_cmp_gt_u32_e32 vcc, s43, v10
                                        ; implicit-def: $vgpr18
                                        ; implicit-def: $vgpr12
	s_and_saveexec_b64 s[10:11], vcc
	s_xor_b64 s[28:29], exec, s[10:11]
	s_cbranch_execz .LBB101_137
; %bb.127:                              ;   in Loop: Header=BB101_4 Depth=1
	v_cmp_class_f32_e64 s[10:11], v14, s44
                                        ; implicit-def: $vgpr18
                                        ; implicit-def: $vgpr12
	s_and_saveexec_b64 s[12:13], s[10:11]
	s_xor_b64 s[30:31], exec, s[12:13]
	s_cbranch_execz .LBB101_164
; %bb.128:                              ;   in Loop: Header=BB101_4 Depth=1
	v_and_b32_e32 v19, 0x7fffffff, v14
	v_cmp_gt_u32_e32 vcc, s45, v10
                                        ; implicit-def: $vgpr18
                                        ; implicit-def: $vgpr12
	s_and_saveexec_b64 s[10:11], vcc
	s_xor_b64 s[34:35], exec, s[10:11]
	s_cbranch_execz .LBB101_134
; %bb.129:                              ;   in Loop: Header=BB101_4 Depth=1
	v_cmp_nlt_f32_e64 s[10:11], |v14|, s46
                                        ; implicit-def: $vgpr12
                                        ; implicit-def: $vgpr2
	s_and_saveexec_b64 s[12:13], s[10:11]
	s_xor_b64 s[36:37], exec, s[12:13]
	s_cbranch_execz .LBB101_131
; %bb.130:                              ;   in Loop: Header=BB101_4 Depth=1
	v_lshrrev_b32_e32 v2, 23, v19
	v_add_u32_e32 v2, 0xffffff88, v2
	v_cmp_lt_u32_e32 vcc, 63, v2
	v_cndmask_b32_e32 v12, 0, v37, vcc
	v_add_u32_e32 v2, v12, v2
	v_cmp_lt_u32_e64 s[10:11], 31, v2
	v_cndmask_b32_e64 v12, 0, v38, s[10:11]
	v_add_u32_e32 v2, v12, v2
	v_cmp_lt_u32_e64 s[12:13], 31, v2
	v_cndmask_b32_e64 v12, 0, v38, s[12:13]
	v_add_u32_e32 v12, v12, v2
	v_and_b32_e32 v2, 0x7fffff, v19
	v_or_b32_e32 v18, 0x800000, v2
	v_mad_u64_u32 v[42:43], s[14:15], v18, s47, 0
	v_mov_b32_e32 v2, v43
	v_mad_u64_u32 v[44:45], s[14:15], v18, s48, v[2:3]
	v_mov_b32_e32 v2, v45
	;; [unrolled: 2-line block ×6, first 2 shown]
	v_mad_u64_u32 v[54:55], s[14:15], v18, s53, v[2:3]
	v_cndmask_b32_e32 v41, v52, v48, vcc
	v_cndmask_b32_e32 v2, v54, v50, vcc
	;; [unrolled: 1-line block ×3, first 2 shown]
	v_cndmask_b32_e64 v18, v2, v41, s[10:11]
	v_cndmask_b32_e64 v2, v43, v2, s[10:11]
	v_cndmask_b32_e32 v43, v50, v46, vcc
	v_cndmask_b32_e64 v41, v41, v43, s[10:11]
	v_cndmask_b32_e64 v2, v2, v18, s[12:13]
	;; [unrolled: 1-line block ×3, first 2 shown]
	v_sub_u32_e32 v45, 32, v12
	v_alignbit_b32 v47, v2, v18, v45
	v_cmp_eq_u32_e64 s[14:15], 0, v12
	v_cndmask_b32_e64 v12, v47, v2, s[14:15]
	v_cndmask_b32_e32 v2, v48, v44, vcc
	v_cndmask_b32_e64 v43, v43, v2, s[10:11]
	v_cndmask_b32_e64 v41, v41, v43, s[12:13]
	v_alignbit_b32 v44, v18, v41, v45
	v_cndmask_b32_e32 v42, v46, v42, vcc
	v_cndmask_b32_e64 v18, v44, v18, s[14:15]
	v_bfe_u32 v48, v12, 29, 1
	v_cndmask_b32_e64 v2, v2, v42, s[10:11]
	v_alignbit_b32 v44, v12, v18, 30
	v_sub_u32_e32 v49, 0, v48
	v_cndmask_b32_e64 v2, v43, v2, s[12:13]
	v_xor_b32_e32 v50, v44, v49
	v_alignbit_b32 v42, v41, v2, v45
	v_cndmask_b32_e64 v41, v42, v41, s[14:15]
	v_ffbh_u32_e32 v42, v50
	v_add_u32_e32 v42, 1, v42
	v_cmp_ne_u32_e32 vcc, v44, v49
	v_alignbit_b32 v18, v18, v41, 30
	v_cndmask_b32_e32 v42, 33, v42, vcc
	v_alignbit_b32 v2, v41, v2, 30
	v_xor_b32_e32 v18, v18, v49
	v_sub_u32_e32 v43, 32, v42
	v_xor_b32_e32 v2, v2, v49
	v_alignbit_b32 v44, v50, v18, v43
	v_alignbit_b32 v2, v18, v2, v43
	v_alignbit_b32 v18, v44, v2, 9
	v_ffbh_u32_e32 v41, v18
	v_min_u32_e32 v41, 32, v41
	v_lshrrev_b32_e32 v47, 29, v12
	v_sub_u32_e32 v43, 31, v41
	v_alignbit_b32 v2, v18, v2, v43
	v_lshlrev_b32_e32 v18, 31, v47
	v_or_b32_e32 v43, 0x33800000, v18
	v_add_lshl_u32 v41, v41, v42, 23
	v_lshrrev_b32_e32 v2, 9, v2
	v_sub_u32_e32 v41, v43, v41
	v_or_b32_e32 v2, v41, v2
	v_alignbit_b32 v41, v42, v44, 9
	v_or_b32_e32 v18, v41, v18
	v_xor_b32_e32 v18, 1.0, v18
	v_mul_f32_e32 v41, 0x3fc90fda, v18
	v_fma_f32 v42, v18, s54, -v41
	v_fmac_f32_e32 v42, 0x33a22168, v18
	v_fmac_f32_e32 v42, 0x3fc90fda, v2
	v_lshrrev_b32_e32 v12, 30, v12
	v_add_f32_e32 v2, v41, v42
	v_add_u32_e32 v12, v48, v12
.LBB101_131:                            ;   in Loop: Header=BB101_4 Depth=1
	s_andn2_saveexec_b64 s[10:11], s[36:37]
; %bb.132:                              ;   in Loop: Header=BB101_4 Depth=1
	v_mul_f32_e64 v2, |v14|, s55
	v_rndne_f32_e32 v18, v2
	v_cvt_i32_f32_e32 v12, v18
	v_fma_f32 v2, v18, s56, |v14|
	v_fmac_f32_e32 v2, 0xb3a22168, v18
	v_fmac_f32_e32 v2, 0xa7c234c4, v18
; %bb.133:                              ;   in Loop: Header=BB101_4 Depth=1
	s_or_b64 exec, exec, s[10:11]
	v_mul_f32_e32 v18, v2, v2
	v_mov_b32_e32 v41, 0xbf039337
	v_fmac_f32_e32 v41, 0x3c971480, v18
	v_fma_f32 v41, v18, v41, v29
	v_rcp_f32_e32 v41, v41
	v_mov_b32_e32 v42, 0x3ec54587
	v_fmac_f32_e32 v42, 0xbc8cedd3, v18
	v_and_b32_e32 v12, 1, v12
	v_mul_f32_e32 v41, v42, v41
	v_mul_f32_e32 v18, v18, v41
	v_fma_f32 v41, v18, v2, v2
	v_rcp_f32_e32 v42, v41
	v_sub_f32_e32 v43, v41, v2
	v_fma_f32 v2, v18, v2, -v43
	v_cmp_eq_u32_e32 vcc, 0, v12
	v_fma_f32 v18, v41, -v42, 1.0
	v_add_f32_e64 v12, |v15|, s57
	v_fma_f32 v2, v2, -v42, v18
	v_sub_f32_e64 v43, v12, |v15|
	v_fma_f32 v2, v2, -v42, -v42
	v_sub_f32_e32 v42, v43, v12
	v_pk_add_f32 v[42:43], v[10:11], v[42:43]
	v_sub_f32_e32 v10, v42, v43
	v_add_f32_e32 v10, 0x3102e308, v10
	v_add_f32_e32 v18, v12, v10
	v_sub_f32_e32 v12, v12, v18
	v_add_f32_e32 v10, v10, v12
	v_mul_f32_e32 v12, 0x3fb8aa3b, v18
	v_cndmask_b32_e32 v2, v2, v41, vcc
	v_rndne_f32_e32 v41, v12
	v_fmac_f32_e32 v18, 0xbf317200, v41
	v_add_f32_e32 v12, v10, v18
	v_sub_f32_e32 v18, v18, v12
	v_add_f32_e32 v10, v10, v18
	v_mul_f32_e32 v18, 0x35bfbc00, v41
	v_sub_f32_e32 v44, v12, v18
	v_sub_f32_e32 v12, v12, v44
	;; [unrolled: 1-line block ×3, first 2 shown]
	v_add_f32_e32 v10, v10, v12
	v_add_f32_e32 v45, v44, v10
	v_mul_f32_e32 v43, 0x2ea39ef3, v41
	v_mov_b32_e32 v42, v45
	v_pk_add_f32 v[46:47], v[44:45], v[42:43] neg_lo:[0,1] neg_hi:[0,1]
	v_sub_f32_e32 v12, v45, v47
	v_sub_f32_e32 v12, v12, v43
	v_add_f32_e32 v10, v10, v46
	v_add_f32_e32 v10, v10, v12
	v_add_f32_e32 v18, v47, v10
	v_sub_f32_e32 v42, v47, v18
	v_mov_b32_e32 v12, 0x3c091de6
	v_add_f32_e32 v10, v10, v42
	v_mul_f32_e32 v43, v18, v18
	v_fmac_f32_e32 v12, 0x3ab42872, v18
	v_add_f32_e32 v42, v10, v10
	v_fma_f32 v44, v18, v18, -v43
	v_fma_f32 v12, v18, v12, v30
	v_fmac_f32_e32 v44, v18, v42
	v_fma_f32 v12, v18, v12, v31
	v_add_f32_e32 v42, v43, v44
	v_fma_f32 v12, v18, v12, v32
	v_sub_f32_e32 v43, v42, v43
	v_sub_f32_e32 v43, v44, v43
	v_mul_f32_e32 v44, v12, v42
	v_fma_f32 v42, v42, v12, -v44
	v_fmac_f32_e32 v42, v43, v12
	v_add_f32_e32 v43, v44, v42
	v_sub_f32_e32 v12, v43, v44
	v_sub_f32_e32 v42, v42, v12
	v_add_f32_e32 v12, v18, v43
	v_sub_f32_e32 v18, v12, v18
	v_sub_f32_e32 v18, v43, v18
	v_add_f32_e32 v10, v10, v42
	v_add_f32_e32 v42, v10, v18
	;; [unrolled: 1-line block ×3, first 2 shown]
	v_add_f32_e32 v45, 1.0, v44
	v_pk_add_f32 v[46:47], v[44:45], v[12:13] neg_lo:[0,1] neg_hi:[0,1]
	v_pk_add_f32 v[48:49], v[44:45], s[26:27]
	v_mov_b32_e32 v47, v49
	v_mov_b32_e32 v43, v44
	v_cvt_i32_f32_e32 v10, v41
	v_pk_add_f32 v[42:43], v[42:43], v[46:47] neg_lo:[0,1] neg_hi:[0,1]
	v_add_f32_e32 v12, v42, v43
	v_add_f32_e32 v18, v45, v12
	v_ldexp_f32 v41, v18, v10
	v_rcp_f32_e32 v42, v41
	v_sub_f32_e32 v18, v18, v45
	v_sub_f32_e32 v12, v12, v18
	v_ldexp_f32 v10, v12, v10
	v_mul_f32_e32 v12, v41, v42
	v_fma_f32 v18, v42, v41, -v12
	v_fmac_f32_e32 v18, v42, v10
	v_add_f32_e32 v43, v12, v18
	v_sub_f32_e32 v44, 1.0, v43
	v_sub_f32_e32 v45, 1.0, v44
	v_sub_f32_e32 v12, v43, v12
	v_sub_f32_e32 v45, v45, v43
	;; [unrolled: 1-line block ×3, first 2 shown]
	v_add_f32_e32 v12, v12, v45
	v_add_f32_e32 v18, v44, v12
	v_mul_f32_e32 v43, v42, v18
	v_mul_f32_e32 v45, v41, v43
	v_fma_f32 v46, v43, v41, -v45
	v_fmac_f32_e32 v46, v43, v10
	v_sub_f32_e32 v44, v44, v18
	v_add_f32_e32 v12, v12, v44
	v_add_f32_e32 v44, v45, v46
	v_sub_f32_e32 v47, v18, v44
	v_sub_f32_e32 v18, v18, v47
	;; [unrolled: 1-line block ×4, first 2 shown]
	v_add_f32_e32 v12, v12, v18
	v_sub_f32_e32 v18, v45, v46
	v_add_f32_e32 v12, v18, v12
	v_add_f32_e32 v12, v47, v12
	;; [unrolled: 1-line block ×3, first 2 shown]
	v_mul_f32_e32 v12, v42, v12
	v_sub_f32_e32 v42, v18, v42
	v_sub_f32_e32 v42, v43, v42
	v_add_f32_e32 v12, v42, v12
	v_add_f32_e32 v42, v18, v12
	v_sub_f32_e32 v18, v42, v18
	v_sub_f32_e32 v12, v12, v18
	v_ldexp_f32 v18, v42, -2
	v_sub_f32_e32 v42, v41, v18
	v_sub_f32_e32 v41, v41, v42
	;; [unrolled: 1-line block ×3, first 2 shown]
	v_ldexp_f32 v12, v12, -2
	v_add_f32_e32 v10, v10, v18
	v_sub_f32_e32 v10, v10, v12
	v_add_f32_e32 v10, v42, v10
	v_cmp_ngt_f32_e64 vcc, |v15|, s58
	v_cndmask_b32_e32 v10, v39, v10, vcc
	v_cmp_lt_f32_e64 s[10:11], |v15|, s59
	v_cndmask_b32_e64 v10, v10, |v15|, s[10:11]
	v_xor_b32_e32 v12, 0x80000000, v15
	v_bfi_b32 v10, s42, v10, v12
	v_fma_f32 v12, v10, v10, 1.0
	v_mul_f32_e32 v15, 0x4f800000, v12
	v_cmp_gt_f32_e32 vcc, s60, v12
	v_cndmask_b32_e32 v12, v12, v15, vcc
	v_sqrt_f32_e32 v15, v12
	v_xor_b32_e32 v2, v19, v2
	v_xor_b32_e32 v2, v2, v14
	v_fma_f32 v14, v2, v2, 1.0
	v_add_u32_e32 v18, -1, v15
	v_fma_f32 v19, -v18, v15, v12
	v_cmp_ge_f32_e64 s[10:11], 0, v19
	v_add_u32_e32 v19, 1, v15
	v_cndmask_b32_e64 v18, v15, v18, s[10:11]
	v_fma_f32 v15, -v19, v15, v12
	v_cmp_lt_f32_e64 s[10:11], 0, v15
	v_cndmask_b32_e64 v15, v18, v19, s[10:11]
	v_mul_f32_e32 v18, 0x37800000, v15
	v_cndmask_b32_e32 v15, v15, v18, vcc
	v_cmp_class_f32_e32 vcc, v12, v33
	v_cndmask_b32_e32 v12, v15, v12, vcc
	v_mul_f32_e32 v15, v10, v14
	v_mul_f32_e32 v12, v12, v14
	v_fma_f32 v15, v10, v15, 1.0
	v_mul_f32_e32 v10, v10, v12
	v_div_scale_f32 v12, s[10:11], v15, v15, v10
	v_rcp_f32_e32 v14, v12
	v_fma_f32 v18, -v12, v14, 1.0
	v_fmac_f32_e32 v14, v18, v14
	v_div_scale_f32 v18, vcc, v10, v15, v10
	v_mul_f32_e32 v19, v18, v14
	v_fma_f32 v41, -v12, v19, v18
	v_fmac_f32_e32 v19, v41, v14
	v_fma_f32 v12, -v12, v19, v18
	v_div_scale_f32 v18, s[10:11], v15, v15, v2
	v_rcp_f32_e32 v41, v18
	v_div_fmas_f32 v12, v12, v14, v19
	v_div_fixup_f32 v12, v12, v15, v10
	v_fma_f32 v10, -v18, v41, 1.0
	v_fmac_f32_e32 v41, v10, v41
	v_div_scale_f32 v10, vcc, v2, v15, v2
	v_mul_f32_e32 v14, v10, v41
	v_fma_f32 v19, -v18, v14, v10
	v_fmac_f32_e32 v14, v19, v41
	v_fma_f32 v10, -v18, v14, v10
	v_div_fmas_f32 v10, v10, v41, v14
	v_div_fixup_f32 v18, v10, v15, v2
                                        ; implicit-def: $vgpr14
                                        ; implicit-def: $vgpr19
.LBB101_134:                            ;   in Loop: Header=BB101_4 Depth=1
	s_andn2_saveexec_b64 s[34:35], s[34:35]
	s_cbranch_execz .LBB101_163
; %bb.135:                              ;   in Loop: Header=BB101_4 Depth=1
	v_lshrrev_b32_e32 v2, 23, v19
	v_and_b32_e32 v10, 0x7fffff, v19
	v_cmp_nlt_f32_e64 s[36:37], |v14|, s46
	v_add_u32_e32 v41, 0xffffff88, v2
	v_or_b32_e32 v18, 0x800000, v10
                                        ; implicit-def: $vgpr10
                                        ; implicit-def: $vgpr12
	s_and_saveexec_b64 s[10:11], s[36:37]
	s_xor_b64 s[38:39], exec, s[10:11]
	s_cbranch_execz .LBB101_148
; %bb.136:                              ;   in Loop: Header=BB101_4 Depth=1
	v_cmp_lt_u32_e32 vcc, 63, v41
	v_cndmask_b32_e32 v2, 0, v37, vcc
	v_add_u32_e32 v2, v2, v41
	v_cmp_lt_u32_e64 s[10:11], 31, v2
	v_cndmask_b32_e64 v10, 0, v38, s[10:11]
	v_add_u32_e32 v2, v10, v2
	v_cmp_lt_u32_e64 s[12:13], 31, v2
	v_cndmask_b32_e64 v10, 0, v38, s[12:13]
	v_mad_u64_u32 v[42:43], s[14:15], v18, s47, 0
	v_add_u32_e32 v10, v10, v2
	v_mov_b32_e32 v2, v43
	v_mad_u64_u32 v[44:45], s[14:15], v18, s48, v[2:3]
	v_mov_b32_e32 v2, v45
	v_mad_u64_u32 v[46:47], s[14:15], v18, s49, v[2:3]
	;; [unrolled: 2-line block ×6, first 2 shown]
	v_cndmask_b32_e32 v12, v52, v48, vcc
	v_cndmask_b32_e32 v2, v54, v50, vcc
	;; [unrolled: 1-line block ×3, first 2 shown]
	v_cndmask_b32_e64 v43, v2, v12, s[10:11]
	v_cndmask_b32_e64 v2, v45, v2, s[10:11]
	v_cndmask_b32_e32 v45, v50, v46, vcc
	v_cndmask_b32_e64 v12, v12, v45, s[10:11]
	v_sub_u32_e32 v47, 32, v10
	v_cmp_eq_u32_e64 s[14:15], 0, v10
	v_cndmask_b32_e32 v10, v48, v44, vcc
	v_cndmask_b32_e64 v2, v2, v43, s[12:13]
	v_cndmask_b32_e64 v43, v43, v12, s[12:13]
	;; [unrolled: 1-line block ×3, first 2 shown]
	v_alignbit_b32 v49, v2, v43, v47
	v_cndmask_b32_e64 v12, v12, v44, s[12:13]
	v_cndmask_b32_e32 v42, v46, v42, vcc
	v_cndmask_b32_e64 v2, v49, v2, s[14:15]
	v_alignbit_b32 v45, v43, v12, v47
	v_cndmask_b32_e64 v10, v10, v42, s[10:11]
	v_cndmask_b32_e64 v43, v45, v43, s[14:15]
	v_bfe_u32 v49, v2, 29, 1
	v_cndmask_b32_e64 v10, v44, v10, s[12:13]
	v_alignbit_b32 v45, v2, v43, 30
	v_sub_u32_e32 v50, 0, v49
	v_alignbit_b32 v42, v12, v10, v47
	v_xor_b32_e32 v51, v45, v50
	v_cndmask_b32_e64 v12, v42, v12, s[14:15]
	v_alignbit_b32 v42, v43, v12, 30
	v_ffbh_u32_e32 v43, v51
	v_add_u32_e32 v43, 1, v43
	v_cmp_ne_u32_e32 vcc, v45, v50
	v_cndmask_b32_e32 v43, 33, v43, vcc
	v_alignbit_b32 v10, v12, v10, 30
	v_xor_b32_e32 v42, v42, v50
	v_sub_u32_e32 v44, 32, v43
	v_xor_b32_e32 v10, v10, v50
	v_alignbit_b32 v45, v51, v42, v44
	v_alignbit_b32 v10, v42, v10, v44
	;; [unrolled: 1-line block ×3, first 2 shown]
	v_ffbh_u32_e32 v42, v12
	v_min_u32_e32 v42, 32, v42
	v_lshrrev_b32_e32 v48, 29, v2
	v_sub_u32_e32 v44, 31, v42
	v_alignbit_b32 v10, v12, v10, v44
	v_lshlrev_b32_e32 v12, 31, v48
	v_or_b32_e32 v44, 0x33800000, v12
	v_add_lshl_u32 v42, v42, v43, 23
	v_lshrrev_b32_e32 v10, 9, v10
	v_sub_u32_e32 v42, v44, v42
	v_or_b32_e32 v10, v42, v10
	v_alignbit_b32 v42, v43, v45, 9
	v_or_b32_e32 v12, v42, v12
	v_xor_b32_e32 v12, 1.0, v12
	v_mul_f32_e32 v42, 0x3fc90fda, v12
	v_fma_f32 v43, v12, s54, -v42
	v_fmac_f32_e32 v43, 0x33a22168, v12
	v_fmac_f32_e32 v43, 0x3fc90fda, v10
	v_lshrrev_b32_e32 v2, 30, v2
	v_add_f32_e32 v12, v42, v43
	v_add_u32_e32 v10, v49, v2
	s_andn2_saveexec_b64 s[10:11], s[38:39]
	s_branch .LBB101_149
.LBB101_137:                            ;   in Loop: Header=BB101_4 Depth=1
	s_andn2_saveexec_b64 s[28:29], s[28:29]
	s_cbranch_execz .LBB101_167
.LBB101_138:                            ;   in Loop: Header=BB101_4 Depth=1
	v_xor_b32_e32 v12, 0x80000000, v15
	v_and_b32_e32 v2, 0x7fffff, v12
	v_cmp_ne_u32_e32 vcc, 0, v2
                                        ; implicit-def: $vgpr18
	s_and_saveexec_b64 s[10:11], vcc
	s_xor_b64 s[10:11], exec, s[10:11]
; %bb.139:                              ;   in Loop: Header=BB101_4 Depth=1
	v_mul_f32_e64 v2, v14, -v15
	v_cmp_eq_f32_e32 vcc, 0, v14
	v_cndmask_b32_e32 v18, v2, v14, vcc
                                        ; implicit-def: $vgpr14
; %bb.140:                              ;   in Loop: Header=BB101_4 Depth=1
	s_andn2_saveexec_b64 s[30:31], s[10:11]
	s_cbranch_execz .LBB101_156
; %bb.141:                              ;   in Loop: Header=BB101_4 Depth=1
	v_cmp_neq_f32_e64 s[10:11], |v14|, s43
	s_and_saveexec_b64 s[34:35], s[10:11]
	s_cbranch_execz .LBB101_155
; %bb.142:                              ;   in Loop: Header=BB101_4 Depth=1
	v_and_b32_e32 v10, 0x7fffffff, v14
	v_lshrrev_b32_e32 v2, 23, v10
	v_and_b32_e32 v15, 0x7fffff, v10
	v_cmp_nlt_f32_e64 s[36:37], |v14|, s46
	v_add_u32_e32 v41, 0xffffff88, v2
	v_or_b32_e32 v19, 0x800000, v15
                                        ; implicit-def: $vgpr15
                                        ; implicit-def: $vgpr18
	s_and_saveexec_b64 s[10:11], s[36:37]
	s_xor_b64 s[38:39], exec, s[10:11]
	s_cbranch_execz .LBB101_144
; %bb.143:                              ;   in Loop: Header=BB101_4 Depth=1
	v_cmp_lt_u32_e32 vcc, 63, v41
	v_cndmask_b32_e32 v2, 0, v37, vcc
	v_add_u32_e32 v2, v2, v41
	v_cmp_lt_u32_e64 s[10:11], 31, v2
	v_cndmask_b32_e64 v15, 0, v38, s[10:11]
	v_add_u32_e32 v2, v15, v2
	v_cmp_lt_u32_e64 s[12:13], 31, v2
	v_cndmask_b32_e64 v15, 0, v38, s[12:13]
	v_mad_u64_u32 v[42:43], s[14:15], v19, s47, 0
	v_add_u32_e32 v15, v15, v2
	v_mov_b32_e32 v2, v43
	v_mad_u64_u32 v[44:45], s[14:15], v19, s48, v[2:3]
	v_mov_b32_e32 v2, v45
	v_mad_u64_u32 v[46:47], s[14:15], v19, s49, v[2:3]
	;; [unrolled: 2-line block ×6, first 2 shown]
	v_cndmask_b32_e32 v18, v52, v48, vcc
	v_cndmask_b32_e32 v2, v54, v50, vcc
	;; [unrolled: 1-line block ×3, first 2 shown]
	v_cndmask_b32_e64 v43, v2, v18, s[10:11]
	v_cndmask_b32_e64 v2, v45, v2, s[10:11]
	v_cndmask_b32_e32 v45, v50, v46, vcc
	v_cndmask_b32_e64 v18, v18, v45, s[10:11]
	v_sub_u32_e32 v47, 32, v15
	v_cmp_eq_u32_e64 s[14:15], 0, v15
	v_cndmask_b32_e32 v15, v48, v44, vcc
	v_cndmask_b32_e64 v2, v2, v43, s[12:13]
	v_cndmask_b32_e64 v43, v43, v18, s[12:13]
	v_cndmask_b32_e64 v44, v45, v15, s[10:11]
	v_alignbit_b32 v49, v2, v43, v47
	v_cndmask_b32_e64 v18, v18, v44, s[12:13]
	v_cndmask_b32_e32 v42, v46, v42, vcc
	v_cndmask_b32_e64 v2, v49, v2, s[14:15]
	v_alignbit_b32 v45, v43, v18, v47
	v_cndmask_b32_e64 v15, v15, v42, s[10:11]
	v_cndmask_b32_e64 v43, v45, v43, s[14:15]
	v_bfe_u32 v49, v2, 29, 1
	v_cndmask_b32_e64 v15, v44, v15, s[12:13]
	v_alignbit_b32 v45, v2, v43, 30
	v_sub_u32_e32 v50, 0, v49
	v_alignbit_b32 v42, v18, v15, v47
	v_xor_b32_e32 v51, v45, v50
	v_cndmask_b32_e64 v18, v42, v18, s[14:15]
	v_alignbit_b32 v42, v43, v18, 30
	v_ffbh_u32_e32 v43, v51
	v_add_u32_e32 v43, 1, v43
	v_cmp_ne_u32_e32 vcc, v45, v50
	v_cndmask_b32_e32 v43, 33, v43, vcc
	v_alignbit_b32 v15, v18, v15, 30
	v_xor_b32_e32 v42, v42, v50
	v_sub_u32_e32 v44, 32, v43
	v_xor_b32_e32 v15, v15, v50
	v_alignbit_b32 v45, v51, v42, v44
	v_alignbit_b32 v15, v42, v15, v44
	;; [unrolled: 1-line block ×3, first 2 shown]
	v_ffbh_u32_e32 v42, v18
	v_min_u32_e32 v42, 32, v42
	v_lshrrev_b32_e32 v48, 29, v2
	v_sub_u32_e32 v44, 31, v42
	v_alignbit_b32 v15, v18, v15, v44
	v_lshlrev_b32_e32 v18, 31, v48
	v_or_b32_e32 v44, 0x33800000, v18
	v_add_lshl_u32 v42, v42, v43, 23
	v_lshrrev_b32_e32 v15, 9, v15
	v_sub_u32_e32 v42, v44, v42
	v_or_b32_e32 v15, v42, v15
	v_alignbit_b32 v42, v43, v45, 9
	v_or_b32_e32 v18, v42, v18
	v_xor_b32_e32 v18, 1.0, v18
	v_mul_f32_e32 v42, 0x3fc90fda, v18
	v_fma_f32 v43, v18, s54, -v42
	v_fmac_f32_e32 v43, 0x33a22168, v18
	v_fmac_f32_e32 v43, 0x3fc90fda, v15
	v_lshrrev_b32_e32 v2, 30, v2
	v_add_f32_e32 v18, v42, v43
	v_add_u32_e32 v15, v49, v2
.LBB101_144:                            ;   in Loop: Header=BB101_4 Depth=1
	s_or_saveexec_b64 s[10:11], s[38:39]
	v_mul_f32_e64 v2, |v14|, s55
	v_rndne_f32_e32 v43, v2
	s_xor_b64 exec, exec, s[10:11]
; %bb.145:                              ;   in Loop: Header=BB101_4 Depth=1
	v_cvt_i32_f32_e32 v15, v43
	v_fma_f32 v18, v43, s56, |v14|
	v_fmac_f32_e32 v18, 0xb3a22168, v43
	v_fmac_f32_e32 v18, 0xa7c234c4, v43
; %bb.146:                              ;   in Loop: Header=BB101_4 Depth=1
	s_or_b64 exec, exec, s[10:11]
                                        ; implicit-def: $vgpr2
                                        ; implicit-def: $vgpr42
	s_and_saveexec_b64 s[10:11], s[36:37]
	s_xor_b64 s[36:37], exec, s[10:11]
	s_cbranch_execz .LBB101_152
; %bb.147:                              ;   in Loop: Header=BB101_4 Depth=1
	v_cmp_lt_u32_e32 vcc, 63, v41
	v_cndmask_b32_e32 v2, 0, v37, vcc
	v_add_u32_e32 v2, v2, v41
	v_cmp_lt_u32_e64 s[10:11], 31, v2
	v_cndmask_b32_e64 v41, 0, v38, s[10:11]
	v_add_u32_e32 v2, v41, v2
	v_cmp_lt_u32_e64 s[12:13], 31, v2
	v_cndmask_b32_e64 v41, 0, v38, s[12:13]
	v_mad_u64_u32 v[42:43], s[14:15], v19, s47, 0
	v_add_u32_e32 v41, v41, v2
	v_mov_b32_e32 v2, v43
	v_mad_u64_u32 v[44:45], s[14:15], v19, s48, v[2:3]
	v_mov_b32_e32 v2, v45
	v_mad_u64_u32 v[46:47], s[14:15], v19, s49, v[2:3]
	;; [unrolled: 2-line block ×6, first 2 shown]
	v_cndmask_b32_e32 v43, v52, v48, vcc
	v_cndmask_b32_e32 v2, v54, v50, vcc
	;; [unrolled: 1-line block ×3, first 2 shown]
	v_cndmask_b32_e64 v19, v2, v43, s[10:11]
	v_cndmask_b32_e64 v2, v45, v2, s[10:11]
	v_cndmask_b32_e32 v45, v50, v46, vcc
	v_cndmask_b32_e64 v43, v43, v45, s[10:11]
	v_sub_u32_e32 v47, 32, v41
	v_cmp_eq_u32_e64 s[14:15], 0, v41
	v_cndmask_b32_e32 v41, v48, v44, vcc
	v_cndmask_b32_e64 v2, v2, v19, s[12:13]
	v_cndmask_b32_e64 v19, v19, v43, s[12:13]
	;; [unrolled: 1-line block ×3, first 2 shown]
	v_alignbit_b32 v49, v2, v19, v47
	v_cndmask_b32_e64 v43, v43, v44, s[12:13]
	v_cndmask_b32_e64 v2, v49, v2, s[14:15]
	v_alignbit_b32 v45, v19, v43, v47
	v_cndmask_b32_e32 v42, v46, v42, vcc
	v_cndmask_b32_e64 v19, v45, v19, s[14:15]
	v_bfe_u32 v49, v2, 29, 1
	v_cndmask_b32_e64 v41, v41, v42, s[10:11]
	v_alignbit_b32 v45, v2, v19, 30
	v_sub_u32_e32 v50, 0, v49
	v_cndmask_b32_e64 v41, v44, v41, s[12:13]
	v_xor_b32_e32 v51, v45, v50
	v_alignbit_b32 v42, v43, v41, v47
	v_cndmask_b32_e64 v42, v42, v43, s[14:15]
	v_ffbh_u32_e32 v43, v51
	v_add_u32_e32 v43, 1, v43
	v_cmp_ne_u32_e32 vcc, v45, v50
	v_alignbit_b32 v19, v19, v42, 30
	v_cndmask_b32_e32 v43, 33, v43, vcc
	v_alignbit_b32 v41, v42, v41, 30
	v_xor_b32_e32 v19, v19, v50
	v_sub_u32_e32 v44, 32, v43
	v_xor_b32_e32 v41, v41, v50
	v_alignbit_b32 v45, v51, v19, v44
	v_alignbit_b32 v19, v19, v41, v44
	;; [unrolled: 1-line block ×3, first 2 shown]
	v_ffbh_u32_e32 v42, v41
	v_min_u32_e32 v42, 32, v42
	v_lshrrev_b32_e32 v48, 29, v2
	v_sub_u32_e32 v44, 31, v42
	v_alignbit_b32 v19, v41, v19, v44
	v_lshlrev_b32_e32 v41, 31, v48
	v_or_b32_e32 v44, 0x33800000, v41
	v_add_lshl_u32 v42, v42, v43, 23
	v_lshrrev_b32_e32 v19, 9, v19
	v_sub_u32_e32 v42, v44, v42
	v_or_b32_e32 v19, v42, v19
	v_alignbit_b32 v42, v43, v45, 9
	v_or_b32_e32 v41, v42, v41
	v_xor_b32_e32 v41, 1.0, v41
	v_mul_f32_e32 v42, 0x3fc90fda, v41
	v_fma_f32 v43, v41, s54, -v42
	v_fmac_f32_e32 v43, 0x33a22168, v41
	v_fmac_f32_e32 v43, 0x3fc90fda, v19
	v_lshrrev_b32_e32 v2, 30, v2
	v_add_f32_e32 v42, v42, v43
	v_add_u32_e32 v2, v49, v2
                                        ; implicit-def: $vgpr43
	s_andn2_saveexec_b64 s[10:11], s[36:37]
	s_cbranch_execnz .LBB101_153
	s_branch .LBB101_154
.LBB101_148:                            ;   in Loop: Header=BB101_4 Depth=1
	s_andn2_saveexec_b64 s[10:11], s[38:39]
.LBB101_149:                            ;   in Loop: Header=BB101_4 Depth=1
	v_mul_f32_e64 v2, |v14|, s55
	v_rndne_f32_e32 v2, v2
	v_cvt_i32_f32_e32 v10, v2
	v_fma_f32 v12, v2, s56, |v14|
	v_fmac_f32_e32 v12, 0xb3a22168, v2
	v_fmac_f32_e32 v12, 0xa7c234c4, v2
; %bb.150:                              ;   in Loop: Header=BB101_4 Depth=1
	s_or_b64 exec, exec, s[10:11]
                                        ; implicit-def: $vgpr2
                                        ; implicit-def: $vgpr42
	s_and_saveexec_b64 s[10:11], s[36:37]
	s_xor_b64 s[36:37], exec, s[10:11]
	s_cbranch_execz .LBB101_160
; %bb.151:                              ;   in Loop: Header=BB101_4 Depth=1
	v_cmp_lt_u32_e32 vcc, 63, v41
	v_cndmask_b32_e32 v2, 0, v37, vcc
	v_add_u32_e32 v2, v2, v41
	v_cmp_lt_u32_e64 s[10:11], 31, v2
	v_cndmask_b32_e64 v41, 0, v38, s[10:11]
	v_add_u32_e32 v2, v41, v2
	v_cmp_lt_u32_e64 s[12:13], 31, v2
	v_cndmask_b32_e64 v41, 0, v38, s[12:13]
	v_mad_u64_u32 v[42:43], s[14:15], v18, s47, 0
	v_add_u32_e32 v41, v41, v2
	v_mov_b32_e32 v2, v43
	v_mad_u64_u32 v[44:45], s[14:15], v18, s48, v[2:3]
	v_mov_b32_e32 v2, v45
	v_mad_u64_u32 v[46:47], s[14:15], v18, s49, v[2:3]
	;; [unrolled: 2-line block ×6, first 2 shown]
	v_cndmask_b32_e32 v43, v52, v48, vcc
	v_cndmask_b32_e32 v2, v54, v50, vcc
	;; [unrolled: 1-line block ×3, first 2 shown]
	v_cndmask_b32_e64 v18, v2, v43, s[10:11]
	v_cndmask_b32_e64 v2, v45, v2, s[10:11]
	v_cndmask_b32_e32 v45, v50, v46, vcc
	v_cndmask_b32_e64 v43, v43, v45, s[10:11]
	v_sub_u32_e32 v47, 32, v41
	v_cmp_eq_u32_e64 s[14:15], 0, v41
	v_cndmask_b32_e32 v41, v48, v44, vcc
	v_cndmask_b32_e64 v2, v2, v18, s[12:13]
	v_cndmask_b32_e64 v18, v18, v43, s[12:13]
	v_cndmask_b32_e64 v44, v45, v41, s[10:11]
	v_alignbit_b32 v49, v2, v18, v47
	v_cndmask_b32_e64 v43, v43, v44, s[12:13]
	v_cndmask_b32_e64 v2, v49, v2, s[14:15]
	v_alignbit_b32 v45, v18, v43, v47
	v_cndmask_b32_e32 v42, v46, v42, vcc
	v_cndmask_b32_e64 v18, v45, v18, s[14:15]
	v_bfe_u32 v49, v2, 29, 1
	v_cndmask_b32_e64 v41, v41, v42, s[10:11]
	v_alignbit_b32 v45, v2, v18, 30
	v_sub_u32_e32 v50, 0, v49
	v_cndmask_b32_e64 v41, v44, v41, s[12:13]
	v_xor_b32_e32 v51, v45, v50
	v_alignbit_b32 v42, v43, v41, v47
	v_cndmask_b32_e64 v42, v42, v43, s[14:15]
	v_ffbh_u32_e32 v43, v51
	v_add_u32_e32 v43, 1, v43
	v_cmp_ne_u32_e32 vcc, v45, v50
	v_alignbit_b32 v18, v18, v42, 30
	v_cndmask_b32_e32 v43, 33, v43, vcc
	v_alignbit_b32 v41, v42, v41, 30
	v_xor_b32_e32 v18, v18, v50
	v_sub_u32_e32 v44, 32, v43
	v_xor_b32_e32 v41, v41, v50
	v_alignbit_b32 v45, v51, v18, v44
	v_alignbit_b32 v18, v18, v41, v44
	;; [unrolled: 1-line block ×3, first 2 shown]
	v_ffbh_u32_e32 v42, v41
	v_min_u32_e32 v42, 32, v42
	v_lshrrev_b32_e32 v48, 29, v2
	v_sub_u32_e32 v44, 31, v42
	v_alignbit_b32 v18, v41, v18, v44
	v_lshlrev_b32_e32 v41, 31, v48
	v_or_b32_e32 v44, 0x33800000, v41
	v_add_lshl_u32 v42, v42, v43, 23
	v_lshrrev_b32_e32 v18, 9, v18
	v_sub_u32_e32 v42, v44, v42
	v_or_b32_e32 v18, v42, v18
	v_alignbit_b32 v42, v43, v45, 9
	v_or_b32_e32 v41, v42, v41
	v_xor_b32_e32 v41, 1.0, v41
	v_mul_f32_e32 v42, 0x3fc90fda, v41
	v_fma_f32 v43, v41, s54, -v42
	v_fmac_f32_e32 v43, 0x33a22168, v41
	v_fmac_f32_e32 v43, 0x3fc90fda, v18
	v_lshrrev_b32_e32 v2, 30, v2
	v_add_f32_e32 v42, v42, v43
	v_add_u32_e32 v2, v49, v2
	s_andn2_saveexec_b64 s[10:11], s[36:37]
	s_cbranch_execnz .LBB101_161
	s_branch .LBB101_162
.LBB101_152:                            ;   in Loop: Header=BB101_4 Depth=1
	s_andn2_saveexec_b64 s[10:11], s[36:37]
.LBB101_153:                            ;   in Loop: Header=BB101_4 Depth=1
	v_cvt_i32_f32_e32 v2, v43
	v_fma_f32 v42, v43, s56, |v14|
	v_fmac_f32_e32 v42, 0xb3a22168, v43
	v_fmac_f32_e32 v42, 0xa7c234c4, v43
.LBB101_154:                            ;   in Loop: Header=BB101_4 Depth=1
	s_or_b64 exec, exec, s[10:11]
	v_mul_f32_e32 v19, v18, v18
	v_mov_b32_e32 v41, 0x3c0881c4
	v_fmac_f32_e32 v41, 0xb94c1982, v19
	v_fma_f32 v41, v19, v41, v34
	v_mul_f32_e32 v41, v19, v41
	v_fmac_f32_e32 v18, v18, v41
	v_mov_b32_e32 v41, 0xbab64f3b
	v_fmac_f32_e32 v41, 0x37d75334, v19
	v_fma_f32 v41, v19, v41, v35
	v_fma_f32 v41, v19, v41, v36
	v_fma_f32 v19, v19, v41, 1.0
	v_and_b32_e32 v41, 1, v15
	v_lshlrev_b32_e32 v15, 30, v15
	v_cmp_eq_u32_e32 vcc, 0, v41
	v_and_b32_e32 v15, 0x80000000, v15
	v_cndmask_b32_e32 v18, v19, v18, vcc
	v_xor_b32_e32 v10, v10, v15
	v_xor_b32_e32 v10, v10, v18
	v_mul_f32_e32 v15, v42, v42
	v_mov_b32_e32 v18, 0x3c0881c4
	v_fmac_f32_e32 v18, 0xb94c1982, v15
	v_fma_f32 v18, v15, v18, v34
	v_mul_f32_e32 v18, v15, v18
	v_fmac_f32_e32 v42, v42, v18
	v_mov_b32_e32 v18, 0xbab64f3b
	v_fmac_f32_e32 v18, 0x37d75334, v15
	v_fma_f32 v18, v15, v18, v35
	v_fma_f32 v18, v15, v18, v36
	v_fma_f32 v15, v15, v18, 1.0
	v_and_b32_e32 v18, 1, v2
	v_cmp_eq_u32_e32 vcc, 0, v18
	v_lshlrev_b32_e32 v2, 30, v2
	v_cndmask_b32_e64 v15, -v42, v15, vcc
	v_and_b32_e32 v2, 0x80000000, v2
	v_xor_b32_e32 v10, v10, v14
	v_xor_b32_e32 v2, v2, v15
	v_mul_f32_e32 v2, v10, v2
	v_cmp_class_f32_e64 vcc, v14, s44
	v_cndmask_b32_e32 v14, v40, v2, vcc
.LBB101_155:                            ;   in Loop: Header=BB101_4 Depth=1
	s_or_b64 exec, exec, s[34:35]
	v_add_u32_e32 v12, -2.0, v12
	v_bfi_b32 v18, s42, 0, v14
.LBB101_156:                            ;   in Loop: Header=BB101_4 Depth=1
	s_or_b64 exec, exec, s[30:31]
	s_or_b64 exec, exec, s[28:29]
	s_and_saveexec_b64 s[10:11], s[0:1]
	s_xor_b64 s[0:1], exec, s[10:11]
	s_cbranch_execnz .LBB101_168
.LBB101_157:                            ;   in Loop: Header=BB101_4 Depth=1
	s_or_b64 exec, exec, s[0:1]
	s_and_saveexec_b64 s[0:1], s[2:3]
	s_cbranch_execz .LBB101_169
.LBB101_158:                            ;   in Loop: Header=BB101_4 Depth=1
	v_mov_b32_e32 v2, s33
	v_add_co_u32_e32 v14, vcc, s26, v8
	v_xor_b32_e32 v21, 0x80000000, v21
	v_addc_co_u32_e32 v15, vcc, 0, v2, vcc
	global_store_dwordx2 v[14:15], v[20:21], off
	s_or_b64 exec, exec, s[0:1]
	s_and_saveexec_b64 s[0:1], s[6:7]
	s_cbranch_execnz .LBB101_170
.LBB101_159:                            ;   in Loop: Header=BB101_4 Depth=1
	s_or_b64 exec, exec, s[0:1]
	s_and_saveexec_b64 s[0:1], s[8:9]
	s_cbranch_execz .LBB101_3
	s_branch .LBB101_171
.LBB101_160:                            ;   in Loop: Header=BB101_4 Depth=1
	s_andn2_saveexec_b64 s[10:11], s[36:37]
.LBB101_161:                            ;   in Loop: Header=BB101_4 Depth=1
	v_mul_f32_e64 v2, |v14|, s55
	v_rndne_f32_e32 v18, v2
	v_cvt_i32_f32_e32 v2, v18
	v_fma_f32 v42, v18, s56, |v14|
	v_fmac_f32_e32 v42, 0xb3a22168, v18
	v_fmac_f32_e32 v42, 0xa7c234c4, v18
.LBB101_162:                            ;   in Loop: Header=BB101_4 Depth=1
	s_or_b64 exec, exec, s[10:11]
	v_mul_f32_e32 v18, v12, v12
	v_mov_b32_e32 v41, 0x3c0881c4
	v_fmac_f32_e32 v41, 0xb94c1982, v18
	v_fma_f32 v41, v18, v41, v34
	v_mul_f32_e32 v41, v18, v41
	v_fmac_f32_e32 v12, v12, v41
	v_mov_b32_e32 v41, 0xbab64f3b
	v_fmac_f32_e32 v41, 0x37d75334, v18
	v_fma_f32 v41, v18, v41, v35
	v_fma_f32 v41, v18, v41, v36
	v_fma_f32 v18, v18, v41, 1.0
	v_and_b32_e32 v41, 1, v10
	v_cmp_eq_u32_e32 vcc, 0, v41
	v_lshlrev_b32_e32 v10, 30, v10
	v_cndmask_b32_e32 v12, v18, v12, vcc
	v_and_b32_e32 v10, 0x80000000, v10
	v_mul_f32_e64 v18, |v15|, s61
	v_xor_b32_e32 v10, v19, v10
	v_rndne_f32_e32 v19, v18
	v_sub_f32_e32 v41, v18, v19
	v_fma_f32 v18, |v15|, s61, -v18
	v_fma_f32 v18, |v15|, s62, v18
	v_add_f32_e32 v18, v41, v18
	v_exp_f32_e32 v18, v18
	v_cvt_i32_f32_e32 v19, v19
	v_xor_b32_e32 v10, v10, v12
	v_cmp_ngt_f32_e64 vcc, |v15|, s63
	v_xor_b32_e32 v10, v10, v14
	v_ldexp_f32 v12, v18, v19
	v_cndmask_b32_e32 v12, 0, v12, vcc
	v_cmp_nlt_f32_e64 vcc, |v15|, s64
	v_cndmask_b32_e32 v14, v39, v12, vcc
	v_xor_b32_e32 v12, 0x80000000, v15
	v_mul_f32_e32 v15, v42, v42
	v_mov_b32_e32 v18, 0x3c0881c4
	v_fmac_f32_e32 v18, 0xb94c1982, v15
	v_fma_f32 v18, v15, v18, v34
	v_mul_f32_e32 v18, v15, v18
	v_fmac_f32_e32 v42, v42, v18
	v_mov_b32_e32 v18, 0xbab64f3b
	v_fmac_f32_e32 v18, 0x37d75334, v15
	v_fma_f32 v18, v15, v18, v35
	v_fma_f32 v18, v15, v18, v36
	v_fma_f32 v15, v15, v18, 1.0
	v_and_b32_e32 v18, 1, v2
	v_cmp_eq_u32_e32 vcc, 0, v18
	v_lshlrev_b32_e32 v2, 30, v2
	v_cndmask_b32_e64 v15, -v42, v15, vcc
	v_and_b32_e32 v2, 0x80000000, v2
	v_mul_f32_e32 v10, 4.0, v10
	v_xor_b32_e32 v2, v2, v15
	v_mul_f32_e32 v2, v10, v2
	v_mul_f32_e32 v2, v14, v2
	v_bfi_b32 v12, s42, 1.0, v12
	v_mul_f32_e32 v18, v14, v2
.LBB101_163:                            ;   in Loop: Header=BB101_4 Depth=1
	s_or_b64 exec, exec, s[34:35]
                                        ; implicit-def: $vgpr14
.LBB101_164:                            ;   in Loop: Header=BB101_4 Depth=1
	s_andn2_saveexec_b64 s[10:11], s[30:31]
; %bb.165:                              ;   in Loop: Header=BB101_4 Depth=1
	v_sub_f32_e32 v18, v14, v14
	v_mov_b32_e32 v12, v18
; %bb.166:                              ;   in Loop: Header=BB101_4 Depth=1
	s_or_b64 exec, exec, s[10:11]
                                        ; implicit-def: $vgpr15
	s_andn2_saveexec_b64 s[28:29], s[28:29]
	s_cbranch_execnz .LBB101_138
.LBB101_167:                            ;   in Loop: Header=BB101_4 Depth=1
	s_or_b64 exec, exec, s[28:29]
	s_and_saveexec_b64 s[10:11], s[0:1]
	s_xor_b64 s[0:1], exec, s[10:11]
	s_cbranch_execz .LBB101_157
.LBB101_168:                            ;   in Loop: Header=BB101_4 Depth=1
	v_mov_b32_e32 v2, s33
	v_add_co_u32_e32 v14, vcc, s26, v4
	v_xor_b32_e32 v17, 0x80000000, v17
	v_addc_co_u32_e32 v15, vcc, 0, v2, vcc
	global_store_dwordx2 v[14:15], v[16:17], off
	s_or_b64 exec, exec, s[0:1]
	s_and_saveexec_b64 s[0:1], s[2:3]
	s_cbranch_execnz .LBB101_158
.LBB101_169:                            ;   in Loop: Header=BB101_4 Depth=1
	s_or_b64 exec, exec, s[0:1]
	s_and_saveexec_b64 s[0:1], s[6:7]
	s_cbranch_execz .LBB101_159
.LBB101_170:                            ;   in Loop: Header=BB101_4 Depth=1
	v_mov_b32_e32 v2, s33
	v_add_co_u32_e32 v14, vcc, s26, v9
	v_xor_b32_e32 v23, 0x80000000, v23
	v_addc_co_u32_e32 v15, vcc, v2, v24, vcc
	global_store_dwordx2 v[14:15], v[22:23], off
	s_or_b64 exec, exec, s[0:1]
	s_and_saveexec_b64 s[0:1], s[8:9]
	s_cbranch_execz .LBB101_3
.LBB101_171:                            ;   in Loop: Header=BB101_4 Depth=1
	v_mov_b32_e32 v2, s33
	v_add_co_u32_e32 v14, vcc, s26, v6
	v_xor_b32_e32 v19, 0x80000000, v12
	v_addc_co_u32_e32 v15, vcc, v2, v7, vcc
	global_store_dwordx2 v[14:15], v[18:19], off
	s_branch .LBB101_3
.LBB101_172:
	s_cbranch_execz .LBB101_174
	s_branch .LBB101_329
.LBB101_173:
.LBB101_174:
	v_mov_b32_e32 v13, 0
	v_lshlrev_b32_e32 v12, 2, v0
	s_mov_b32 s8, 0
	v_cmp_gt_i64_e32 vcc, s[16:17], v[12:13]
	s_and_saveexec_b64 s[0:1], vcc
	s_cbranch_execz .LBB101_329
; %bb.175:
	s_load_dword s0, s[4:5], 0xd3c
	v_lshlrev_b32_e32 v1, 5, v0
	s_mov_b32 s26, s8
	s_mov_b64 s[6:7], 0
	s_brev_b32 s27, -2
	s_waitcnt lgkmcnt(0)
	s_and_b32 s0, s0, 0xffff
	s_lshl_b32 s24, s0, 2
	s_add_u32 s1, s18, s20
	s_addc_u32 s2, s19, s21
	v_add_lshl_u32 v12, v0, s0, 2
	v_mov_b32_e32 v0, s2
	v_add_co_u32_e32 v14, vcc, s1, v1
	v_addc_co_u32_e32 v15, vcc, 0, v0, vcc
	s_lshl_b32 s25, s0, 5
	s_mov_b32 s28, 0x7f800000
	s_movk_i32 s29, 0x1f8
	s_mov_b32 s30, 0x41300000
	s_brev_b32 s31, 18
	s_mov_b32 s33, 0xfe5163ab
	s_mov_b32 s34, 0x3c439041
	;; [unrolled: 1-line block ×10, first 2 shown]
	v_mov_b32_e32 v22, 0x3f93f425
	s_mov_b32 s43, 0xbf317218
	v_mov_b32_e32 v17, 0x3f317218
	v_mov_b32_e32 v23, 0x3d2aadcc
	;; [unrolled: 1-line block ×4, first 2 shown]
	s_mov_b32 s9, -1.0
	s_mov_b32 s44, 0x42b2d4fc
	s_mov_b32 s45, 0x39800000
	;; [unrolled: 1-line block ×3, first 2 shown]
	v_mov_b32_e32 v26, 0x260
	v_mov_b32_e32 v27, 0xbe2aaa9d
	;; [unrolled: 1-line block ×4, first 2 shown]
	s_mov_b32 s47, 0xbfb8aa3b
	s_mov_b32 s48, 0xb2a5705f
	;; [unrolled: 1-line block ×4, first 2 shown]
	s_mov_b64 s[10:11], 0xffff
	v_not_b32_e32 v30, 63
	v_not_b32_e32 v31, 31
	v_mov_b32_e32 v19, -1.0
	v_mov_b32_e32 v32, 0x7f800000
	v_mov_b32_e32 v33, 0x7fc00000
	v_pk_mov_b32 v[20:21], v[12:13], v[12:13] op_sel:[0,1]
	s_branch .LBB101_180
.LBB101_176:                            ;   in Loop: Header=BB101_180 Depth=1
	s_or_b64 exec, exec, s[0:1]
	v_mul_f32_e32 v10, v3, v3
	v_mov_b32_e32 v16, 0x3c0881c4
	v_fmac_f32_e32 v16, 0xb94c1982, v10
	v_fma_f32 v16, v10, v16, v27
	v_mul_f32_e32 v16, v10, v16
	v_fmac_f32_e32 v3, v3, v16
	v_mov_b32_e32 v16, 0xbab64f3b
	v_fmac_f32_e32 v16, 0x37d75334, v10
	v_fma_f32 v16, v10, v16, v28
	v_fma_f32 v16, v10, v16, v29
	v_fma_f32 v10, v10, v16, 1.0
	v_and_b32_e32 v16, 1, v1
	v_lshlrev_b32_e32 v1, 30, v1
	v_cmp_eq_u32_e32 vcc, 0, v16
	v_and_b32_e32 v1, 0x80000000, v1
	v_cndmask_b32_e32 v3, v10, v3, vcc
	v_xor_b32_e32 v0, v0, v1
	v_xor_b32_e32 v0, v0, v3
	v_mul_f32_e32 v1, v18, v18
	v_mov_b32_e32 v3, 0x3c0881c4
	v_fmac_f32_e32 v3, 0xb94c1982, v1
	v_fma_f32 v3, v1, v3, v27
	v_mul_f32_e32 v3, v1, v3
	v_fmac_f32_e32 v18, v18, v3
	v_mov_b32_e32 v3, 0xbab64f3b
	v_fmac_f32_e32 v3, 0x37d75334, v1
	v_fma_f32 v3, v1, v3, v28
	v_fma_f32 v3, v1, v3, v29
	v_fma_f32 v1, v1, v3, 1.0
	v_and_b32_e32 v3, 1, v12
	v_cmp_eq_u32_e32 vcc, 0, v3
	v_lshlrev_b32_e32 v3, 30, v12
	v_cndmask_b32_e64 v1, -v18, v1, vcc
	v_and_b32_e32 v3, 0x80000000, v3
	v_xor_b32_e32 v0, v0, v2
	v_xor_b32_e32 v1, v3, v1
	v_mul_f32_e32 v0, v0, v1
	v_cmp_class_f32_e64 vcc, v2, s29
	v_cndmask_b32_e32 v2, v33, v0, vcc
.LBB101_177:                            ;   in Loop: Header=BB101_180 Depth=1
	s_or_b64 exec, exec, s[18:19]
	v_add_u32_e32 v11, -2.0, v11
	v_bfi_b32 v10, s27, 0, v2
.LBB101_178:                            ;   in Loop: Header=BB101_180 Depth=1
	s_or_b64 exec, exec, s[14:15]
.LBB101_179:                            ;   in Loop: Header=BB101_180 Depth=1
	s_or_b64 exec, exec, s[12:13]
	v_cmp_le_i64_e32 vcc, s[16:17], v[20:21]
	v_cmp_lt_u64_e64 s[0:1], s[10:11], v[20:21]
	s_or_b64 s[0:1], vcc, s[0:1]
	v_mov_b32_e32 v0, s8
	v_add_co_u32_e32 v20, vcc, s24, v20
	v_xor_b32_e32 v7, 0x80000000, v7
	v_xor_b32_e32 v5, 0x80000000, v5
	v_addc_co_u32_e32 v21, vcc, v21, v0, vcc
	v_xor_b32_e32 v9, 0x80000000, v9
	v_xor_b32_e32 v11, 0x80000000, v11
	global_store_dwordx4 v[14:15], v[4:7], off
	global_store_dwordx4 v[14:15], v[8:11], off offset:16
	v_mov_b32_e32 v0, s26
	s_and_b64 s[0:1], exec, s[0:1]
	v_add_co_u32_e32 v14, vcc, s25, v14
	s_or_b64 s[6:7], s[0:1], s[6:7]
	v_addc_co_u32_e32 v15, vcc, v15, v0, vcc
	s_andn2_b64 exec, exec, s[6:7]
	s_cbranch_execz .LBB101_329
.LBB101_180:                            ; =>This Inner Loop Header: Depth=1
	global_load_dwordx4 v[8:11], v[14:15], off
	global_load_dwordx4 v[0:3], v[14:15], off offset:16
                                        ; implicit-def: $vgpr4
                                        ; implicit-def: $vgpr5
	s_waitcnt vmcnt(1)
	v_and_b32_e32 v16, 0x7fffffff, v9
	v_cmp_gt_u32_e32 vcc, s28, v16
	s_and_saveexec_b64 s[0:1], vcc
	s_xor_b64 s[12:13], exec, s[0:1]
	s_cbranch_execz .LBB101_202
; %bb.181:                              ;   in Loop: Header=BB101_180 Depth=1
	v_cmp_class_f32_e64 s[0:1], v8, s29
                                        ; implicit-def: $vgpr4
                                        ; implicit-def: $vgpr5
	s_and_saveexec_b64 s[2:3], s[0:1]
	s_xor_b64 s[14:15], exec, s[2:3]
	s_cbranch_execz .LBB101_199
; %bb.182:                              ;   in Loop: Header=BB101_180 Depth=1
	v_and_b32_e32 v6, 0x7fffffff, v8
	v_cmp_gt_u32_e32 vcc, s30, v16
                                        ; implicit-def: $vgpr4
                                        ; implicit-def: $vgpr5
	s_and_saveexec_b64 s[0:1], vcc
	s_xor_b64 s[18:19], exec, s[0:1]
	s_cbranch_execz .LBB101_188
; %bb.183:                              ;   in Loop: Header=BB101_180 Depth=1
	v_cmp_nlt_f32_e64 s[0:1], |v8|, s31
                                        ; implicit-def: $vgpr5
                                        ; implicit-def: $vgpr4
	s_and_saveexec_b64 s[2:3], s[0:1]
	s_xor_b64 s[20:21], exec, s[2:3]
	s_cbranch_execz .LBB101_185
; %bb.184:                              ;   in Loop: Header=BB101_180 Depth=1
	v_lshrrev_b32_e32 v4, 23, v6
	v_add_u32_e32 v4, 0xffffff88, v4
	v_cmp_lt_u32_e32 vcc, 63, v4
	v_cndmask_b32_e32 v5, 0, v30, vcc
	v_add_u32_e32 v4, v5, v4
	v_cmp_lt_u32_e64 s[0:1], 31, v4
	v_cndmask_b32_e64 v5, 0, v31, s[0:1]
	v_add_u32_e32 v4, v5, v4
	v_cmp_lt_u32_e64 s[2:3], 31, v4
	v_cndmask_b32_e64 v5, 0, v31, s[2:3]
	v_add_u32_e32 v7, v5, v4
	v_and_b32_e32 v4, 0x7fffff, v6
	v_or_b32_e32 v18, 0x800000, v4
	v_mad_u64_u32 v[4:5], s[4:5], v18, s33, 0
	v_mov_b32_e32 v12, v5
	v_mad_u64_u32 v[34:35], s[4:5], v18, s34, v[12:13]
	v_mov_b32_e32 v12, v35
	;; [unrolled: 2-line block ×6, first 2 shown]
	v_mad_u64_u32 v[44:45], s[4:5], v18, s39, v[12:13]
	v_cndmask_b32_e32 v5, v42, v38, vcc
	v_cndmask_b32_e32 v12, v44, v40, vcc
	;; [unrolled: 1-line block ×3, first 2 shown]
	v_cndmask_b32_e64 v18, v12, v5, s[0:1]
	v_cndmask_b32_e64 v12, v35, v12, s[0:1]
	v_cndmask_b32_e32 v35, v40, v36, vcc
	v_cndmask_b32_e64 v5, v5, v35, s[0:1]
	v_cndmask_b32_e64 v12, v12, v18, s[2:3]
	v_cndmask_b32_e64 v18, v18, v5, s[2:3]
	v_sub_u32_e32 v37, 32, v7
	v_alignbit_b32 v39, v12, v18, v37
	v_cmp_eq_u32_e64 s[4:5], 0, v7
	v_cndmask_b32_e64 v7, v39, v12, s[4:5]
	v_cndmask_b32_e32 v12, v38, v34, vcc
	v_cndmask_b32_e64 v34, v35, v12, s[0:1]
	v_cndmask_b32_e64 v5, v5, v34, s[2:3]
	v_cndmask_b32_e32 v4, v36, v4, vcc
	v_alignbit_b32 v35, v18, v5, v37
	v_cndmask_b32_e64 v4, v12, v4, s[0:1]
	v_cndmask_b32_e64 v18, v35, v18, s[4:5]
	v_bfe_u32 v39, v7, 29, 1
	v_cndmask_b32_e64 v4, v34, v4, s[2:3]
	v_alignbit_b32 v35, v7, v18, 30
	v_sub_u32_e32 v40, 0, v39
	v_alignbit_b32 v12, v5, v4, v37
	v_xor_b32_e32 v41, v35, v40
	v_cndmask_b32_e64 v5, v12, v5, s[4:5]
	v_alignbit_b32 v12, v18, v5, 30
	v_ffbh_u32_e32 v18, v41
	v_add_u32_e32 v18, 1, v18
	v_cmp_ne_u32_e32 vcc, v35, v40
	v_cndmask_b32_e32 v18, 33, v18, vcc
	v_alignbit_b32 v4, v5, v4, 30
	v_xor_b32_e32 v12, v12, v40
	v_sub_u32_e32 v34, 32, v18
	v_xor_b32_e32 v4, v4, v40
	v_alignbit_b32 v35, v41, v12, v34
	v_alignbit_b32 v4, v12, v4, v34
	;; [unrolled: 1-line block ×3, first 2 shown]
	v_ffbh_u32_e32 v12, v5
	v_min_u32_e32 v12, 32, v12
	v_lshrrev_b32_e32 v38, 29, v7
	v_sub_u32_e32 v34, 31, v12
	v_alignbit_b32 v4, v5, v4, v34
	v_lshlrev_b32_e32 v5, 31, v38
	v_or_b32_e32 v34, 0x33800000, v5
	v_add_lshl_u32 v12, v12, v18, 23
	v_lshrrev_b32_e32 v4, 9, v4
	v_sub_u32_e32 v12, v34, v12
	v_or_b32_e32 v4, v12, v4
	v_alignbit_b32 v12, v18, v35, 9
	v_or_b32_e32 v5, v12, v5
	v_xor_b32_e32 v5, 1.0, v5
	v_mul_f32_e32 v12, 0x3fc90fda, v5
	v_fma_f32 v18, v5, s40, -v12
	v_fmac_f32_e32 v18, 0x33a22168, v5
	v_fmac_f32_e32 v18, 0x3fc90fda, v4
	v_lshrrev_b32_e32 v5, 30, v7
	v_add_f32_e32 v4, v12, v18
	v_add_u32_e32 v5, v39, v5
.LBB101_185:                            ;   in Loop: Header=BB101_180 Depth=1
	s_andn2_saveexec_b64 s[0:1], s[20:21]
; %bb.186:                              ;   in Loop: Header=BB101_180 Depth=1
	v_mul_f32_e64 v4, |v8|, s41
	v_rndne_f32_e32 v7, v4
	v_cvt_i32_f32_e32 v5, v7
	v_fma_f32 v4, v7, s42, |v8|
	v_fmac_f32_e32 v4, 0xb3a22168, v7
	v_fmac_f32_e32 v4, 0xa7c234c4, v7
; %bb.187:                              ;   in Loop: Header=BB101_180 Depth=1
	s_or_b64 exec, exec, s[0:1]
	v_mul_f32_e32 v7, v4, v4
	v_mov_b32_e32 v12, 0xbf039337
	v_fmac_f32_e32 v12, 0x3c971480, v7
	v_fma_f32 v12, v7, v12, v22
	v_rcp_f32_e32 v12, v12
	v_mov_b32_e32 v18, 0x3ec54587
	v_fmac_f32_e32 v18, 0xbc8cedd3, v7
	v_and_b32_e32 v5, 1, v5
	v_mul_f32_e32 v12, v18, v12
	v_mul_f32_e32 v7, v7, v12
	v_fma_f32 v12, v7, v4, v4
	v_rcp_f32_e32 v18, v12
	v_sub_f32_e32 v34, v12, v4
	v_fma_f32 v4, v7, v4, -v34
	v_cmp_eq_u32_e32 vcc, 0, v5
	v_fma_f32 v7, v12, -v18, 1.0
	v_fma_f32 v4, v4, -v18, v7
	v_fma_f32 v4, v4, -v18, -v18
	v_cndmask_b32_e32 v7, v4, v12, vcc
	v_add_f32_e64 v12, |v9|, s43
	v_sub_f32_e64 v5, v12, |v9|
	v_sub_f32_e32 v4, v5, v12
	v_pk_add_f32 v[4:5], v[16:17], v[4:5]
	v_sub_f32_e32 v4, v4, v5
	v_add_f32_e32 v4, 0x3102e308, v4
	v_add_f32_e32 v5, v12, v4
	v_sub_f32_e32 v12, v12, v5
	v_add_f32_e32 v4, v4, v12
	v_mul_f32_e32 v12, 0x3fb8aa3b, v5
	v_rndne_f32_e32 v12, v12
	v_fmac_f32_e32 v5, 0xbf317200, v12
	v_add_f32_e32 v16, v4, v5
	v_mul_f32_e32 v18, 0x35bfbc00, v12
	v_sub_f32_e32 v34, v16, v18
	v_sub_f32_e32 v5, v5, v16
	;; [unrolled: 1-line block ×3, first 2 shown]
	v_add_f32_e32 v4, v4, v5
	v_sub_f32_e32 v16, v16, v18
	v_add_f32_e32 v16, v4, v16
	v_add_f32_e32 v35, v34, v16
	v_mul_f32_e32 v5, 0x2ea39ef3, v12
	v_mov_b32_e32 v4, v35
	v_pk_add_f32 v[36:37], v[34:35], v[4:5] neg_lo:[0,1] neg_hi:[0,1]
	v_sub_f32_e32 v4, v35, v37
	v_sub_f32_e32 v4, v4, v5
	v_add_f32_e32 v5, v16, v36
	v_add_f32_e32 v4, v5, v4
	v_add_f32_e32 v5, v37, v4
	v_sub_f32_e32 v18, v37, v5
	v_mov_b32_e32 v16, 0x3c091de6
	v_add_f32_e32 v4, v4, v18
	v_mul_f32_e32 v34, v5, v5
	v_fmac_f32_e32 v16, 0x3ab42872, v5
	v_add_f32_e32 v18, v4, v4
	v_fma_f32 v35, v5, v5, -v34
	v_fma_f32 v16, v5, v16, v23
	v_fmac_f32_e32 v35, v5, v18
	v_fma_f32 v16, v5, v16, v24
	v_add_f32_e32 v18, v34, v35
	v_fma_f32 v16, v5, v16, v25
	v_sub_f32_e32 v34, v18, v34
	v_sub_f32_e32 v34, v35, v34
	v_mul_f32_e32 v35, v16, v18
	v_fma_f32 v18, v18, v16, -v35
	v_fmac_f32_e32 v18, v34, v16
	v_add_f32_e32 v16, v35, v18
	v_sub_f32_e32 v34, v16, v35
	v_sub_f32_e32 v34, v18, v34
	v_add_f32_e32 v18, v5, v16
	v_sub_f32_e32 v5, v18, v5
	v_sub_f32_e32 v5, v16, v5
	v_add_f32_e32 v4, v4, v34
	v_add_f32_e32 v4, v4, v5
	v_add_f32_e32 v34, v18, v4
	v_add_f32_e32 v35, 1.0, v34
	v_pk_add_f32 v[36:37], v[34:35], v[18:19] neg_lo:[0,1] neg_hi:[0,1]
	v_pk_add_f32 v[38:39], v[34:35], s[8:9]
	v_mov_b32_e32 v37, v39
	v_mov_b32_e32 v5, v34
	v_cvt_i32_f32_e32 v12, v12
	v_pk_add_f32 v[4:5], v[4:5], v[36:37] neg_lo:[0,1] neg_hi:[0,1]
	v_add_f32_e32 v4, v4, v5
	v_add_f32_e32 v5, v35, v4
	v_ldexp_f32 v16, v5, v12
	v_rcp_f32_e32 v18, v16
	v_sub_f32_e32 v5, v5, v35
	v_sub_f32_e32 v4, v4, v5
	v_ldexp_f32 v4, v4, v12
	v_mul_f32_e32 v5, v16, v18
	v_fma_f32 v12, v18, v16, -v5
	v_fmac_f32_e32 v12, v18, v4
	v_add_f32_e32 v34, v5, v12
	v_sub_f32_e32 v35, 1.0, v34
	v_sub_f32_e32 v36, 1.0, v35
	v_sub_f32_e32 v5, v34, v5
	v_sub_f32_e32 v36, v36, v34
	v_sub_f32_e32 v5, v5, v12
	v_add_f32_e32 v5, v5, v36
	v_add_f32_e32 v12, v35, v5
	v_mul_f32_e32 v34, v18, v12
	v_mul_f32_e32 v36, v16, v34
	v_fma_f32 v37, v34, v16, -v36
	v_fmac_f32_e32 v37, v34, v4
	v_sub_f32_e32 v35, v35, v12
	v_add_f32_e32 v5, v5, v35
	v_add_f32_e32 v35, v36, v37
	v_sub_f32_e32 v38, v12, v35
	v_sub_f32_e32 v12, v12, v38
	;; [unrolled: 1-line block ×4, first 2 shown]
	v_add_f32_e32 v5, v5, v12
	v_sub_f32_e32 v12, v36, v37
	v_add_f32_e32 v5, v12, v5
	v_add_f32_e32 v5, v38, v5
	;; [unrolled: 1-line block ×3, first 2 shown]
	v_mul_f32_e32 v5, v18, v5
	v_sub_f32_e32 v18, v12, v18
	v_sub_f32_e32 v18, v34, v18
	v_add_f32_e32 v5, v18, v5
	v_add_f32_e32 v18, v12, v5
	v_sub_f32_e32 v12, v18, v12
	v_sub_f32_e32 v5, v5, v12
	v_ldexp_f32 v12, v18, -2
	v_sub_f32_e32 v18, v16, v12
	v_sub_f32_e32 v16, v16, v18
	;; [unrolled: 1-line block ×3, first 2 shown]
	v_ldexp_f32 v5, v5, -2
	v_add_f32_e32 v4, v4, v12
	v_sub_f32_e32 v4, v4, v5
	v_add_f32_e32 v4, v18, v4
	v_cmp_ngt_f32_e64 vcc, |v9|, s44
	v_cndmask_b32_e32 v4, v32, v4, vcc
	v_cmp_lt_f32_e64 s[0:1], |v9|, s45
	v_cndmask_b32_e64 v4, v4, |v9|, s[0:1]
	v_xor_b32_e32 v5, 0x80000000, v9
	v_bfi_b32 v4, s27, v4, v5
	v_fma_f32 v5, v4, v4, 1.0
	v_mul_f32_e32 v12, 0x4f800000, v5
	v_cmp_gt_f32_e32 vcc, s46, v5
	v_cndmask_b32_e32 v5, v5, v12, vcc
	v_sqrt_f32_e32 v12, v5
	v_xor_b32_e32 v6, v6, v7
	v_xor_b32_e32 v6, v6, v8
	v_fma_f32 v7, v6, v6, 1.0
	v_add_u32_e32 v16, -1, v12
	v_fma_f32 v18, -v16, v12, v5
	v_cmp_ge_f32_e64 s[0:1], 0, v18
	v_add_u32_e32 v18, 1, v12
	v_cndmask_b32_e64 v16, v12, v16, s[0:1]
	v_fma_f32 v12, -v18, v12, v5
	v_cmp_lt_f32_e64 s[0:1], 0, v12
	v_cndmask_b32_e64 v12, v16, v18, s[0:1]
	v_mul_f32_e32 v16, 0x37800000, v12
	v_cndmask_b32_e32 v12, v12, v16, vcc
	v_cmp_class_f32_e32 vcc, v5, v26
	v_cndmask_b32_e32 v5, v12, v5, vcc
	v_mul_f32_e32 v12, v4, v7
	v_mul_f32_e32 v5, v5, v7
	v_fma_f32 v12, v4, v12, 1.0
	v_mul_f32_e32 v4, v4, v5
	v_div_scale_f32 v5, s[0:1], v12, v12, v4
	v_rcp_f32_e32 v7, v5
	v_fma_f32 v16, -v5, v7, 1.0
	v_fmac_f32_e32 v7, v16, v7
	v_div_scale_f32 v16, vcc, v4, v12, v4
	v_mul_f32_e32 v18, v16, v7
	v_fma_f32 v34, -v5, v18, v16
	v_fmac_f32_e32 v18, v34, v7
	v_fma_f32 v5, -v5, v18, v16
	v_div_scale_f32 v16, s[0:1], v12, v12, v6
	v_rcp_f32_e32 v34, v16
	v_div_fmas_f32 v5, v5, v7, v18
	v_div_fixup_f32 v5, v5, v12, v4
	v_fma_f32 v4, -v16, v34, 1.0
	v_fmac_f32_e32 v34, v4, v34
	v_div_scale_f32 v4, vcc, v6, v12, v6
	v_mul_f32_e32 v7, v4, v34
	v_fma_f32 v18, -v16, v7, v4
	v_fmac_f32_e32 v7, v18, v34
	v_fma_f32 v4, -v16, v7, v4
	v_div_fmas_f32 v4, v4, v34, v7
	v_div_fixup_f32 v4, v4, v12, v6
                                        ; implicit-def: $vgpr6
.LBB101_188:                            ;   in Loop: Header=BB101_180 Depth=1
	s_andn2_saveexec_b64 s[18:19], s[18:19]
	s_cbranch_execz .LBB101_191
; %bb.189:                              ;   in Loop: Header=BB101_180 Depth=1
	v_lshrrev_b32_e32 v4, 23, v6
	v_and_b32_e32 v5, 0x7fffff, v6
	v_cmp_nlt_f32_e64 s[20:21], |v8|, s31
	v_add_u32_e32 v16, 0xffffff88, v4
	v_or_b32_e32 v7, 0x800000, v5
                                        ; implicit-def: $vgpr4
                                        ; implicit-def: $vgpr5
	s_and_saveexec_b64 s[0:1], s[20:21]
	s_xor_b64 s[22:23], exec, s[0:1]
	s_cbranch_execz .LBB101_192
; %bb.190:                              ;   in Loop: Header=BB101_180 Depth=1
	v_cmp_lt_u32_e32 vcc, 63, v16
	v_cndmask_b32_e32 v4, 0, v30, vcc
	v_add_u32_e32 v4, v4, v16
	v_cmp_lt_u32_e64 s[0:1], 31, v4
	v_cndmask_b32_e64 v5, 0, v31, s[0:1]
	v_add_u32_e32 v4, v5, v4
	v_cmp_lt_u32_e64 s[2:3], 31, v4
	v_cndmask_b32_e64 v5, 0, v31, s[2:3]
	v_add_u32_e32 v18, v5, v4
	v_mad_u64_u32 v[4:5], s[4:5], v7, s33, 0
	v_mov_b32_e32 v12, v5
	v_mad_u64_u32 v[34:35], s[4:5], v7, s34, v[12:13]
	v_mov_b32_e32 v12, v35
	;; [unrolled: 2-line block ×6, first 2 shown]
	v_mad_u64_u32 v[44:45], s[4:5], v7, s39, v[12:13]
	v_cndmask_b32_e32 v5, v42, v38, vcc
	v_cndmask_b32_e32 v12, v44, v40, vcc
	;; [unrolled: 1-line block ×3, first 2 shown]
	v_cndmask_b32_e64 v35, v12, v5, s[0:1]
	v_cndmask_b32_e64 v12, v37, v12, s[0:1]
	v_cndmask_b32_e32 v37, v40, v36, vcc
	v_cndmask_b32_e64 v5, v5, v37, s[0:1]
	v_sub_u32_e32 v39, 32, v18
	v_cmp_eq_u32_e64 s[4:5], 0, v18
	v_cndmask_b32_e32 v18, v38, v34, vcc
	v_cndmask_b32_e64 v12, v12, v35, s[2:3]
	v_cndmask_b32_e64 v35, v35, v5, s[2:3]
	;; [unrolled: 1-line block ×3, first 2 shown]
	v_alignbit_b32 v40, v12, v35, v39
	v_cndmask_b32_e64 v5, v5, v34, s[2:3]
	v_cndmask_b32_e64 v12, v40, v12, s[4:5]
	v_alignbit_b32 v37, v35, v5, v39
	v_cndmask_b32_e64 v35, v37, v35, s[4:5]
	v_bfe_u32 v40, v12, 29, 1
	v_cndmask_b32_e32 v4, v36, v4, vcc
	v_alignbit_b32 v37, v12, v35, 30
	v_sub_u32_e32 v41, 0, v40
	v_cndmask_b32_e64 v4, v18, v4, s[0:1]
	v_xor_b32_e32 v42, v37, v41
	v_cndmask_b32_e64 v4, v34, v4, s[2:3]
	v_alignbit_b32 v18, v5, v4, v39
	v_ffbh_u32_e32 v34, v42
	v_cndmask_b32_e64 v5, v18, v5, s[4:5]
	v_add_u32_e32 v34, 1, v34
	v_cmp_ne_u32_e32 vcc, v37, v41
	v_alignbit_b32 v18, v35, v5, 30
	v_cndmask_b32_e32 v34, 33, v34, vcc
	v_alignbit_b32 v4, v5, v4, 30
	v_xor_b32_e32 v18, v18, v41
	v_sub_u32_e32 v35, 32, v34
	v_xor_b32_e32 v4, v4, v41
	v_alignbit_b32 v36, v42, v18, v35
	v_alignbit_b32 v4, v18, v4, v35
	;; [unrolled: 1-line block ×3, first 2 shown]
	v_ffbh_u32_e32 v18, v5
	v_min_u32_e32 v18, 32, v18
	v_lshrrev_b32_e32 v38, 29, v12
	v_sub_u32_e32 v35, 31, v18
	v_alignbit_b32 v4, v5, v4, v35
	v_lshlrev_b32_e32 v5, 31, v38
	v_or_b32_e32 v35, 0x33800000, v5
	v_add_lshl_u32 v18, v18, v34, 23
	v_lshrrev_b32_e32 v4, 9, v4
	v_sub_u32_e32 v18, v35, v18
	v_or_b32_e32 v4, v18, v4
	v_alignbit_b32 v18, v34, v36, 9
	v_or_b32_e32 v5, v18, v5
	v_xor_b32_e32 v5, 1.0, v5
	v_mul_f32_e32 v18, 0x3fc90fda, v5
	v_fma_f32 v34, v5, s40, -v18
	v_fmac_f32_e32 v34, 0x33a22168, v5
	v_fmac_f32_e32 v34, 0x3fc90fda, v4
	v_lshrrev_b32_e32 v4, 30, v12
	v_add_f32_e32 v5, v18, v34
	v_add_u32_e32 v4, v40, v4
	s_andn2_saveexec_b64 s[0:1], s[22:23]
	s_branch .LBB101_193
.LBB101_191:                            ;   in Loop: Header=BB101_180 Depth=1
	s_or_b64 exec, exec, s[18:19]
	s_andn2_saveexec_b64 s[0:1], s[14:15]
	s_cbranch_execnz .LBB101_200
	s_branch .LBB101_201
.LBB101_192:                            ;   in Loop: Header=BB101_180 Depth=1
	s_andn2_saveexec_b64 s[0:1], s[22:23]
.LBB101_193:                            ;   in Loop: Header=BB101_180 Depth=1
	v_mul_f32_e64 v4, |v8|, s41
	v_rndne_f32_e32 v12, v4
	v_cvt_i32_f32_e32 v4, v12
	v_fma_f32 v5, v12, s42, |v8|
	v_fmac_f32_e32 v5, 0xb3a22168, v12
	v_fmac_f32_e32 v5, 0xa7c234c4, v12
; %bb.194:                              ;   in Loop: Header=BB101_180 Depth=1
	s_or_b64 exec, exec, s[0:1]
                                        ; implicit-def: $vgpr12
                                        ; implicit-def: $vgpr18
	s_and_saveexec_b64 s[0:1], s[20:21]
	s_xor_b64 s[20:21], exec, s[0:1]
	s_cbranch_execz .LBB101_196
; %bb.195:                              ;   in Loop: Header=BB101_180 Depth=1
	v_cmp_lt_u32_e32 vcc, 63, v16
	v_cndmask_b32_e32 v12, 0, v30, vcc
	v_add_u32_e32 v12, v12, v16
	v_cmp_lt_u32_e64 s[0:1], 31, v12
	v_cndmask_b32_e64 v16, 0, v31, s[0:1]
	v_add_u32_e32 v12, v16, v12
	v_cmp_lt_u32_e64 s[2:3], 31, v12
	v_cndmask_b32_e64 v16, 0, v31, s[2:3]
	v_mad_u64_u32 v[34:35], s[4:5], v7, s33, 0
	v_add_u32_e32 v16, v16, v12
	v_mov_b32_e32 v12, v35
	v_mad_u64_u32 v[36:37], s[4:5], v7, s34, v[12:13]
	v_mov_b32_e32 v12, v37
	v_mad_u64_u32 v[38:39], s[4:5], v7, s35, v[12:13]
	;; [unrolled: 2-line block ×6, first 2 shown]
	v_cndmask_b32_e32 v18, v44, v40, vcc
	v_cndmask_b32_e32 v7, v46, v42, vcc
	;; [unrolled: 1-line block ×3, first 2 shown]
	v_cndmask_b32_e64 v12, v7, v18, s[0:1]
	v_cndmask_b32_e64 v7, v35, v7, s[0:1]
	v_cndmask_b32_e32 v35, v42, v38, vcc
	v_cndmask_b32_e64 v18, v18, v35, s[0:1]
	v_sub_u32_e32 v37, 32, v16
	v_cmp_eq_u32_e64 s[4:5], 0, v16
	v_cndmask_b32_e32 v16, v40, v36, vcc
	v_cndmask_b32_e64 v7, v7, v12, s[2:3]
	v_cndmask_b32_e64 v12, v12, v18, s[2:3]
	;; [unrolled: 1-line block ×3, first 2 shown]
	v_alignbit_b32 v39, v7, v12, v37
	v_cndmask_b32_e64 v18, v18, v35, s[2:3]
	v_cndmask_b32_e64 v7, v39, v7, s[4:5]
	v_alignbit_b32 v36, v12, v18, v37
	v_cndmask_b32_e32 v34, v38, v34, vcc
	v_cndmask_b32_e64 v12, v36, v12, s[4:5]
	v_bfe_u32 v40, v7, 29, 1
	v_cndmask_b32_e64 v16, v16, v34, s[0:1]
	v_alignbit_b32 v36, v7, v12, 30
	v_sub_u32_e32 v41, 0, v40
	v_cndmask_b32_e64 v16, v35, v16, s[2:3]
	v_xor_b32_e32 v42, v36, v41
	v_alignbit_b32 v34, v18, v16, v37
	v_cndmask_b32_e64 v18, v34, v18, s[4:5]
	v_ffbh_u32_e32 v34, v42
	v_add_u32_e32 v34, 1, v34
	v_cmp_ne_u32_e32 vcc, v36, v41
	v_alignbit_b32 v12, v12, v18, 30
	v_cndmask_b32_e32 v34, 33, v34, vcc
	v_alignbit_b32 v16, v18, v16, 30
	v_xor_b32_e32 v12, v12, v41
	v_sub_u32_e32 v35, 32, v34
	v_xor_b32_e32 v16, v16, v41
	v_alignbit_b32 v36, v42, v12, v35
	v_alignbit_b32 v12, v12, v16, v35
	;; [unrolled: 1-line block ×3, first 2 shown]
	v_ffbh_u32_e32 v18, v16
	v_min_u32_e32 v18, 32, v18
	v_lshrrev_b32_e32 v39, 29, v7
	v_sub_u32_e32 v35, 31, v18
	v_alignbit_b32 v12, v16, v12, v35
	v_lshlrev_b32_e32 v16, 31, v39
	v_or_b32_e32 v35, 0x33800000, v16
	v_add_lshl_u32 v18, v18, v34, 23
	v_lshrrev_b32_e32 v12, 9, v12
	v_sub_u32_e32 v18, v35, v18
	v_or_b32_e32 v12, v18, v12
	v_alignbit_b32 v18, v34, v36, 9
	v_or_b32_e32 v16, v18, v16
	v_xor_b32_e32 v16, 1.0, v16
	v_mul_f32_e32 v18, 0x3fc90fda, v16
	v_fma_f32 v34, v16, s40, -v18
	v_fmac_f32_e32 v34, 0x33a22168, v16
	v_fmac_f32_e32 v34, 0x3fc90fda, v12
	v_lshrrev_b32_e32 v7, 30, v7
	v_add_f32_e32 v18, v18, v34
	v_add_u32_e32 v12, v40, v7
	s_andn2_saveexec_b64 s[0:1], s[20:21]
	s_cbranch_execnz .LBB101_197
	s_branch .LBB101_198
.LBB101_196:                            ;   in Loop: Header=BB101_180 Depth=1
	s_andn2_saveexec_b64 s[0:1], s[20:21]
.LBB101_197:                            ;   in Loop: Header=BB101_180 Depth=1
	v_mul_f32_e64 v7, |v8|, s41
	v_rndne_f32_e32 v7, v7
	v_cvt_i32_f32_e32 v12, v7
	v_fma_f32 v18, v7, s42, |v8|
	v_fmac_f32_e32 v18, 0xb3a22168, v7
	v_fmac_f32_e32 v18, 0xa7c234c4, v7
.LBB101_198:                            ;   in Loop: Header=BB101_180 Depth=1
	s_or_b64 exec, exec, s[0:1]
	v_mul_f32_e32 v7, v5, v5
	v_mov_b32_e32 v16, 0x3c0881c4
	v_fmac_f32_e32 v16, 0xb94c1982, v7
	v_fma_f32 v16, v7, v16, v27
	v_mul_f32_e32 v16, v7, v16
	v_fmac_f32_e32 v5, v5, v16
	v_mov_b32_e32 v16, 0xbab64f3b
	v_fmac_f32_e32 v16, 0x37d75334, v7
	v_fma_f32 v16, v7, v16, v28
	v_fma_f32 v16, v7, v16, v29
	v_fma_f32 v7, v7, v16, 1.0
	v_and_b32_e32 v16, 1, v4
	v_lshlrev_b32_e32 v4, 30, v4
	v_and_b32_e32 v4, 0x80000000, v4
	v_cmp_eq_u32_e32 vcc, 0, v16
	v_xor_b32_e32 v4, v6, v4
	v_mul_f32_e64 v6, |v9|, s47
	v_cndmask_b32_e32 v5, v7, v5, vcc
	v_rndne_f32_e32 v7, v6
	v_sub_f32_e32 v16, v6, v7
	v_fma_f32 v6, |v9|, s47, -v6
	v_fma_f32 v6, |v9|, s48, v6
	v_add_f32_e32 v6, v16, v6
	v_exp_f32_e32 v6, v6
	v_cvt_i32_f32_e32 v7, v7
	v_xor_b32_e32 v4, v4, v5
	v_mov_b32_e32 v16, 0x3c0881c4
	v_cmp_ngt_f32_e64 vcc, |v9|, s49
	v_ldexp_f32 v5, v6, v7
	v_mul_f32_e32 v7, v18, v18
	v_fmac_f32_e32 v16, 0xb94c1982, v7
	v_fma_f32 v16, v7, v16, v27
	v_mul_f32_e32 v16, v7, v16
	v_fmac_f32_e32 v18, v18, v16
	v_mov_b32_e32 v16, 0xbab64f3b
	v_fmac_f32_e32 v16, 0x37d75334, v7
	v_fma_f32 v16, v7, v16, v28
	v_fma_f32 v16, v7, v16, v29
	v_cndmask_b32_e32 v5, 0, v5, vcc
	v_cmp_nlt_f32_e64 vcc, |v9|, s50
	v_fma_f32 v7, v7, v16, 1.0
	v_and_b32_e32 v16, 1, v12
	v_cndmask_b32_e32 v6, v32, v5, vcc
	v_cmp_eq_u32_e32 vcc, 0, v16
	v_lshlrev_b32_e32 v12, 30, v12
	v_xor_b32_e32 v4, v4, v8
	v_cndmask_b32_e64 v7, -v18, v7, vcc
	v_and_b32_e32 v12, 0x80000000, v12
	v_mul_f32_e32 v4, 4.0, v4
	v_xor_b32_e32 v7, v12, v7
	v_mul_f32_e32 v4, v4, v7
	v_xor_b32_e32 v5, 0x80000000, v9
	v_mul_f32_e32 v4, v6, v4
	v_bfi_b32 v5, s27, 1.0, v5
	v_mul_f32_e32 v4, v6, v4
	s_or_b64 exec, exec, s[18:19]
.LBB101_199:                            ;   in Loop: Header=BB101_180 Depth=1
	s_andn2_saveexec_b64 s[0:1], s[14:15]
.LBB101_200:                            ;   in Loop: Header=BB101_180 Depth=1
	v_sub_f32_e32 v4, v8, v8
	v_mov_b32_e32 v5, v4
.LBB101_201:                            ;   in Loop: Header=BB101_180 Depth=1
	s_or_b64 exec, exec, s[0:1]
.LBB101_202:                            ;   in Loop: Header=BB101_180 Depth=1
	s_andn2_saveexec_b64 s[12:13], s[12:13]
	s_cbranch_execz .LBB101_218
; %bb.203:                              ;   in Loop: Header=BB101_180 Depth=1
	v_xor_b32_e32 v5, 0x80000000, v9
	v_and_b32_e32 v4, 0x7fffff, v5
	v_cmp_ne_u32_e32 vcc, 0, v4
                                        ; implicit-def: $vgpr4
	s_and_saveexec_b64 s[0:1], vcc
	s_xor_b64 s[0:1], exec, s[0:1]
; %bb.204:                              ;   in Loop: Header=BB101_180 Depth=1
	v_mul_f32_e64 v4, v8, -v9
	v_cmp_eq_f32_e32 vcc, 0, v8
	v_cndmask_b32_e32 v4, v4, v8, vcc
; %bb.205:                              ;   in Loop: Header=BB101_180 Depth=1
	s_andn2_saveexec_b64 s[14:15], s[0:1]
	s_cbranch_execz .LBB101_217
; %bb.206:                              ;   in Loop: Header=BB101_180 Depth=1
	v_cmp_neq_f32_e64 s[0:1], |v8|, s28
	s_and_saveexec_b64 s[18:19], s[0:1]
	s_cbranch_execz .LBB101_216
; %bb.207:                              ;   in Loop: Header=BB101_180 Depth=1
	v_and_b32_e32 v4, 0x7fffffff, v8
	v_lshrrev_b32_e32 v6, 23, v4
	v_and_b32_e32 v7, 0x7fffff, v4
	v_cmp_nlt_f32_e64 s[20:21], |v8|, s31
	v_add_u32_e32 v16, 0xffffff88, v6
	v_or_b32_e32 v9, 0x800000, v7
                                        ; implicit-def: $vgpr6
                                        ; implicit-def: $vgpr7
	s_and_saveexec_b64 s[0:1], s[20:21]
	s_xor_b64 s[22:23], exec, s[0:1]
	s_cbranch_execz .LBB101_209
; %bb.208:                              ;   in Loop: Header=BB101_180 Depth=1
	v_cmp_lt_u32_e32 vcc, 63, v16
	v_cndmask_b32_e32 v6, 0, v30, vcc
	v_add_u32_e32 v6, v6, v16
	v_cmp_lt_u32_e64 s[0:1], 31, v6
	v_cndmask_b32_e64 v7, 0, v31, s[0:1]
	v_add_u32_e32 v6, v7, v6
	v_cmp_lt_u32_e64 s[2:3], 31, v6
	v_cndmask_b32_e64 v7, 0, v31, s[2:3]
	v_add_u32_e32 v18, v7, v6
	v_mad_u64_u32 v[6:7], s[4:5], v9, s33, 0
	v_mov_b32_e32 v12, v7
	v_mad_u64_u32 v[34:35], s[4:5], v9, s34, v[12:13]
	v_mov_b32_e32 v12, v35
	;; [unrolled: 2-line block ×6, first 2 shown]
	v_mad_u64_u32 v[44:45], s[4:5], v9, s39, v[12:13]
	v_cndmask_b32_e32 v7, v42, v38, vcc
	v_cndmask_b32_e32 v12, v44, v40, vcc
	;; [unrolled: 1-line block ×3, first 2 shown]
	v_cndmask_b32_e64 v35, v12, v7, s[0:1]
	v_cndmask_b32_e64 v12, v37, v12, s[0:1]
	v_cndmask_b32_e32 v37, v40, v36, vcc
	v_cndmask_b32_e64 v7, v7, v37, s[0:1]
	v_sub_u32_e32 v39, 32, v18
	v_cmp_eq_u32_e64 s[4:5], 0, v18
	v_cndmask_b32_e32 v18, v38, v34, vcc
	v_cndmask_b32_e64 v12, v12, v35, s[2:3]
	v_cndmask_b32_e64 v35, v35, v7, s[2:3]
	v_cndmask_b32_e64 v34, v37, v18, s[0:1]
	v_alignbit_b32 v40, v12, v35, v39
	v_cndmask_b32_e64 v7, v7, v34, s[2:3]
	v_cndmask_b32_e64 v12, v40, v12, s[4:5]
	v_alignbit_b32 v37, v35, v7, v39
	v_cndmask_b32_e64 v35, v37, v35, s[4:5]
	v_bfe_u32 v40, v12, 29, 1
	v_cndmask_b32_e32 v6, v36, v6, vcc
	v_alignbit_b32 v37, v12, v35, 30
	v_sub_u32_e32 v41, 0, v40
	v_cndmask_b32_e64 v6, v18, v6, s[0:1]
	v_xor_b32_e32 v42, v37, v41
	v_cndmask_b32_e64 v6, v34, v6, s[2:3]
	v_alignbit_b32 v18, v7, v6, v39
	v_ffbh_u32_e32 v34, v42
	v_cndmask_b32_e64 v7, v18, v7, s[4:5]
	v_add_u32_e32 v34, 1, v34
	v_cmp_ne_u32_e32 vcc, v37, v41
	v_alignbit_b32 v18, v35, v7, 30
	v_cndmask_b32_e32 v34, 33, v34, vcc
	v_alignbit_b32 v6, v7, v6, 30
	v_xor_b32_e32 v18, v18, v41
	v_sub_u32_e32 v35, 32, v34
	v_xor_b32_e32 v6, v6, v41
	v_alignbit_b32 v36, v42, v18, v35
	v_alignbit_b32 v6, v18, v6, v35
	;; [unrolled: 1-line block ×3, first 2 shown]
	v_ffbh_u32_e32 v18, v7
	v_min_u32_e32 v18, 32, v18
	v_lshrrev_b32_e32 v38, 29, v12
	v_sub_u32_e32 v35, 31, v18
	v_alignbit_b32 v6, v7, v6, v35
	v_lshlrev_b32_e32 v7, 31, v38
	v_or_b32_e32 v35, 0x33800000, v7
	v_add_lshl_u32 v18, v18, v34, 23
	v_lshrrev_b32_e32 v6, 9, v6
	v_sub_u32_e32 v18, v35, v18
	v_or_b32_e32 v6, v18, v6
	v_alignbit_b32 v18, v34, v36, 9
	v_or_b32_e32 v7, v18, v7
	v_xor_b32_e32 v7, 1.0, v7
	v_mul_f32_e32 v18, 0x3fc90fda, v7
	v_fma_f32 v34, v7, s40, -v18
	v_fmac_f32_e32 v34, 0x33a22168, v7
	v_fmac_f32_e32 v34, 0x3fc90fda, v6
	v_lshrrev_b32_e32 v6, 30, v12
	v_add_f32_e32 v7, v18, v34
	v_add_u32_e32 v6, v40, v6
.LBB101_209:                            ;   in Loop: Header=BB101_180 Depth=1
	s_or_saveexec_b64 s[0:1], s[22:23]
	v_mul_f32_e64 v12, |v8|, s41
	v_rndne_f32_e32 v34, v12
	s_xor_b64 exec, exec, s[0:1]
; %bb.210:                              ;   in Loop: Header=BB101_180 Depth=1
	v_cvt_i32_f32_e32 v6, v34
	v_fma_f32 v7, v34, s42, |v8|
	v_fmac_f32_e32 v7, 0xb3a22168, v34
	v_fmac_f32_e32 v7, 0xa7c234c4, v34
; %bb.211:                              ;   in Loop: Header=BB101_180 Depth=1
	s_or_b64 exec, exec, s[0:1]
                                        ; implicit-def: $vgpr12
                                        ; implicit-def: $vgpr18
	s_and_saveexec_b64 s[0:1], s[20:21]
	s_xor_b64 s[20:21], exec, s[0:1]
	s_cbranch_execz .LBB101_213
; %bb.212:                              ;   in Loop: Header=BB101_180 Depth=1
	v_cmp_lt_u32_e32 vcc, 63, v16
	v_cndmask_b32_e32 v12, 0, v30, vcc
	v_add_u32_e32 v12, v12, v16
	v_cmp_lt_u32_e64 s[0:1], 31, v12
	v_cndmask_b32_e64 v16, 0, v31, s[0:1]
	v_add_u32_e32 v12, v16, v12
	v_cmp_lt_u32_e64 s[2:3], 31, v12
	v_cndmask_b32_e64 v16, 0, v31, s[2:3]
	v_mad_u64_u32 v[34:35], s[4:5], v9, s33, 0
	v_add_u32_e32 v16, v16, v12
	v_mov_b32_e32 v12, v35
	v_mad_u64_u32 v[36:37], s[4:5], v9, s34, v[12:13]
	v_mov_b32_e32 v12, v37
	v_mad_u64_u32 v[38:39], s[4:5], v9, s35, v[12:13]
	;; [unrolled: 2-line block ×6, first 2 shown]
	v_cndmask_b32_e32 v18, v44, v40, vcc
	v_cndmask_b32_e32 v9, v46, v42, vcc
	;; [unrolled: 1-line block ×3, first 2 shown]
	v_cndmask_b32_e64 v12, v9, v18, s[0:1]
	v_cndmask_b32_e64 v9, v35, v9, s[0:1]
	v_cndmask_b32_e32 v35, v42, v38, vcc
	v_cndmask_b32_e64 v18, v18, v35, s[0:1]
	v_sub_u32_e32 v37, 32, v16
	v_cmp_eq_u32_e64 s[4:5], 0, v16
	v_cndmask_b32_e32 v16, v40, v36, vcc
	v_cndmask_b32_e64 v9, v9, v12, s[2:3]
	v_cndmask_b32_e64 v12, v12, v18, s[2:3]
	;; [unrolled: 1-line block ×3, first 2 shown]
	v_alignbit_b32 v39, v9, v12, v37
	v_cndmask_b32_e64 v18, v18, v35, s[2:3]
	v_cndmask_b32_e64 v9, v39, v9, s[4:5]
	v_alignbit_b32 v36, v12, v18, v37
	v_cndmask_b32_e32 v34, v38, v34, vcc
	v_cndmask_b32_e64 v12, v36, v12, s[4:5]
	v_bfe_u32 v40, v9, 29, 1
	v_cndmask_b32_e64 v16, v16, v34, s[0:1]
	v_alignbit_b32 v36, v9, v12, 30
	v_sub_u32_e32 v41, 0, v40
	v_cndmask_b32_e64 v16, v35, v16, s[2:3]
	v_xor_b32_e32 v42, v36, v41
	v_alignbit_b32 v34, v18, v16, v37
	v_cndmask_b32_e64 v18, v34, v18, s[4:5]
	v_ffbh_u32_e32 v34, v42
	v_add_u32_e32 v34, 1, v34
	v_cmp_ne_u32_e32 vcc, v36, v41
	v_alignbit_b32 v12, v12, v18, 30
	v_cndmask_b32_e32 v34, 33, v34, vcc
	v_alignbit_b32 v16, v18, v16, 30
	v_xor_b32_e32 v12, v12, v41
	v_sub_u32_e32 v35, 32, v34
	v_xor_b32_e32 v16, v16, v41
	v_alignbit_b32 v36, v42, v12, v35
	v_alignbit_b32 v12, v12, v16, v35
	v_alignbit_b32 v16, v36, v12, 9
	v_ffbh_u32_e32 v18, v16
	v_min_u32_e32 v18, 32, v18
	v_lshrrev_b32_e32 v39, 29, v9
	v_sub_u32_e32 v35, 31, v18
	v_alignbit_b32 v12, v16, v12, v35
	v_lshlrev_b32_e32 v16, 31, v39
	v_or_b32_e32 v35, 0x33800000, v16
	v_add_lshl_u32 v18, v18, v34, 23
	v_lshrrev_b32_e32 v12, 9, v12
	v_sub_u32_e32 v18, v35, v18
	v_or_b32_e32 v12, v18, v12
	v_alignbit_b32 v18, v34, v36, 9
	v_or_b32_e32 v16, v18, v16
	v_xor_b32_e32 v16, 1.0, v16
	v_mul_f32_e32 v18, 0x3fc90fda, v16
	v_fma_f32 v34, v16, s40, -v18
	v_fmac_f32_e32 v34, 0x33a22168, v16
	v_fmac_f32_e32 v34, 0x3fc90fda, v12
	v_lshrrev_b32_e32 v9, 30, v9
	v_add_f32_e32 v18, v18, v34
	v_add_u32_e32 v12, v40, v9
                                        ; implicit-def: $vgpr34
	s_andn2_saveexec_b64 s[0:1], s[20:21]
	s_cbranch_execnz .LBB101_214
	s_branch .LBB101_215
.LBB101_213:                            ;   in Loop: Header=BB101_180 Depth=1
	s_andn2_saveexec_b64 s[0:1], s[20:21]
.LBB101_214:                            ;   in Loop: Header=BB101_180 Depth=1
	v_cvt_i32_f32_e32 v12, v34
	v_fma_f32 v18, v34, s42, |v8|
	v_fmac_f32_e32 v18, 0xb3a22168, v34
	v_fmac_f32_e32 v18, 0xa7c234c4, v34
.LBB101_215:                            ;   in Loop: Header=BB101_180 Depth=1
	s_or_b64 exec, exec, s[0:1]
	v_mul_f32_e32 v9, v7, v7
	v_mov_b32_e32 v16, 0x3c0881c4
	v_fmac_f32_e32 v16, 0xb94c1982, v9
	v_fma_f32 v16, v9, v16, v27
	v_mul_f32_e32 v16, v9, v16
	v_fmac_f32_e32 v7, v7, v16
	v_mov_b32_e32 v16, 0xbab64f3b
	v_fmac_f32_e32 v16, 0x37d75334, v9
	v_fma_f32 v16, v9, v16, v28
	v_fma_f32 v16, v9, v16, v29
	v_fma_f32 v9, v9, v16, 1.0
	v_and_b32_e32 v16, 1, v6
	v_lshlrev_b32_e32 v6, 30, v6
	v_cmp_eq_u32_e32 vcc, 0, v16
	v_and_b32_e32 v6, 0x80000000, v6
	v_cndmask_b32_e32 v7, v9, v7, vcc
	v_xor_b32_e32 v4, v4, v6
	v_xor_b32_e32 v4, v4, v7
	v_mul_f32_e32 v6, v18, v18
	v_mov_b32_e32 v7, 0x3c0881c4
	v_fmac_f32_e32 v7, 0xb94c1982, v6
	v_fma_f32 v7, v6, v7, v27
	v_mul_f32_e32 v7, v6, v7
	v_fmac_f32_e32 v18, v18, v7
	v_mov_b32_e32 v7, 0xbab64f3b
	v_fmac_f32_e32 v7, 0x37d75334, v6
	v_fma_f32 v7, v6, v7, v28
	v_fma_f32 v7, v6, v7, v29
	v_fma_f32 v6, v6, v7, 1.0
	v_and_b32_e32 v7, 1, v12
	v_cmp_eq_u32_e32 vcc, 0, v7
	v_lshlrev_b32_e32 v7, 30, v12
	v_cndmask_b32_e64 v6, -v18, v6, vcc
	v_and_b32_e32 v7, 0x80000000, v7
	v_xor_b32_e32 v4, v4, v8
	v_xor_b32_e32 v6, v7, v6
	v_mul_f32_e32 v4, v4, v6
	v_cmp_class_f32_e64 vcc, v8, s29
	v_cndmask_b32_e32 v8, v33, v4, vcc
.LBB101_216:                            ;   in Loop: Header=BB101_180 Depth=1
	s_or_b64 exec, exec, s[18:19]
	v_add_u32_e32 v5, -2.0, v5
	v_bfi_b32 v4, s27, 0, v8
.LBB101_217:                            ;   in Loop: Header=BB101_180 Depth=1
	s_or_b64 exec, exec, s[14:15]
.LBB101_218:                            ;   in Loop: Header=BB101_180 Depth=1
	s_or_b64 exec, exec, s[12:13]
	v_and_b32_e32 v16, 0x7fffffff, v11
	v_cmp_gt_u32_e32 vcc, s28, v16
                                        ; implicit-def: $vgpr7
	s_and_saveexec_b64 s[0:1], vcc
	s_xor_b64 s[12:13], exec, s[0:1]
	s_cbranch_execz .LBB101_240
; %bb.219:                              ;   in Loop: Header=BB101_180 Depth=1
	v_cmp_class_f32_e64 s[0:1], v10, s29
                                        ; implicit-def: $vgpr7
	s_and_saveexec_b64 s[2:3], s[0:1]
	s_xor_b64 s[14:15], exec, s[2:3]
	s_cbranch_execz .LBB101_237
; %bb.220:                              ;   in Loop: Header=BB101_180 Depth=1
	v_and_b32_e32 v8, 0x7fffffff, v10
	v_cmp_gt_u32_e32 vcc, s30, v16
                                        ; implicit-def: $vgpr7
	s_and_saveexec_b64 s[0:1], vcc
	s_xor_b64 s[18:19], exec, s[0:1]
	s_cbranch_execz .LBB101_226
; %bb.221:                              ;   in Loop: Header=BB101_180 Depth=1
	v_cmp_nlt_f32_e64 s[0:1], |v10|, s31
                                        ; implicit-def: $vgpr7
                                        ; implicit-def: $vgpr6
	s_and_saveexec_b64 s[2:3], s[0:1]
	s_xor_b64 s[20:21], exec, s[2:3]
	s_cbranch_execz .LBB101_223
; %bb.222:                              ;   in Loop: Header=BB101_180 Depth=1
	v_lshrrev_b32_e32 v6, 23, v8
	v_add_u32_e32 v6, 0xffffff88, v6
	v_cmp_lt_u32_e32 vcc, 63, v6
	v_cndmask_b32_e32 v7, 0, v30, vcc
	v_add_u32_e32 v6, v7, v6
	v_cmp_lt_u32_e64 s[0:1], 31, v6
	v_cndmask_b32_e64 v7, 0, v31, s[0:1]
	v_add_u32_e32 v6, v7, v6
	v_cmp_lt_u32_e64 s[2:3], 31, v6
	v_cndmask_b32_e64 v7, 0, v31, s[2:3]
	v_add_u32_e32 v9, v7, v6
	v_and_b32_e32 v6, 0x7fffff, v8
	v_or_b32_e32 v18, 0x800000, v6
	v_mad_u64_u32 v[6:7], s[4:5], v18, s33, 0
	v_mov_b32_e32 v12, v7
	v_mad_u64_u32 v[34:35], s[4:5], v18, s34, v[12:13]
	v_mov_b32_e32 v12, v35
	;; [unrolled: 2-line block ×6, first 2 shown]
	v_mad_u64_u32 v[44:45], s[4:5], v18, s39, v[12:13]
	v_cndmask_b32_e32 v7, v42, v38, vcc
	v_cndmask_b32_e32 v12, v44, v40, vcc
	;; [unrolled: 1-line block ×3, first 2 shown]
	v_cndmask_b32_e64 v18, v12, v7, s[0:1]
	v_cndmask_b32_e64 v12, v35, v12, s[0:1]
	v_cndmask_b32_e32 v35, v40, v36, vcc
	v_cndmask_b32_e64 v7, v7, v35, s[0:1]
	v_cndmask_b32_e64 v12, v12, v18, s[2:3]
	v_cndmask_b32_e64 v18, v18, v7, s[2:3]
	v_sub_u32_e32 v37, 32, v9
	v_alignbit_b32 v39, v12, v18, v37
	v_cmp_eq_u32_e64 s[4:5], 0, v9
	v_cndmask_b32_e64 v9, v39, v12, s[4:5]
	v_cndmask_b32_e32 v12, v38, v34, vcc
	v_cndmask_b32_e64 v34, v35, v12, s[0:1]
	v_cndmask_b32_e64 v7, v7, v34, s[2:3]
	v_cndmask_b32_e32 v6, v36, v6, vcc
	v_alignbit_b32 v35, v18, v7, v37
	v_cndmask_b32_e64 v6, v12, v6, s[0:1]
	v_cndmask_b32_e64 v18, v35, v18, s[4:5]
	v_bfe_u32 v39, v9, 29, 1
	v_cndmask_b32_e64 v6, v34, v6, s[2:3]
	v_alignbit_b32 v35, v9, v18, 30
	v_sub_u32_e32 v40, 0, v39
	v_alignbit_b32 v12, v7, v6, v37
	v_xor_b32_e32 v41, v35, v40
	v_cndmask_b32_e64 v7, v12, v7, s[4:5]
	v_alignbit_b32 v12, v18, v7, 30
	v_ffbh_u32_e32 v18, v41
	v_add_u32_e32 v18, 1, v18
	v_cmp_ne_u32_e32 vcc, v35, v40
	v_cndmask_b32_e32 v18, 33, v18, vcc
	v_alignbit_b32 v6, v7, v6, 30
	v_xor_b32_e32 v12, v12, v40
	v_sub_u32_e32 v34, 32, v18
	v_xor_b32_e32 v6, v6, v40
	v_alignbit_b32 v35, v41, v12, v34
	v_alignbit_b32 v6, v12, v6, v34
	;; [unrolled: 1-line block ×3, first 2 shown]
	v_ffbh_u32_e32 v12, v7
	v_min_u32_e32 v12, 32, v12
	v_lshrrev_b32_e32 v38, 29, v9
	v_sub_u32_e32 v34, 31, v12
	v_alignbit_b32 v6, v7, v6, v34
	v_lshlrev_b32_e32 v7, 31, v38
	v_or_b32_e32 v34, 0x33800000, v7
	v_add_lshl_u32 v12, v12, v18, 23
	v_lshrrev_b32_e32 v6, 9, v6
	v_sub_u32_e32 v12, v34, v12
	v_or_b32_e32 v6, v12, v6
	v_alignbit_b32 v12, v18, v35, 9
	v_or_b32_e32 v7, v12, v7
	v_xor_b32_e32 v7, 1.0, v7
	v_mul_f32_e32 v12, 0x3fc90fda, v7
	v_fma_f32 v18, v7, s40, -v12
	v_fmac_f32_e32 v18, 0x33a22168, v7
	v_fmac_f32_e32 v18, 0x3fc90fda, v6
	v_lshrrev_b32_e32 v7, 30, v9
	v_add_f32_e32 v6, v12, v18
	v_add_u32_e32 v7, v39, v7
.LBB101_223:                            ;   in Loop: Header=BB101_180 Depth=1
	s_andn2_saveexec_b64 s[0:1], s[20:21]
; %bb.224:                              ;   in Loop: Header=BB101_180 Depth=1
	v_mul_f32_e64 v6, |v10|, s41
	v_rndne_f32_e32 v9, v6
	v_cvt_i32_f32_e32 v7, v9
	v_fma_f32 v6, v9, s42, |v10|
	v_fmac_f32_e32 v6, 0xb3a22168, v9
	v_fmac_f32_e32 v6, 0xa7c234c4, v9
; %bb.225:                              ;   in Loop: Header=BB101_180 Depth=1
	s_or_b64 exec, exec, s[0:1]
	v_mul_f32_e32 v9, v6, v6
	v_mov_b32_e32 v12, 0xbf039337
	v_fmac_f32_e32 v12, 0x3c971480, v9
	v_fma_f32 v12, v9, v12, v22
	v_rcp_f32_e32 v12, v12
	v_mov_b32_e32 v18, 0x3ec54587
	v_fmac_f32_e32 v18, 0xbc8cedd3, v9
	v_and_b32_e32 v7, 1, v7
	v_mul_f32_e32 v12, v18, v12
	v_mul_f32_e32 v9, v9, v12
	v_fma_f32 v12, v9, v6, v6
	v_rcp_f32_e32 v18, v12
	v_sub_f32_e32 v34, v12, v6
	v_fma_f32 v6, v9, v6, -v34
	v_cmp_eq_u32_e32 vcc, 0, v7
	v_fma_f32 v9, v12, -v18, 1.0
	v_fma_f32 v6, v6, -v18, v9
	v_fma_f32 v6, v6, -v18, -v18
	v_cndmask_b32_e32 v9, v6, v12, vcc
	v_add_f32_e64 v12, |v11|, s43
	v_sub_f32_e64 v7, v12, |v11|
	v_sub_f32_e32 v6, v7, v12
	v_pk_add_f32 v[6:7], v[16:17], v[6:7]
	v_sub_f32_e32 v6, v6, v7
	v_add_f32_e32 v6, 0x3102e308, v6
	v_add_f32_e32 v7, v12, v6
	v_sub_f32_e32 v12, v12, v7
	v_add_f32_e32 v6, v6, v12
	v_mul_f32_e32 v12, 0x3fb8aa3b, v7
	v_rndne_f32_e32 v12, v12
	v_fmac_f32_e32 v7, 0xbf317200, v12
	v_add_f32_e32 v16, v6, v7
	v_mul_f32_e32 v18, 0x35bfbc00, v12
	v_sub_f32_e32 v34, v16, v18
	v_sub_f32_e32 v7, v7, v16
	;; [unrolled: 1-line block ×3, first 2 shown]
	v_add_f32_e32 v6, v6, v7
	v_sub_f32_e32 v16, v16, v18
	v_add_f32_e32 v16, v6, v16
	v_add_f32_e32 v35, v34, v16
	v_mul_f32_e32 v7, 0x2ea39ef3, v12
	v_mov_b32_e32 v6, v35
	v_pk_add_f32 v[36:37], v[34:35], v[6:7] neg_lo:[0,1] neg_hi:[0,1]
	v_sub_f32_e32 v6, v35, v37
	v_sub_f32_e32 v6, v6, v7
	v_add_f32_e32 v7, v16, v36
	v_add_f32_e32 v6, v7, v6
	;; [unrolled: 1-line block ×3, first 2 shown]
	v_sub_f32_e32 v18, v37, v7
	v_mov_b32_e32 v16, 0x3c091de6
	v_add_f32_e32 v6, v6, v18
	v_mul_f32_e32 v34, v7, v7
	v_fmac_f32_e32 v16, 0x3ab42872, v7
	v_add_f32_e32 v18, v6, v6
	v_fma_f32 v35, v7, v7, -v34
	v_fma_f32 v16, v7, v16, v23
	v_fmac_f32_e32 v35, v7, v18
	v_fma_f32 v16, v7, v16, v24
	v_add_f32_e32 v18, v34, v35
	v_fma_f32 v16, v7, v16, v25
	v_sub_f32_e32 v34, v18, v34
	v_sub_f32_e32 v34, v35, v34
	v_mul_f32_e32 v35, v16, v18
	v_fma_f32 v18, v18, v16, -v35
	v_fmac_f32_e32 v18, v34, v16
	v_add_f32_e32 v16, v35, v18
	v_sub_f32_e32 v34, v16, v35
	v_sub_f32_e32 v34, v18, v34
	v_add_f32_e32 v18, v7, v16
	v_sub_f32_e32 v7, v18, v7
	v_sub_f32_e32 v7, v16, v7
	v_add_f32_e32 v6, v6, v34
	v_add_f32_e32 v6, v6, v7
	v_add_f32_e32 v34, v18, v6
	v_add_f32_e32 v35, 1.0, v34
	v_pk_add_f32 v[36:37], v[34:35], v[18:19] neg_lo:[0,1] neg_hi:[0,1]
	v_pk_add_f32 v[38:39], v[34:35], s[8:9]
	v_mov_b32_e32 v37, v39
	v_mov_b32_e32 v7, v34
	v_cvt_i32_f32_e32 v12, v12
	v_pk_add_f32 v[6:7], v[6:7], v[36:37] neg_lo:[0,1] neg_hi:[0,1]
	v_add_f32_e32 v6, v6, v7
	v_add_f32_e32 v7, v35, v6
	v_ldexp_f32 v16, v7, v12
	v_rcp_f32_e32 v18, v16
	v_sub_f32_e32 v7, v7, v35
	v_sub_f32_e32 v6, v6, v7
	v_ldexp_f32 v6, v6, v12
	v_mul_f32_e32 v7, v16, v18
	v_fma_f32 v12, v18, v16, -v7
	v_fmac_f32_e32 v12, v18, v6
	v_add_f32_e32 v34, v7, v12
	v_sub_f32_e32 v35, 1.0, v34
	v_sub_f32_e32 v36, 1.0, v35
	v_sub_f32_e32 v7, v34, v7
	v_sub_f32_e32 v36, v36, v34
	v_sub_f32_e32 v7, v7, v12
	v_add_f32_e32 v7, v7, v36
	v_add_f32_e32 v12, v35, v7
	v_mul_f32_e32 v34, v18, v12
	v_mul_f32_e32 v36, v16, v34
	v_fma_f32 v37, v34, v16, -v36
	v_fmac_f32_e32 v37, v34, v6
	v_sub_f32_e32 v35, v35, v12
	v_add_f32_e32 v7, v7, v35
	v_add_f32_e32 v35, v36, v37
	v_sub_f32_e32 v38, v12, v35
	v_sub_f32_e32 v12, v12, v38
	;; [unrolled: 1-line block ×4, first 2 shown]
	v_add_f32_e32 v7, v7, v12
	v_sub_f32_e32 v12, v36, v37
	v_add_f32_e32 v7, v12, v7
	v_add_f32_e32 v7, v38, v7
	;; [unrolled: 1-line block ×3, first 2 shown]
	v_mul_f32_e32 v7, v18, v7
	v_sub_f32_e32 v18, v12, v18
	v_sub_f32_e32 v18, v34, v18
	v_add_f32_e32 v7, v18, v7
	v_add_f32_e32 v18, v12, v7
	v_sub_f32_e32 v12, v18, v12
	v_sub_f32_e32 v7, v7, v12
	v_ldexp_f32 v12, v18, -2
	v_sub_f32_e32 v18, v16, v12
	v_sub_f32_e32 v16, v16, v18
	;; [unrolled: 1-line block ×3, first 2 shown]
	v_ldexp_f32 v7, v7, -2
	v_add_f32_e32 v6, v6, v12
	v_sub_f32_e32 v6, v6, v7
	v_add_f32_e32 v6, v18, v6
	v_cmp_ngt_f32_e64 vcc, |v11|, s44
	v_cndmask_b32_e32 v6, v32, v6, vcc
	v_cmp_lt_f32_e64 s[0:1], |v11|, s45
	v_cndmask_b32_e64 v6, v6, |v11|, s[0:1]
	v_xor_b32_e32 v7, 0x80000000, v11
	v_bfi_b32 v6, s27, v6, v7
	v_fma_f32 v7, v6, v6, 1.0
	v_mul_f32_e32 v11, 0x4f800000, v7
	v_cmp_gt_f32_e32 vcc, s46, v7
	v_cndmask_b32_e32 v7, v7, v11, vcc
	v_sqrt_f32_e32 v11, v7
	v_xor_b32_e32 v8, v8, v9
	v_xor_b32_e32 v8, v8, v10
	v_fma_f32 v9, v8, v8, 1.0
	v_add_u32_e32 v10, -1, v11
	v_fma_f32 v12, -v10, v11, v7
	v_cmp_ge_f32_e64 s[0:1], 0, v12
	v_add_u32_e32 v12, 1, v11
	v_cndmask_b32_e64 v10, v11, v10, s[0:1]
	v_fma_f32 v11, -v12, v11, v7
	v_cmp_lt_f32_e64 s[0:1], 0, v11
	v_cndmask_b32_e64 v10, v10, v12, s[0:1]
	v_mul_f32_e32 v11, 0x37800000, v10
	v_cndmask_b32_e32 v10, v10, v11, vcc
	v_cmp_class_f32_e32 vcc, v7, v26
	v_cndmask_b32_e32 v7, v10, v7, vcc
	v_mul_f32_e32 v10, v6, v9
	v_mul_f32_e32 v7, v7, v9
	v_fma_f32 v10, v6, v10, 1.0
	v_mul_f32_e32 v6, v6, v7
	v_div_scale_f32 v7, s[0:1], v10, v10, v6
	v_rcp_f32_e32 v9, v7
	v_fma_f32 v11, -v7, v9, 1.0
	v_fmac_f32_e32 v9, v11, v9
	v_div_scale_f32 v11, vcc, v6, v10, v6
	v_mul_f32_e32 v12, v11, v9
	v_fma_f32 v16, -v7, v12, v11
	v_fmac_f32_e32 v12, v16, v9
	v_fma_f32 v7, -v7, v12, v11
	v_div_scale_f32 v11, s[0:1], v10, v10, v8
	v_rcp_f32_e32 v16, v11
	v_div_fmas_f32 v7, v7, v9, v12
	v_div_fixup_f32 v7, v7, v10, v6
	v_fma_f32 v6, -v11, v16, 1.0
	v_fmac_f32_e32 v16, v6, v16
	v_div_scale_f32 v6, vcc, v8, v10, v8
	v_mul_f32_e32 v9, v6, v16
	v_fma_f32 v12, -v11, v9, v6
	v_fmac_f32_e32 v9, v12, v16
	v_fma_f32 v6, -v11, v9, v6
	v_div_fmas_f32 v6, v6, v16, v9
	v_div_fixup_f32 v6, v6, v10, v8
                                        ; implicit-def: $vgpr8_vgpr9_vgpr10_vgpr11
                                        ; implicit-def: $vgpr8
.LBB101_226:                            ;   in Loop: Header=BB101_180 Depth=1
	s_andn2_saveexec_b64 s[18:19], s[18:19]
	s_cbranch_execz .LBB101_236
; %bb.227:                              ;   in Loop: Header=BB101_180 Depth=1
	v_lshrrev_b32_e32 v6, 23, v8
	v_and_b32_e32 v7, 0x7fffff, v8
	v_cmp_nlt_f32_e64 s[20:21], |v10|, s31
	v_add_u32_e32 v16, 0xffffff88, v6
	v_or_b32_e32 v9, 0x800000, v7
                                        ; implicit-def: $vgpr6
                                        ; implicit-def: $vgpr7
	s_and_saveexec_b64 s[0:1], s[20:21]
	s_xor_b64 s[22:23], exec, s[0:1]
	s_cbranch_execz .LBB101_229
; %bb.228:                              ;   in Loop: Header=BB101_180 Depth=1
	v_cmp_lt_u32_e32 vcc, 63, v16
	v_cndmask_b32_e32 v6, 0, v30, vcc
	v_add_u32_e32 v6, v6, v16
	v_cmp_lt_u32_e64 s[0:1], 31, v6
	v_cndmask_b32_e64 v7, 0, v31, s[0:1]
	v_add_u32_e32 v6, v7, v6
	v_cmp_lt_u32_e64 s[2:3], 31, v6
	v_cndmask_b32_e64 v7, 0, v31, s[2:3]
	v_add_u32_e32 v18, v7, v6
	v_mad_u64_u32 v[6:7], s[4:5], v9, s33, 0
	v_mov_b32_e32 v12, v7
	v_mad_u64_u32 v[34:35], s[4:5], v9, s34, v[12:13]
	v_mov_b32_e32 v12, v35
	;; [unrolled: 2-line block ×6, first 2 shown]
	v_mad_u64_u32 v[44:45], s[4:5], v9, s39, v[12:13]
	v_cndmask_b32_e32 v7, v42, v38, vcc
	v_cndmask_b32_e32 v12, v44, v40, vcc
	;; [unrolled: 1-line block ×3, first 2 shown]
	v_cndmask_b32_e64 v35, v12, v7, s[0:1]
	v_cndmask_b32_e64 v12, v37, v12, s[0:1]
	v_cndmask_b32_e32 v37, v40, v36, vcc
	v_cndmask_b32_e64 v7, v7, v37, s[0:1]
	v_sub_u32_e32 v39, 32, v18
	v_cmp_eq_u32_e64 s[4:5], 0, v18
	v_cndmask_b32_e32 v18, v38, v34, vcc
	v_cndmask_b32_e64 v12, v12, v35, s[2:3]
	v_cndmask_b32_e64 v35, v35, v7, s[2:3]
	;; [unrolled: 1-line block ×3, first 2 shown]
	v_alignbit_b32 v40, v12, v35, v39
	v_cndmask_b32_e64 v7, v7, v34, s[2:3]
	v_cndmask_b32_e64 v12, v40, v12, s[4:5]
	v_alignbit_b32 v37, v35, v7, v39
	v_cndmask_b32_e64 v35, v37, v35, s[4:5]
	v_bfe_u32 v40, v12, 29, 1
	v_cndmask_b32_e32 v6, v36, v6, vcc
	v_alignbit_b32 v37, v12, v35, 30
	v_sub_u32_e32 v41, 0, v40
	v_cndmask_b32_e64 v6, v18, v6, s[0:1]
	v_xor_b32_e32 v42, v37, v41
	v_cndmask_b32_e64 v6, v34, v6, s[2:3]
	v_alignbit_b32 v18, v7, v6, v39
	v_ffbh_u32_e32 v34, v42
	v_cndmask_b32_e64 v7, v18, v7, s[4:5]
	v_add_u32_e32 v34, 1, v34
	v_cmp_ne_u32_e32 vcc, v37, v41
	v_alignbit_b32 v18, v35, v7, 30
	v_cndmask_b32_e32 v34, 33, v34, vcc
	v_alignbit_b32 v6, v7, v6, 30
	v_xor_b32_e32 v18, v18, v41
	v_sub_u32_e32 v35, 32, v34
	v_xor_b32_e32 v6, v6, v41
	v_alignbit_b32 v36, v42, v18, v35
	v_alignbit_b32 v6, v18, v6, v35
	;; [unrolled: 1-line block ×3, first 2 shown]
	v_ffbh_u32_e32 v18, v7
	v_min_u32_e32 v18, 32, v18
	v_lshrrev_b32_e32 v38, 29, v12
	v_sub_u32_e32 v35, 31, v18
	v_alignbit_b32 v6, v7, v6, v35
	v_lshlrev_b32_e32 v7, 31, v38
	v_or_b32_e32 v35, 0x33800000, v7
	v_add_lshl_u32 v18, v18, v34, 23
	v_lshrrev_b32_e32 v6, 9, v6
	v_sub_u32_e32 v18, v35, v18
	v_or_b32_e32 v6, v18, v6
	v_alignbit_b32 v18, v34, v36, 9
	v_or_b32_e32 v7, v18, v7
	v_xor_b32_e32 v7, 1.0, v7
	v_mul_f32_e32 v18, 0x3fc90fda, v7
	v_fma_f32 v34, v7, s40, -v18
	v_fmac_f32_e32 v34, 0x33a22168, v7
	v_fmac_f32_e32 v34, 0x3fc90fda, v6
	v_lshrrev_b32_e32 v6, 30, v12
	v_add_f32_e32 v7, v18, v34
	v_add_u32_e32 v6, v40, v6
	s_andn2_saveexec_b64 s[0:1], s[22:23]
	s_branch .LBB101_230
.LBB101_229:                            ;   in Loop: Header=BB101_180 Depth=1
	s_andn2_saveexec_b64 s[0:1], s[22:23]
.LBB101_230:                            ;   in Loop: Header=BB101_180 Depth=1
	v_mul_f32_e64 v6, |v10|, s41
	v_rndne_f32_e32 v12, v6
	v_cvt_i32_f32_e32 v6, v12
	v_fma_f32 v7, v12, s42, |v10|
	v_fmac_f32_e32 v7, 0xb3a22168, v12
	v_fmac_f32_e32 v7, 0xa7c234c4, v12
; %bb.231:                              ;   in Loop: Header=BB101_180 Depth=1
	s_or_b64 exec, exec, s[0:1]
                                        ; implicit-def: $vgpr12
                                        ; implicit-def: $vgpr18
	s_and_saveexec_b64 s[0:1], s[20:21]
	s_xor_b64 s[20:21], exec, s[0:1]
	s_cbranch_execz .LBB101_233
; %bb.232:                              ;   in Loop: Header=BB101_180 Depth=1
	v_cmp_lt_u32_e32 vcc, 63, v16
	v_cndmask_b32_e32 v12, 0, v30, vcc
	v_add_u32_e32 v12, v12, v16
	v_cmp_lt_u32_e64 s[0:1], 31, v12
	v_cndmask_b32_e64 v16, 0, v31, s[0:1]
	v_add_u32_e32 v12, v16, v12
	v_cmp_lt_u32_e64 s[2:3], 31, v12
	v_cndmask_b32_e64 v16, 0, v31, s[2:3]
	v_mad_u64_u32 v[34:35], s[4:5], v9, s33, 0
	v_add_u32_e32 v16, v16, v12
	v_mov_b32_e32 v12, v35
	v_mad_u64_u32 v[36:37], s[4:5], v9, s34, v[12:13]
	v_mov_b32_e32 v12, v37
	v_mad_u64_u32 v[38:39], s[4:5], v9, s35, v[12:13]
	;; [unrolled: 2-line block ×6, first 2 shown]
	v_cndmask_b32_e32 v18, v44, v40, vcc
	v_cndmask_b32_e32 v9, v46, v42, vcc
	;; [unrolled: 1-line block ×3, first 2 shown]
	v_cndmask_b32_e64 v12, v9, v18, s[0:1]
	v_cndmask_b32_e64 v9, v35, v9, s[0:1]
	v_cndmask_b32_e32 v35, v42, v38, vcc
	v_cndmask_b32_e64 v18, v18, v35, s[0:1]
	v_sub_u32_e32 v37, 32, v16
	v_cmp_eq_u32_e64 s[4:5], 0, v16
	v_cndmask_b32_e32 v16, v40, v36, vcc
	v_cndmask_b32_e64 v9, v9, v12, s[2:3]
	v_cndmask_b32_e64 v12, v12, v18, s[2:3]
	v_cndmask_b32_e64 v35, v35, v16, s[0:1]
	v_alignbit_b32 v39, v9, v12, v37
	v_cndmask_b32_e64 v18, v18, v35, s[2:3]
	v_cndmask_b32_e64 v9, v39, v9, s[4:5]
	v_alignbit_b32 v36, v12, v18, v37
	v_cndmask_b32_e32 v34, v38, v34, vcc
	v_cndmask_b32_e64 v12, v36, v12, s[4:5]
	v_bfe_u32 v40, v9, 29, 1
	v_cndmask_b32_e64 v16, v16, v34, s[0:1]
	v_alignbit_b32 v36, v9, v12, 30
	v_sub_u32_e32 v41, 0, v40
	v_cndmask_b32_e64 v16, v35, v16, s[2:3]
	v_xor_b32_e32 v42, v36, v41
	v_alignbit_b32 v34, v18, v16, v37
	v_cndmask_b32_e64 v18, v34, v18, s[4:5]
	v_ffbh_u32_e32 v34, v42
	v_add_u32_e32 v34, 1, v34
	v_cmp_ne_u32_e32 vcc, v36, v41
	v_alignbit_b32 v12, v12, v18, 30
	v_cndmask_b32_e32 v34, 33, v34, vcc
	v_alignbit_b32 v16, v18, v16, 30
	v_xor_b32_e32 v12, v12, v41
	v_sub_u32_e32 v35, 32, v34
	v_xor_b32_e32 v16, v16, v41
	v_alignbit_b32 v36, v42, v12, v35
	v_alignbit_b32 v12, v12, v16, v35
	;; [unrolled: 1-line block ×3, first 2 shown]
	v_ffbh_u32_e32 v18, v16
	v_min_u32_e32 v18, 32, v18
	v_lshrrev_b32_e32 v39, 29, v9
	v_sub_u32_e32 v35, 31, v18
	v_alignbit_b32 v12, v16, v12, v35
	v_lshlrev_b32_e32 v16, 31, v39
	v_or_b32_e32 v35, 0x33800000, v16
	v_add_lshl_u32 v18, v18, v34, 23
	v_lshrrev_b32_e32 v12, 9, v12
	v_sub_u32_e32 v18, v35, v18
	v_or_b32_e32 v12, v18, v12
	v_alignbit_b32 v18, v34, v36, 9
	v_or_b32_e32 v16, v18, v16
	v_xor_b32_e32 v16, 1.0, v16
	v_mul_f32_e32 v18, 0x3fc90fda, v16
	v_fma_f32 v34, v16, s40, -v18
	v_fmac_f32_e32 v34, 0x33a22168, v16
	v_fmac_f32_e32 v34, 0x3fc90fda, v12
	v_lshrrev_b32_e32 v9, 30, v9
	v_add_f32_e32 v18, v18, v34
	v_add_u32_e32 v12, v40, v9
	s_andn2_saveexec_b64 s[0:1], s[20:21]
	s_cbranch_execnz .LBB101_234
	s_branch .LBB101_235
.LBB101_233:                            ;   in Loop: Header=BB101_180 Depth=1
	s_andn2_saveexec_b64 s[0:1], s[20:21]
.LBB101_234:                            ;   in Loop: Header=BB101_180 Depth=1
	v_mul_f32_e64 v9, |v10|, s41
	v_rndne_f32_e32 v9, v9
	v_cvt_i32_f32_e32 v12, v9
	v_fma_f32 v18, v9, s42, |v10|
	v_fmac_f32_e32 v18, 0xb3a22168, v9
	v_fmac_f32_e32 v18, 0xa7c234c4, v9
.LBB101_235:                            ;   in Loop: Header=BB101_180 Depth=1
	s_or_b64 exec, exec, s[0:1]
	v_mul_f32_e32 v9, v7, v7
	v_mov_b32_e32 v16, 0x3c0881c4
	v_fmac_f32_e32 v16, 0xb94c1982, v9
	v_fma_f32 v16, v9, v16, v27
	v_mul_f32_e32 v16, v9, v16
	v_fmac_f32_e32 v7, v7, v16
	v_mov_b32_e32 v16, 0xbab64f3b
	v_fmac_f32_e32 v16, 0x37d75334, v9
	v_fma_f32 v16, v9, v16, v28
	v_fma_f32 v16, v9, v16, v29
	v_fma_f32 v9, v9, v16, 1.0
	v_and_b32_e32 v16, 1, v6
	v_lshlrev_b32_e32 v6, 30, v6
	v_and_b32_e32 v6, 0x80000000, v6
	v_cmp_eq_u32_e32 vcc, 0, v16
	v_xor_b32_e32 v6, v8, v6
	v_mul_f32_e64 v8, |v11|, s47
	v_cndmask_b32_e32 v7, v9, v7, vcc
	v_rndne_f32_e32 v9, v8
	v_sub_f32_e32 v16, v8, v9
	v_fma_f32 v8, |v11|, s47, -v8
	v_fma_f32 v8, |v11|, s48, v8
	v_add_f32_e32 v8, v16, v8
	v_exp_f32_e32 v8, v8
	v_cvt_i32_f32_e32 v9, v9
	v_xor_b32_e32 v6, v6, v7
	v_xor_b32_e32 v6, v6, v10
	v_mov_b32_e32 v10, 0x3c0881c4
	v_ldexp_f32 v7, v8, v9
	v_mul_f32_e32 v9, v18, v18
	v_fmac_f32_e32 v10, 0xb94c1982, v9
	v_fma_f32 v10, v9, v10, v27
	v_mul_f32_e32 v10, v9, v10
	v_fmac_f32_e32 v18, v18, v10
	v_mov_b32_e32 v10, 0xbab64f3b
	v_fmac_f32_e32 v10, 0x37d75334, v9
	v_fma_f32 v10, v9, v10, v28
	v_cmp_ngt_f32_e64 vcc, |v11|, s49
	v_fma_f32 v10, v9, v10, v29
	v_cndmask_b32_e32 v7, 0, v7, vcc
	v_cmp_nlt_f32_e64 vcc, |v11|, s50
	v_fma_f32 v9, v9, v10, 1.0
	v_and_b32_e32 v10, 1, v12
	v_cndmask_b32_e32 v8, v32, v7, vcc
	v_cmp_eq_u32_e32 vcc, 0, v10
	v_lshlrev_b32_e32 v10, 30, v12
	v_cndmask_b32_e64 v9, -v18, v9, vcc
	v_and_b32_e32 v10, 0x80000000, v10
	v_mul_f32_e32 v6, 4.0, v6
	v_xor_b32_e32 v9, v10, v9
	v_mul_f32_e32 v6, v6, v9
	v_xor_b32_e32 v7, 0x80000000, v11
	v_mul_f32_e32 v6, v8, v6
	v_bfi_b32 v7, s27, 1.0, v7
	v_mul_f32_e32 v6, v8, v6
.LBB101_236:                            ;   in Loop: Header=BB101_180 Depth=1
	s_or_b64 exec, exec, s[18:19]
                                        ; implicit-def: $vgpr8_vgpr9_vgpr10_vgpr11
.LBB101_237:                            ;   in Loop: Header=BB101_180 Depth=1
	s_andn2_saveexec_b64 s[0:1], s[14:15]
; %bb.238:                              ;   in Loop: Header=BB101_180 Depth=1
	v_sub_f32_e32 v6, v10, v10
	v_mov_b32_e32 v7, v6
; %bb.239:                              ;   in Loop: Header=BB101_180 Depth=1
	s_or_b64 exec, exec, s[0:1]
                                        ; implicit-def: $vgpr8_vgpr9_vgpr10_vgpr11
.LBB101_240:                            ;   in Loop: Header=BB101_180 Depth=1
	s_andn2_saveexec_b64 s[12:13], s[12:13]
	s_cbranch_execz .LBB101_256
; %bb.241:                              ;   in Loop: Header=BB101_180 Depth=1
	v_xor_b32_e32 v7, 0x80000000, v11
	v_and_b32_e32 v6, 0x7fffff, v7
	v_cmp_ne_u32_e32 vcc, 0, v6
	s_and_saveexec_b64 s[0:1], vcc
	s_xor_b64 s[0:1], exec, s[0:1]
; %bb.242:                              ;   in Loop: Header=BB101_180 Depth=1
	v_mul_f32_e64 v6, v10, -v11
	v_cmp_eq_f32_e32 vcc, 0, v10
	v_cndmask_b32_e32 v6, v6, v10, vcc
                                        ; implicit-def: $vgpr8_vgpr9_vgpr10_vgpr11
; %bb.243:                              ;   in Loop: Header=BB101_180 Depth=1
	s_andn2_saveexec_b64 s[14:15], s[0:1]
	s_cbranch_execz .LBB101_255
; %bb.244:                              ;   in Loop: Header=BB101_180 Depth=1
	v_cmp_neq_f32_e64 s[0:1], |v10|, s28
	s_and_saveexec_b64 s[18:19], s[0:1]
	s_cbranch_execz .LBB101_254
; %bb.245:                              ;   in Loop: Header=BB101_180 Depth=1
	v_and_b32_e32 v6, 0x7fffffff, v10
	v_lshrrev_b32_e32 v8, 23, v6
	v_and_b32_e32 v9, 0x7fffff, v6
	v_cmp_nlt_f32_e64 s[20:21], |v10|, s31
	v_add_u32_e32 v16, 0xffffff88, v8
	v_or_b32_e32 v11, 0x800000, v9
                                        ; implicit-def: $vgpr8
                                        ; implicit-def: $vgpr9
	s_and_saveexec_b64 s[0:1], s[20:21]
	s_xor_b64 s[22:23], exec, s[0:1]
	s_cbranch_execz .LBB101_247
; %bb.246:                              ;   in Loop: Header=BB101_180 Depth=1
	v_cmp_lt_u32_e32 vcc, 63, v16
	v_cndmask_b32_e32 v8, 0, v30, vcc
	v_add_u32_e32 v8, v8, v16
	v_cmp_lt_u32_e64 s[0:1], 31, v8
	v_cndmask_b32_e64 v9, 0, v31, s[0:1]
	v_add_u32_e32 v8, v9, v8
	v_cmp_lt_u32_e64 s[2:3], 31, v8
	v_cndmask_b32_e64 v9, 0, v31, s[2:3]
	v_add_u32_e32 v18, v9, v8
	v_mad_u64_u32 v[8:9], s[4:5], v11, s33, 0
	v_mov_b32_e32 v12, v9
	v_mad_u64_u32 v[34:35], s[4:5], v11, s34, v[12:13]
	v_mov_b32_e32 v12, v35
	v_mad_u64_u32 v[36:37], s[4:5], v11, s35, v[12:13]
	v_mov_b32_e32 v12, v37
	v_mad_u64_u32 v[38:39], s[4:5], v11, s36, v[12:13]
	v_mov_b32_e32 v12, v39
	v_mad_u64_u32 v[40:41], s[4:5], v11, s37, v[12:13]
	v_mov_b32_e32 v12, v41
	v_mad_u64_u32 v[42:43], s[4:5], v11, s38, v[12:13]
	v_mov_b32_e32 v12, v43
	v_mad_u64_u32 v[44:45], s[4:5], v11, s39, v[12:13]
	v_cndmask_b32_e32 v9, v42, v38, vcc
	v_cndmask_b32_e32 v12, v44, v40, vcc
	;; [unrolled: 1-line block ×3, first 2 shown]
	v_cndmask_b32_e64 v35, v12, v9, s[0:1]
	v_cndmask_b32_e64 v12, v37, v12, s[0:1]
	v_cndmask_b32_e32 v37, v40, v36, vcc
	v_cndmask_b32_e64 v9, v9, v37, s[0:1]
	v_sub_u32_e32 v39, 32, v18
	v_cmp_eq_u32_e64 s[4:5], 0, v18
	v_cndmask_b32_e32 v18, v38, v34, vcc
	v_cndmask_b32_e64 v12, v12, v35, s[2:3]
	v_cndmask_b32_e64 v35, v35, v9, s[2:3]
	;; [unrolled: 1-line block ×3, first 2 shown]
	v_alignbit_b32 v40, v12, v35, v39
	v_cndmask_b32_e64 v9, v9, v34, s[2:3]
	v_cndmask_b32_e64 v12, v40, v12, s[4:5]
	v_alignbit_b32 v37, v35, v9, v39
	v_cndmask_b32_e64 v35, v37, v35, s[4:5]
	v_bfe_u32 v40, v12, 29, 1
	v_cndmask_b32_e32 v8, v36, v8, vcc
	v_alignbit_b32 v37, v12, v35, 30
	v_sub_u32_e32 v41, 0, v40
	v_cndmask_b32_e64 v8, v18, v8, s[0:1]
	v_xor_b32_e32 v42, v37, v41
	v_cndmask_b32_e64 v8, v34, v8, s[2:3]
	v_alignbit_b32 v18, v9, v8, v39
	v_ffbh_u32_e32 v34, v42
	v_cndmask_b32_e64 v9, v18, v9, s[4:5]
	v_add_u32_e32 v34, 1, v34
	v_cmp_ne_u32_e32 vcc, v37, v41
	v_alignbit_b32 v18, v35, v9, 30
	v_cndmask_b32_e32 v34, 33, v34, vcc
	v_alignbit_b32 v8, v9, v8, 30
	v_xor_b32_e32 v18, v18, v41
	v_sub_u32_e32 v35, 32, v34
	v_xor_b32_e32 v8, v8, v41
	v_alignbit_b32 v36, v42, v18, v35
	v_alignbit_b32 v8, v18, v8, v35
	;; [unrolled: 1-line block ×3, first 2 shown]
	v_ffbh_u32_e32 v18, v9
	v_min_u32_e32 v18, 32, v18
	v_lshrrev_b32_e32 v38, 29, v12
	v_sub_u32_e32 v35, 31, v18
	v_alignbit_b32 v8, v9, v8, v35
	v_lshlrev_b32_e32 v9, 31, v38
	v_or_b32_e32 v35, 0x33800000, v9
	v_add_lshl_u32 v18, v18, v34, 23
	v_lshrrev_b32_e32 v8, 9, v8
	v_sub_u32_e32 v18, v35, v18
	v_or_b32_e32 v8, v18, v8
	v_alignbit_b32 v18, v34, v36, 9
	v_or_b32_e32 v9, v18, v9
	v_xor_b32_e32 v9, 1.0, v9
	v_mul_f32_e32 v18, 0x3fc90fda, v9
	v_fma_f32 v34, v9, s40, -v18
	v_fmac_f32_e32 v34, 0x33a22168, v9
	v_fmac_f32_e32 v34, 0x3fc90fda, v8
	v_lshrrev_b32_e32 v8, 30, v12
	v_add_f32_e32 v9, v18, v34
	v_add_u32_e32 v8, v40, v8
.LBB101_247:                            ;   in Loop: Header=BB101_180 Depth=1
	s_or_saveexec_b64 s[0:1], s[22:23]
	v_mul_f32_e64 v12, |v10|, s41
	v_rndne_f32_e32 v34, v12
	s_xor_b64 exec, exec, s[0:1]
; %bb.248:                              ;   in Loop: Header=BB101_180 Depth=1
	v_cvt_i32_f32_e32 v8, v34
	v_fma_f32 v9, v34, s42, |v10|
	v_fmac_f32_e32 v9, 0xb3a22168, v34
	v_fmac_f32_e32 v9, 0xa7c234c4, v34
; %bb.249:                              ;   in Loop: Header=BB101_180 Depth=1
	s_or_b64 exec, exec, s[0:1]
                                        ; implicit-def: $vgpr12
                                        ; implicit-def: $vgpr18
	s_and_saveexec_b64 s[0:1], s[20:21]
	s_xor_b64 s[20:21], exec, s[0:1]
	s_cbranch_execz .LBB101_251
; %bb.250:                              ;   in Loop: Header=BB101_180 Depth=1
	v_cmp_lt_u32_e32 vcc, 63, v16
	v_cndmask_b32_e32 v12, 0, v30, vcc
	v_add_u32_e32 v12, v12, v16
	v_cmp_lt_u32_e64 s[0:1], 31, v12
	v_cndmask_b32_e64 v16, 0, v31, s[0:1]
	v_add_u32_e32 v12, v16, v12
	v_cmp_lt_u32_e64 s[2:3], 31, v12
	v_cndmask_b32_e64 v16, 0, v31, s[2:3]
	v_mad_u64_u32 v[34:35], s[4:5], v11, s33, 0
	v_add_u32_e32 v16, v16, v12
	v_mov_b32_e32 v12, v35
	v_mad_u64_u32 v[36:37], s[4:5], v11, s34, v[12:13]
	v_mov_b32_e32 v12, v37
	v_mad_u64_u32 v[38:39], s[4:5], v11, s35, v[12:13]
	;; [unrolled: 2-line block ×6, first 2 shown]
	v_cndmask_b32_e32 v18, v44, v40, vcc
	v_cndmask_b32_e32 v11, v46, v42, vcc
	;; [unrolled: 1-line block ×3, first 2 shown]
	v_cndmask_b32_e64 v12, v11, v18, s[0:1]
	v_cndmask_b32_e64 v11, v35, v11, s[0:1]
	v_cndmask_b32_e32 v35, v42, v38, vcc
	v_cndmask_b32_e64 v18, v18, v35, s[0:1]
	v_sub_u32_e32 v37, 32, v16
	v_cmp_eq_u32_e64 s[4:5], 0, v16
	v_cndmask_b32_e32 v16, v40, v36, vcc
	v_cndmask_b32_e64 v11, v11, v12, s[2:3]
	v_cndmask_b32_e64 v12, v12, v18, s[2:3]
	;; [unrolled: 1-line block ×3, first 2 shown]
	v_alignbit_b32 v39, v11, v12, v37
	v_cndmask_b32_e64 v18, v18, v35, s[2:3]
	v_cndmask_b32_e64 v11, v39, v11, s[4:5]
	v_alignbit_b32 v36, v12, v18, v37
	v_cndmask_b32_e32 v34, v38, v34, vcc
	v_cndmask_b32_e64 v12, v36, v12, s[4:5]
	v_bfe_u32 v40, v11, 29, 1
	v_cndmask_b32_e64 v16, v16, v34, s[0:1]
	v_alignbit_b32 v36, v11, v12, 30
	v_sub_u32_e32 v41, 0, v40
	v_cndmask_b32_e64 v16, v35, v16, s[2:3]
	v_xor_b32_e32 v42, v36, v41
	v_alignbit_b32 v34, v18, v16, v37
	v_cndmask_b32_e64 v18, v34, v18, s[4:5]
	v_ffbh_u32_e32 v34, v42
	v_add_u32_e32 v34, 1, v34
	v_cmp_ne_u32_e32 vcc, v36, v41
	v_alignbit_b32 v12, v12, v18, 30
	v_cndmask_b32_e32 v34, 33, v34, vcc
	v_alignbit_b32 v16, v18, v16, 30
	v_xor_b32_e32 v12, v12, v41
	v_sub_u32_e32 v35, 32, v34
	v_xor_b32_e32 v16, v16, v41
	v_alignbit_b32 v36, v42, v12, v35
	v_alignbit_b32 v12, v12, v16, v35
	;; [unrolled: 1-line block ×3, first 2 shown]
	v_ffbh_u32_e32 v18, v16
	v_min_u32_e32 v18, 32, v18
	v_lshrrev_b32_e32 v39, 29, v11
	v_sub_u32_e32 v35, 31, v18
	v_alignbit_b32 v12, v16, v12, v35
	v_lshlrev_b32_e32 v16, 31, v39
	v_or_b32_e32 v35, 0x33800000, v16
	v_add_lshl_u32 v18, v18, v34, 23
	v_lshrrev_b32_e32 v12, 9, v12
	v_sub_u32_e32 v18, v35, v18
	v_or_b32_e32 v12, v18, v12
	v_alignbit_b32 v18, v34, v36, 9
	v_or_b32_e32 v16, v18, v16
	v_xor_b32_e32 v16, 1.0, v16
	v_mul_f32_e32 v18, 0x3fc90fda, v16
	v_fma_f32 v34, v16, s40, -v18
	v_fmac_f32_e32 v34, 0x33a22168, v16
	v_fmac_f32_e32 v34, 0x3fc90fda, v12
	v_lshrrev_b32_e32 v11, 30, v11
	v_add_f32_e32 v18, v18, v34
	v_add_u32_e32 v12, v40, v11
                                        ; implicit-def: $vgpr34
	s_andn2_saveexec_b64 s[0:1], s[20:21]
	s_cbranch_execnz .LBB101_252
	s_branch .LBB101_253
.LBB101_251:                            ;   in Loop: Header=BB101_180 Depth=1
	s_andn2_saveexec_b64 s[0:1], s[20:21]
.LBB101_252:                            ;   in Loop: Header=BB101_180 Depth=1
	v_cvt_i32_f32_e32 v12, v34
	v_fma_f32 v18, v34, s42, |v10|
	v_fmac_f32_e32 v18, 0xb3a22168, v34
	v_fmac_f32_e32 v18, 0xa7c234c4, v34
.LBB101_253:                            ;   in Loop: Header=BB101_180 Depth=1
	s_or_b64 exec, exec, s[0:1]
	v_mul_f32_e32 v11, v9, v9
	v_mov_b32_e32 v16, 0x3c0881c4
	v_fmac_f32_e32 v16, 0xb94c1982, v11
	v_fma_f32 v16, v11, v16, v27
	v_mul_f32_e32 v16, v11, v16
	v_fmac_f32_e32 v9, v9, v16
	v_mov_b32_e32 v16, 0xbab64f3b
	v_fmac_f32_e32 v16, 0x37d75334, v11
	v_fma_f32 v16, v11, v16, v28
	v_fma_f32 v16, v11, v16, v29
	v_fma_f32 v11, v11, v16, 1.0
	v_and_b32_e32 v16, 1, v8
	v_lshlrev_b32_e32 v8, 30, v8
	v_cmp_eq_u32_e32 vcc, 0, v16
	v_and_b32_e32 v8, 0x80000000, v8
	v_cndmask_b32_e32 v9, v11, v9, vcc
	v_xor_b32_e32 v6, v6, v8
	v_xor_b32_e32 v6, v6, v9
	v_mul_f32_e32 v8, v18, v18
	v_mov_b32_e32 v9, 0x3c0881c4
	v_fmac_f32_e32 v9, 0xb94c1982, v8
	v_fma_f32 v9, v8, v9, v27
	v_mul_f32_e32 v9, v8, v9
	v_fmac_f32_e32 v18, v18, v9
	v_mov_b32_e32 v9, 0xbab64f3b
	v_fmac_f32_e32 v9, 0x37d75334, v8
	v_fma_f32 v9, v8, v9, v28
	v_fma_f32 v9, v8, v9, v29
	v_fma_f32 v8, v8, v9, 1.0
	v_and_b32_e32 v9, 1, v12
	v_cmp_eq_u32_e32 vcc, 0, v9
	v_lshlrev_b32_e32 v9, 30, v12
	v_cndmask_b32_e64 v8, -v18, v8, vcc
	v_and_b32_e32 v9, 0x80000000, v9
	v_xor_b32_e32 v6, v6, v10
	v_xor_b32_e32 v8, v9, v8
	v_mul_f32_e32 v6, v6, v8
	v_cmp_class_f32_e64 vcc, v10, s29
	v_cndmask_b32_e32 v10, v33, v6, vcc
.LBB101_254:                            ;   in Loop: Header=BB101_180 Depth=1
	s_or_b64 exec, exec, s[18:19]
	v_add_u32_e32 v7, -2.0, v7
	v_bfi_b32 v6, s27, 0, v10
.LBB101_255:                            ;   in Loop: Header=BB101_180 Depth=1
	s_or_b64 exec, exec, s[14:15]
.LBB101_256:                            ;   in Loop: Header=BB101_180 Depth=1
	s_or_b64 exec, exec, s[12:13]
	s_waitcnt vmcnt(0)
	v_and_b32_e32 v16, 0x7fffffff, v1
	v_cmp_gt_u32_e32 vcc, s28, v16
                                        ; implicit-def: $vgpr8
                                        ; implicit-def: $vgpr9
	s_and_saveexec_b64 s[0:1], vcc
	s_xor_b64 s[12:13], exec, s[0:1]
	s_cbranch_execz .LBB101_278
; %bb.257:                              ;   in Loop: Header=BB101_180 Depth=1
	v_cmp_class_f32_e64 s[0:1], v0, s29
                                        ; implicit-def: $vgpr8
                                        ; implicit-def: $vgpr9
	s_and_saveexec_b64 s[2:3], s[0:1]
	s_xor_b64 s[14:15], exec, s[2:3]
	s_cbranch_execz .LBB101_275
; %bb.258:                              ;   in Loop: Header=BB101_180 Depth=1
	v_and_b32_e32 v10, 0x7fffffff, v0
	v_cmp_gt_u32_e32 vcc, s30, v16
                                        ; implicit-def: $vgpr8
                                        ; implicit-def: $vgpr9
	s_and_saveexec_b64 s[0:1], vcc
	s_xor_b64 s[18:19], exec, s[0:1]
	s_cbranch_execz .LBB101_264
; %bb.259:                              ;   in Loop: Header=BB101_180 Depth=1
	v_cmp_nlt_f32_e64 s[0:1], |v0|, s31
                                        ; implicit-def: $vgpr9
                                        ; implicit-def: $vgpr8
	s_and_saveexec_b64 s[2:3], s[0:1]
	s_xor_b64 s[20:21], exec, s[2:3]
	s_cbranch_execz .LBB101_261
; %bb.260:                              ;   in Loop: Header=BB101_180 Depth=1
	v_lshrrev_b32_e32 v8, 23, v10
	v_add_u32_e32 v8, 0xffffff88, v8
	v_cmp_lt_u32_e32 vcc, 63, v8
	v_cndmask_b32_e32 v9, 0, v30, vcc
	v_add_u32_e32 v8, v9, v8
	v_cmp_lt_u32_e64 s[0:1], 31, v8
	v_cndmask_b32_e64 v9, 0, v31, s[0:1]
	v_add_u32_e32 v8, v9, v8
	v_cmp_lt_u32_e64 s[2:3], 31, v8
	v_cndmask_b32_e64 v9, 0, v31, s[2:3]
	v_add_u32_e32 v11, v9, v8
	v_and_b32_e32 v8, 0x7fffff, v10
	v_or_b32_e32 v18, 0x800000, v8
	v_mad_u64_u32 v[8:9], s[4:5], v18, s33, 0
	v_mov_b32_e32 v12, v9
	v_mad_u64_u32 v[34:35], s[4:5], v18, s34, v[12:13]
	v_mov_b32_e32 v12, v35
	;; [unrolled: 2-line block ×6, first 2 shown]
	v_mad_u64_u32 v[44:45], s[4:5], v18, s39, v[12:13]
	v_cndmask_b32_e32 v9, v42, v38, vcc
	v_cndmask_b32_e32 v12, v44, v40, vcc
	;; [unrolled: 1-line block ×3, first 2 shown]
	v_cndmask_b32_e64 v18, v12, v9, s[0:1]
	v_cndmask_b32_e64 v12, v35, v12, s[0:1]
	v_cndmask_b32_e32 v35, v40, v36, vcc
	v_cndmask_b32_e64 v9, v9, v35, s[0:1]
	v_cndmask_b32_e64 v12, v12, v18, s[2:3]
	;; [unrolled: 1-line block ×3, first 2 shown]
	v_sub_u32_e32 v37, 32, v11
	v_alignbit_b32 v39, v12, v18, v37
	v_cmp_eq_u32_e64 s[4:5], 0, v11
	v_cndmask_b32_e64 v11, v39, v12, s[4:5]
	v_cndmask_b32_e32 v12, v38, v34, vcc
	v_cndmask_b32_e64 v34, v35, v12, s[0:1]
	v_cndmask_b32_e64 v9, v9, v34, s[2:3]
	v_cndmask_b32_e32 v8, v36, v8, vcc
	v_alignbit_b32 v35, v18, v9, v37
	v_cndmask_b32_e64 v8, v12, v8, s[0:1]
	v_cndmask_b32_e64 v18, v35, v18, s[4:5]
	v_bfe_u32 v39, v11, 29, 1
	v_cndmask_b32_e64 v8, v34, v8, s[2:3]
	v_alignbit_b32 v35, v11, v18, 30
	v_sub_u32_e32 v40, 0, v39
	v_alignbit_b32 v12, v9, v8, v37
	v_xor_b32_e32 v41, v35, v40
	v_cndmask_b32_e64 v9, v12, v9, s[4:5]
	v_alignbit_b32 v12, v18, v9, 30
	v_ffbh_u32_e32 v18, v41
	v_add_u32_e32 v18, 1, v18
	v_cmp_ne_u32_e32 vcc, v35, v40
	v_cndmask_b32_e32 v18, 33, v18, vcc
	v_alignbit_b32 v8, v9, v8, 30
	v_xor_b32_e32 v12, v12, v40
	v_sub_u32_e32 v34, 32, v18
	v_xor_b32_e32 v8, v8, v40
	v_alignbit_b32 v35, v41, v12, v34
	v_alignbit_b32 v8, v12, v8, v34
	;; [unrolled: 1-line block ×3, first 2 shown]
	v_ffbh_u32_e32 v12, v9
	v_min_u32_e32 v12, 32, v12
	v_lshrrev_b32_e32 v38, 29, v11
	v_sub_u32_e32 v34, 31, v12
	v_alignbit_b32 v8, v9, v8, v34
	v_lshlrev_b32_e32 v9, 31, v38
	v_or_b32_e32 v34, 0x33800000, v9
	v_add_lshl_u32 v12, v12, v18, 23
	v_lshrrev_b32_e32 v8, 9, v8
	v_sub_u32_e32 v12, v34, v12
	v_or_b32_e32 v8, v12, v8
	v_alignbit_b32 v12, v18, v35, 9
	v_or_b32_e32 v9, v12, v9
	v_xor_b32_e32 v9, 1.0, v9
	v_mul_f32_e32 v12, 0x3fc90fda, v9
	v_fma_f32 v18, v9, s40, -v12
	v_fmac_f32_e32 v18, 0x33a22168, v9
	v_fmac_f32_e32 v18, 0x3fc90fda, v8
	v_lshrrev_b32_e32 v9, 30, v11
	v_add_f32_e32 v8, v12, v18
	v_add_u32_e32 v9, v39, v9
.LBB101_261:                            ;   in Loop: Header=BB101_180 Depth=1
	s_andn2_saveexec_b64 s[0:1], s[20:21]
; %bb.262:                              ;   in Loop: Header=BB101_180 Depth=1
	v_mul_f32_e64 v8, |v0|, s41
	v_rndne_f32_e32 v11, v8
	v_cvt_i32_f32_e32 v9, v11
	v_fma_f32 v8, v11, s42, |v0|
	v_fmac_f32_e32 v8, 0xb3a22168, v11
	v_fmac_f32_e32 v8, 0xa7c234c4, v11
; %bb.263:                              ;   in Loop: Header=BB101_180 Depth=1
	s_or_b64 exec, exec, s[0:1]
	v_mul_f32_e32 v11, v8, v8
	v_mov_b32_e32 v12, 0xbf039337
	v_fmac_f32_e32 v12, 0x3c971480, v11
	v_fma_f32 v12, v11, v12, v22
	v_rcp_f32_e32 v12, v12
	v_mov_b32_e32 v18, 0x3ec54587
	v_fmac_f32_e32 v18, 0xbc8cedd3, v11
	v_and_b32_e32 v9, 1, v9
	v_mul_f32_e32 v12, v18, v12
	v_mul_f32_e32 v11, v11, v12
	v_fma_f32 v12, v11, v8, v8
	v_rcp_f32_e32 v18, v12
	v_sub_f32_e32 v34, v12, v8
	v_fma_f32 v8, v11, v8, -v34
	v_cmp_eq_u32_e32 vcc, 0, v9
	v_fma_f32 v11, v12, -v18, 1.0
	v_fma_f32 v8, v8, -v18, v11
	v_fma_f32 v8, v8, -v18, -v18
	v_cndmask_b32_e32 v11, v8, v12, vcc
	v_add_f32_e64 v12, |v1|, s43
	v_sub_f32_e64 v9, v12, |v1|
	v_sub_f32_e32 v8, v9, v12
	v_pk_add_f32 v[8:9], v[16:17], v[8:9]
	v_sub_f32_e32 v8, v8, v9
	v_add_f32_e32 v8, 0x3102e308, v8
	v_add_f32_e32 v9, v12, v8
	v_sub_f32_e32 v12, v12, v9
	v_add_f32_e32 v8, v8, v12
	v_mul_f32_e32 v12, 0x3fb8aa3b, v9
	v_rndne_f32_e32 v12, v12
	v_fmac_f32_e32 v9, 0xbf317200, v12
	v_add_f32_e32 v16, v8, v9
	v_mul_f32_e32 v18, 0x35bfbc00, v12
	v_sub_f32_e32 v34, v16, v18
	v_sub_f32_e32 v9, v9, v16
	;; [unrolled: 1-line block ×3, first 2 shown]
	v_add_f32_e32 v8, v8, v9
	v_sub_f32_e32 v16, v16, v18
	v_add_f32_e32 v16, v8, v16
	v_add_f32_e32 v35, v34, v16
	v_mul_f32_e32 v9, 0x2ea39ef3, v12
	v_mov_b32_e32 v8, v35
	v_pk_add_f32 v[36:37], v[34:35], v[8:9] neg_lo:[0,1] neg_hi:[0,1]
	v_sub_f32_e32 v8, v35, v37
	v_sub_f32_e32 v8, v8, v9
	v_add_f32_e32 v9, v16, v36
	v_add_f32_e32 v8, v9, v8
	;; [unrolled: 1-line block ×3, first 2 shown]
	v_sub_f32_e32 v18, v37, v9
	v_mov_b32_e32 v16, 0x3c091de6
	v_add_f32_e32 v8, v8, v18
	v_mul_f32_e32 v34, v9, v9
	v_fmac_f32_e32 v16, 0x3ab42872, v9
	v_add_f32_e32 v18, v8, v8
	v_fma_f32 v35, v9, v9, -v34
	v_fma_f32 v16, v9, v16, v23
	v_fmac_f32_e32 v35, v9, v18
	v_fma_f32 v16, v9, v16, v24
	v_add_f32_e32 v18, v34, v35
	v_fma_f32 v16, v9, v16, v25
	v_sub_f32_e32 v34, v18, v34
	v_sub_f32_e32 v34, v35, v34
	v_mul_f32_e32 v35, v16, v18
	v_fma_f32 v18, v18, v16, -v35
	v_fmac_f32_e32 v18, v34, v16
	v_add_f32_e32 v16, v35, v18
	v_sub_f32_e32 v34, v16, v35
	v_sub_f32_e32 v34, v18, v34
	v_add_f32_e32 v18, v9, v16
	v_sub_f32_e32 v9, v18, v9
	v_sub_f32_e32 v9, v16, v9
	v_add_f32_e32 v8, v8, v34
	v_add_f32_e32 v8, v8, v9
	;; [unrolled: 1-line block ×3, first 2 shown]
	v_add_f32_e32 v35, 1.0, v34
	v_pk_add_f32 v[36:37], v[34:35], v[18:19] neg_lo:[0,1] neg_hi:[0,1]
	v_pk_add_f32 v[38:39], v[34:35], s[8:9]
	v_mov_b32_e32 v37, v39
	v_mov_b32_e32 v9, v34
	v_cvt_i32_f32_e32 v12, v12
	v_pk_add_f32 v[8:9], v[8:9], v[36:37] neg_lo:[0,1] neg_hi:[0,1]
	v_add_f32_e32 v8, v8, v9
	v_add_f32_e32 v9, v35, v8
	v_ldexp_f32 v16, v9, v12
	v_rcp_f32_e32 v18, v16
	v_sub_f32_e32 v9, v9, v35
	v_sub_f32_e32 v8, v8, v9
	v_ldexp_f32 v8, v8, v12
	v_mul_f32_e32 v9, v16, v18
	v_fma_f32 v12, v18, v16, -v9
	v_fmac_f32_e32 v12, v18, v8
	v_add_f32_e32 v34, v9, v12
	v_sub_f32_e32 v35, 1.0, v34
	v_sub_f32_e32 v36, 1.0, v35
	v_sub_f32_e32 v9, v34, v9
	v_sub_f32_e32 v36, v36, v34
	;; [unrolled: 1-line block ×3, first 2 shown]
	v_add_f32_e32 v9, v9, v36
	v_add_f32_e32 v12, v35, v9
	v_mul_f32_e32 v34, v18, v12
	v_mul_f32_e32 v36, v16, v34
	v_fma_f32 v37, v34, v16, -v36
	v_fmac_f32_e32 v37, v34, v8
	v_sub_f32_e32 v35, v35, v12
	v_add_f32_e32 v9, v9, v35
	v_add_f32_e32 v35, v36, v37
	v_sub_f32_e32 v38, v12, v35
	v_sub_f32_e32 v12, v12, v38
	v_sub_f32_e32 v36, v35, v36
	v_sub_f32_e32 v12, v12, v35
	v_add_f32_e32 v9, v9, v12
	v_sub_f32_e32 v12, v36, v37
	v_add_f32_e32 v9, v12, v9
	v_add_f32_e32 v9, v38, v9
	;; [unrolled: 1-line block ×3, first 2 shown]
	v_mul_f32_e32 v9, v18, v9
	v_sub_f32_e32 v18, v12, v18
	v_sub_f32_e32 v18, v34, v18
	v_add_f32_e32 v9, v18, v9
	v_add_f32_e32 v18, v12, v9
	v_sub_f32_e32 v12, v18, v12
	v_sub_f32_e32 v9, v9, v12
	v_ldexp_f32 v12, v18, -2
	v_sub_f32_e32 v18, v16, v12
	v_sub_f32_e32 v16, v16, v18
	;; [unrolled: 1-line block ×3, first 2 shown]
	v_ldexp_f32 v9, v9, -2
	v_add_f32_e32 v8, v8, v12
	v_sub_f32_e32 v8, v8, v9
	v_add_f32_e32 v8, v18, v8
	v_cmp_ngt_f32_e64 vcc, |v1|, s44
	v_cndmask_b32_e32 v8, v32, v8, vcc
	v_cmp_lt_f32_e64 s[0:1], |v1|, s45
	v_cndmask_b32_e64 v8, v8, |v1|, s[0:1]
	v_xor_b32_e32 v9, 0x80000000, v1
	v_bfi_b32 v8, s27, v8, v9
	v_fma_f32 v9, v8, v8, 1.0
	v_mul_f32_e32 v12, 0x4f800000, v9
	v_cmp_gt_f32_e32 vcc, s46, v9
	v_cndmask_b32_e32 v9, v9, v12, vcc
	v_sqrt_f32_e32 v12, v9
	v_xor_b32_e32 v10, v10, v11
	v_xor_b32_e32 v10, v10, v0
	v_fma_f32 v11, v10, v10, 1.0
	v_add_u32_e32 v16, -1, v12
	v_fma_f32 v18, -v16, v12, v9
	v_cmp_ge_f32_e64 s[0:1], 0, v18
	v_add_u32_e32 v18, 1, v12
	v_cndmask_b32_e64 v16, v12, v16, s[0:1]
	v_fma_f32 v12, -v18, v12, v9
	v_cmp_lt_f32_e64 s[0:1], 0, v12
	v_cndmask_b32_e64 v12, v16, v18, s[0:1]
	v_mul_f32_e32 v16, 0x37800000, v12
	v_cndmask_b32_e32 v12, v12, v16, vcc
	v_cmp_class_f32_e32 vcc, v9, v26
	v_cndmask_b32_e32 v9, v12, v9, vcc
	v_mul_f32_e32 v12, v8, v11
	v_mul_f32_e32 v9, v9, v11
	v_fma_f32 v12, v8, v12, 1.0
	v_mul_f32_e32 v8, v8, v9
	v_div_scale_f32 v9, s[0:1], v12, v12, v8
	v_rcp_f32_e32 v11, v9
	v_fma_f32 v16, -v9, v11, 1.0
	v_fmac_f32_e32 v11, v16, v11
	v_div_scale_f32 v16, vcc, v8, v12, v8
	v_mul_f32_e32 v18, v16, v11
	v_fma_f32 v34, -v9, v18, v16
	v_fmac_f32_e32 v18, v34, v11
	v_fma_f32 v9, -v9, v18, v16
	v_div_scale_f32 v16, s[0:1], v12, v12, v10
	v_rcp_f32_e32 v34, v16
	v_div_fmas_f32 v9, v9, v11, v18
	v_div_fixup_f32 v9, v9, v12, v8
	v_fma_f32 v8, -v16, v34, 1.0
	v_fmac_f32_e32 v34, v8, v34
	v_div_scale_f32 v8, vcc, v10, v12, v10
	v_mul_f32_e32 v11, v8, v34
	v_fma_f32 v18, -v16, v11, v8
	v_fmac_f32_e32 v11, v18, v34
	v_fma_f32 v8, -v16, v11, v8
	v_div_fmas_f32 v8, v8, v34, v11
	v_div_fixup_f32 v8, v8, v12, v10
                                        ; implicit-def: $vgpr10
.LBB101_264:                            ;   in Loop: Header=BB101_180 Depth=1
	s_andn2_saveexec_b64 s[18:19], s[18:19]
	s_cbranch_execz .LBB101_274
; %bb.265:                              ;   in Loop: Header=BB101_180 Depth=1
	v_lshrrev_b32_e32 v8, 23, v10
	v_and_b32_e32 v9, 0x7fffff, v10
	v_cmp_nlt_f32_e64 s[20:21], |v0|, s31
	v_add_u32_e32 v16, 0xffffff88, v8
	v_or_b32_e32 v11, 0x800000, v9
                                        ; implicit-def: $vgpr8
                                        ; implicit-def: $vgpr9
	s_and_saveexec_b64 s[0:1], s[20:21]
	s_xor_b64 s[22:23], exec, s[0:1]
	s_cbranch_execz .LBB101_267
; %bb.266:                              ;   in Loop: Header=BB101_180 Depth=1
	v_cmp_lt_u32_e32 vcc, 63, v16
	v_cndmask_b32_e32 v8, 0, v30, vcc
	v_add_u32_e32 v8, v8, v16
	v_cmp_lt_u32_e64 s[0:1], 31, v8
	v_cndmask_b32_e64 v9, 0, v31, s[0:1]
	v_add_u32_e32 v8, v9, v8
	v_cmp_lt_u32_e64 s[2:3], 31, v8
	v_cndmask_b32_e64 v9, 0, v31, s[2:3]
	v_add_u32_e32 v18, v9, v8
	v_mad_u64_u32 v[8:9], s[4:5], v11, s33, 0
	v_mov_b32_e32 v12, v9
	v_mad_u64_u32 v[34:35], s[4:5], v11, s34, v[12:13]
	v_mov_b32_e32 v12, v35
	;; [unrolled: 2-line block ×6, first 2 shown]
	v_mad_u64_u32 v[44:45], s[4:5], v11, s39, v[12:13]
	v_cndmask_b32_e32 v9, v42, v38, vcc
	v_cndmask_b32_e32 v12, v44, v40, vcc
	;; [unrolled: 1-line block ×3, first 2 shown]
	v_cndmask_b32_e64 v35, v12, v9, s[0:1]
	v_cndmask_b32_e64 v12, v37, v12, s[0:1]
	v_cndmask_b32_e32 v37, v40, v36, vcc
	v_cndmask_b32_e64 v9, v9, v37, s[0:1]
	v_sub_u32_e32 v39, 32, v18
	v_cmp_eq_u32_e64 s[4:5], 0, v18
	v_cndmask_b32_e32 v18, v38, v34, vcc
	v_cndmask_b32_e64 v12, v12, v35, s[2:3]
	v_cndmask_b32_e64 v35, v35, v9, s[2:3]
	;; [unrolled: 1-line block ×3, first 2 shown]
	v_alignbit_b32 v40, v12, v35, v39
	v_cndmask_b32_e64 v9, v9, v34, s[2:3]
	v_cndmask_b32_e64 v12, v40, v12, s[4:5]
	v_alignbit_b32 v37, v35, v9, v39
	v_cndmask_b32_e64 v35, v37, v35, s[4:5]
	v_bfe_u32 v40, v12, 29, 1
	v_cndmask_b32_e32 v8, v36, v8, vcc
	v_alignbit_b32 v37, v12, v35, 30
	v_sub_u32_e32 v41, 0, v40
	v_cndmask_b32_e64 v8, v18, v8, s[0:1]
	v_xor_b32_e32 v42, v37, v41
	v_cndmask_b32_e64 v8, v34, v8, s[2:3]
	v_alignbit_b32 v18, v9, v8, v39
	v_ffbh_u32_e32 v34, v42
	v_cndmask_b32_e64 v9, v18, v9, s[4:5]
	v_add_u32_e32 v34, 1, v34
	v_cmp_ne_u32_e32 vcc, v37, v41
	v_alignbit_b32 v18, v35, v9, 30
	v_cndmask_b32_e32 v34, 33, v34, vcc
	v_alignbit_b32 v8, v9, v8, 30
	v_xor_b32_e32 v18, v18, v41
	v_sub_u32_e32 v35, 32, v34
	v_xor_b32_e32 v8, v8, v41
	v_alignbit_b32 v36, v42, v18, v35
	v_alignbit_b32 v8, v18, v8, v35
	;; [unrolled: 1-line block ×3, first 2 shown]
	v_ffbh_u32_e32 v18, v9
	v_min_u32_e32 v18, 32, v18
	v_lshrrev_b32_e32 v38, 29, v12
	v_sub_u32_e32 v35, 31, v18
	v_alignbit_b32 v8, v9, v8, v35
	v_lshlrev_b32_e32 v9, 31, v38
	v_or_b32_e32 v35, 0x33800000, v9
	v_add_lshl_u32 v18, v18, v34, 23
	v_lshrrev_b32_e32 v8, 9, v8
	v_sub_u32_e32 v18, v35, v18
	v_or_b32_e32 v8, v18, v8
	v_alignbit_b32 v18, v34, v36, 9
	v_or_b32_e32 v9, v18, v9
	v_xor_b32_e32 v9, 1.0, v9
	v_mul_f32_e32 v18, 0x3fc90fda, v9
	v_fma_f32 v34, v9, s40, -v18
	v_fmac_f32_e32 v34, 0x33a22168, v9
	v_fmac_f32_e32 v34, 0x3fc90fda, v8
	v_lshrrev_b32_e32 v8, 30, v12
	v_add_f32_e32 v9, v18, v34
	v_add_u32_e32 v8, v40, v8
	s_andn2_saveexec_b64 s[0:1], s[22:23]
	s_branch .LBB101_268
.LBB101_267:                            ;   in Loop: Header=BB101_180 Depth=1
	s_andn2_saveexec_b64 s[0:1], s[22:23]
.LBB101_268:                            ;   in Loop: Header=BB101_180 Depth=1
	v_mul_f32_e64 v8, |v0|, s41
	v_rndne_f32_e32 v12, v8
	v_cvt_i32_f32_e32 v8, v12
	v_fma_f32 v9, v12, s42, |v0|
	v_fmac_f32_e32 v9, 0xb3a22168, v12
	v_fmac_f32_e32 v9, 0xa7c234c4, v12
; %bb.269:                              ;   in Loop: Header=BB101_180 Depth=1
	s_or_b64 exec, exec, s[0:1]
                                        ; implicit-def: $vgpr12
                                        ; implicit-def: $vgpr18
	s_and_saveexec_b64 s[0:1], s[20:21]
	s_xor_b64 s[20:21], exec, s[0:1]
	s_cbranch_execz .LBB101_271
; %bb.270:                              ;   in Loop: Header=BB101_180 Depth=1
	v_cmp_lt_u32_e32 vcc, 63, v16
	v_cndmask_b32_e32 v12, 0, v30, vcc
	v_add_u32_e32 v12, v12, v16
	v_cmp_lt_u32_e64 s[0:1], 31, v12
	v_cndmask_b32_e64 v16, 0, v31, s[0:1]
	v_add_u32_e32 v12, v16, v12
	v_cmp_lt_u32_e64 s[2:3], 31, v12
	v_cndmask_b32_e64 v16, 0, v31, s[2:3]
	v_mad_u64_u32 v[34:35], s[4:5], v11, s33, 0
	v_add_u32_e32 v16, v16, v12
	v_mov_b32_e32 v12, v35
	v_mad_u64_u32 v[36:37], s[4:5], v11, s34, v[12:13]
	v_mov_b32_e32 v12, v37
	v_mad_u64_u32 v[38:39], s[4:5], v11, s35, v[12:13]
	;; [unrolled: 2-line block ×6, first 2 shown]
	v_cndmask_b32_e32 v18, v44, v40, vcc
	v_cndmask_b32_e32 v11, v46, v42, vcc
	;; [unrolled: 1-line block ×3, first 2 shown]
	v_cndmask_b32_e64 v12, v11, v18, s[0:1]
	v_cndmask_b32_e64 v11, v35, v11, s[0:1]
	v_cndmask_b32_e32 v35, v42, v38, vcc
	v_cndmask_b32_e64 v18, v18, v35, s[0:1]
	v_sub_u32_e32 v37, 32, v16
	v_cmp_eq_u32_e64 s[4:5], 0, v16
	v_cndmask_b32_e32 v16, v40, v36, vcc
	v_cndmask_b32_e64 v11, v11, v12, s[2:3]
	v_cndmask_b32_e64 v12, v12, v18, s[2:3]
	;; [unrolled: 1-line block ×3, first 2 shown]
	v_alignbit_b32 v39, v11, v12, v37
	v_cndmask_b32_e64 v18, v18, v35, s[2:3]
	v_cndmask_b32_e64 v11, v39, v11, s[4:5]
	v_alignbit_b32 v36, v12, v18, v37
	v_cndmask_b32_e32 v34, v38, v34, vcc
	v_cndmask_b32_e64 v12, v36, v12, s[4:5]
	v_bfe_u32 v40, v11, 29, 1
	v_cndmask_b32_e64 v16, v16, v34, s[0:1]
	v_alignbit_b32 v36, v11, v12, 30
	v_sub_u32_e32 v41, 0, v40
	v_cndmask_b32_e64 v16, v35, v16, s[2:3]
	v_xor_b32_e32 v42, v36, v41
	v_alignbit_b32 v34, v18, v16, v37
	v_cndmask_b32_e64 v18, v34, v18, s[4:5]
	v_ffbh_u32_e32 v34, v42
	v_add_u32_e32 v34, 1, v34
	v_cmp_ne_u32_e32 vcc, v36, v41
	v_alignbit_b32 v12, v12, v18, 30
	v_cndmask_b32_e32 v34, 33, v34, vcc
	v_alignbit_b32 v16, v18, v16, 30
	v_xor_b32_e32 v12, v12, v41
	v_sub_u32_e32 v35, 32, v34
	v_xor_b32_e32 v16, v16, v41
	v_alignbit_b32 v36, v42, v12, v35
	v_alignbit_b32 v12, v12, v16, v35
	;; [unrolled: 1-line block ×3, first 2 shown]
	v_ffbh_u32_e32 v18, v16
	v_min_u32_e32 v18, 32, v18
	v_lshrrev_b32_e32 v39, 29, v11
	v_sub_u32_e32 v35, 31, v18
	v_alignbit_b32 v12, v16, v12, v35
	v_lshlrev_b32_e32 v16, 31, v39
	v_or_b32_e32 v35, 0x33800000, v16
	v_add_lshl_u32 v18, v18, v34, 23
	v_lshrrev_b32_e32 v12, 9, v12
	v_sub_u32_e32 v18, v35, v18
	v_or_b32_e32 v12, v18, v12
	v_alignbit_b32 v18, v34, v36, 9
	v_or_b32_e32 v16, v18, v16
	v_xor_b32_e32 v16, 1.0, v16
	v_mul_f32_e32 v18, 0x3fc90fda, v16
	v_fma_f32 v34, v16, s40, -v18
	v_fmac_f32_e32 v34, 0x33a22168, v16
	v_fmac_f32_e32 v34, 0x3fc90fda, v12
	v_lshrrev_b32_e32 v11, 30, v11
	v_add_f32_e32 v18, v18, v34
	v_add_u32_e32 v12, v40, v11
	s_andn2_saveexec_b64 s[0:1], s[20:21]
	s_cbranch_execnz .LBB101_272
	s_branch .LBB101_273
.LBB101_271:                            ;   in Loop: Header=BB101_180 Depth=1
	s_andn2_saveexec_b64 s[0:1], s[20:21]
.LBB101_272:                            ;   in Loop: Header=BB101_180 Depth=1
	v_mul_f32_e64 v11, |v0|, s41
	v_rndne_f32_e32 v11, v11
	v_cvt_i32_f32_e32 v12, v11
	v_fma_f32 v18, v11, s42, |v0|
	v_fmac_f32_e32 v18, 0xb3a22168, v11
	v_fmac_f32_e32 v18, 0xa7c234c4, v11
.LBB101_273:                            ;   in Loop: Header=BB101_180 Depth=1
	s_or_b64 exec, exec, s[0:1]
	v_mul_f32_e32 v11, v9, v9
	v_mov_b32_e32 v16, 0x3c0881c4
	v_fmac_f32_e32 v16, 0xb94c1982, v11
	v_fma_f32 v16, v11, v16, v27
	v_mul_f32_e32 v16, v11, v16
	v_fmac_f32_e32 v9, v9, v16
	v_mov_b32_e32 v16, 0xbab64f3b
	v_fmac_f32_e32 v16, 0x37d75334, v11
	v_fma_f32 v16, v11, v16, v28
	v_fma_f32 v16, v11, v16, v29
	v_fma_f32 v11, v11, v16, 1.0
	v_and_b32_e32 v16, 1, v8
	v_lshlrev_b32_e32 v8, 30, v8
	v_and_b32_e32 v8, 0x80000000, v8
	v_cmp_eq_u32_e32 vcc, 0, v16
	v_xor_b32_e32 v8, v10, v8
	v_mul_f32_e64 v10, |v1|, s47
	v_cndmask_b32_e32 v9, v11, v9, vcc
	v_rndne_f32_e32 v11, v10
	v_sub_f32_e32 v16, v10, v11
	v_fma_f32 v10, |v1|, s47, -v10
	v_fma_f32 v10, |v1|, s48, v10
	v_add_f32_e32 v10, v16, v10
	v_exp_f32_e32 v10, v10
	v_cvt_i32_f32_e32 v11, v11
	v_xor_b32_e32 v8, v8, v9
	v_mov_b32_e32 v16, 0x3c0881c4
	v_cmp_ngt_f32_e64 vcc, |v1|, s49
	v_ldexp_f32 v9, v10, v11
	v_mul_f32_e32 v11, v18, v18
	v_fmac_f32_e32 v16, 0xb94c1982, v11
	v_fma_f32 v16, v11, v16, v27
	v_mul_f32_e32 v16, v11, v16
	v_fmac_f32_e32 v18, v18, v16
	v_mov_b32_e32 v16, 0xbab64f3b
	v_fmac_f32_e32 v16, 0x37d75334, v11
	v_fma_f32 v16, v11, v16, v28
	v_fma_f32 v16, v11, v16, v29
	v_cndmask_b32_e32 v9, 0, v9, vcc
	v_cmp_nlt_f32_e64 vcc, |v1|, s50
	v_fma_f32 v11, v11, v16, 1.0
	v_and_b32_e32 v16, 1, v12
	v_cndmask_b32_e32 v10, v32, v9, vcc
	v_cmp_eq_u32_e32 vcc, 0, v16
	v_lshlrev_b32_e32 v12, 30, v12
	v_xor_b32_e32 v8, v8, v0
	v_cndmask_b32_e64 v11, -v18, v11, vcc
	v_and_b32_e32 v12, 0x80000000, v12
	v_mul_f32_e32 v8, 4.0, v8
	v_xor_b32_e32 v11, v12, v11
	v_mul_f32_e32 v8, v8, v11
	v_xor_b32_e32 v9, 0x80000000, v1
	v_mul_f32_e32 v8, v10, v8
	v_bfi_b32 v9, s27, 1.0, v9
	v_mul_f32_e32 v8, v10, v8
.LBB101_274:                            ;   in Loop: Header=BB101_180 Depth=1
	s_or_b64 exec, exec, s[18:19]
.LBB101_275:                            ;   in Loop: Header=BB101_180 Depth=1
	s_andn2_saveexec_b64 s[0:1], s[14:15]
; %bb.276:                              ;   in Loop: Header=BB101_180 Depth=1
	v_sub_f32_e32 v8, v0, v0
	v_mov_b32_e32 v9, v8
; %bb.277:                              ;   in Loop: Header=BB101_180 Depth=1
	s_or_b64 exec, exec, s[0:1]
.LBB101_278:                            ;   in Loop: Header=BB101_180 Depth=1
	s_andn2_saveexec_b64 s[12:13], s[12:13]
	s_cbranch_execz .LBB101_294
; %bb.279:                              ;   in Loop: Header=BB101_180 Depth=1
	v_xor_b32_e32 v9, 0x80000000, v1
	v_and_b32_e32 v8, 0x7fffff, v9
	v_cmp_ne_u32_e32 vcc, 0, v8
                                        ; implicit-def: $vgpr8
	s_and_saveexec_b64 s[0:1], vcc
	s_xor_b64 s[0:1], exec, s[0:1]
; %bb.280:                              ;   in Loop: Header=BB101_180 Depth=1
	v_mul_f32_e64 v1, v0, -v1
	v_cmp_eq_f32_e32 vcc, 0, v0
	v_cndmask_b32_e32 v8, v1, v0, vcc
; %bb.281:                              ;   in Loop: Header=BB101_180 Depth=1
	s_andn2_saveexec_b64 s[14:15], s[0:1]
	s_cbranch_execz .LBB101_293
; %bb.282:                              ;   in Loop: Header=BB101_180 Depth=1
	v_cmp_neq_f32_e64 s[0:1], |v0|, s28
	s_and_saveexec_b64 s[18:19], s[0:1]
	s_cbranch_execz .LBB101_292
; %bb.283:                              ;   in Loop: Header=BB101_180 Depth=1
	v_and_b32_e32 v1, 0x7fffffff, v0
	v_lshrrev_b32_e32 v8, 23, v1
	v_and_b32_e32 v10, 0x7fffff, v1
	v_cmp_nlt_f32_e64 s[20:21], |v0|, s31
	v_add_u32_e32 v16, 0xffffff88, v8
	v_or_b32_e32 v11, 0x800000, v10
                                        ; implicit-def: $vgpr8
                                        ; implicit-def: $vgpr10
	s_and_saveexec_b64 s[0:1], s[20:21]
	s_xor_b64 s[22:23], exec, s[0:1]
	s_cbranch_execz .LBB101_285
; %bb.284:                              ;   in Loop: Header=BB101_180 Depth=1
	v_mad_u64_u32 v[34:35], s[4:5], v11, s33, 0
	v_mov_b32_e32 v12, v35
	v_mad_u64_u32 v[36:37], s[4:5], v11, s34, v[12:13]
	v_mov_b32_e32 v12, v37
	v_mad_u64_u32 v[38:39], s[4:5], v11, s35, v[12:13]
	v_cmp_lt_u32_e32 vcc, 63, v16
	v_mov_b32_e32 v12, v39
	v_cndmask_b32_e32 v8, 0, v30, vcc
	v_mad_u64_u32 v[40:41], s[4:5], v11, s36, v[12:13]
	v_add_u32_e32 v8, v8, v16
	v_mov_b32_e32 v12, v41
	v_cmp_lt_u32_e64 s[0:1], 31, v8
	v_mad_u64_u32 v[42:43], s[4:5], v11, s37, v[12:13]
	v_cndmask_b32_e64 v10, 0, v31, s[0:1]
	v_mov_b32_e32 v12, v43
	v_add_u32_e32 v8, v10, v8
	v_mad_u64_u32 v[44:45], s[4:5], v11, s38, v[12:13]
	v_cmp_lt_u32_e64 s[2:3], 31, v8
	v_mov_b32_e32 v12, v45
	v_cndmask_b32_e64 v10, 0, v31, s[2:3]
	v_mad_u64_u32 v[46:47], s[4:5], v11, s39, v[12:13]
	v_add_u32_e32 v8, v10, v8
	v_cndmask_b32_e32 v10, v44, v40, vcc
	v_cndmask_b32_e32 v12, v46, v42, vcc
	;; [unrolled: 1-line block ×3, first 2 shown]
	v_cndmask_b32_e64 v18, v12, v10, s[0:1]
	v_cndmask_b32_e64 v12, v35, v12, s[0:1]
	v_cndmask_b32_e32 v35, v42, v38, vcc
	v_cndmask_b32_e64 v10, v10, v35, s[0:1]
	v_cndmask_b32_e64 v12, v12, v18, s[2:3]
	;; [unrolled: 1-line block ×3, first 2 shown]
	v_sub_u32_e32 v37, 32, v8
	v_alignbit_b32 v39, v12, v18, v37
	v_cmp_eq_u32_e64 s[4:5], 0, v8
	v_cndmask_b32_e64 v8, v39, v12, s[4:5]
	v_cndmask_b32_e32 v12, v40, v36, vcc
	v_cndmask_b32_e64 v35, v35, v12, s[0:1]
	v_cndmask_b32_e64 v10, v10, v35, s[2:3]
	v_alignbit_b32 v36, v18, v10, v37
	v_cndmask_b32_e32 v34, v38, v34, vcc
	v_cndmask_b32_e64 v18, v36, v18, s[4:5]
	v_bfe_u32 v40, v8, 29, 1
	v_cndmask_b32_e64 v12, v12, v34, s[0:1]
	v_alignbit_b32 v36, v8, v18, 30
	v_sub_u32_e32 v41, 0, v40
	v_cndmask_b32_e64 v12, v35, v12, s[2:3]
	v_xor_b32_e32 v42, v36, v41
	v_alignbit_b32 v34, v10, v12, v37
	v_cndmask_b32_e64 v10, v34, v10, s[4:5]
	v_ffbh_u32_e32 v34, v42
	v_add_u32_e32 v34, 1, v34
	v_cmp_ne_u32_e32 vcc, v36, v41
	v_alignbit_b32 v18, v18, v10, 30
	v_cndmask_b32_e32 v34, 33, v34, vcc
	v_alignbit_b32 v10, v10, v12, 30
	v_xor_b32_e32 v18, v18, v41
	v_sub_u32_e32 v35, 32, v34
	v_xor_b32_e32 v10, v10, v41
	v_alignbit_b32 v36, v42, v18, v35
	v_alignbit_b32 v10, v18, v10, v35
	v_alignbit_b32 v12, v36, v10, 9
	v_ffbh_u32_e32 v18, v12
	v_min_u32_e32 v18, 32, v18
	v_lshrrev_b32_e32 v39, 29, v8
	v_sub_u32_e32 v35, 31, v18
	v_alignbit_b32 v10, v12, v10, v35
	v_lshlrev_b32_e32 v12, 31, v39
	v_or_b32_e32 v35, 0x33800000, v12
	v_add_lshl_u32 v18, v18, v34, 23
	v_lshrrev_b32_e32 v10, 9, v10
	v_sub_u32_e32 v18, v35, v18
	v_or_b32_e32 v10, v18, v10
	v_alignbit_b32 v18, v34, v36, 9
	v_or_b32_e32 v12, v18, v12
	v_xor_b32_e32 v12, 1.0, v12
	v_mul_f32_e32 v18, 0x3fc90fda, v12
	v_fma_f32 v34, v12, s40, -v18
	v_fmac_f32_e32 v34, 0x33a22168, v12
	v_fmac_f32_e32 v34, 0x3fc90fda, v10
	v_lshrrev_b32_e32 v8, 30, v8
	v_add_f32_e32 v10, v18, v34
	v_add_u32_e32 v8, v40, v8
.LBB101_285:                            ;   in Loop: Header=BB101_180 Depth=1
	s_or_saveexec_b64 s[0:1], s[22:23]
	v_mul_f32_e64 v12, |v0|, s41
	v_rndne_f32_e32 v34, v12
	s_xor_b64 exec, exec, s[0:1]
; %bb.286:                              ;   in Loop: Header=BB101_180 Depth=1
	v_cvt_i32_f32_e32 v8, v34
	v_fma_f32 v10, v34, s42, |v0|
	v_fmac_f32_e32 v10, 0xb3a22168, v34
	v_fmac_f32_e32 v10, 0xa7c234c4, v34
; %bb.287:                              ;   in Loop: Header=BB101_180 Depth=1
	s_or_b64 exec, exec, s[0:1]
                                        ; implicit-def: $vgpr12
                                        ; implicit-def: $vgpr18
	s_and_saveexec_b64 s[0:1], s[20:21]
	s_xor_b64 s[20:21], exec, s[0:1]
	s_cbranch_execz .LBB101_289
; %bb.288:                              ;   in Loop: Header=BB101_180 Depth=1
	v_cmp_lt_u32_e32 vcc, 63, v16
	v_cndmask_b32_e32 v12, 0, v30, vcc
	v_add_u32_e32 v12, v12, v16
	v_cmp_lt_u32_e64 s[0:1], 31, v12
	v_cndmask_b32_e64 v16, 0, v31, s[0:1]
	v_add_u32_e32 v12, v16, v12
	v_cmp_lt_u32_e64 s[2:3], 31, v12
	v_cndmask_b32_e64 v16, 0, v31, s[2:3]
	v_mad_u64_u32 v[34:35], s[4:5], v11, s33, 0
	v_add_u32_e32 v16, v16, v12
	v_mov_b32_e32 v12, v35
	v_mad_u64_u32 v[36:37], s[4:5], v11, s34, v[12:13]
	v_mov_b32_e32 v12, v37
	v_mad_u64_u32 v[38:39], s[4:5], v11, s35, v[12:13]
	;; [unrolled: 2-line block ×6, first 2 shown]
	v_cndmask_b32_e32 v18, v44, v40, vcc
	v_cndmask_b32_e32 v11, v46, v42, vcc
	;; [unrolled: 1-line block ×3, first 2 shown]
	v_cndmask_b32_e64 v12, v11, v18, s[0:1]
	v_cndmask_b32_e64 v11, v35, v11, s[0:1]
	v_cndmask_b32_e32 v35, v42, v38, vcc
	v_cndmask_b32_e64 v18, v18, v35, s[0:1]
	v_sub_u32_e32 v37, 32, v16
	v_cmp_eq_u32_e64 s[4:5], 0, v16
	v_cndmask_b32_e32 v16, v40, v36, vcc
	v_cndmask_b32_e64 v11, v11, v12, s[2:3]
	v_cndmask_b32_e64 v12, v12, v18, s[2:3]
	;; [unrolled: 1-line block ×3, first 2 shown]
	v_alignbit_b32 v39, v11, v12, v37
	v_cndmask_b32_e64 v18, v18, v35, s[2:3]
	v_cndmask_b32_e64 v11, v39, v11, s[4:5]
	v_alignbit_b32 v36, v12, v18, v37
	v_cndmask_b32_e32 v34, v38, v34, vcc
	v_cndmask_b32_e64 v12, v36, v12, s[4:5]
	v_bfe_u32 v40, v11, 29, 1
	v_cndmask_b32_e64 v16, v16, v34, s[0:1]
	v_alignbit_b32 v36, v11, v12, 30
	v_sub_u32_e32 v41, 0, v40
	v_cndmask_b32_e64 v16, v35, v16, s[2:3]
	v_xor_b32_e32 v42, v36, v41
	v_alignbit_b32 v34, v18, v16, v37
	v_cndmask_b32_e64 v18, v34, v18, s[4:5]
	v_ffbh_u32_e32 v34, v42
	v_add_u32_e32 v34, 1, v34
	v_cmp_ne_u32_e32 vcc, v36, v41
	v_alignbit_b32 v12, v12, v18, 30
	v_cndmask_b32_e32 v34, 33, v34, vcc
	v_alignbit_b32 v16, v18, v16, 30
	v_xor_b32_e32 v12, v12, v41
	v_sub_u32_e32 v35, 32, v34
	v_xor_b32_e32 v16, v16, v41
	v_alignbit_b32 v36, v42, v12, v35
	v_alignbit_b32 v12, v12, v16, v35
	;; [unrolled: 1-line block ×3, first 2 shown]
	v_ffbh_u32_e32 v18, v16
	v_min_u32_e32 v18, 32, v18
	v_lshrrev_b32_e32 v39, 29, v11
	v_sub_u32_e32 v35, 31, v18
	v_alignbit_b32 v12, v16, v12, v35
	v_lshlrev_b32_e32 v16, 31, v39
	v_or_b32_e32 v35, 0x33800000, v16
	v_add_lshl_u32 v18, v18, v34, 23
	v_lshrrev_b32_e32 v12, 9, v12
	v_sub_u32_e32 v18, v35, v18
	v_or_b32_e32 v12, v18, v12
	v_alignbit_b32 v18, v34, v36, 9
	v_or_b32_e32 v16, v18, v16
	v_xor_b32_e32 v16, 1.0, v16
	v_mul_f32_e32 v18, 0x3fc90fda, v16
	v_fma_f32 v34, v16, s40, -v18
	v_fmac_f32_e32 v34, 0x33a22168, v16
	v_fmac_f32_e32 v34, 0x3fc90fda, v12
	v_lshrrev_b32_e32 v11, 30, v11
	v_add_f32_e32 v18, v18, v34
	v_add_u32_e32 v12, v40, v11
                                        ; implicit-def: $vgpr34
	s_andn2_saveexec_b64 s[0:1], s[20:21]
	s_cbranch_execnz .LBB101_290
	s_branch .LBB101_291
.LBB101_289:                            ;   in Loop: Header=BB101_180 Depth=1
	s_andn2_saveexec_b64 s[0:1], s[20:21]
.LBB101_290:                            ;   in Loop: Header=BB101_180 Depth=1
	v_cvt_i32_f32_e32 v12, v34
	v_fma_f32 v18, v34, s42, |v0|
	v_fmac_f32_e32 v18, 0xb3a22168, v34
	v_fmac_f32_e32 v18, 0xa7c234c4, v34
.LBB101_291:                            ;   in Loop: Header=BB101_180 Depth=1
	s_or_b64 exec, exec, s[0:1]
	v_mul_f32_e32 v11, v10, v10
	v_mov_b32_e32 v16, 0x3c0881c4
	v_fmac_f32_e32 v16, 0xb94c1982, v11
	v_fma_f32 v16, v11, v16, v27
	v_mul_f32_e32 v16, v11, v16
	v_fmac_f32_e32 v10, v10, v16
	v_mov_b32_e32 v16, 0xbab64f3b
	v_fmac_f32_e32 v16, 0x37d75334, v11
	v_fma_f32 v16, v11, v16, v28
	v_fma_f32 v16, v11, v16, v29
	v_fma_f32 v11, v11, v16, 1.0
	v_and_b32_e32 v16, 1, v8
	v_lshlrev_b32_e32 v8, 30, v8
	v_cmp_eq_u32_e32 vcc, 0, v16
	v_and_b32_e32 v8, 0x80000000, v8
	v_cndmask_b32_e32 v10, v11, v10, vcc
	v_xor_b32_e32 v1, v1, v8
	v_xor_b32_e32 v1, v1, v10
	v_mul_f32_e32 v8, v18, v18
	v_mov_b32_e32 v10, 0x3c0881c4
	v_fmac_f32_e32 v10, 0xb94c1982, v8
	v_fma_f32 v10, v8, v10, v27
	v_mul_f32_e32 v10, v8, v10
	v_fmac_f32_e32 v18, v18, v10
	v_mov_b32_e32 v10, 0xbab64f3b
	v_fmac_f32_e32 v10, 0x37d75334, v8
	v_fma_f32 v10, v8, v10, v28
	v_fma_f32 v10, v8, v10, v29
	v_fma_f32 v8, v8, v10, 1.0
	v_and_b32_e32 v10, 1, v12
	v_cmp_eq_u32_e32 vcc, 0, v10
	v_lshlrev_b32_e32 v10, 30, v12
	v_cndmask_b32_e64 v8, -v18, v8, vcc
	v_and_b32_e32 v10, 0x80000000, v10
	v_xor_b32_e32 v1, v1, v0
	v_xor_b32_e32 v8, v10, v8
	v_mul_f32_e32 v1, v1, v8
	v_cmp_class_f32_e64 vcc, v0, s29
	v_cndmask_b32_e32 v0, v33, v1, vcc
.LBB101_292:                            ;   in Loop: Header=BB101_180 Depth=1
	s_or_b64 exec, exec, s[18:19]
	v_add_u32_e32 v9, -2.0, v9
	v_bfi_b32 v8, s27, 0, v0
.LBB101_293:                            ;   in Loop: Header=BB101_180 Depth=1
	s_or_b64 exec, exec, s[14:15]
.LBB101_294:                            ;   in Loop: Header=BB101_180 Depth=1
	s_or_b64 exec, exec, s[12:13]
	v_and_b32_e32 v16, 0x7fffffff, v3
	v_cmp_gt_u32_e32 vcc, s28, v16
                                        ; implicit-def: $vgpr11
	s_and_saveexec_b64 s[0:1], vcc
	s_xor_b64 s[12:13], exec, s[0:1]
	s_cbranch_execz .LBB101_316
; %bb.295:                              ;   in Loop: Header=BB101_180 Depth=1
	v_cmp_class_f32_e64 s[0:1], v2, s29
                                        ; implicit-def: $vgpr11
	s_and_saveexec_b64 s[2:3], s[0:1]
	s_xor_b64 s[14:15], exec, s[2:3]
	s_cbranch_execz .LBB101_313
; %bb.296:                              ;   in Loop: Header=BB101_180 Depth=1
	v_and_b32_e32 v0, 0x7fffffff, v2
	v_cmp_gt_u32_e32 vcc, s30, v16
                                        ; implicit-def: $vgpr11
	s_and_saveexec_b64 s[0:1], vcc
	s_xor_b64 s[18:19], exec, s[0:1]
	s_cbranch_execz .LBB101_302
; %bb.297:                              ;   in Loop: Header=BB101_180 Depth=1
	v_cmp_nlt_f32_e64 s[0:1], |v2|, s31
                                        ; implicit-def: $vgpr10
                                        ; implicit-def: $vgpr1
	s_and_saveexec_b64 s[2:3], s[0:1]
	s_xor_b64 s[20:21], exec, s[2:3]
	s_cbranch_execz .LBB101_299
; %bb.298:                              ;   in Loop: Header=BB101_180 Depth=1
	v_lshrrev_b32_e32 v1, 23, v0
	v_add_u32_e32 v1, 0xffffff88, v1
	v_cmp_lt_u32_e32 vcc, 63, v1
	v_cndmask_b32_e32 v10, 0, v30, vcc
	v_add_u32_e32 v1, v10, v1
	v_cmp_lt_u32_e64 s[0:1], 31, v1
	v_cndmask_b32_e64 v10, 0, v31, s[0:1]
	v_add_u32_e32 v1, v10, v1
	v_cmp_lt_u32_e64 s[2:3], 31, v1
	v_cndmask_b32_e64 v10, 0, v31, s[2:3]
	v_add_u32_e32 v1, v10, v1
	v_and_b32_e32 v10, 0x7fffff, v0
	v_or_b32_e32 v18, 0x800000, v10
	v_mad_u64_u32 v[10:11], s[4:5], v18, s33, 0
	v_mov_b32_e32 v12, v11
	v_mad_u64_u32 v[34:35], s[4:5], v18, s34, v[12:13]
	v_mov_b32_e32 v12, v35
	;; [unrolled: 2-line block ×6, first 2 shown]
	v_mad_u64_u32 v[44:45], s[4:5], v18, s39, v[12:13]
	v_cndmask_b32_e32 v11, v42, v38, vcc
	v_cndmask_b32_e32 v12, v44, v40, vcc
	;; [unrolled: 1-line block ×3, first 2 shown]
	v_cndmask_b32_e64 v18, v12, v11, s[0:1]
	v_cndmask_b32_e64 v12, v35, v12, s[0:1]
	v_cndmask_b32_e32 v35, v40, v36, vcc
	v_cndmask_b32_e64 v11, v11, v35, s[0:1]
	v_sub_u32_e32 v37, 32, v1
	v_cmp_eq_u32_e64 s[4:5], 0, v1
	v_cndmask_b32_e32 v1, v38, v34, vcc
	v_cndmask_b32_e64 v12, v12, v18, s[2:3]
	v_cndmask_b32_e64 v18, v18, v11, s[2:3]
	;; [unrolled: 1-line block ×3, first 2 shown]
	v_alignbit_b32 v39, v12, v18, v37
	v_cndmask_b32_e64 v11, v11, v34, s[2:3]
	v_cndmask_b32_e32 v10, v36, v10, vcc
	v_cndmask_b32_e64 v12, v39, v12, s[4:5]
	v_alignbit_b32 v35, v18, v11, v37
	v_cndmask_b32_e64 v1, v1, v10, s[0:1]
	v_cndmask_b32_e64 v18, v35, v18, s[4:5]
	v_bfe_u32 v39, v12, 29, 1
	v_cndmask_b32_e64 v1, v34, v1, s[2:3]
	v_alignbit_b32 v35, v12, v18, 30
	v_sub_u32_e32 v40, 0, v39
	v_alignbit_b32 v10, v11, v1, v37
	v_xor_b32_e32 v41, v35, v40
	v_cndmask_b32_e64 v10, v10, v11, s[4:5]
	v_alignbit_b32 v11, v18, v10, 30
	v_ffbh_u32_e32 v18, v41
	v_add_u32_e32 v18, 1, v18
	v_cmp_ne_u32_e32 vcc, v35, v40
	v_cndmask_b32_e32 v18, 33, v18, vcc
	v_alignbit_b32 v1, v10, v1, 30
	v_xor_b32_e32 v11, v11, v40
	v_sub_u32_e32 v34, 32, v18
	v_xor_b32_e32 v1, v1, v40
	v_alignbit_b32 v35, v41, v11, v34
	v_alignbit_b32 v1, v11, v1, v34
	;; [unrolled: 1-line block ×3, first 2 shown]
	v_ffbh_u32_e32 v11, v10
	v_min_u32_e32 v11, 32, v11
	v_lshrrev_b32_e32 v38, 29, v12
	v_sub_u32_e32 v34, 31, v11
	v_alignbit_b32 v1, v10, v1, v34
	v_lshlrev_b32_e32 v10, 31, v38
	v_or_b32_e32 v34, 0x33800000, v10
	v_add_lshl_u32 v11, v11, v18, 23
	v_lshrrev_b32_e32 v1, 9, v1
	v_sub_u32_e32 v11, v34, v11
	v_or_b32_e32 v1, v11, v1
	v_alignbit_b32 v11, v18, v35, 9
	v_or_b32_e32 v10, v11, v10
	v_xor_b32_e32 v10, 1.0, v10
	v_mul_f32_e32 v11, 0x3fc90fda, v10
	v_fma_f32 v18, v10, s40, -v11
	v_fmac_f32_e32 v18, 0x33a22168, v10
	v_fmac_f32_e32 v18, 0x3fc90fda, v1
	v_lshrrev_b32_e32 v10, 30, v12
	v_add_f32_e32 v1, v11, v18
	v_add_u32_e32 v10, v39, v10
.LBB101_299:                            ;   in Loop: Header=BB101_180 Depth=1
	s_andn2_saveexec_b64 s[0:1], s[20:21]
; %bb.300:                              ;   in Loop: Header=BB101_180 Depth=1
	v_mul_f32_e64 v1, |v2|, s41
	v_rndne_f32_e32 v11, v1
	v_cvt_i32_f32_e32 v10, v11
	v_fma_f32 v1, v11, s42, |v2|
	v_fmac_f32_e32 v1, 0xb3a22168, v11
	v_fmac_f32_e32 v1, 0xa7c234c4, v11
; %bb.301:                              ;   in Loop: Header=BB101_180 Depth=1
	s_or_b64 exec, exec, s[0:1]
	v_mul_f32_e32 v11, v1, v1
	v_mov_b32_e32 v12, 0xbf039337
	v_fmac_f32_e32 v12, 0x3c971480, v11
	v_fma_f32 v12, v11, v12, v22
	v_rcp_f32_e32 v12, v12
	v_mov_b32_e32 v18, 0x3ec54587
	v_fmac_f32_e32 v18, 0xbc8cedd3, v11
	v_and_b32_e32 v10, 1, v10
	v_mul_f32_e32 v12, v18, v12
	v_mul_f32_e32 v11, v11, v12
	v_fma_f32 v12, v11, v1, v1
	v_rcp_f32_e32 v18, v12
	v_sub_f32_e32 v34, v12, v1
	v_fma_f32 v1, v11, v1, -v34
	v_cmp_eq_u32_e32 vcc, 0, v10
	v_fma_f32 v11, v12, -v18, 1.0
	v_fma_f32 v1, v1, -v18, v11
	v_fma_f32 v1, v1, -v18, -v18
	v_cndmask_b32_e32 v1, v1, v12, vcc
	v_add_f32_e64 v12, |v3|, s43
	v_sub_f32_e64 v11, v12, |v3|
	v_sub_f32_e32 v10, v11, v12
	v_pk_add_f32 v[10:11], v[16:17], v[10:11]
	v_sub_f32_e32 v10, v10, v11
	v_add_f32_e32 v10, 0x3102e308, v10
	v_add_f32_e32 v11, v12, v10
	v_sub_f32_e32 v12, v12, v11
	v_add_f32_e32 v10, v10, v12
	v_mul_f32_e32 v12, 0x3fb8aa3b, v11
	v_rndne_f32_e32 v12, v12
	v_fmac_f32_e32 v11, 0xbf317200, v12
	v_add_f32_e32 v16, v10, v11
	v_mul_f32_e32 v18, 0x35bfbc00, v12
	v_sub_f32_e32 v34, v16, v18
	v_sub_f32_e32 v11, v11, v16
	;; [unrolled: 1-line block ×3, first 2 shown]
	v_add_f32_e32 v10, v10, v11
	v_sub_f32_e32 v16, v16, v18
	v_add_f32_e32 v16, v10, v16
	v_add_f32_e32 v35, v34, v16
	v_mul_f32_e32 v11, 0x2ea39ef3, v12
	v_mov_b32_e32 v10, v35
	v_pk_add_f32 v[36:37], v[34:35], v[10:11] neg_lo:[0,1] neg_hi:[0,1]
	v_sub_f32_e32 v10, v35, v37
	v_sub_f32_e32 v10, v10, v11
	v_add_f32_e32 v11, v16, v36
	v_add_f32_e32 v10, v11, v10
	;; [unrolled: 1-line block ×3, first 2 shown]
	v_sub_f32_e32 v18, v37, v11
	v_mov_b32_e32 v16, 0x3c091de6
	v_add_f32_e32 v10, v10, v18
	v_mul_f32_e32 v34, v11, v11
	v_fmac_f32_e32 v16, 0x3ab42872, v11
	v_add_f32_e32 v18, v10, v10
	v_fma_f32 v35, v11, v11, -v34
	v_fma_f32 v16, v11, v16, v23
	v_fmac_f32_e32 v35, v11, v18
	v_fma_f32 v16, v11, v16, v24
	v_add_f32_e32 v18, v34, v35
	v_fma_f32 v16, v11, v16, v25
	v_sub_f32_e32 v34, v18, v34
	v_sub_f32_e32 v34, v35, v34
	v_mul_f32_e32 v35, v16, v18
	v_fma_f32 v18, v18, v16, -v35
	v_fmac_f32_e32 v18, v34, v16
	v_add_f32_e32 v16, v35, v18
	v_sub_f32_e32 v34, v16, v35
	v_sub_f32_e32 v34, v18, v34
	v_add_f32_e32 v18, v11, v16
	v_sub_f32_e32 v11, v18, v11
	v_sub_f32_e32 v11, v16, v11
	v_add_f32_e32 v10, v10, v34
	v_add_f32_e32 v10, v10, v11
	;; [unrolled: 1-line block ×3, first 2 shown]
	v_add_f32_e32 v35, 1.0, v34
	v_pk_add_f32 v[36:37], v[34:35], v[18:19] neg_lo:[0,1] neg_hi:[0,1]
	v_pk_add_f32 v[38:39], v[34:35], s[8:9]
	v_mov_b32_e32 v37, v39
	v_mov_b32_e32 v11, v34
	v_cvt_i32_f32_e32 v12, v12
	v_pk_add_f32 v[10:11], v[10:11], v[36:37] neg_lo:[0,1] neg_hi:[0,1]
	v_add_f32_e32 v10, v10, v11
	v_add_f32_e32 v11, v35, v10
	v_ldexp_f32 v16, v11, v12
	v_rcp_f32_e32 v18, v16
	v_sub_f32_e32 v11, v11, v35
	v_sub_f32_e32 v10, v10, v11
	v_ldexp_f32 v10, v10, v12
	v_mul_f32_e32 v11, v16, v18
	v_fma_f32 v12, v18, v16, -v11
	v_fmac_f32_e32 v12, v18, v10
	v_add_f32_e32 v34, v11, v12
	v_sub_f32_e32 v35, 1.0, v34
	v_sub_f32_e32 v36, 1.0, v35
	v_sub_f32_e32 v11, v34, v11
	v_sub_f32_e32 v36, v36, v34
	;; [unrolled: 1-line block ×3, first 2 shown]
	v_add_f32_e32 v11, v11, v36
	v_add_f32_e32 v12, v35, v11
	v_mul_f32_e32 v34, v18, v12
	v_mul_f32_e32 v36, v16, v34
	v_fma_f32 v37, v34, v16, -v36
	v_fmac_f32_e32 v37, v34, v10
	v_sub_f32_e32 v35, v35, v12
	v_add_f32_e32 v11, v11, v35
	v_add_f32_e32 v35, v36, v37
	v_sub_f32_e32 v38, v12, v35
	v_sub_f32_e32 v12, v12, v38
	;; [unrolled: 1-line block ×4, first 2 shown]
	v_add_f32_e32 v11, v11, v12
	v_sub_f32_e32 v12, v36, v37
	v_add_f32_e32 v11, v12, v11
	v_add_f32_e32 v11, v38, v11
	;; [unrolled: 1-line block ×3, first 2 shown]
	v_mul_f32_e32 v11, v18, v11
	v_sub_f32_e32 v18, v12, v18
	v_sub_f32_e32 v18, v34, v18
	v_add_f32_e32 v11, v18, v11
	v_add_f32_e32 v18, v12, v11
	v_sub_f32_e32 v12, v18, v12
	v_sub_f32_e32 v11, v11, v12
	v_ldexp_f32 v12, v18, -2
	v_sub_f32_e32 v18, v16, v12
	v_sub_f32_e32 v16, v16, v18
	;; [unrolled: 1-line block ×3, first 2 shown]
	v_ldexp_f32 v11, v11, -2
	v_add_f32_e32 v10, v10, v12
	v_sub_f32_e32 v10, v10, v11
	v_add_f32_e32 v10, v18, v10
	v_cmp_ngt_f32_e64 vcc, |v3|, s44
	v_cndmask_b32_e32 v10, v32, v10, vcc
	v_cmp_lt_f32_e64 s[0:1], |v3|, s45
	v_cndmask_b32_e64 v10, v10, |v3|, s[0:1]
	v_xor_b32_e32 v3, 0x80000000, v3
	v_bfi_b32 v3, s27, v10, v3
	v_fma_f32 v10, v3, v3, 1.0
	v_mul_f32_e32 v11, 0x4f800000, v10
	v_cmp_gt_f32_e32 vcc, s46, v10
	v_cndmask_b32_e32 v10, v10, v11, vcc
	v_sqrt_f32_e32 v11, v10
	v_xor_b32_e32 v0, v0, v1
	v_xor_b32_e32 v0, v0, v2
	v_fma_f32 v1, v0, v0, 1.0
	v_add_u32_e32 v2, -1, v11
	v_fma_f32 v12, -v2, v11, v10
	v_cmp_ge_f32_e64 s[0:1], 0, v12
	v_add_u32_e32 v12, 1, v11
	v_cndmask_b32_e64 v2, v11, v2, s[0:1]
	v_fma_f32 v11, -v12, v11, v10
	v_cmp_lt_f32_e64 s[0:1], 0, v11
	v_cndmask_b32_e64 v2, v2, v12, s[0:1]
	v_mul_f32_e32 v11, 0x37800000, v2
	v_cndmask_b32_e32 v2, v2, v11, vcc
	v_cmp_class_f32_e32 vcc, v10, v26
	v_cndmask_b32_e32 v2, v2, v10, vcc
	v_mul_f32_e32 v10, v3, v1
	v_mul_f32_e32 v1, v2, v1
	v_fma_f32 v10, v3, v10, 1.0
	v_mul_f32_e32 v1, v3, v1
	v_div_scale_f32 v2, s[0:1], v10, v10, v1
	v_rcp_f32_e32 v3, v2
	v_fma_f32 v11, -v2, v3, 1.0
	v_fmac_f32_e32 v3, v11, v3
	v_div_scale_f32 v11, vcc, v1, v10, v1
	v_mul_f32_e32 v12, v11, v3
	v_fma_f32 v16, -v2, v12, v11
	v_fmac_f32_e32 v12, v16, v3
	v_div_scale_f32 v16, s[0:1], v10, v10, v0
	v_rcp_f32_e32 v18, v16
	v_fma_f32 v2, -v2, v12, v11
	v_div_fmas_f32 v2, v2, v3, v12
	v_div_fixup_f32 v11, v2, v10, v1
	v_fma_f32 v1, -v16, v18, 1.0
	v_fmac_f32_e32 v18, v1, v18
	v_div_scale_f32 v1, vcc, v0, v10, v0
	v_mul_f32_e32 v2, v1, v18
	v_fma_f32 v3, -v16, v2, v1
	v_fmac_f32_e32 v2, v3, v18
	v_fma_f32 v1, -v16, v2, v1
	v_div_fmas_f32 v1, v1, v18, v2
	v_div_fixup_f32 v10, v1, v10, v0
                                        ; implicit-def: $vgpr0_vgpr1_vgpr2_vgpr3
                                        ; implicit-def: $vgpr0
.LBB101_302:                            ;   in Loop: Header=BB101_180 Depth=1
	s_andn2_saveexec_b64 s[18:19], s[18:19]
	s_cbranch_execz .LBB101_312
; %bb.303:                              ;   in Loop: Header=BB101_180 Depth=1
	v_lshrrev_b32_e32 v1, 23, v0
	v_and_b32_e32 v10, 0x7fffff, v0
	v_cmp_nlt_f32_e64 s[20:21], |v2|, s31
	v_add_u32_e32 v16, 0xffffff88, v1
	v_or_b32_e32 v11, 0x800000, v10
                                        ; implicit-def: $vgpr1
                                        ; implicit-def: $vgpr10
	s_and_saveexec_b64 s[0:1], s[20:21]
	s_xor_b64 s[22:23], exec, s[0:1]
	s_cbranch_execz .LBB101_305
; %bb.304:                              ;   in Loop: Header=BB101_180 Depth=1
	v_mad_u64_u32 v[34:35], s[4:5], v11, s33, 0
	v_mov_b32_e32 v12, v35
	v_mad_u64_u32 v[36:37], s[4:5], v11, s34, v[12:13]
	v_mov_b32_e32 v12, v37
	v_mad_u64_u32 v[38:39], s[4:5], v11, s35, v[12:13]
	v_cmp_lt_u32_e32 vcc, 63, v16
	v_mov_b32_e32 v12, v39
	v_cndmask_b32_e32 v1, 0, v30, vcc
	v_mad_u64_u32 v[40:41], s[4:5], v11, s36, v[12:13]
	v_add_u32_e32 v1, v1, v16
	v_mov_b32_e32 v12, v41
	v_cmp_lt_u32_e64 s[0:1], 31, v1
	v_mad_u64_u32 v[42:43], s[4:5], v11, s37, v[12:13]
	v_cndmask_b32_e64 v10, 0, v31, s[0:1]
	v_mov_b32_e32 v12, v43
	v_add_u32_e32 v1, v10, v1
	v_mad_u64_u32 v[44:45], s[4:5], v11, s38, v[12:13]
	v_cmp_lt_u32_e64 s[2:3], 31, v1
	v_mov_b32_e32 v12, v45
	v_cndmask_b32_e64 v10, 0, v31, s[2:3]
	v_mad_u64_u32 v[46:47], s[4:5], v11, s39, v[12:13]
	v_add_u32_e32 v1, v10, v1
	v_cndmask_b32_e32 v10, v44, v40, vcc
	v_cndmask_b32_e32 v12, v46, v42, vcc
	;; [unrolled: 1-line block ×3, first 2 shown]
	v_cndmask_b32_e64 v18, v12, v10, s[0:1]
	v_cndmask_b32_e64 v12, v35, v12, s[0:1]
	v_cndmask_b32_e32 v35, v42, v38, vcc
	v_cndmask_b32_e64 v10, v10, v35, s[0:1]
	v_cndmask_b32_e64 v12, v12, v18, s[2:3]
	;; [unrolled: 1-line block ×3, first 2 shown]
	v_sub_u32_e32 v37, 32, v1
	v_alignbit_b32 v39, v12, v18, v37
	v_cmp_eq_u32_e64 s[4:5], 0, v1
	v_cndmask_b32_e64 v1, v39, v12, s[4:5]
	v_cndmask_b32_e32 v12, v40, v36, vcc
	v_cndmask_b32_e64 v35, v35, v12, s[0:1]
	v_cndmask_b32_e64 v10, v10, v35, s[2:3]
	v_alignbit_b32 v36, v18, v10, v37
	v_cndmask_b32_e32 v34, v38, v34, vcc
	v_cndmask_b32_e64 v18, v36, v18, s[4:5]
	v_bfe_u32 v40, v1, 29, 1
	v_cndmask_b32_e64 v12, v12, v34, s[0:1]
	v_alignbit_b32 v36, v1, v18, 30
	v_sub_u32_e32 v41, 0, v40
	v_cndmask_b32_e64 v12, v35, v12, s[2:3]
	v_xor_b32_e32 v42, v36, v41
	v_alignbit_b32 v34, v10, v12, v37
	v_cndmask_b32_e64 v10, v34, v10, s[4:5]
	v_ffbh_u32_e32 v34, v42
	v_add_u32_e32 v34, 1, v34
	v_cmp_ne_u32_e32 vcc, v36, v41
	v_alignbit_b32 v18, v18, v10, 30
	v_cndmask_b32_e32 v34, 33, v34, vcc
	v_alignbit_b32 v10, v10, v12, 30
	v_xor_b32_e32 v18, v18, v41
	v_sub_u32_e32 v35, 32, v34
	v_xor_b32_e32 v10, v10, v41
	v_alignbit_b32 v36, v42, v18, v35
	v_alignbit_b32 v10, v18, v10, v35
	v_alignbit_b32 v12, v36, v10, 9
	v_ffbh_u32_e32 v18, v12
	v_min_u32_e32 v18, 32, v18
	v_lshrrev_b32_e32 v39, 29, v1
	v_sub_u32_e32 v35, 31, v18
	v_alignbit_b32 v10, v12, v10, v35
	v_lshlrev_b32_e32 v12, 31, v39
	v_or_b32_e32 v35, 0x33800000, v12
	v_add_lshl_u32 v18, v18, v34, 23
	v_lshrrev_b32_e32 v10, 9, v10
	v_sub_u32_e32 v18, v35, v18
	v_or_b32_e32 v10, v18, v10
	v_alignbit_b32 v18, v34, v36, 9
	v_or_b32_e32 v12, v18, v12
	v_xor_b32_e32 v12, 1.0, v12
	v_mul_f32_e32 v18, 0x3fc90fda, v12
	v_fma_f32 v34, v12, s40, -v18
	v_fmac_f32_e32 v34, 0x33a22168, v12
	v_fmac_f32_e32 v34, 0x3fc90fda, v10
	v_lshrrev_b32_e32 v1, 30, v1
	v_add_f32_e32 v10, v18, v34
	v_add_u32_e32 v1, v40, v1
	s_andn2_saveexec_b64 s[0:1], s[22:23]
	s_branch .LBB101_306
.LBB101_305:                            ;   in Loop: Header=BB101_180 Depth=1
	s_andn2_saveexec_b64 s[0:1], s[22:23]
.LBB101_306:                            ;   in Loop: Header=BB101_180 Depth=1
	v_mul_f32_e64 v1, |v2|, s41
	v_rndne_f32_e32 v12, v1
	v_cvt_i32_f32_e32 v1, v12
	v_fma_f32 v10, v12, s42, |v2|
	v_fmac_f32_e32 v10, 0xb3a22168, v12
	v_fmac_f32_e32 v10, 0xa7c234c4, v12
; %bb.307:                              ;   in Loop: Header=BB101_180 Depth=1
	s_or_b64 exec, exec, s[0:1]
                                        ; implicit-def: $vgpr12
                                        ; implicit-def: $vgpr18
	s_and_saveexec_b64 s[0:1], s[20:21]
	s_xor_b64 s[20:21], exec, s[0:1]
	s_cbranch_execz .LBB101_309
; %bb.308:                              ;   in Loop: Header=BB101_180 Depth=1
	v_cmp_lt_u32_e32 vcc, 63, v16
	v_cndmask_b32_e32 v12, 0, v30, vcc
	v_add_u32_e32 v12, v12, v16
	v_cmp_lt_u32_e64 s[0:1], 31, v12
	v_cndmask_b32_e64 v16, 0, v31, s[0:1]
	v_add_u32_e32 v12, v16, v12
	v_cmp_lt_u32_e64 s[2:3], 31, v12
	v_cndmask_b32_e64 v16, 0, v31, s[2:3]
	v_mad_u64_u32 v[34:35], s[4:5], v11, s33, 0
	v_add_u32_e32 v16, v16, v12
	v_mov_b32_e32 v12, v35
	v_mad_u64_u32 v[36:37], s[4:5], v11, s34, v[12:13]
	v_mov_b32_e32 v12, v37
	v_mad_u64_u32 v[38:39], s[4:5], v11, s35, v[12:13]
	;; [unrolled: 2-line block ×6, first 2 shown]
	v_cndmask_b32_e32 v18, v44, v40, vcc
	v_cndmask_b32_e32 v11, v46, v42, vcc
	;; [unrolled: 1-line block ×3, first 2 shown]
	v_cndmask_b32_e64 v12, v11, v18, s[0:1]
	v_cndmask_b32_e64 v11, v35, v11, s[0:1]
	v_cndmask_b32_e32 v35, v42, v38, vcc
	v_cndmask_b32_e64 v18, v18, v35, s[0:1]
	v_sub_u32_e32 v37, 32, v16
	v_cmp_eq_u32_e64 s[4:5], 0, v16
	v_cndmask_b32_e32 v16, v40, v36, vcc
	v_cndmask_b32_e64 v11, v11, v12, s[2:3]
	v_cndmask_b32_e64 v12, v12, v18, s[2:3]
	;; [unrolled: 1-line block ×3, first 2 shown]
	v_alignbit_b32 v39, v11, v12, v37
	v_cndmask_b32_e64 v18, v18, v35, s[2:3]
	v_cndmask_b32_e64 v11, v39, v11, s[4:5]
	v_alignbit_b32 v36, v12, v18, v37
	v_cndmask_b32_e32 v34, v38, v34, vcc
	v_cndmask_b32_e64 v12, v36, v12, s[4:5]
	v_bfe_u32 v40, v11, 29, 1
	v_cndmask_b32_e64 v16, v16, v34, s[0:1]
	v_alignbit_b32 v36, v11, v12, 30
	v_sub_u32_e32 v41, 0, v40
	v_cndmask_b32_e64 v16, v35, v16, s[2:3]
	v_xor_b32_e32 v42, v36, v41
	v_alignbit_b32 v34, v18, v16, v37
	v_cndmask_b32_e64 v18, v34, v18, s[4:5]
	v_ffbh_u32_e32 v34, v42
	v_add_u32_e32 v34, 1, v34
	v_cmp_ne_u32_e32 vcc, v36, v41
	v_alignbit_b32 v12, v12, v18, 30
	v_cndmask_b32_e32 v34, 33, v34, vcc
	v_alignbit_b32 v16, v18, v16, 30
	v_xor_b32_e32 v12, v12, v41
	v_sub_u32_e32 v35, 32, v34
	v_xor_b32_e32 v16, v16, v41
	v_alignbit_b32 v36, v42, v12, v35
	v_alignbit_b32 v12, v12, v16, v35
	;; [unrolled: 1-line block ×3, first 2 shown]
	v_ffbh_u32_e32 v18, v16
	v_min_u32_e32 v18, 32, v18
	v_lshrrev_b32_e32 v39, 29, v11
	v_sub_u32_e32 v35, 31, v18
	v_alignbit_b32 v12, v16, v12, v35
	v_lshlrev_b32_e32 v16, 31, v39
	v_or_b32_e32 v35, 0x33800000, v16
	v_add_lshl_u32 v18, v18, v34, 23
	v_lshrrev_b32_e32 v12, 9, v12
	v_sub_u32_e32 v18, v35, v18
	v_or_b32_e32 v12, v18, v12
	v_alignbit_b32 v18, v34, v36, 9
	v_or_b32_e32 v16, v18, v16
	v_xor_b32_e32 v16, 1.0, v16
	v_mul_f32_e32 v18, 0x3fc90fda, v16
	v_fma_f32 v34, v16, s40, -v18
	v_fmac_f32_e32 v34, 0x33a22168, v16
	v_fmac_f32_e32 v34, 0x3fc90fda, v12
	v_lshrrev_b32_e32 v11, 30, v11
	v_add_f32_e32 v18, v18, v34
	v_add_u32_e32 v12, v40, v11
	s_andn2_saveexec_b64 s[0:1], s[20:21]
	s_cbranch_execnz .LBB101_310
	s_branch .LBB101_311
.LBB101_309:                            ;   in Loop: Header=BB101_180 Depth=1
	s_andn2_saveexec_b64 s[0:1], s[20:21]
.LBB101_310:                            ;   in Loop: Header=BB101_180 Depth=1
	v_mul_f32_e64 v11, |v2|, s41
	v_rndne_f32_e32 v11, v11
	v_cvt_i32_f32_e32 v12, v11
	v_fma_f32 v18, v11, s42, |v2|
	v_fmac_f32_e32 v18, 0xb3a22168, v11
	v_fmac_f32_e32 v18, 0xa7c234c4, v11
.LBB101_311:                            ;   in Loop: Header=BB101_180 Depth=1
	s_or_b64 exec, exec, s[0:1]
	v_mul_f32_e32 v11, v10, v10
	v_mov_b32_e32 v16, 0x3c0881c4
	v_fmac_f32_e32 v16, 0xb94c1982, v11
	v_fma_f32 v16, v11, v16, v27
	v_mul_f32_e32 v16, v11, v16
	v_fmac_f32_e32 v10, v10, v16
	v_mov_b32_e32 v16, 0xbab64f3b
	v_fmac_f32_e32 v16, 0x37d75334, v11
	v_fma_f32 v16, v11, v16, v28
	v_fma_f32 v16, v11, v16, v29
	v_fma_f32 v11, v11, v16, 1.0
	v_and_b32_e32 v16, 1, v1
	v_lshlrev_b32_e32 v1, 30, v1
	v_and_b32_e32 v1, 0x80000000, v1
	v_cmp_eq_u32_e32 vcc, 0, v16
	v_xor_b32_e32 v0, v0, v1
	v_mul_f32_e64 v1, |v3|, s47
	v_cndmask_b32_e32 v10, v11, v10, vcc
	v_rndne_f32_e32 v11, v1
	v_sub_f32_e32 v16, v1, v11
	v_fma_f32 v1, |v3|, s47, -v1
	v_fma_f32 v1, |v3|, s48, v1
	v_add_f32_e32 v1, v16, v1
	v_exp_f32_e32 v1, v1
	v_cvt_i32_f32_e32 v11, v11
	v_xor_b32_e32 v0, v0, v10
	v_xor_b32_e32 v0, v0, v2
	v_cmp_ngt_f32_e64 vcc, |v3|, s49
	v_ldexp_f32 v1, v1, v11
	v_xor_b32_e32 v2, 0x80000000, v3
	v_cndmask_b32_e32 v1, 0, v1, vcc
	v_cmp_nlt_f32_e64 vcc, |v3|, s50
	v_bfi_b32 v11, s27, 1.0, v2
	v_mul_f32_e32 v2, v18, v18
	v_mov_b32_e32 v3, 0x3c0881c4
	v_fmac_f32_e32 v3, 0xb94c1982, v2
	v_fma_f32 v3, v2, v3, v27
	v_mul_f32_e32 v3, v2, v3
	v_fmac_f32_e32 v18, v18, v3
	v_mov_b32_e32 v3, 0xbab64f3b
	v_fmac_f32_e32 v3, 0x37d75334, v2
	v_fma_f32 v3, v2, v3, v28
	v_fma_f32 v3, v2, v3, v29
	v_fma_f32 v2, v2, v3, 1.0
	v_and_b32_e32 v3, 1, v12
	v_cndmask_b32_e32 v1, v32, v1, vcc
	v_cmp_eq_u32_e32 vcc, 0, v3
	v_lshlrev_b32_e32 v3, 30, v12
	v_cndmask_b32_e64 v2, -v18, v2, vcc
	v_and_b32_e32 v3, 0x80000000, v3
	v_mul_f32_e32 v0, 4.0, v0
	v_xor_b32_e32 v2, v3, v2
	v_mul_f32_e32 v0, v0, v2
	v_mul_f32_e32 v0, v1, v0
	;; [unrolled: 1-line block ×3, first 2 shown]
.LBB101_312:                            ;   in Loop: Header=BB101_180 Depth=1
	s_or_b64 exec, exec, s[18:19]
                                        ; implicit-def: $vgpr0_vgpr1_vgpr2_vgpr3
.LBB101_313:                            ;   in Loop: Header=BB101_180 Depth=1
	s_andn2_saveexec_b64 s[0:1], s[14:15]
; %bb.314:                              ;   in Loop: Header=BB101_180 Depth=1
	v_sub_f32_e32 v10, v2, v2
	v_mov_b32_e32 v11, v10
; %bb.315:                              ;   in Loop: Header=BB101_180 Depth=1
	s_or_b64 exec, exec, s[0:1]
                                        ; implicit-def: $vgpr0_vgpr1_vgpr2_vgpr3
.LBB101_316:                            ;   in Loop: Header=BB101_180 Depth=1
	s_andn2_saveexec_b64 s[12:13], s[12:13]
	s_cbranch_execz .LBB101_179
; %bb.317:                              ;   in Loop: Header=BB101_180 Depth=1
	v_xor_b32_e32 v11, 0x80000000, v3
	v_and_b32_e32 v0, 0x7fffff, v11
	v_cmp_ne_u32_e32 vcc, 0, v0
	s_and_saveexec_b64 s[0:1], vcc
	s_xor_b64 s[0:1], exec, s[0:1]
; %bb.318:                              ;   in Loop: Header=BB101_180 Depth=1
	v_mul_f32_e64 v0, v2, -v3
	v_cmp_eq_f32_e32 vcc, 0, v2
	v_cndmask_b32_e32 v10, v0, v2, vcc
                                        ; implicit-def: $vgpr0_vgpr1_vgpr2_vgpr3
; %bb.319:                              ;   in Loop: Header=BB101_180 Depth=1
	s_andn2_saveexec_b64 s[14:15], s[0:1]
	s_cbranch_execz .LBB101_178
; %bb.320:                              ;   in Loop: Header=BB101_180 Depth=1
	v_cmp_neq_f32_e64 s[0:1], |v2|, s28
	s_and_saveexec_b64 s[18:19], s[0:1]
	s_cbranch_execz .LBB101_177
; %bb.321:                              ;   in Loop: Header=BB101_180 Depth=1
	v_and_b32_e32 v0, 0x7fffffff, v2
	v_lshrrev_b32_e32 v1, 23, v0
	v_and_b32_e32 v3, 0x7fffff, v0
	v_cmp_nlt_f32_e64 s[20:21], |v2|, s31
	v_add_u32_e32 v16, 0xffffff88, v1
	v_or_b32_e32 v10, 0x800000, v3
                                        ; implicit-def: $vgpr1
                                        ; implicit-def: $vgpr3
	s_and_saveexec_b64 s[0:1], s[20:21]
	s_xor_b64 s[22:23], exec, s[0:1]
	s_cbranch_execz .LBB101_323
; %bb.322:                              ;   in Loop: Header=BB101_180 Depth=1
	v_mad_u64_u32 v[34:35], s[4:5], v10, s33, 0
	v_mov_b32_e32 v12, v35
	v_mad_u64_u32 v[36:37], s[4:5], v10, s34, v[12:13]
	v_mov_b32_e32 v12, v37
	v_mad_u64_u32 v[38:39], s[4:5], v10, s35, v[12:13]
	v_cmp_lt_u32_e32 vcc, 63, v16
	v_mov_b32_e32 v12, v39
	v_cndmask_b32_e32 v1, 0, v30, vcc
	v_mad_u64_u32 v[40:41], s[4:5], v10, s36, v[12:13]
	v_add_u32_e32 v1, v1, v16
	v_mov_b32_e32 v12, v41
	v_cmp_lt_u32_e64 s[0:1], 31, v1
	v_mad_u64_u32 v[42:43], s[4:5], v10, s37, v[12:13]
	v_cndmask_b32_e64 v3, 0, v31, s[0:1]
	v_mov_b32_e32 v12, v43
	v_add_u32_e32 v1, v3, v1
	v_mad_u64_u32 v[44:45], s[4:5], v10, s38, v[12:13]
	v_cmp_lt_u32_e64 s[2:3], 31, v1
	v_mov_b32_e32 v12, v45
	v_cndmask_b32_e64 v3, 0, v31, s[2:3]
	v_mad_u64_u32 v[46:47], s[4:5], v10, s39, v[12:13]
	v_add_u32_e32 v1, v3, v1
	v_cndmask_b32_e32 v3, v44, v40, vcc
	v_cndmask_b32_e32 v12, v46, v42, vcc
	;; [unrolled: 1-line block ×3, first 2 shown]
	v_cndmask_b32_e64 v18, v12, v3, s[0:1]
	v_cndmask_b32_e64 v12, v35, v12, s[0:1]
	v_cndmask_b32_e32 v35, v42, v38, vcc
	v_cndmask_b32_e64 v3, v3, v35, s[0:1]
	v_cndmask_b32_e64 v12, v12, v18, s[2:3]
	;; [unrolled: 1-line block ×3, first 2 shown]
	v_sub_u32_e32 v37, 32, v1
	v_alignbit_b32 v39, v12, v18, v37
	v_cmp_eq_u32_e64 s[4:5], 0, v1
	v_cndmask_b32_e64 v1, v39, v12, s[4:5]
	v_cndmask_b32_e32 v12, v40, v36, vcc
	v_cndmask_b32_e64 v35, v35, v12, s[0:1]
	v_cndmask_b32_e64 v3, v3, v35, s[2:3]
	v_alignbit_b32 v36, v18, v3, v37
	v_cndmask_b32_e32 v34, v38, v34, vcc
	v_cndmask_b32_e64 v18, v36, v18, s[4:5]
	v_bfe_u32 v40, v1, 29, 1
	v_cndmask_b32_e64 v12, v12, v34, s[0:1]
	v_alignbit_b32 v36, v1, v18, 30
	v_sub_u32_e32 v41, 0, v40
	v_cndmask_b32_e64 v12, v35, v12, s[2:3]
	v_xor_b32_e32 v42, v36, v41
	v_alignbit_b32 v34, v3, v12, v37
	v_cndmask_b32_e64 v3, v34, v3, s[4:5]
	v_ffbh_u32_e32 v34, v42
	v_add_u32_e32 v34, 1, v34
	v_cmp_ne_u32_e32 vcc, v36, v41
	v_alignbit_b32 v18, v18, v3, 30
	v_cndmask_b32_e32 v34, 33, v34, vcc
	v_alignbit_b32 v3, v3, v12, 30
	v_xor_b32_e32 v18, v18, v41
	v_sub_u32_e32 v35, 32, v34
	v_xor_b32_e32 v3, v3, v41
	v_alignbit_b32 v36, v42, v18, v35
	v_alignbit_b32 v3, v18, v3, v35
	;; [unrolled: 1-line block ×3, first 2 shown]
	v_ffbh_u32_e32 v18, v12
	v_min_u32_e32 v18, 32, v18
	v_lshrrev_b32_e32 v39, 29, v1
	v_sub_u32_e32 v35, 31, v18
	v_alignbit_b32 v3, v12, v3, v35
	v_lshlrev_b32_e32 v12, 31, v39
	v_or_b32_e32 v35, 0x33800000, v12
	v_add_lshl_u32 v18, v18, v34, 23
	v_lshrrev_b32_e32 v3, 9, v3
	v_sub_u32_e32 v18, v35, v18
	v_or_b32_e32 v3, v18, v3
	v_alignbit_b32 v18, v34, v36, 9
	v_or_b32_e32 v12, v18, v12
	v_xor_b32_e32 v12, 1.0, v12
	v_mul_f32_e32 v18, 0x3fc90fda, v12
	v_fma_f32 v34, v12, s40, -v18
	v_fmac_f32_e32 v34, 0x33a22168, v12
	v_fmac_f32_e32 v34, 0x3fc90fda, v3
	v_lshrrev_b32_e32 v1, 30, v1
	v_add_f32_e32 v3, v18, v34
	v_add_u32_e32 v1, v40, v1
.LBB101_323:                            ;   in Loop: Header=BB101_180 Depth=1
	s_or_saveexec_b64 s[0:1], s[22:23]
	v_mul_f32_e64 v12, |v2|, s41
	v_rndne_f32_e32 v34, v12
	s_xor_b64 exec, exec, s[0:1]
; %bb.324:                              ;   in Loop: Header=BB101_180 Depth=1
	v_cvt_i32_f32_e32 v1, v34
	v_fma_f32 v3, v34, s42, |v2|
	v_fmac_f32_e32 v3, 0xb3a22168, v34
	v_fmac_f32_e32 v3, 0xa7c234c4, v34
; %bb.325:                              ;   in Loop: Header=BB101_180 Depth=1
	s_or_b64 exec, exec, s[0:1]
                                        ; implicit-def: $vgpr12
                                        ; implicit-def: $vgpr18
	s_and_saveexec_b64 s[0:1], s[20:21]
	s_xor_b64 s[20:21], exec, s[0:1]
	s_cbranch_execz .LBB101_327
; %bb.326:                              ;   in Loop: Header=BB101_180 Depth=1
	v_cmp_lt_u32_e32 vcc, 63, v16
	v_cndmask_b32_e32 v12, 0, v30, vcc
	v_add_u32_e32 v12, v12, v16
	v_cmp_lt_u32_e64 s[0:1], 31, v12
	v_cndmask_b32_e64 v16, 0, v31, s[0:1]
	v_add_u32_e32 v12, v16, v12
	v_cmp_lt_u32_e64 s[2:3], 31, v12
	v_cndmask_b32_e64 v16, 0, v31, s[2:3]
	v_mad_u64_u32 v[34:35], s[4:5], v10, s33, 0
	v_add_u32_e32 v16, v16, v12
	v_mov_b32_e32 v12, v35
	v_mad_u64_u32 v[36:37], s[4:5], v10, s34, v[12:13]
	v_mov_b32_e32 v12, v37
	v_mad_u64_u32 v[38:39], s[4:5], v10, s35, v[12:13]
	;; [unrolled: 2-line block ×6, first 2 shown]
	v_cndmask_b32_e32 v18, v44, v40, vcc
	v_cndmask_b32_e32 v10, v46, v42, vcc
	;; [unrolled: 1-line block ×3, first 2 shown]
	v_cndmask_b32_e64 v12, v10, v18, s[0:1]
	v_cndmask_b32_e64 v10, v35, v10, s[0:1]
	v_cndmask_b32_e32 v35, v42, v38, vcc
	v_cndmask_b32_e64 v18, v18, v35, s[0:1]
	v_sub_u32_e32 v37, 32, v16
	v_cmp_eq_u32_e64 s[4:5], 0, v16
	v_cndmask_b32_e32 v16, v40, v36, vcc
	v_cndmask_b32_e64 v10, v10, v12, s[2:3]
	v_cndmask_b32_e64 v12, v12, v18, s[2:3]
	;; [unrolled: 1-line block ×3, first 2 shown]
	v_alignbit_b32 v39, v10, v12, v37
	v_cndmask_b32_e64 v18, v18, v35, s[2:3]
	v_cndmask_b32_e64 v10, v39, v10, s[4:5]
	v_alignbit_b32 v36, v12, v18, v37
	v_cndmask_b32_e32 v34, v38, v34, vcc
	v_cndmask_b32_e64 v12, v36, v12, s[4:5]
	v_bfe_u32 v40, v10, 29, 1
	v_cndmask_b32_e64 v16, v16, v34, s[0:1]
	v_alignbit_b32 v36, v10, v12, 30
	v_sub_u32_e32 v41, 0, v40
	v_cndmask_b32_e64 v16, v35, v16, s[2:3]
	v_xor_b32_e32 v42, v36, v41
	v_alignbit_b32 v34, v18, v16, v37
	v_cndmask_b32_e64 v18, v34, v18, s[4:5]
	v_ffbh_u32_e32 v34, v42
	v_add_u32_e32 v34, 1, v34
	v_cmp_ne_u32_e32 vcc, v36, v41
	v_alignbit_b32 v12, v12, v18, 30
	v_cndmask_b32_e32 v34, 33, v34, vcc
	v_alignbit_b32 v16, v18, v16, 30
	v_xor_b32_e32 v12, v12, v41
	v_sub_u32_e32 v35, 32, v34
	v_xor_b32_e32 v16, v16, v41
	v_alignbit_b32 v36, v42, v12, v35
	v_alignbit_b32 v12, v12, v16, v35
	;; [unrolled: 1-line block ×3, first 2 shown]
	v_ffbh_u32_e32 v18, v16
	v_min_u32_e32 v18, 32, v18
	v_lshrrev_b32_e32 v39, 29, v10
	v_sub_u32_e32 v35, 31, v18
	v_alignbit_b32 v12, v16, v12, v35
	v_lshlrev_b32_e32 v16, 31, v39
	v_or_b32_e32 v35, 0x33800000, v16
	v_add_lshl_u32 v18, v18, v34, 23
	v_lshrrev_b32_e32 v12, 9, v12
	v_sub_u32_e32 v18, v35, v18
	v_or_b32_e32 v12, v18, v12
	v_alignbit_b32 v18, v34, v36, 9
	v_or_b32_e32 v16, v18, v16
	v_xor_b32_e32 v16, 1.0, v16
	v_mul_f32_e32 v18, 0x3fc90fda, v16
	v_fma_f32 v34, v16, s40, -v18
	v_fmac_f32_e32 v34, 0x33a22168, v16
	v_fmac_f32_e32 v34, 0x3fc90fda, v12
	v_lshrrev_b32_e32 v10, 30, v10
	v_add_f32_e32 v18, v18, v34
	v_add_u32_e32 v12, v40, v10
                                        ; implicit-def: $vgpr34
	s_andn2_saveexec_b64 s[0:1], s[20:21]
	s_cbranch_execz .LBB101_176
	s_branch .LBB101_328
.LBB101_327:                            ;   in Loop: Header=BB101_180 Depth=1
	s_andn2_saveexec_b64 s[0:1], s[20:21]
	s_cbranch_execz .LBB101_176
.LBB101_328:                            ;   in Loop: Header=BB101_180 Depth=1
	v_cvt_i32_f32_e32 v12, v34
	v_fma_f32 v18, v34, s42, |v2|
	v_fmac_f32_e32 v18, 0xb3a22168, v34
	v_fmac_f32_e32 v18, 0xa7c234c4, v34
	s_branch .LBB101_176
.LBB101_329:
	s_endpgm
	.section	.rodata,"a",@progbits
	.p2align	6, 0x0
	.amdhsa_kernel _ZN2at6native12_GLOBAL__N_125multi_tensor_apply_kernelINS1_18TensorListMetadataILi1EEENS1_14UnaryOpFunctorIN3c107complexIfEELi1ELi1ELi0EEEJNS0_3TanIS8_EEEEEvT_T0_DpT1_
		.amdhsa_group_segment_fixed_size 0
		.amdhsa_private_segment_fixed_size 0
		.amdhsa_kernarg_size 3632
		.amdhsa_user_sgpr_count 6
		.amdhsa_user_sgpr_private_segment_buffer 1
		.amdhsa_user_sgpr_dispatch_ptr 0
		.amdhsa_user_sgpr_queue_ptr 0
		.amdhsa_user_sgpr_kernarg_segment_ptr 1
		.amdhsa_user_sgpr_dispatch_id 0
		.amdhsa_user_sgpr_flat_scratch_init 0
		.amdhsa_user_sgpr_kernarg_preload_length 0
		.amdhsa_user_sgpr_kernarg_preload_offset 0
		.amdhsa_user_sgpr_private_segment_size 0
		.amdhsa_uses_dynamic_stack 0
		.amdhsa_system_sgpr_private_segment_wavefront_offset 0
		.amdhsa_system_sgpr_workgroup_id_x 1
		.amdhsa_system_sgpr_workgroup_id_y 0
		.amdhsa_system_sgpr_workgroup_id_z 0
		.amdhsa_system_sgpr_workgroup_info 0
		.amdhsa_system_vgpr_workitem_id 0
		.amdhsa_next_free_vgpr 56
		.amdhsa_next_free_sgpr 65
		.amdhsa_accum_offset 56
		.amdhsa_reserve_vcc 1
		.amdhsa_reserve_flat_scratch 0
		.amdhsa_float_round_mode_32 0
		.amdhsa_float_round_mode_16_64 0
		.amdhsa_float_denorm_mode_32 3
		.amdhsa_float_denorm_mode_16_64 3
		.amdhsa_dx10_clamp 1
		.amdhsa_ieee_mode 1
		.amdhsa_fp16_overflow 0
		.amdhsa_tg_split 0
		.amdhsa_exception_fp_ieee_invalid_op 0
		.amdhsa_exception_fp_denorm_src 0
		.amdhsa_exception_fp_ieee_div_zero 0
		.amdhsa_exception_fp_ieee_overflow 0
		.amdhsa_exception_fp_ieee_underflow 0
		.amdhsa_exception_fp_ieee_inexact 0
		.amdhsa_exception_int_div_zero 0
	.end_amdhsa_kernel
	.section	.text._ZN2at6native12_GLOBAL__N_125multi_tensor_apply_kernelINS1_18TensorListMetadataILi1EEENS1_14UnaryOpFunctorIN3c107complexIfEELi1ELi1ELi0EEEJNS0_3TanIS8_EEEEEvT_T0_DpT1_,"axG",@progbits,_ZN2at6native12_GLOBAL__N_125multi_tensor_apply_kernelINS1_18TensorListMetadataILi1EEENS1_14UnaryOpFunctorIN3c107complexIfEELi1ELi1ELi0EEEJNS0_3TanIS8_EEEEEvT_T0_DpT1_,comdat
.Lfunc_end101:
	.size	_ZN2at6native12_GLOBAL__N_125multi_tensor_apply_kernelINS1_18TensorListMetadataILi1EEENS1_14UnaryOpFunctorIN3c107complexIfEELi1ELi1ELi0EEEJNS0_3TanIS8_EEEEEvT_T0_DpT1_, .Lfunc_end101-_ZN2at6native12_GLOBAL__N_125multi_tensor_apply_kernelINS1_18TensorListMetadataILi1EEENS1_14UnaryOpFunctorIN3c107complexIfEELi1ELi1ELi0EEEJNS0_3TanIS8_EEEEEvT_T0_DpT1_
                                        ; -- End function
	.section	.AMDGPU.csdata,"",@progbits
; Kernel info:
; codeLenInByte = 39024
; NumSgprs: 69
; NumVgprs: 56
; NumAgprs: 0
; TotalNumVgprs: 56
; ScratchSize: 0
; MemoryBound: 1
; FloatMode: 240
; IeeeMode: 1
; LDSByteSize: 0 bytes/workgroup (compile time only)
; SGPRBlocks: 8
; VGPRBlocks: 6
; NumSGPRsForWavesPerEU: 69
; NumVGPRsForWavesPerEU: 56
; AccumOffset: 56
; Occupancy: 8
; WaveLimiterHint : 0
; COMPUTE_PGM_RSRC2:SCRATCH_EN: 0
; COMPUTE_PGM_RSRC2:USER_SGPR: 6
; COMPUTE_PGM_RSRC2:TRAP_HANDLER: 0
; COMPUTE_PGM_RSRC2:TGID_X_EN: 1
; COMPUTE_PGM_RSRC2:TGID_Y_EN: 0
; COMPUTE_PGM_RSRC2:TGID_Z_EN: 0
; COMPUTE_PGM_RSRC2:TIDIG_COMP_CNT: 0
; COMPUTE_PGM_RSRC3_GFX90A:ACCUM_OFFSET: 13
; COMPUTE_PGM_RSRC3_GFX90A:TG_SPLIT: 0
	.section	.text._ZN2at6native12_GLOBAL__N_125multi_tensor_apply_kernelINS1_18TensorListMetadataILi1EEENS1_14UnaryOpFunctorIN3c104HalfELi1ELi1ELi0EEEJNS0_3TanIfEEEEEvT_T0_DpT1_,"axG",@progbits,_ZN2at6native12_GLOBAL__N_125multi_tensor_apply_kernelINS1_18TensorListMetadataILi1EEENS1_14UnaryOpFunctorIN3c104HalfELi1ELi1ELi0EEEJNS0_3TanIfEEEEEvT_T0_DpT1_,comdat
	.globl	_ZN2at6native12_GLOBAL__N_125multi_tensor_apply_kernelINS1_18TensorListMetadataILi1EEENS1_14UnaryOpFunctorIN3c104HalfELi1ELi1ELi0EEEJNS0_3TanIfEEEEEvT_T0_DpT1_ ; -- Begin function _ZN2at6native12_GLOBAL__N_125multi_tensor_apply_kernelINS1_18TensorListMetadataILi1EEENS1_14UnaryOpFunctorIN3c104HalfELi1ELi1ELi0EEEJNS0_3TanIfEEEEEvT_T0_DpT1_
	.p2align	8
	.type	_ZN2at6native12_GLOBAL__N_125multi_tensor_apply_kernelINS1_18TensorListMetadataILi1EEENS1_14UnaryOpFunctorIN3c104HalfELi1ELi1ELi0EEEJNS0_3TanIfEEEEEvT_T0_DpT1_,@function
_ZN2at6native12_GLOBAL__N_125multi_tensor_apply_kernelINS1_18TensorListMetadataILi1EEENS1_14UnaryOpFunctorIN3c104HalfELi1ELi1ELi0EEEJNS0_3TanIfEEEEEvT_T0_DpT1_: ; @_ZN2at6native12_GLOBAL__N_125multi_tensor_apply_kernelINS1_18TensorListMetadataILi1EEENS1_14UnaryOpFunctorIN3c104HalfELi1ELi1ELi0EEEJNS0_3TanIfEEEEEvT_T0_DpT1_
; %bb.0:
	v_mov_b32_e32 v1, s6
	global_load_ubyte v1, v1, s[4:5] offset:1760
	s_add_u32 s0, s4, s6
	s_mul_hi_u32 s1, s6, 3
	s_mul_i32 s6, s6, 3
	s_addc_u32 s2, s5, 0
	s_add_u32 s0, s0, s6
	s_addc_u32 s1, s2, s1
	s_load_dword s0, s[0:1], 0x820
	s_mov_b32 s7, 0
	s_waitcnt vmcnt(0)
	v_readfirstlane_b32 s2, v1
	s_lshl_b32 s1, s2, 3
	s_load_dwordx2 s[2:3], s[4:5], s1 offset:0x370
	s_load_dwordx2 s[18:19], s[4:5], s1 offset:0x0
	s_waitcnt lgkmcnt(0)
	s_ashr_i32 s1, s0, 31
	s_lshl_b64 s[20:21], s[0:1], 17
	s_lshl_b64 s[0:1], s[0:1], 16
	s_and_b32 s6, s18, 7
	s_sub_u32 s16, s2, s0
	s_subb_u32 s17, s3, s1
	s_and_b32 s0, s2, 3
	s_mov_b32 s1, s7
	s_or_b64 s[0:1], s[6:7], s[0:1]
	s_cmp_eq_u64 s[0:1], 0
	s_cbranch_scc1 .LBB102_37
; %bb.1:
	v_cmp_lt_i64_e64 s[0:1], s[16:17], 1
	s_and_b64 vcc, exec, s[0:1]
	s_cbranch_vccnz .LBB102_36
; %bb.2:
	s_load_dword s0, s[4:5], 0xd3c
	v_mov_b32_e32 v4, 0x10000
	v_mov_b32_e32 v5, 0
	v_cmp_lt_u64_e32 vcc, s[16:17], v[4:5]
	v_lshlrev_b32_e32 v1, 1, v0
	s_waitcnt lgkmcnt(0)
	s_and_b32 s2, s0, 0xffff
	s_and_b64 s[0:1], vcc, exec
	s_cselect_b32 s23, s17, 0
	s_cselect_b32 s22, s16, 0x10000
	s_lshl_b32 s3, s2, 1
	s_lshl_b32 s29, s2, 2
	s_add_u32 s6, s18, s20
	s_addc_u32 s7, s19, s21
	v_mov_b32_e32 v2, s7
	v_add_co_u32_e32 v4, vcc, s6, v1
	s_mul_i32 s0, s2, 3
	v_addc_co_u32_e32 v5, vcc, 0, v2, vcc
	v_add_co_u32_e32 v1, vcc, s0, v0
	v_addc_co_u32_e64 v8, s[0:1], 0, 0, vcc
	v_add_co_u32_e32 v9, vcc, s3, v0
	v_addc_co_u32_e64 v10, s[0:1], 0, 0, vcc
	v_add_co_u32_e32 v11, vcc, s2, v0
	v_lshlrev_b32_e32 v2, 1, v11
	s_mov_b32 s28, 0
	v_addc_co_u32_e64 v12, s[0:1], 0, 0, vcc
	v_mov_b32_e32 v7, s7
	v_add_co_u32_e32 v6, vcc, s6, v2
	v_mov_b32_e32 v3, 0
	s_lshl_b32 s30, s2, 3
	s_mov_b32 s31, s28
	s_mul_i32 s33, s2, 6
	s_mov_b32 s34, s28
	v_addc_co_u32_e32 v7, vcc, 0, v7, vcc
	s_mov_b64 s[24:25], 0
	s_brev_b32 s35, 18
	s_mov_b32 s36, 0xfe5163ab
	s_mov_b32 s37, 0x3c439041
	;; [unrolled: 1-line block ×10, first 2 shown]
	v_mov_b32_e32 v13, 0x3f93f425
	s_movk_i32 s46, 0x1f8
	v_not_b32_e32 v14, 63
	v_not_b32_e32 v15, 31
	v_mov_b32_e32 v16, 0x7fc00000
	s_branch .LBB102_4
.LBB102_3:                              ;   in Loop: Header=BB102_4 Depth=1
	s_or_b64 exec, exec, s[0:1]
	s_add_u32 s24, s24, s29
	s_addc_u32 s25, s25, 0
	v_pk_mov_b32 v[18:19], s[16:17], s[16:17] op_sel:[0,1]
	v_cmp_ge_i64_e32 vcc, s[24:25], v[18:19]
	v_mov_b32_e32 v18, 0xffff
	v_mov_b32_e32 v19, 0
	v_cmp_gt_u64_e64 s[0:1], s[24:25], v[18:19]
	s_or_b64 s[0:1], vcc, s[0:1]
	v_mov_b32_e32 v2, s31
	v_add_co_u32_e32 v4, vcc, s30, v4
	v_addc_co_u32_e32 v5, vcc, v5, v2, vcc
	v_add_co_u32_e32 v6, vcc, s30, v6
	v_addc_co_u32_e32 v7, vcc, v7, v2, vcc
	s_and_b64 vcc, exec, s[0:1]
	s_cbranch_vccnz .LBB102_36
.LBB102_4:                              ; =>This Inner Loop Header: Depth=1
	v_mov_b32_e32 v2, s25
	v_add_co_u32_e32 v18, vcc, s24, v0
	v_addc_co_u32_e32 v19, vcc, 0, v2, vcc
	v_cmp_gt_u64_e64 s[6:7], s[22:23], v[18:19]
	v_mov_b32_e32 v2, 0
	s_and_saveexec_b64 s[0:1], s[6:7]
	s_cbranch_execz .LBB102_6
; %bb.5:                                ;   in Loop: Header=BB102_4 Depth=1
	global_load_ushort v2, v[4:5], off
.LBB102_6:                              ;   in Loop: Header=BB102_4 Depth=1
	s_or_b64 exec, exec, s[0:1]
	v_mov_b32_e32 v17, s25
	v_add_co_u32_e32 v18, vcc, s24, v11
	v_addc_co_u32_e32 v19, vcc, v12, v17, vcc
	v_cmp_gt_u64_e64 s[2:3], s[22:23], v[18:19]
	v_mov_b32_e32 v19, 0
	s_and_saveexec_b64 s[0:1], s[2:3]
	s_cbranch_execz .LBB102_8
; %bb.7:                                ;   in Loop: Header=BB102_4 Depth=1
	global_load_ushort v19, v[6:7], off
.LBB102_8:                              ;   in Loop: Header=BB102_4 Depth=1
	s_or_b64 exec, exec, s[0:1]
	v_mov_b32_e32 v17, s25
	v_add_co_u32_e32 v20, vcc, s24, v9
	v_addc_co_u32_e32 v21, vcc, v10, v17, vcc
	v_cmp_gt_u64_e64 s[0:1], s[22:23], v[20:21]
	v_mov_b32_e32 v23, 0
	v_mov_b32_e32 v24, 0
	s_and_saveexec_b64 s[8:9], s[0:1]
	s_cbranch_execz .LBB102_10
; %bb.9:                                ;   in Loop: Header=BB102_4 Depth=1
	v_mov_b32_e32 v17, s28
	v_add_co_u32_e32 v20, vcc, s29, v4
	v_addc_co_u32_e32 v21, vcc, v5, v17, vcc
	global_load_ushort v24, v[20:21], off
.LBB102_10:                             ;   in Loop: Header=BB102_4 Depth=1
	s_or_b64 exec, exec, s[8:9]
	v_mov_b32_e32 v17, s25
	v_add_co_u32_e32 v20, vcc, s24, v1
	v_addc_co_u32_e32 v21, vcc, v8, v17, vcc
	v_cmp_gt_u64_e32 vcc, s[22:23], v[20:21]
	s_and_saveexec_b64 s[10:11], vcc
	s_cbranch_execz .LBB102_12
; %bb.11:                               ;   in Loop: Header=BB102_4 Depth=1
	v_mov_b32_e32 v17, s34
	v_add_co_u32_e64 v20, s[8:9], s33, v4
	v_addc_co_u32_e64 v21, s[8:9], v5, v17, s[8:9]
	global_load_ushort v23, v[20:21], off
.LBB102_12:                             ;   in Loop: Header=BB102_4 Depth=1
	s_or_b64 exec, exec, s[10:11]
	s_waitcnt vmcnt(0)
	v_cvt_f32_f16_e32 v17, v2
                                        ; implicit-def: $vgpr22
                                        ; implicit-def: $vgpr21
	v_and_b32_e32 v18, 0x7fffffff, v17
	v_cmp_nlt_f32_e64 s[8:9], |v17|, s35
	s_and_saveexec_b64 s[10:11], s[8:9]
	s_xor_b64 s[26:27], exec, s[10:11]
	s_cbranch_execz .LBB102_14
; %bb.13:                               ;   in Loop: Header=BB102_4 Depth=1
	v_lshrrev_b32_e32 v2, 23, v18
	v_add_u32_e32 v2, 0xffffff88, v2
	v_cmp_lt_u32_e64 s[8:9], 63, v2
	v_cndmask_b32_e64 v20, 0, v14, s[8:9]
	v_add_u32_e32 v2, v20, v2
	v_cmp_lt_u32_e64 s[10:11], 31, v2
	v_cndmask_b32_e64 v20, 0, v15, s[10:11]
	;; [unrolled: 3-line block ×3, first 2 shown]
	v_add_u32_e32 v22, v20, v2
	v_and_b32_e32 v2, 0x7fffff, v18
	v_or_b32_e32 v25, 0x800000, v2
	v_mad_u64_u32 v[20:21], s[14:15], v25, s36, 0
	v_mov_b32_e32 v2, v21
	v_mad_u64_u32 v[26:27], s[14:15], v25, s37, v[2:3]
	v_mov_b32_e32 v2, v27
	;; [unrolled: 2-line block ×6, first 2 shown]
	v_mad_u64_u32 v[36:37], s[14:15], v25, s42, v[2:3]
	v_cndmask_b32_e64 v21, v34, v30, s[8:9]
	v_cndmask_b32_e64 v2, v36, v32, s[8:9]
	;; [unrolled: 1-line block ×7, first 2 shown]
	v_sub_u32_e32 v29, 32, v22
	v_cmp_eq_u32_e64 s[14:15], 0, v22
	v_cndmask_b32_e64 v22, v30, v26, s[8:9]
	v_cndmask_b32_e64 v2, v2, v25, s[12:13]
	;; [unrolled: 1-line block ×4, first 2 shown]
	v_alignbit_b32 v31, v2, v25, v29
	v_cndmask_b32_e64 v21, v21, v26, s[12:13]
	v_cndmask_b32_e64 v20, v28, v20, s[8:9]
	;; [unrolled: 1-line block ×3, first 2 shown]
	v_alignbit_b32 v27, v25, v21, v29
	v_cndmask_b32_e64 v20, v22, v20, s[10:11]
	v_cndmask_b32_e64 v25, v27, v25, s[14:15]
	v_bfe_u32 v31, v2, 29, 1
	v_cndmask_b32_e64 v20, v26, v20, s[12:13]
	v_alignbit_b32 v27, v2, v25, 30
	v_sub_u32_e32 v32, 0, v31
	v_alignbit_b32 v22, v21, v20, v29
	v_xor_b32_e32 v33, v27, v32
	v_cndmask_b32_e64 v21, v22, v21, s[14:15]
	v_alignbit_b32 v22, v25, v21, 30
	v_ffbh_u32_e32 v25, v33
	v_add_u32_e32 v25, 1, v25
	v_cmp_ne_u32_e64 s[8:9], v27, v32
	v_cndmask_b32_e64 v25, 33, v25, s[8:9]
	v_alignbit_b32 v20, v21, v20, 30
	v_xor_b32_e32 v22, v22, v32
	v_sub_u32_e32 v26, 32, v25
	v_xor_b32_e32 v20, v20, v32
	v_alignbit_b32 v27, v33, v22, v26
	v_alignbit_b32 v20, v22, v20, v26
	;; [unrolled: 1-line block ×3, first 2 shown]
	v_ffbh_u32_e32 v22, v21
	v_min_u32_e32 v22, 32, v22
	v_lshrrev_b32_e32 v30, 29, v2
	v_sub_u32_e32 v26, 31, v22
	v_alignbit_b32 v20, v21, v20, v26
	v_lshlrev_b32_e32 v21, 31, v30
	v_or_b32_e32 v26, 0x33800000, v21
	v_add_lshl_u32 v22, v22, v25, 23
	v_lshrrev_b32_e32 v20, 9, v20
	v_sub_u32_e32 v22, v26, v22
	v_or_b32_e32 v20, v22, v20
	v_alignbit_b32 v22, v25, v27, 9
	v_or_b32_e32 v21, v22, v21
	v_xor_b32_e32 v21, 1.0, v21
	v_mul_f32_e32 v22, 0x3fc90fda, v21
	v_fma_f32 v25, v21, s43, -v22
	v_fmac_f32_e32 v25, 0x33a22168, v21
	v_fmac_f32_e32 v25, 0x3fc90fda, v20
	v_lshrrev_b32_e32 v2, 30, v2
	v_add_f32_e32 v21, v22, v25
	v_add_u32_e32 v22, v31, v2
.LBB102_14:                             ;   in Loop: Header=BB102_4 Depth=1
	s_andn2_saveexec_b64 s[8:9], s[26:27]
; %bb.15:                               ;   in Loop: Header=BB102_4 Depth=1
	v_mul_f32_e64 v2, |v17|, s44
	v_rndne_f32_e32 v2, v2
	v_cvt_i32_f32_e32 v22, v2
	v_fma_f32 v21, v2, s45, |v17|
	v_fmac_f32_e32 v21, 0xb3a22168, v2
	v_fmac_f32_e32 v21, 0xa7c234c4, v2
; %bb.16:                               ;   in Loop: Header=BB102_4 Depth=1
	s_or_b64 exec, exec, s[8:9]
	v_cvt_f32_f16_e32 v19, v19
                                        ; implicit-def: $vgpr27
                                        ; implicit-def: $vgpr26
	v_and_b32_e32 v20, 0x7fffffff, v19
	v_cmp_nlt_f32_e64 s[8:9], |v19|, s35
	s_and_saveexec_b64 s[10:11], s[8:9]
	s_xor_b64 s[26:27], exec, s[10:11]
	s_cbranch_execz .LBB102_18
; %bb.17:                               ;   in Loop: Header=BB102_4 Depth=1
	v_lshrrev_b32_e32 v2, 23, v20
	v_add_u32_e32 v2, 0xffffff88, v2
	v_cmp_lt_u32_e64 s[8:9], 63, v2
	v_cndmask_b32_e64 v25, 0, v14, s[8:9]
	v_add_u32_e32 v2, v25, v2
	v_cmp_lt_u32_e64 s[10:11], 31, v2
	v_cndmask_b32_e64 v25, 0, v15, s[10:11]
	;; [unrolled: 3-line block ×3, first 2 shown]
	v_add_u32_e32 v25, v25, v2
	v_and_b32_e32 v2, 0x7fffff, v20
	v_or_b32_e32 v38, 0x800000, v2
	v_mad_u64_u32 v[26:27], s[14:15], v38, s36, 0
	v_mov_b32_e32 v2, v27
	v_mad_u64_u32 v[28:29], s[14:15], v38, s37, v[2:3]
	v_mov_b32_e32 v2, v29
	;; [unrolled: 2-line block ×6, first 2 shown]
	v_mad_u64_u32 v[38:39], s[14:15], v38, s42, v[2:3]
	v_cndmask_b32_e64 v27, v36, v32, s[8:9]
	v_cndmask_b32_e64 v2, v38, v34, s[8:9]
	;; [unrolled: 1-line block ×7, first 2 shown]
	v_sub_u32_e32 v33, 32, v25
	v_cmp_eq_u32_e64 s[14:15], 0, v25
	v_cndmask_b32_e64 v25, v32, v28, s[8:9]
	v_cndmask_b32_e64 v2, v2, v29, s[12:13]
	;; [unrolled: 1-line block ×4, first 2 shown]
	v_alignbit_b32 v34, v2, v29, v33
	v_cndmask_b32_e64 v27, v27, v28, s[12:13]
	v_cndmask_b32_e64 v2, v34, v2, s[14:15]
	v_alignbit_b32 v31, v29, v27, v33
	v_cndmask_b32_e64 v29, v31, v29, s[14:15]
	v_bfe_u32 v34, v2, 29, 1
	v_cndmask_b32_e64 v26, v30, v26, s[8:9]
	v_alignbit_b32 v31, v2, v29, 30
	v_sub_u32_e32 v35, 0, v34
	v_cndmask_b32_e64 v25, v25, v26, s[10:11]
	v_xor_b32_e32 v36, v31, v35
	v_cndmask_b32_e64 v25, v28, v25, s[12:13]
	v_alignbit_b32 v26, v27, v25, v33
	v_ffbh_u32_e32 v28, v36
	v_cndmask_b32_e64 v26, v26, v27, s[14:15]
	v_add_u32_e32 v28, 1, v28
	v_cmp_ne_u32_e64 s[8:9], v31, v35
	v_alignbit_b32 v27, v29, v26, 30
	v_cndmask_b32_e64 v28, 33, v28, s[8:9]
	v_alignbit_b32 v25, v26, v25, 30
	v_xor_b32_e32 v27, v27, v35
	v_sub_u32_e32 v29, 32, v28
	v_xor_b32_e32 v25, v25, v35
	v_alignbit_b32 v30, v36, v27, v29
	v_alignbit_b32 v25, v27, v25, v29
	;; [unrolled: 1-line block ×3, first 2 shown]
	v_ffbh_u32_e32 v27, v26
	v_min_u32_e32 v27, 32, v27
	v_lshrrev_b32_e32 v32, 29, v2
	v_sub_u32_e32 v29, 31, v27
	v_alignbit_b32 v25, v26, v25, v29
	v_lshlrev_b32_e32 v26, 31, v32
	v_or_b32_e32 v29, 0x33800000, v26
	v_add_lshl_u32 v27, v27, v28, 23
	v_lshrrev_b32_e32 v25, 9, v25
	v_sub_u32_e32 v27, v29, v27
	v_or_b32_e32 v25, v27, v25
	v_alignbit_b32 v27, v28, v30, 9
	v_or_b32_e32 v26, v27, v26
	v_xor_b32_e32 v26, 1.0, v26
	v_mul_f32_e32 v27, 0x3fc90fda, v26
	v_fma_f32 v28, v26, s43, -v27
	v_fmac_f32_e32 v28, 0x33a22168, v26
	v_fmac_f32_e32 v28, 0x3fc90fda, v25
	v_lshrrev_b32_e32 v2, 30, v2
	v_add_f32_e32 v26, v27, v28
	v_add_u32_e32 v27, v34, v2
.LBB102_18:                             ;   in Loop: Header=BB102_4 Depth=1
	s_andn2_saveexec_b64 s[8:9], s[26:27]
; %bb.19:                               ;   in Loop: Header=BB102_4 Depth=1
	v_mul_f32_e64 v2, |v19|, s44
	v_rndne_f32_e32 v2, v2
	v_cvt_i32_f32_e32 v27, v2
	v_fma_f32 v26, v2, s45, |v19|
	v_fmac_f32_e32 v26, 0xb3a22168, v2
	v_fmac_f32_e32 v26, 0xa7c234c4, v2
; %bb.20:                               ;   in Loop: Header=BB102_4 Depth=1
	s_or_b64 exec, exec, s[8:9]
	v_cvt_f32_f16_e32 v24, v24
                                        ; implicit-def: $vgpr30
                                        ; implicit-def: $vgpr29
	v_and_b32_e32 v25, 0x7fffffff, v24
	v_cmp_nlt_f32_e64 s[8:9], |v24|, s35
	s_and_saveexec_b64 s[10:11], s[8:9]
	s_xor_b64 s[26:27], exec, s[10:11]
	s_cbranch_execz .LBB102_22
; %bb.21:                               ;   in Loop: Header=BB102_4 Depth=1
	v_lshrrev_b32_e32 v2, 23, v25
	v_add_u32_e32 v2, 0xffffff88, v2
	v_cmp_lt_u32_e64 s[8:9], 63, v2
	v_cndmask_b32_e64 v28, 0, v14, s[8:9]
	v_add_u32_e32 v2, v28, v2
	v_cmp_lt_u32_e64 s[10:11], 31, v2
	v_cndmask_b32_e64 v28, 0, v15, s[10:11]
	;; [unrolled: 3-line block ×3, first 2 shown]
	v_add_u32_e32 v42, v28, v2
	v_and_b32_e32 v2, 0x7fffff, v25
	v_or_b32_e32 v40, 0x800000, v2
	v_mad_u64_u32 v[28:29], s[14:15], v40, s36, 0
	v_mov_b32_e32 v2, v29
	v_mad_u64_u32 v[30:31], s[14:15], v40, s37, v[2:3]
	v_mov_b32_e32 v2, v31
	;; [unrolled: 2-line block ×6, first 2 shown]
	v_mad_u64_u32 v[40:41], s[14:15], v40, s42, v[2:3]
	v_cndmask_b32_e64 v29, v38, v34, s[8:9]
	v_cndmask_b32_e64 v2, v40, v36, s[8:9]
	v_cndmask_b32_e64 v33, v41, v38, s[8:9]
	v_cndmask_b32_e64 v31, v2, v29, s[10:11]
	v_cndmask_b32_e64 v2, v33, v2, s[10:11]
	v_cndmask_b32_e64 v33, v36, v32, s[8:9]
	v_cndmask_b32_e64 v29, v29, v33, s[10:11]
	v_cndmask_b32_e64 v30, v34, v30, s[8:9]
	v_cndmask_b32_e64 v2, v2, v31, s[12:13]
	v_cndmask_b32_e64 v31, v31, v29, s[12:13]
	v_sub_u32_e32 v35, 32, v42
	v_cndmask_b32_e64 v33, v33, v30, s[10:11]
	v_alignbit_b32 v36, v2, v31, v35
	v_cmp_eq_u32_e64 s[14:15], 0, v42
	v_cndmask_b32_e64 v29, v29, v33, s[12:13]
	v_cndmask_b32_e64 v28, v32, v28, s[8:9]
	;; [unrolled: 1-line block ×3, first 2 shown]
	v_alignbit_b32 v34, v31, v29, v35
	v_cndmask_b32_e64 v28, v30, v28, s[10:11]
	v_cndmask_b32_e64 v31, v34, v31, s[14:15]
	v_bfe_u32 v37, v2, 29, 1
	v_cndmask_b32_e64 v28, v33, v28, s[12:13]
	v_alignbit_b32 v34, v2, v31, 30
	v_sub_u32_e32 v38, 0, v37
	v_alignbit_b32 v30, v29, v28, v35
	v_xor_b32_e32 v39, v34, v38
	v_cndmask_b32_e64 v29, v30, v29, s[14:15]
	v_alignbit_b32 v30, v31, v29, 30
	v_ffbh_u32_e32 v31, v39
	v_add_u32_e32 v31, 1, v31
	v_cmp_ne_u32_e64 s[8:9], v34, v38
	v_cndmask_b32_e64 v31, 33, v31, s[8:9]
	v_alignbit_b32 v28, v29, v28, 30
	v_xor_b32_e32 v30, v30, v38
	v_sub_u32_e32 v32, 32, v31
	v_xor_b32_e32 v28, v28, v38
	v_alignbit_b32 v33, v39, v30, v32
	v_alignbit_b32 v28, v30, v28, v32
	;; [unrolled: 1-line block ×3, first 2 shown]
	v_ffbh_u32_e32 v30, v29
	v_min_u32_e32 v30, 32, v30
	v_lshrrev_b32_e32 v36, 29, v2
	v_sub_u32_e32 v32, 31, v30
	v_alignbit_b32 v28, v29, v28, v32
	v_lshlrev_b32_e32 v29, 31, v36
	v_or_b32_e32 v32, 0x33800000, v29
	v_add_lshl_u32 v30, v30, v31, 23
	v_lshrrev_b32_e32 v28, 9, v28
	v_sub_u32_e32 v30, v32, v30
	v_or_b32_e32 v28, v30, v28
	v_alignbit_b32 v30, v31, v33, 9
	v_or_b32_e32 v29, v30, v29
	v_xor_b32_e32 v29, 1.0, v29
	v_mul_f32_e32 v30, 0x3fc90fda, v29
	v_fma_f32 v31, v29, s43, -v30
	v_fmac_f32_e32 v31, 0x33a22168, v29
	v_fmac_f32_e32 v31, 0x3fc90fda, v28
	v_lshrrev_b32_e32 v2, 30, v2
	v_add_f32_e32 v29, v30, v31
	v_add_u32_e32 v30, v37, v2
.LBB102_22:                             ;   in Loop: Header=BB102_4 Depth=1
	s_andn2_saveexec_b64 s[8:9], s[26:27]
; %bb.23:                               ;   in Loop: Header=BB102_4 Depth=1
	v_mul_f32_e64 v2, |v24|, s44
	v_rndne_f32_e32 v2, v2
	v_cvt_i32_f32_e32 v30, v2
	v_fma_f32 v29, v2, s45, |v24|
	v_fmac_f32_e32 v29, 0xb3a22168, v2
	v_fmac_f32_e32 v29, 0xa7c234c4, v2
; %bb.24:                               ;   in Loop: Header=BB102_4 Depth=1
	s_or_b64 exec, exec, s[8:9]
	v_cvt_f32_f16_e32 v23, v23
                                        ; implicit-def: $vgpr31
                                        ; implicit-def: $vgpr2
	v_and_b32_e32 v28, 0x7fffffff, v23
	v_cmp_nlt_f32_e64 s[8:9], |v23|, s35
	s_and_saveexec_b64 s[10:11], s[8:9]
	s_xor_b64 s[26:27], exec, s[10:11]
	s_cbranch_execnz .LBB102_30
; %bb.25:                               ;   in Loop: Header=BB102_4 Depth=1
	s_andn2_saveexec_b64 s[8:9], s[26:27]
	s_cbranch_execnz .LBB102_31
.LBB102_26:                             ;   in Loop: Header=BB102_4 Depth=1
	s_or_b64 exec, exec, s[8:9]
	s_and_saveexec_b64 s[8:9], s[6:7]
	s_xor_b64 s[8:9], exec, s[8:9]
	s_cbranch_execnz .LBB102_32
.LBB102_27:                             ;   in Loop: Header=BB102_4 Depth=1
	s_or_b64 exec, exec, s[8:9]
	s_and_saveexec_b64 s[6:7], s[2:3]
	s_cbranch_execnz .LBB102_33
.LBB102_28:                             ;   in Loop: Header=BB102_4 Depth=1
	s_or_b64 exec, exec, s[6:7]
	s_and_saveexec_b64 s[2:3], s[0:1]
	s_cbranch_execnz .LBB102_34
.LBB102_29:                             ;   in Loop: Header=BB102_4 Depth=1
	s_or_b64 exec, exec, s[2:3]
	s_and_saveexec_b64 s[0:1], vcc
	s_cbranch_execz .LBB102_3
	s_branch .LBB102_35
.LBB102_30:                             ;   in Loop: Header=BB102_4 Depth=1
	v_lshrrev_b32_e32 v2, 23, v28
	v_add_u32_e32 v2, 0xffffff88, v2
	v_cmp_lt_u32_e64 s[8:9], 63, v2
	v_cndmask_b32_e64 v31, 0, v14, s[8:9]
	v_add_u32_e32 v2, v31, v2
	v_cmp_lt_u32_e64 s[10:11], 31, v2
	v_cndmask_b32_e64 v31, 0, v15, s[10:11]
	;; [unrolled: 3-line block ×3, first 2 shown]
	v_add_u32_e32 v31, v31, v2
	v_and_b32_e32 v2, 0x7fffff, v28
	v_or_b32_e32 v44, 0x800000, v2
	v_mad_u64_u32 v[32:33], s[14:15], v44, s36, 0
	v_mov_b32_e32 v2, v33
	v_mad_u64_u32 v[34:35], s[14:15], v44, s37, v[2:3]
	v_mov_b32_e32 v2, v35
	;; [unrolled: 2-line block ×6, first 2 shown]
	v_mad_u64_u32 v[44:45], s[14:15], v44, s42, v[2:3]
	v_cndmask_b32_e64 v33, v42, v38, s[8:9]
	v_cndmask_b32_e64 v2, v44, v40, s[8:9]
	;; [unrolled: 1-line block ×9, first 2 shown]
	v_sub_u32_e32 v39, 32, v31
	v_alignbit_b32 v40, v2, v35, v39
	v_cmp_eq_u32_e64 s[14:15], 0, v31
	v_cndmask_b32_e64 v31, v40, v2, s[14:15]
	v_cndmask_b32_e64 v2, v38, v34, s[8:9]
	;; [unrolled: 1-line block ×4, first 2 shown]
	v_alignbit_b32 v37, v35, v33, v39
	v_cndmask_b32_e64 v35, v37, v35, s[14:15]
	v_bfe_u32 v40, v31, 29, 1
	v_cndmask_b32_e64 v32, v36, v32, s[8:9]
	v_alignbit_b32 v37, v31, v35, 30
	v_sub_u32_e32 v41, 0, v40
	v_cndmask_b32_e64 v2, v2, v32, s[10:11]
	v_xor_b32_e32 v42, v37, v41
	v_cndmask_b32_e64 v2, v34, v2, s[12:13]
	v_alignbit_b32 v32, v33, v2, v39
	v_ffbh_u32_e32 v34, v42
	v_cndmask_b32_e64 v32, v32, v33, s[14:15]
	v_add_u32_e32 v34, 1, v34
	v_cmp_ne_u32_e64 s[8:9], v37, v41
	v_alignbit_b32 v33, v35, v32, 30
	v_cndmask_b32_e64 v34, 33, v34, s[8:9]
	v_alignbit_b32 v2, v32, v2, 30
	v_xor_b32_e32 v33, v33, v41
	v_sub_u32_e32 v35, 32, v34
	v_xor_b32_e32 v2, v2, v41
	v_alignbit_b32 v36, v42, v33, v35
	v_alignbit_b32 v2, v33, v2, v35
	;; [unrolled: 1-line block ×3, first 2 shown]
	v_ffbh_u32_e32 v33, v32
	v_min_u32_e32 v33, 32, v33
	v_lshrrev_b32_e32 v38, 29, v31
	v_sub_u32_e32 v35, 31, v33
	v_alignbit_b32 v2, v32, v2, v35
	v_lshlrev_b32_e32 v32, 31, v38
	v_or_b32_e32 v35, 0x33800000, v32
	v_add_lshl_u32 v33, v33, v34, 23
	v_lshrrev_b32_e32 v2, 9, v2
	v_sub_u32_e32 v33, v35, v33
	v_or_b32_e32 v2, v33, v2
	v_alignbit_b32 v33, v34, v36, 9
	v_or_b32_e32 v32, v33, v32
	v_xor_b32_e32 v32, 1.0, v32
	v_mul_f32_e32 v33, 0x3fc90fda, v32
	v_fma_f32 v34, v32, s43, -v33
	v_fmac_f32_e32 v34, 0x33a22168, v32
	v_fmac_f32_e32 v34, 0x3fc90fda, v2
	v_lshrrev_b32_e32 v31, 30, v31
	v_add_f32_e32 v2, v33, v34
	v_add_u32_e32 v31, v40, v31
	s_andn2_saveexec_b64 s[8:9], s[26:27]
	s_cbranch_execz .LBB102_26
.LBB102_31:                             ;   in Loop: Header=BB102_4 Depth=1
	v_mul_f32_e64 v2, |v23|, s44
	v_rndne_f32_e32 v32, v2
	v_cvt_i32_f32_e32 v31, v32
	v_fma_f32 v2, v32, s45, |v23|
	v_fmac_f32_e32 v2, 0xb3a22168, v32
	v_fmac_f32_e32 v2, 0xa7c234c4, v32
	s_or_b64 exec, exec, s[8:9]
	s_and_saveexec_b64 s[8:9], s[6:7]
	s_xor_b64 s[8:9], exec, s[8:9]
	s_cbranch_execz .LBB102_27
.LBB102_32:                             ;   in Loop: Header=BB102_4 Depth=1
	v_mul_f32_e32 v32, v21, v21
	v_mov_b32_e32 v33, 0xbf039337
	v_fmac_f32_e32 v33, 0x3c971480, v32
	v_fma_f32 v33, v32, v33, v13
	v_rcp_f32_e32 v33, v33
	v_mov_b32_e32 v34, 0x3ec54587
	v_fmac_f32_e32 v34, 0xbc8cedd3, v32
	v_and_b32_e32 v22, 1, v22
	v_mul_f32_e32 v33, v34, v33
	v_mul_f32_e32 v32, v32, v33
	v_fma_f32 v33, v32, v21, v21
	v_rcp_f32_e32 v34, v33
	v_sub_f32_e32 v35, v33, v21
	v_fma_f32 v21, v32, v21, -v35
	v_cmp_eq_u32_e64 s[6:7], 0, v22
	v_fma_f32 v32, v33, -v34, 1.0
	v_fma_f32 v21, v21, -v34, v32
	v_fma_f32 v21, v21, -v34, -v34
	v_cndmask_b32_e64 v21, v21, v33, s[6:7]
	v_xor_b32_e32 v18, v18, v17
	v_xor_b32_e32 v18, v18, v21
	v_cmp_class_f32_e64 s[6:7], v17, s46
	v_cndmask_b32_e64 v17, v16, v18, s[6:7]
	v_cvt_f16_f32_e32 v17, v17
	global_store_short v[4:5], v17, off
	s_or_b64 exec, exec, s[8:9]
	s_and_saveexec_b64 s[6:7], s[2:3]
	s_cbranch_execz .LBB102_28
.LBB102_33:                             ;   in Loop: Header=BB102_4 Depth=1
	v_mul_f32_e32 v17, v26, v26
	v_mov_b32_e32 v18, 0xbf039337
	v_fmac_f32_e32 v18, 0x3c971480, v17
	v_fma_f32 v18, v17, v18, v13
	v_rcp_f32_e32 v18, v18
	v_mov_b32_e32 v21, 0x3ec54587
	v_fmac_f32_e32 v21, 0xbc8cedd3, v17
	v_and_b32_e32 v22, 1, v27
	v_mul_f32_e32 v18, v21, v18
	v_mul_f32_e32 v17, v17, v18
	v_fma_f32 v18, v17, v26, v26
	v_rcp_f32_e32 v21, v18
	v_sub_f32_e32 v27, v18, v26
	v_fma_f32 v17, v17, v26, -v27
	v_cmp_eq_u32_e64 s[2:3], 0, v22
	v_fma_f32 v26, v18, -v21, 1.0
	v_fma_f32 v17, v17, -v21, v26
	v_fma_f32 v17, v17, -v21, -v21
	v_cndmask_b32_e64 v17, v17, v18, s[2:3]
	v_xor_b32_e32 v18, v20, v19
	v_xor_b32_e32 v17, v18, v17
	v_cmp_class_f32_e64 s[2:3], v19, s46
	v_cndmask_b32_e64 v17, v16, v17, s[2:3]
	v_cvt_f16_f32_e32 v17, v17
	global_store_short v[6:7], v17, off
	s_or_b64 exec, exec, s[6:7]
	s_and_saveexec_b64 s[2:3], s[0:1]
	s_cbranch_execz .LBB102_29
.LBB102_34:                             ;   in Loop: Header=BB102_4 Depth=1
	v_mul_f32_e32 v17, v29, v29
	v_mov_b32_e32 v18, 0xbf039337
	v_fmac_f32_e32 v18, 0x3c971480, v17
	v_fma_f32 v18, v17, v18, v13
	v_rcp_f32_e32 v18, v18
	v_mov_b32_e32 v19, 0x3ec54587
	v_fmac_f32_e32 v19, 0xbc8cedd3, v17
	v_and_b32_e32 v20, 1, v30
	v_mul_f32_e32 v18, v19, v18
	v_mul_f32_e32 v17, v17, v18
	v_fma_f32 v18, v17, v29, v29
	v_rcp_f32_e32 v19, v18
	v_sub_f32_e32 v21, v18, v29
	v_fma_f32 v17, v17, v29, -v21
	v_cmp_eq_u32_e64 s[0:1], 0, v20
	v_fma_f32 v21, v18, -v19, 1.0
	v_fma_f32 v17, v17, -v19, v21
	v_fma_f32 v17, v17, -v19, -v19
	v_cndmask_b32_e64 v17, v17, v18, s[0:1]
	v_xor_b32_e32 v18, v25, v24
	v_xor_b32_e32 v17, v18, v17
	v_cmp_class_f32_e64 s[0:1], v24, s46
	v_cndmask_b32_e64 v17, v16, v17, s[0:1]
	v_cvt_f16_f32_e32 v17, v17
	v_mov_b32_e32 v19, s28
	v_add_co_u32_e64 v18, s[0:1], s29, v4
	v_addc_co_u32_e64 v19, s[0:1], v5, v19, s[0:1]
	global_store_short v[18:19], v17, off
	s_or_b64 exec, exec, s[2:3]
	s_and_saveexec_b64 s[0:1], vcc
	s_cbranch_execz .LBB102_3
.LBB102_35:                             ;   in Loop: Header=BB102_4 Depth=1
	v_mul_f32_e32 v17, v2, v2
	v_mov_b32_e32 v18, 0xbf039337
	v_fmac_f32_e32 v18, 0x3c971480, v17
	v_fma_f32 v18, v17, v18, v13
	v_rcp_f32_e32 v18, v18
	v_mov_b32_e32 v19, 0x3ec54587
	v_fmac_f32_e32 v19, 0xbc8cedd3, v17
	v_and_b32_e32 v20, 1, v31
	v_mul_f32_e32 v18, v19, v18
	v_mul_f32_e32 v17, v17, v18
	v_fma_f32 v18, v17, v2, v2
	v_rcp_f32_e32 v19, v18
	v_sub_f32_e32 v21, v18, v2
	v_fma_f32 v2, v17, v2, -v21
	v_cmp_eq_u32_e32 vcc, 0, v20
	v_fma_f32 v17, v18, -v19, 1.0
	v_fma_f32 v2, v2, -v19, v17
	v_fma_f32 v2, v2, -v19, -v19
	v_cndmask_b32_e32 v2, v2, v18, vcc
	v_xor_b32_e32 v17, v28, v23
	v_xor_b32_e32 v2, v17, v2
	v_cmp_class_f32_e64 vcc, v23, s46
	v_cndmask_b32_e32 v2, v16, v2, vcc
	v_cvt_f16_f32_e32 v2, v2
	v_mov_b32_e32 v17, s34
	v_add_co_u32_e32 v18, vcc, s33, v4
	v_addc_co_u32_e32 v19, vcc, v5, v17, vcc
	global_store_short v[18:19], v2, off
	s_branch .LBB102_3
.LBB102_36:
	s_cbranch_execz .LBB102_38
	s_branch .LBB102_57
.LBB102_37:
.LBB102_38:
	v_mov_b32_e32 v3, 0
	v_lshlrev_b32_e32 v2, 2, v0
	s_mov_b32 s12, 0
	v_cmp_gt_i64_e32 vcc, s[16:17], v[2:3]
	s_and_saveexec_b64 s[0:1], vcc
	s_cbranch_execz .LBB102_57
; %bb.39:
	s_load_dword s0, s[4:5], 0xd3c
	v_lshlrev_b32_e32 v1, 3, v0
	s_mov_b32 s15, s12
	s_mov_b64 s[6:7], 0
	s_mov_b32 s22, 0xf534ddc0
	s_waitcnt lgkmcnt(0)
	s_and_b32 s0, s0, 0xffff
	s_lshl_b32 s13, s0, 2
	s_add_u32 s1, s18, s20
	s_addc_u32 s2, s19, s21
	v_add_lshl_u32 v2, v0, s0, 2
	v_mov_b32_e32 v0, s2
	v_add_co_u32_e32 v1, vcc, s1, v1
	v_addc_co_u32_e32 v4, vcc, 0, v0, vcc
	v_add_co_u32_e32 v0, vcc, 4, v1
	v_addc_co_u32_e32 v1, vcc, 0, v4, vcc
	s_lshl_b32 s14, s0, 3
	s_brev_b32 s18, 18
	s_mov_b32 s19, 0xfe5163ab
	s_mov_b32 s20, 0x3c439041
	s_mov_b32 s21, 0xdb629599
	s_mov_b32 s23, 0xfc2757d1
	s_mov_b32 s24, 0x4e441529
	s_mov_b32 s25, 0xa2f9836e
	s_mov_b32 s26, 0x3fc90fda
	s_mov_b32 s27, 0x3f22f983
	s_mov_b32 s28, 0xbfc90fda
	v_mov_b32_e32 v8, 0x3f93f425
	s_movk_i32 s29, 0x1f8
	s_mov_b64 s[8:9], 0xffff
	v_not_b32_e32 v9, 63
	v_not_b32_e32 v10, 31
	v_mov_b32_e32 v11, 0x7fc00000
	v_pk_mov_b32 v[4:5], v[2:3], v[2:3] op_sel:[0,1]
	s_branch .LBB102_41
.LBB102_40:                             ;   in Loop: Header=BB102_41 Depth=1
	s_or_b64 exec, exec, s[0:1]
	v_mul_f32_e32 v25, v22, v22
	v_mov_b32_e32 v26, 0xbf039337
	v_fmac_f32_e32 v26, 0x3c971480, v25
	v_fma_f32 v26, v25, v26, v8
	v_rcp_f32_e32 v26, v26
	v_mov_b32_e32 v27, 0x3ec54587
	v_fmac_f32_e32 v27, 0xbc8cedd3, v25
	v_and_b32_e32 v23, 1, v23
	v_mul_f32_e32 v26, v27, v26
	v_mul_f32_e32 v25, v25, v26
	v_fma_f32 v26, v25, v22, v22
	v_rcp_f32_e32 v27, v26
	v_sub_f32_e32 v28, v26, v22
	v_fma_f32 v22, v25, v22, -v28
	v_cmp_eq_u32_e32 vcc, 0, v23
	v_fma_f32 v25, v26, -v27, 1.0
	v_fma_f32 v22, v22, -v27, v25
	v_fma_f32 v22, v22, -v27, -v27
	v_cndmask_b32_e32 v22, v22, v26, vcc
	v_xor_b32_e32 v20, v20, v19
	v_xor_b32_e32 v20, v20, v22
	v_cmp_class_f32_e64 vcc, v19, s29
	v_cndmask_b32_e32 v19, v11, v20, vcc
	v_mul_f32_e32 v20, v17, v17
	v_mov_b32_e32 v22, 0xbf039337
	v_fmac_f32_e32 v22, 0x3c971480, v20
	v_fma_f32 v22, v20, v22, v8
	v_rcp_f32_e32 v22, v22
	v_mov_b32_e32 v23, 0x3ec54587
	v_fmac_f32_e32 v23, 0xbc8cedd3, v20
	v_and_b32_e32 v18, 1, v18
	v_mul_f32_e32 v22, v23, v22
	v_mul_f32_e32 v20, v20, v22
	v_fma_f32 v22, v20, v17, v17
	v_rcp_f32_e32 v23, v22
	v_sub_f32_e32 v25, v22, v17
	v_fma_f32 v17, v20, v17, -v25
	v_cmp_eq_u32_e32 vcc, 0, v18
	v_fma_f32 v20, v22, -v23, 1.0
	v_fma_f32 v17, v17, -v23, v20
	v_fma_f32 v17, v17, -v23, -v23
	v_cndmask_b32_e32 v17, v17, v22, vcc
	v_xor_b32_e32 v16, v16, v6
	v_xor_b32_e32 v16, v16, v17
	v_cmp_class_f32_e64 vcc, v6, s29
	v_cndmask_b32_e32 v6, v11, v16, vcc
	v_mul_f32_e32 v16, v14, v14
	v_mov_b32_e32 v17, 0xbf039337
	v_fmac_f32_e32 v17, 0x3c971480, v16
	v_fma_f32 v17, v16, v17, v8
	v_rcp_f32_e32 v17, v17
	v_mov_b32_e32 v18, 0x3ec54587
	v_fmac_f32_e32 v18, 0xbc8cedd3, v16
	v_and_b32_e32 v15, 1, v15
	v_mul_f32_e32 v17, v18, v17
	v_mul_f32_e32 v16, v16, v17
	v_fma_f32 v17, v16, v14, v14
	v_rcp_f32_e32 v18, v17
	v_sub_f32_e32 v20, v17, v14
	v_fma_f32 v14, v16, v14, -v20
	v_cmp_eq_u32_e32 vcc, 0, v15
	v_fma_f32 v16, v17, -v18, 1.0
	v_fma_f32 v14, v14, -v18, v16
	v_fma_f32 v14, v14, -v18, -v18
	v_cndmask_b32_e32 v14, v14, v17, vcc
	v_xor_b32_e32 v13, v13, v12
	v_xor_b32_e32 v13, v13, v14
	v_mul_f32_e32 v14, v2, v2
	v_mov_b32_e32 v15, 0xbf039337
	v_fmac_f32_e32 v15, 0x3c971480, v14
	v_fma_f32 v15, v14, v15, v8
	v_rcp_f32_e32 v15, v15
	v_cmp_class_f32_e64 vcc, v12, s29
	v_cndmask_b32_e32 v12, v11, v13, vcc
	v_mov_b32_e32 v13, 0x3ec54587
	v_fmac_f32_e32 v13, 0xbc8cedd3, v14
	v_mul_f32_e32 v13, v13, v15
	v_mul_f32_e32 v13, v14, v13
	v_fma_f32 v14, v13, v2, v2
	v_rcp_f32_e32 v15, v14
	v_sub_f32_e32 v17, v14, v2
	v_fma_f32 v2, v13, v2, -v17
	v_and_b32_e32 v16, 1, v24
	v_fma_f32 v13, v14, -v15, 1.0
	v_fma_f32 v2, v2, -v15, v13
	v_fma_f32 v2, v2, -v15, -v15
	v_cmp_eq_u32_e32 vcc, 0, v16
	v_cndmask_b32_e32 v2, v2, v14, vcc
	v_xor_b32_e32 v13, v21, v7
	v_xor_b32_e32 v2, v13, v2
	v_cmp_class_f32_e64 vcc, v7, s29
	v_cndmask_b32_e32 v2, v11, v2, vcc
	v_cvt_f16_f32_e32 v19, v19
	v_cvt_f16_f32_e32 v2, v2
	;; [unrolled: 1-line block ×4, first 2 shown]
	v_cmp_le_i64_e32 vcc, s[16:17], v[4:5]
	v_cmp_lt_u64_e64 s[0:1], s[8:9], v[4:5]
	v_pack_b32_f16 v7, v19, v2
	s_or_b64 s[0:1], vcc, s[0:1]
	v_mov_b32_e32 v2, s12
	v_add_co_u32_e32 v4, vcc, s13, v4
	v_pack_b32_f16 v6, v12, v6
	v_addc_co_u32_e32 v5, vcc, v5, v2, vcc
	global_store_dwordx2 v[0:1], v[6:7], off offset:-4
	v_mov_b32_e32 v2, s15
	s_and_b64 s[0:1], exec, s[0:1]
	v_add_co_u32_e32 v0, vcc, s14, v0
	s_or_b64 s[6:7], s[0:1], s[6:7]
	v_addc_co_u32_e32 v1, vcc, v1, v2, vcc
	s_andn2_b64 exec, exec, s[6:7]
	s_cbranch_execz .LBB102_57
.LBB102_41:                             ; =>This Inner Loop Header: Depth=1
	global_load_dwordx2 v[6:7], v[0:1], off offset:-4
                                        ; implicit-def: $vgpr15
                                        ; implicit-def: $vgpr14
	s_waitcnt vmcnt(0)
	v_cvt_f32_f16_e32 v12, v6
	v_and_b32_e32 v13, 0x7fffffff, v12
	v_cmp_nlt_f32_e64 s[0:1], |v12|, s18
	s_and_saveexec_b64 s[2:3], s[0:1]
	s_xor_b64 s[10:11], exec, s[2:3]
	s_cbranch_execz .LBB102_43
; %bb.42:                               ;   in Loop: Header=BB102_41 Depth=1
	v_lshrrev_b32_e32 v2, 23, v13
	v_add_u32_e32 v2, 0xffffff88, v2
	v_cmp_lt_u32_e32 vcc, 63, v2
	v_cndmask_b32_e32 v14, 0, v9, vcc
	v_add_u32_e32 v2, v14, v2
	v_cmp_lt_u32_e64 s[0:1], 31, v2
	v_cndmask_b32_e64 v14, 0, v10, s[0:1]
	v_add_u32_e32 v2, v14, v2
	v_cmp_lt_u32_e64 s[2:3], 31, v2
	v_cndmask_b32_e64 v14, 0, v10, s[2:3]
	v_add_u32_e32 v28, v14, v2
	v_and_b32_e32 v2, 0x7fffff, v13
	v_or_b32_e32 v26, 0x800000, v2
	v_mad_u64_u32 v[14:15], s[4:5], v26, s19, 0
	v_mov_b32_e32 v2, v15
	v_mad_u64_u32 v[16:17], s[4:5], v26, s20, v[2:3]
	v_mov_b32_e32 v2, v17
	;; [unrolled: 2-line block ×6, first 2 shown]
	v_mad_u64_u32 v[26:27], s[4:5], v26, s25, v[2:3]
	v_cndmask_b32_e32 v15, v24, v20, vcc
	v_cndmask_b32_e32 v2, v26, v22, vcc
	;; [unrolled: 1-line block ×3, first 2 shown]
	v_cndmask_b32_e64 v17, v2, v15, s[0:1]
	v_cndmask_b32_e64 v2, v19, v2, s[0:1]
	v_cndmask_b32_e32 v19, v22, v18, vcc
	v_cndmask_b32_e64 v15, v15, v19, s[0:1]
	v_cndmask_b32_e32 v16, v20, v16, vcc
	v_cndmask_b32_e64 v2, v2, v17, s[2:3]
	v_cndmask_b32_e64 v17, v17, v15, s[2:3]
	v_sub_u32_e32 v21, 32, v28
	v_cndmask_b32_e64 v19, v19, v16, s[0:1]
	v_alignbit_b32 v22, v2, v17, v21
	v_cmp_eq_u32_e64 s[4:5], 0, v28
	v_cndmask_b32_e64 v15, v15, v19, s[2:3]
	v_cndmask_b32_e32 v14, v18, v14, vcc
	v_cndmask_b32_e64 v2, v22, v2, s[4:5]
	v_alignbit_b32 v20, v17, v15, v21
	v_cndmask_b32_e64 v14, v16, v14, s[0:1]
	v_cndmask_b32_e64 v17, v20, v17, s[4:5]
	v_bfe_u32 v23, v2, 29, 1
	v_cndmask_b32_e64 v14, v19, v14, s[2:3]
	v_alignbit_b32 v20, v2, v17, 30
	v_sub_u32_e32 v24, 0, v23
	v_alignbit_b32 v16, v15, v14, v21
	v_xor_b32_e32 v25, v20, v24
	v_cndmask_b32_e64 v15, v16, v15, s[4:5]
	v_alignbit_b32 v16, v17, v15, 30
	v_ffbh_u32_e32 v17, v25
	v_add_u32_e32 v17, 1, v17
	v_cmp_ne_u32_e32 vcc, v20, v24
	v_cndmask_b32_e32 v17, 33, v17, vcc
	v_alignbit_b32 v14, v15, v14, 30
	v_xor_b32_e32 v16, v16, v24
	v_sub_u32_e32 v18, 32, v17
	v_xor_b32_e32 v14, v14, v24
	v_alignbit_b32 v19, v25, v16, v18
	v_alignbit_b32 v14, v16, v14, v18
	;; [unrolled: 1-line block ×3, first 2 shown]
	v_ffbh_u32_e32 v16, v15
	v_min_u32_e32 v16, 32, v16
	v_lshrrev_b32_e32 v22, 29, v2
	v_sub_u32_e32 v18, 31, v16
	v_alignbit_b32 v14, v15, v14, v18
	v_lshlrev_b32_e32 v15, 31, v22
	v_or_b32_e32 v18, 0x33800000, v15
	v_add_lshl_u32 v16, v16, v17, 23
	v_lshrrev_b32_e32 v14, 9, v14
	v_sub_u32_e32 v16, v18, v16
	v_or_b32_e32 v14, v16, v14
	v_alignbit_b32 v16, v17, v19, 9
	v_or_b32_e32 v15, v16, v15
	v_xor_b32_e32 v15, 1.0, v15
	v_mul_f32_e32 v16, 0x3fc90fda, v15
	v_fma_f32 v17, v15, s26, -v16
	v_fmac_f32_e32 v17, 0x33a22168, v15
	v_fmac_f32_e32 v17, 0x3fc90fda, v14
	v_lshrrev_b32_e32 v2, 30, v2
	v_add_f32_e32 v14, v16, v17
	v_add_u32_e32 v15, v23, v2
.LBB102_43:                             ;   in Loop: Header=BB102_41 Depth=1
	s_andn2_saveexec_b64 s[0:1], s[10:11]
; %bb.44:                               ;   in Loop: Header=BB102_41 Depth=1
	v_mul_f32_e64 v2, |v12|, s27
	v_rndne_f32_e32 v2, v2
	v_cvt_i32_f32_e32 v15, v2
	v_fma_f32 v14, v2, s28, |v12|
	v_fmac_f32_e32 v14, 0xb3a22168, v2
	v_fmac_f32_e32 v14, 0xa7c234c4, v2
; %bb.45:                               ;   in Loop: Header=BB102_41 Depth=1
	s_or_b64 exec, exec, s[0:1]
	v_cvt_f32_f16_sdwa v6, v6 dst_sel:DWORD dst_unused:UNUSED_PAD src0_sel:WORD_1
                                        ; implicit-def: $vgpr18
                                        ; implicit-def: $vgpr17
	v_and_b32_e32 v16, 0x7fffffff, v6
	v_cmp_nlt_f32_e64 s[0:1], |v6|, s18
	s_and_saveexec_b64 s[2:3], s[0:1]
	s_xor_b64 s[10:11], exec, s[2:3]
	s_cbranch_execz .LBB102_47
; %bb.46:                               ;   in Loop: Header=BB102_41 Depth=1
	v_lshrrev_b32_e32 v2, 23, v16
	v_add_u32_e32 v2, 0xffffff88, v2
	v_cmp_lt_u32_e32 vcc, 63, v2
	v_cndmask_b32_e32 v17, 0, v9, vcc
	v_add_u32_e32 v2, v17, v2
	v_cmp_lt_u32_e64 s[0:1], 31, v2
	v_cndmask_b32_e64 v17, 0, v10, s[0:1]
	v_add_u32_e32 v2, v17, v2
	v_cmp_lt_u32_e64 s[2:3], 31, v2
	v_cndmask_b32_e64 v17, 0, v10, s[2:3]
	v_add_u32_e32 v17, v17, v2
	v_and_b32_e32 v2, 0x7fffff, v16
	v_or_b32_e32 v30, 0x800000, v2
	v_mad_u64_u32 v[18:19], s[4:5], v30, s19, 0
	v_mov_b32_e32 v2, v19
	v_mad_u64_u32 v[20:21], s[4:5], v30, s20, v[2:3]
	v_mov_b32_e32 v2, v21
	;; [unrolled: 2-line block ×6, first 2 shown]
	v_mad_u64_u32 v[30:31], s[4:5], v30, s25, v[2:3]
	v_cndmask_b32_e32 v19, v28, v24, vcc
	v_cndmask_b32_e32 v2, v30, v26, vcc
	;; [unrolled: 1-line block ×3, first 2 shown]
	v_cndmask_b32_e64 v21, v2, v19, s[0:1]
	v_cndmask_b32_e64 v2, v23, v2, s[0:1]
	v_cndmask_b32_e32 v23, v26, v22, vcc
	v_cndmask_b32_e64 v19, v19, v23, s[0:1]
	v_sub_u32_e32 v25, 32, v17
	v_cmp_eq_u32_e64 s[4:5], 0, v17
	v_cndmask_b32_e32 v17, v24, v20, vcc
	v_cndmask_b32_e64 v2, v2, v21, s[2:3]
	v_cndmask_b32_e64 v21, v21, v19, s[2:3]
	;; [unrolled: 1-line block ×3, first 2 shown]
	v_alignbit_b32 v26, v2, v21, v25
	v_cndmask_b32_e64 v19, v19, v20, s[2:3]
	v_cndmask_b32_e64 v2, v26, v2, s[4:5]
	v_alignbit_b32 v23, v21, v19, v25
	v_cndmask_b32_e64 v21, v23, v21, s[4:5]
	v_bfe_u32 v26, v2, 29, 1
	v_cndmask_b32_e32 v18, v22, v18, vcc
	v_alignbit_b32 v23, v2, v21, 30
	v_sub_u32_e32 v27, 0, v26
	v_cndmask_b32_e64 v17, v17, v18, s[0:1]
	v_xor_b32_e32 v28, v23, v27
	v_cndmask_b32_e64 v17, v20, v17, s[2:3]
	v_alignbit_b32 v18, v19, v17, v25
	v_ffbh_u32_e32 v20, v28
	v_cndmask_b32_e64 v18, v18, v19, s[4:5]
	v_add_u32_e32 v20, 1, v20
	v_cmp_ne_u32_e32 vcc, v23, v27
	v_alignbit_b32 v19, v21, v18, 30
	v_cndmask_b32_e32 v20, 33, v20, vcc
	v_alignbit_b32 v17, v18, v17, 30
	v_xor_b32_e32 v19, v19, v27
	v_sub_u32_e32 v21, 32, v20
	v_xor_b32_e32 v17, v17, v27
	v_alignbit_b32 v22, v28, v19, v21
	v_alignbit_b32 v17, v19, v17, v21
	;; [unrolled: 1-line block ×3, first 2 shown]
	v_ffbh_u32_e32 v19, v18
	v_min_u32_e32 v19, 32, v19
	v_lshrrev_b32_e32 v24, 29, v2
	v_sub_u32_e32 v21, 31, v19
	v_alignbit_b32 v17, v18, v17, v21
	v_lshlrev_b32_e32 v18, 31, v24
	v_or_b32_e32 v21, 0x33800000, v18
	v_add_lshl_u32 v19, v19, v20, 23
	v_lshrrev_b32_e32 v17, 9, v17
	v_sub_u32_e32 v19, v21, v19
	v_or_b32_e32 v17, v19, v17
	v_alignbit_b32 v19, v20, v22, 9
	v_or_b32_e32 v18, v19, v18
	v_xor_b32_e32 v18, 1.0, v18
	v_mul_f32_e32 v19, 0x3fc90fda, v18
	v_fma_f32 v20, v18, s26, -v19
	v_fmac_f32_e32 v20, 0x33a22168, v18
	v_fmac_f32_e32 v20, 0x3fc90fda, v17
	v_lshrrev_b32_e32 v2, 30, v2
	v_add_f32_e32 v17, v19, v20
	v_add_u32_e32 v18, v26, v2
.LBB102_47:                             ;   in Loop: Header=BB102_41 Depth=1
	s_andn2_saveexec_b64 s[0:1], s[10:11]
; %bb.48:                               ;   in Loop: Header=BB102_41 Depth=1
	v_mul_f32_e64 v2, |v6|, s27
	v_rndne_f32_e32 v2, v2
	v_cvt_i32_f32_e32 v18, v2
	v_fma_f32 v17, v2, s28, |v6|
	v_fmac_f32_e32 v17, 0xb3a22168, v2
	v_fmac_f32_e32 v17, 0xa7c234c4, v2
; %bb.49:                               ;   in Loop: Header=BB102_41 Depth=1
	s_or_b64 exec, exec, s[0:1]
	v_cvt_f32_f16_e32 v19, v7
                                        ; implicit-def: $vgpr23
                                        ; implicit-def: $vgpr22
	v_and_b32_e32 v20, 0x7fffffff, v19
	v_cmp_nlt_f32_e64 s[0:1], |v19|, s18
	s_and_saveexec_b64 s[2:3], s[0:1]
	s_xor_b64 s[10:11], exec, s[2:3]
	s_cbranch_execz .LBB102_51
; %bb.50:                               ;   in Loop: Header=BB102_41 Depth=1
	v_lshrrev_b32_e32 v2, 23, v20
	v_add_u32_e32 v2, 0xffffff88, v2
	v_cmp_lt_u32_e32 vcc, 63, v2
	v_cndmask_b32_e32 v21, 0, v9, vcc
	v_add_u32_e32 v2, v21, v2
	v_cmp_lt_u32_e64 s[0:1], 31, v2
	v_cndmask_b32_e64 v21, 0, v10, s[0:1]
	v_add_u32_e32 v2, v21, v2
	v_cmp_lt_u32_e64 s[2:3], 31, v2
	v_cndmask_b32_e64 v21, 0, v10, s[2:3]
	v_add_u32_e32 v21, v21, v2
	v_and_b32_e32 v2, 0x7fffff, v20
	v_or_b32_e32 v34, 0x800000, v2
	v_mad_u64_u32 v[22:23], s[4:5], v34, s19, 0
	v_mov_b32_e32 v2, v23
	v_mad_u64_u32 v[24:25], s[4:5], v34, s20, v[2:3]
	v_mov_b32_e32 v2, v25
	v_mad_u64_u32 v[26:27], s[4:5], v34, s21, v[2:3]
	v_mov_b32_e32 v2, v27
	v_mad_u64_u32 v[28:29], s[4:5], v34, s22, v[2:3]
	v_mov_b32_e32 v2, v29
	v_mad_u64_u32 v[30:31], s[4:5], v34, s23, v[2:3]
	v_mov_b32_e32 v2, v31
	v_mad_u64_u32 v[32:33], s[4:5], v34, s24, v[2:3]
	v_mov_b32_e32 v2, v33
	v_mad_u64_u32 v[34:35], s[4:5], v34, s25, v[2:3]
	v_cndmask_b32_e32 v23, v32, v28, vcc
	v_cndmask_b32_e32 v2, v34, v30, vcc
	v_cndmask_b32_e32 v27, v35, v32, vcc
	v_cndmask_b32_e64 v25, v2, v23, s[0:1]
	v_cndmask_b32_e64 v2, v27, v2, s[0:1]
	v_cndmask_b32_e32 v27, v30, v26, vcc
	v_cndmask_b32_e64 v23, v23, v27, s[0:1]
	v_sub_u32_e32 v29, 32, v21
	v_cmp_eq_u32_e64 s[4:5], 0, v21
	v_cndmask_b32_e32 v21, v28, v24, vcc
	v_cndmask_b32_e64 v2, v2, v25, s[2:3]
	v_cndmask_b32_e64 v25, v25, v23, s[2:3]
	;; [unrolled: 1-line block ×3, first 2 shown]
	v_alignbit_b32 v30, v2, v25, v29
	v_cndmask_b32_e64 v23, v23, v24, s[2:3]
	v_cndmask_b32_e64 v2, v30, v2, s[4:5]
	v_alignbit_b32 v27, v25, v23, v29
	v_cndmask_b32_e64 v25, v27, v25, s[4:5]
	v_bfe_u32 v30, v2, 29, 1
	v_cndmask_b32_e32 v22, v26, v22, vcc
	v_alignbit_b32 v27, v2, v25, 30
	v_sub_u32_e32 v31, 0, v30
	v_cndmask_b32_e64 v21, v21, v22, s[0:1]
	v_xor_b32_e32 v32, v27, v31
	v_cndmask_b32_e64 v21, v24, v21, s[2:3]
	v_alignbit_b32 v22, v23, v21, v29
	v_ffbh_u32_e32 v24, v32
	v_cndmask_b32_e64 v22, v22, v23, s[4:5]
	v_add_u32_e32 v24, 1, v24
	v_cmp_ne_u32_e32 vcc, v27, v31
	v_alignbit_b32 v23, v25, v22, 30
	v_cndmask_b32_e32 v24, 33, v24, vcc
	v_alignbit_b32 v21, v22, v21, 30
	v_xor_b32_e32 v23, v23, v31
	v_sub_u32_e32 v25, 32, v24
	v_xor_b32_e32 v21, v21, v31
	v_alignbit_b32 v26, v32, v23, v25
	v_alignbit_b32 v21, v23, v21, v25
	;; [unrolled: 1-line block ×3, first 2 shown]
	v_ffbh_u32_e32 v23, v22
	v_min_u32_e32 v23, 32, v23
	v_lshrrev_b32_e32 v28, 29, v2
	v_sub_u32_e32 v25, 31, v23
	v_alignbit_b32 v21, v22, v21, v25
	v_lshlrev_b32_e32 v22, 31, v28
	v_or_b32_e32 v25, 0x33800000, v22
	v_add_lshl_u32 v23, v23, v24, 23
	v_lshrrev_b32_e32 v21, 9, v21
	v_sub_u32_e32 v23, v25, v23
	v_or_b32_e32 v21, v23, v21
	v_alignbit_b32 v23, v24, v26, 9
	v_or_b32_e32 v22, v23, v22
	v_xor_b32_e32 v22, 1.0, v22
	v_mul_f32_e32 v23, 0x3fc90fda, v22
	v_fma_f32 v24, v22, s26, -v23
	v_fmac_f32_e32 v24, 0x33a22168, v22
	v_fmac_f32_e32 v24, 0x3fc90fda, v21
	v_lshrrev_b32_e32 v2, 30, v2
	v_add_f32_e32 v22, v23, v24
	v_add_u32_e32 v23, v30, v2
.LBB102_51:                             ;   in Loop: Header=BB102_41 Depth=1
	s_andn2_saveexec_b64 s[0:1], s[10:11]
; %bb.52:                               ;   in Loop: Header=BB102_41 Depth=1
	v_mul_f32_e64 v2, |v19|, s27
	v_rndne_f32_e32 v2, v2
	v_cvt_i32_f32_e32 v23, v2
	v_fma_f32 v22, v2, s28, |v19|
	v_fmac_f32_e32 v22, 0xb3a22168, v2
	v_fmac_f32_e32 v22, 0xa7c234c4, v2
; %bb.53:                               ;   in Loop: Header=BB102_41 Depth=1
	s_or_b64 exec, exec, s[0:1]
	v_cvt_f32_f16_sdwa v7, v7 dst_sel:DWORD dst_unused:UNUSED_PAD src0_sel:WORD_1
                                        ; implicit-def: $vgpr24
                                        ; implicit-def: $vgpr2
	v_and_b32_e32 v21, 0x7fffffff, v7
	v_cmp_nlt_f32_e64 s[0:1], |v7|, s18
	s_and_saveexec_b64 s[2:3], s[0:1]
	s_xor_b64 s[10:11], exec, s[2:3]
	s_cbranch_execz .LBB102_55
; %bb.54:                               ;   in Loop: Header=BB102_41 Depth=1
	v_lshrrev_b32_e32 v2, 23, v21
	v_add_u32_e32 v2, 0xffffff88, v2
	v_cmp_lt_u32_e32 vcc, 63, v2
	v_cndmask_b32_e32 v24, 0, v9, vcc
	v_add_u32_e32 v2, v24, v2
	v_cmp_lt_u32_e64 s[0:1], 31, v2
	v_cndmask_b32_e64 v24, 0, v10, s[0:1]
	v_add_u32_e32 v2, v24, v2
	v_cmp_lt_u32_e64 s[2:3], 31, v2
	v_cndmask_b32_e64 v24, 0, v10, s[2:3]
	v_add_u32_e32 v38, v24, v2
	v_and_b32_e32 v2, 0x7fffff, v21
	v_or_b32_e32 v36, 0x800000, v2
	v_mad_u64_u32 v[24:25], s[4:5], v36, s19, 0
	v_mov_b32_e32 v2, v25
	v_mad_u64_u32 v[26:27], s[4:5], v36, s20, v[2:3]
	v_mov_b32_e32 v2, v27
	v_mad_u64_u32 v[28:29], s[4:5], v36, s21, v[2:3]
	v_mov_b32_e32 v2, v29
	v_mad_u64_u32 v[30:31], s[4:5], v36, s22, v[2:3]
	v_mov_b32_e32 v2, v31
	v_mad_u64_u32 v[32:33], s[4:5], v36, s23, v[2:3]
	v_mov_b32_e32 v2, v33
	v_mad_u64_u32 v[34:35], s[4:5], v36, s24, v[2:3]
	v_mov_b32_e32 v2, v35
	v_mad_u64_u32 v[36:37], s[4:5], v36, s25, v[2:3]
	v_cndmask_b32_e32 v25, v34, v30, vcc
	v_cndmask_b32_e32 v2, v36, v32, vcc
	;; [unrolled: 1-line block ×3, first 2 shown]
	v_cndmask_b32_e64 v27, v2, v25, s[0:1]
	v_cndmask_b32_e64 v2, v29, v2, s[0:1]
	v_cndmask_b32_e32 v29, v32, v28, vcc
	v_cndmask_b32_e64 v25, v25, v29, s[0:1]
	v_cndmask_b32_e64 v2, v2, v27, s[2:3]
	;; [unrolled: 1-line block ×3, first 2 shown]
	v_sub_u32_e32 v31, 32, v38
	v_alignbit_b32 v32, v2, v27, v31
	v_cmp_eq_u32_e64 s[4:5], 0, v38
	v_cndmask_b32_e64 v32, v32, v2, s[4:5]
	v_cndmask_b32_e32 v2, v30, v26, vcc
	v_cndmask_b32_e64 v26, v29, v2, s[0:1]
	v_cndmask_b32_e64 v25, v25, v26, s[2:3]
	v_alignbit_b32 v29, v27, v25, v31
	v_cndmask_b32_e64 v27, v29, v27, s[4:5]
	v_bfe_u32 v33, v32, 29, 1
	v_cndmask_b32_e32 v24, v28, v24, vcc
	v_alignbit_b32 v29, v32, v27, 30
	v_sub_u32_e32 v34, 0, v33
	v_cndmask_b32_e64 v2, v2, v24, s[0:1]
	v_xor_b32_e32 v35, v29, v34
	v_cndmask_b32_e64 v2, v26, v2, s[2:3]
	v_alignbit_b32 v24, v25, v2, v31
	v_ffbh_u32_e32 v26, v35
	v_cndmask_b32_e64 v24, v24, v25, s[4:5]
	v_add_u32_e32 v26, 1, v26
	v_cmp_ne_u32_e32 vcc, v29, v34
	v_alignbit_b32 v25, v27, v24, 30
	v_cndmask_b32_e32 v26, 33, v26, vcc
	v_alignbit_b32 v2, v24, v2, 30
	v_xor_b32_e32 v25, v25, v34
	v_sub_u32_e32 v27, 32, v26
	v_xor_b32_e32 v2, v2, v34
	v_alignbit_b32 v28, v35, v25, v27
	v_alignbit_b32 v2, v25, v2, v27
	;; [unrolled: 1-line block ×3, first 2 shown]
	v_ffbh_u32_e32 v25, v24
	v_min_u32_e32 v25, 32, v25
	v_lshrrev_b32_e32 v30, 29, v32
	v_sub_u32_e32 v27, 31, v25
	v_alignbit_b32 v2, v24, v2, v27
	v_lshlrev_b32_e32 v24, 31, v30
	v_or_b32_e32 v27, 0x33800000, v24
	v_add_lshl_u32 v25, v25, v26, 23
	v_lshrrev_b32_e32 v2, 9, v2
	v_sub_u32_e32 v25, v27, v25
	v_or_b32_e32 v2, v25, v2
	v_alignbit_b32 v25, v26, v28, 9
	v_or_b32_e32 v24, v25, v24
	v_xor_b32_e32 v24, 1.0, v24
	v_mul_f32_e32 v25, 0x3fc90fda, v24
	v_fma_f32 v26, v24, s26, -v25
	v_fmac_f32_e32 v26, 0x33a22168, v24
	v_fmac_f32_e32 v26, 0x3fc90fda, v2
	v_lshrrev_b32_e32 v24, 30, v32
	v_add_f32_e32 v2, v25, v26
	v_add_u32_e32 v24, v33, v24
.LBB102_55:                             ;   in Loop: Header=BB102_41 Depth=1
	s_andn2_saveexec_b64 s[0:1], s[10:11]
	s_cbranch_execz .LBB102_40
; %bb.56:                               ;   in Loop: Header=BB102_41 Depth=1
	v_mul_f32_e64 v2, |v7|, s27
	v_rndne_f32_e32 v25, v2
	v_cvt_i32_f32_e32 v24, v25
	v_fma_f32 v2, v25, s28, |v7|
	v_fmac_f32_e32 v2, 0xb3a22168, v25
	v_fmac_f32_e32 v2, 0xa7c234c4, v25
	s_branch .LBB102_40
.LBB102_57:
	s_endpgm
	.section	.rodata,"a",@progbits
	.p2align	6, 0x0
	.amdhsa_kernel _ZN2at6native12_GLOBAL__N_125multi_tensor_apply_kernelINS1_18TensorListMetadataILi1EEENS1_14UnaryOpFunctorIN3c104HalfELi1ELi1ELi0EEEJNS0_3TanIfEEEEEvT_T0_DpT1_
		.amdhsa_group_segment_fixed_size 0
		.amdhsa_private_segment_fixed_size 0
		.amdhsa_kernarg_size 3632
		.amdhsa_user_sgpr_count 6
		.amdhsa_user_sgpr_private_segment_buffer 1
		.amdhsa_user_sgpr_dispatch_ptr 0
		.amdhsa_user_sgpr_queue_ptr 0
		.amdhsa_user_sgpr_kernarg_segment_ptr 1
		.amdhsa_user_sgpr_dispatch_id 0
		.amdhsa_user_sgpr_flat_scratch_init 0
		.amdhsa_user_sgpr_kernarg_preload_length 0
		.amdhsa_user_sgpr_kernarg_preload_offset 0
		.amdhsa_user_sgpr_private_segment_size 0
		.amdhsa_uses_dynamic_stack 0
		.amdhsa_system_sgpr_private_segment_wavefront_offset 0
		.amdhsa_system_sgpr_workgroup_id_x 1
		.amdhsa_system_sgpr_workgroup_id_y 0
		.amdhsa_system_sgpr_workgroup_id_z 0
		.amdhsa_system_sgpr_workgroup_info 0
		.amdhsa_system_vgpr_workitem_id 0
		.amdhsa_next_free_vgpr 46
		.amdhsa_next_free_sgpr 47
		.amdhsa_accum_offset 48
		.amdhsa_reserve_vcc 1
		.amdhsa_reserve_flat_scratch 0
		.amdhsa_float_round_mode_32 0
		.amdhsa_float_round_mode_16_64 0
		.amdhsa_float_denorm_mode_32 3
		.amdhsa_float_denorm_mode_16_64 3
		.amdhsa_dx10_clamp 1
		.amdhsa_ieee_mode 1
		.amdhsa_fp16_overflow 0
		.amdhsa_tg_split 0
		.amdhsa_exception_fp_ieee_invalid_op 0
		.amdhsa_exception_fp_denorm_src 0
		.amdhsa_exception_fp_ieee_div_zero 0
		.amdhsa_exception_fp_ieee_overflow 0
		.amdhsa_exception_fp_ieee_underflow 0
		.amdhsa_exception_fp_ieee_inexact 0
		.amdhsa_exception_int_div_zero 0
	.end_amdhsa_kernel
	.section	.text._ZN2at6native12_GLOBAL__N_125multi_tensor_apply_kernelINS1_18TensorListMetadataILi1EEENS1_14UnaryOpFunctorIN3c104HalfELi1ELi1ELi0EEEJNS0_3TanIfEEEEEvT_T0_DpT1_,"axG",@progbits,_ZN2at6native12_GLOBAL__N_125multi_tensor_apply_kernelINS1_18TensorListMetadataILi1EEENS1_14UnaryOpFunctorIN3c104HalfELi1ELi1ELi0EEEJNS0_3TanIfEEEEEvT_T0_DpT1_,comdat
.Lfunc_end102:
	.size	_ZN2at6native12_GLOBAL__N_125multi_tensor_apply_kernelINS1_18TensorListMetadataILi1EEENS1_14UnaryOpFunctorIN3c104HalfELi1ELi1ELi0EEEJNS0_3TanIfEEEEEvT_T0_DpT1_, .Lfunc_end102-_ZN2at6native12_GLOBAL__N_125multi_tensor_apply_kernelINS1_18TensorListMetadataILi1EEENS1_14UnaryOpFunctorIN3c104HalfELi1ELi1ELi0EEEJNS0_3TanIfEEEEEvT_T0_DpT1_
                                        ; -- End function
	.section	.AMDGPU.csdata,"",@progbits
; Kernel info:
; codeLenInByte = 7392
; NumSgprs: 51
; NumVgprs: 46
; NumAgprs: 0
; TotalNumVgprs: 46
; ScratchSize: 0
; MemoryBound: 0
; FloatMode: 240
; IeeeMode: 1
; LDSByteSize: 0 bytes/workgroup (compile time only)
; SGPRBlocks: 6
; VGPRBlocks: 5
; NumSGPRsForWavesPerEU: 51
; NumVGPRsForWavesPerEU: 46
; AccumOffset: 48
; Occupancy: 8
; WaveLimiterHint : 0
; COMPUTE_PGM_RSRC2:SCRATCH_EN: 0
; COMPUTE_PGM_RSRC2:USER_SGPR: 6
; COMPUTE_PGM_RSRC2:TRAP_HANDLER: 0
; COMPUTE_PGM_RSRC2:TGID_X_EN: 1
; COMPUTE_PGM_RSRC2:TGID_Y_EN: 0
; COMPUTE_PGM_RSRC2:TGID_Z_EN: 0
; COMPUTE_PGM_RSRC2:TIDIG_COMP_CNT: 0
; COMPUTE_PGM_RSRC3_GFX90A:ACCUM_OFFSET: 11
; COMPUTE_PGM_RSRC3_GFX90A:TG_SPLIT: 0
	.section	.text._ZN2at6native12_GLOBAL__N_125multi_tensor_apply_kernelINS1_18TensorListMetadataILi1EEENS1_14UnaryOpFunctorIN3c108BFloat16ELi1ELi1ELi0EEEJNS0_3TanIfEEEEEvT_T0_DpT1_,"axG",@progbits,_ZN2at6native12_GLOBAL__N_125multi_tensor_apply_kernelINS1_18TensorListMetadataILi1EEENS1_14UnaryOpFunctorIN3c108BFloat16ELi1ELi1ELi0EEEJNS0_3TanIfEEEEEvT_T0_DpT1_,comdat
	.globl	_ZN2at6native12_GLOBAL__N_125multi_tensor_apply_kernelINS1_18TensorListMetadataILi1EEENS1_14UnaryOpFunctorIN3c108BFloat16ELi1ELi1ELi0EEEJNS0_3TanIfEEEEEvT_T0_DpT1_ ; -- Begin function _ZN2at6native12_GLOBAL__N_125multi_tensor_apply_kernelINS1_18TensorListMetadataILi1EEENS1_14UnaryOpFunctorIN3c108BFloat16ELi1ELi1ELi0EEEJNS0_3TanIfEEEEEvT_T0_DpT1_
	.p2align	8
	.type	_ZN2at6native12_GLOBAL__N_125multi_tensor_apply_kernelINS1_18TensorListMetadataILi1EEENS1_14UnaryOpFunctorIN3c108BFloat16ELi1ELi1ELi0EEEJNS0_3TanIfEEEEEvT_T0_DpT1_,@function
_ZN2at6native12_GLOBAL__N_125multi_tensor_apply_kernelINS1_18TensorListMetadataILi1EEENS1_14UnaryOpFunctorIN3c108BFloat16ELi1ELi1ELi0EEEJNS0_3TanIfEEEEEvT_T0_DpT1_: ; @_ZN2at6native12_GLOBAL__N_125multi_tensor_apply_kernelINS1_18TensorListMetadataILi1EEENS1_14UnaryOpFunctorIN3c108BFloat16ELi1ELi1ELi0EEEJNS0_3TanIfEEEEEvT_T0_DpT1_
; %bb.0:
	v_mov_b32_e32 v1, s6
	global_load_ubyte v1, v1, s[4:5] offset:1760
	s_add_u32 s0, s4, s6
	s_mul_hi_u32 s1, s6, 3
	s_mul_i32 s6, s6, 3
	s_addc_u32 s2, s5, 0
	s_add_u32 s0, s0, s6
	s_addc_u32 s1, s2, s1
	s_load_dword s0, s[0:1], 0x820
	s_mov_b32 s7, 0
	s_waitcnt vmcnt(0)
	v_readfirstlane_b32 s2, v1
	s_lshl_b32 s1, s2, 3
	s_load_dwordx2 s[2:3], s[4:5], s1 offset:0x370
	s_load_dwordx2 s[18:19], s[4:5], s1 offset:0x0
	s_waitcnt lgkmcnt(0)
	s_ashr_i32 s1, s0, 31
	s_lshl_b64 s[20:21], s[0:1], 17
	s_lshl_b64 s[0:1], s[0:1], 16
	s_and_b32 s6, s18, 7
	s_sub_u32 s16, s2, s0
	s_subb_u32 s17, s3, s1
	s_and_b32 s0, s2, 3
	s_mov_b32 s1, s7
	s_or_b64 s[0:1], s[6:7], s[0:1]
	s_cmp_eq_u64 s[0:1], 0
	s_cbranch_scc1 .LBB103_37
; %bb.1:
	v_cmp_lt_i64_e64 s[0:1], s[16:17], 1
	s_and_b64 vcc, exec, s[0:1]
	s_cbranch_vccnz .LBB103_36
; %bb.2:
	s_load_dword s0, s[4:5], 0xd3c
	v_mov_b32_e32 v4, 0x10000
	v_mov_b32_e32 v5, 0
	v_cmp_lt_u64_e32 vcc, s[16:17], v[4:5]
	v_lshlrev_b32_e32 v1, 1, v0
	s_waitcnt lgkmcnt(0)
	s_and_b32 s2, s0, 0xffff
	s_and_b64 s[0:1], vcc, exec
	s_cselect_b32 s23, s17, 0
	s_cselect_b32 s22, s16, 0x10000
	s_lshl_b32 s3, s2, 1
	s_lshl_b32 s29, s2, 2
	s_add_u32 s6, s18, s20
	s_addc_u32 s7, s19, s21
	v_mov_b32_e32 v2, s7
	v_add_co_u32_e32 v4, vcc, s6, v1
	s_mul_i32 s0, s2, 3
	v_addc_co_u32_e32 v5, vcc, 0, v2, vcc
	v_add_co_u32_e32 v1, vcc, s0, v0
	v_addc_co_u32_e64 v8, s[0:1], 0, 0, vcc
	v_add_co_u32_e32 v9, vcc, s3, v0
	v_addc_co_u32_e64 v10, s[0:1], 0, 0, vcc
	v_add_co_u32_e32 v11, vcc, s2, v0
	v_lshlrev_b32_e32 v2, 1, v11
	s_mov_b32 s28, 0
	v_addc_co_u32_e64 v12, s[0:1], 0, 0, vcc
	v_mov_b32_e32 v7, s7
	v_add_co_u32_e32 v6, vcc, s6, v2
	v_mov_b32_e32 v3, 0
	s_lshl_b32 s30, s2, 3
	s_mov_b32 s31, s28
	s_mul_i32 s33, s2, 6
	s_mov_b32 s34, s28
	v_addc_co_u32_e32 v7, vcc, 0, v7, vcc
	s_mov_b64 s[24:25], 0
	s_brev_b32 s35, 18
	s_mov_b32 s36, 0xfe5163ab
	s_mov_b32 s37, 0x3c439041
	;; [unrolled: 1-line block ×10, first 2 shown]
	v_mov_b32_e32 v13, 0x3f93f425
	s_movk_i32 s46, 0x1f8
	s_movk_i32 s47, 0x7fff
	v_not_b32_e32 v14, 63
	v_not_b32_e32 v15, 31
	v_mov_b32_e32 v16, 0x7fc00000
	v_mov_b32_e32 v17, 0x7fc0
	s_branch .LBB103_4
.LBB103_3:                              ;   in Loop: Header=BB103_4 Depth=1
	s_or_b64 exec, exec, s[0:1]
	s_add_u32 s24, s24, s29
	s_addc_u32 s25, s25, 0
	v_pk_mov_b32 v[18:19], s[16:17], s[16:17] op_sel:[0,1]
	v_cmp_ge_i64_e32 vcc, s[24:25], v[18:19]
	v_mov_b32_e32 v18, 0xffff
	v_mov_b32_e32 v19, 0
	v_cmp_gt_u64_e64 s[0:1], s[24:25], v[18:19]
	s_or_b64 s[0:1], vcc, s[0:1]
	v_mov_b32_e32 v2, s31
	v_add_co_u32_e32 v4, vcc, s30, v4
	v_addc_co_u32_e32 v5, vcc, v5, v2, vcc
	v_add_co_u32_e32 v6, vcc, s30, v6
	v_addc_co_u32_e32 v7, vcc, v7, v2, vcc
	s_and_b64 vcc, exec, s[0:1]
	s_cbranch_vccnz .LBB103_36
.LBB103_4:                              ; =>This Inner Loop Header: Depth=1
	v_mov_b32_e32 v2, s25
	v_add_co_u32_e32 v18, vcc, s24, v0
	v_addc_co_u32_e32 v19, vcc, 0, v2, vcc
	v_cmp_gt_u64_e64 s[6:7], s[22:23], v[18:19]
	v_mov_b32_e32 v2, 0
	s_and_saveexec_b64 s[0:1], s[6:7]
	s_cbranch_execz .LBB103_6
; %bb.5:                                ;   in Loop: Header=BB103_4 Depth=1
	global_load_ushort v2, v[4:5], off
.LBB103_6:                              ;   in Loop: Header=BB103_4 Depth=1
	s_or_b64 exec, exec, s[0:1]
	v_mov_b32_e32 v19, s25
	v_add_co_u32_e32 v18, vcc, s24, v11
	v_addc_co_u32_e32 v19, vcc, v12, v19, vcc
	v_cmp_gt_u64_e64 s[2:3], s[22:23], v[18:19]
	v_mov_b32_e32 v20, 0
	s_and_saveexec_b64 s[0:1], s[2:3]
	s_cbranch_execz .LBB103_8
; %bb.7:                                ;   in Loop: Header=BB103_4 Depth=1
	global_load_ushort v20, v[6:7], off
.LBB103_8:                              ;   in Loop: Header=BB103_4 Depth=1
	s_or_b64 exec, exec, s[0:1]
	v_mov_b32_e32 v19, s25
	v_add_co_u32_e32 v18, vcc, s24, v9
	v_addc_co_u32_e32 v19, vcc, v10, v19, vcc
	v_cmp_gt_u64_e64 s[0:1], s[22:23], v[18:19]
	v_mov_b32_e32 v24, 0
	v_mov_b32_e32 v25, 0
	s_and_saveexec_b64 s[8:9], s[0:1]
	s_cbranch_execz .LBB103_10
; %bb.9:                                ;   in Loop: Header=BB103_4 Depth=1
	v_mov_b32_e32 v19, s28
	v_add_co_u32_e32 v18, vcc, s29, v4
	v_addc_co_u32_e32 v19, vcc, v5, v19, vcc
	global_load_ushort v25, v[18:19], off
.LBB103_10:                             ;   in Loop: Header=BB103_4 Depth=1
	s_or_b64 exec, exec, s[8:9]
	v_mov_b32_e32 v19, s25
	v_add_co_u32_e32 v18, vcc, s24, v1
	v_addc_co_u32_e32 v19, vcc, v8, v19, vcc
	v_cmp_gt_u64_e32 vcc, s[22:23], v[18:19]
	s_and_saveexec_b64 s[10:11], vcc
	s_cbranch_execz .LBB103_12
; %bb.11:                               ;   in Loop: Header=BB103_4 Depth=1
	v_mov_b32_e32 v19, s34
	v_add_co_u32_e64 v18, s[8:9], s33, v4
	v_addc_co_u32_e64 v19, s[8:9], v5, v19, s[8:9]
	global_load_ushort v24, v[18:19], off
.LBB103_12:                             ;   in Loop: Header=BB103_4 Depth=1
	s_or_b64 exec, exec, s[10:11]
	s_waitcnt vmcnt(0)
	v_lshlrev_b32_e32 v18, 16, v2
	v_and_b32_e32 v19, 0x7fffffff, v18
	v_cmp_nlt_f32_e64 s[8:9], |v18|, s35
                                        ; implicit-def: $vgpr23
                                        ; implicit-def: $vgpr22
	s_and_saveexec_b64 s[10:11], s[8:9]
	s_xor_b64 s[26:27], exec, s[10:11]
	s_cbranch_execz .LBB103_14
; %bb.13:                               ;   in Loop: Header=BB103_4 Depth=1
	v_lshrrev_b32_e32 v2, 23, v19
	v_add_u32_e32 v2, 0xffffff88, v2
	v_cmp_lt_u32_e64 s[8:9], 63, v2
	v_cndmask_b32_e64 v21, 0, v14, s[8:9]
	v_add_u32_e32 v2, v21, v2
	v_cmp_lt_u32_e64 s[10:11], 31, v2
	v_cndmask_b32_e64 v21, 0, v15, s[10:11]
	;; [unrolled: 3-line block ×3, first 2 shown]
	v_add_u32_e32 v21, v21, v2
	v_and_b32_e32 v2, 0x7fffff, v19
	v_or_b32_e32 v36, 0x800000, v2
	v_mad_u64_u32 v[22:23], s[14:15], v36, s36, 0
	v_mov_b32_e32 v2, v23
	v_mad_u64_u32 v[26:27], s[14:15], v36, s37, v[2:3]
	v_mov_b32_e32 v2, v27
	;; [unrolled: 2-line block ×6, first 2 shown]
	v_mad_u64_u32 v[36:37], s[14:15], v36, s42, v[2:3]
	v_cndmask_b32_e64 v23, v34, v30, s[8:9]
	v_cndmask_b32_e64 v2, v36, v32, s[8:9]
	;; [unrolled: 1-line block ×7, first 2 shown]
	v_sub_u32_e32 v31, 32, v21
	v_cmp_eq_u32_e64 s[14:15], 0, v21
	v_cndmask_b32_e64 v21, v30, v26, s[8:9]
	v_cndmask_b32_e64 v2, v2, v27, s[12:13]
	;; [unrolled: 1-line block ×4, first 2 shown]
	v_alignbit_b32 v32, v2, v27, v31
	v_cndmask_b32_e64 v23, v23, v26, s[12:13]
	v_cndmask_b32_e64 v2, v32, v2, s[14:15]
	v_alignbit_b32 v29, v27, v23, v31
	v_cndmask_b32_e64 v27, v29, v27, s[14:15]
	v_bfe_u32 v32, v2, 29, 1
	v_cndmask_b32_e64 v22, v28, v22, s[8:9]
	v_alignbit_b32 v29, v2, v27, 30
	v_sub_u32_e32 v33, 0, v32
	v_cndmask_b32_e64 v21, v21, v22, s[10:11]
	v_xor_b32_e32 v34, v29, v33
	v_cndmask_b32_e64 v21, v26, v21, s[12:13]
	v_alignbit_b32 v22, v23, v21, v31
	v_ffbh_u32_e32 v26, v34
	v_cndmask_b32_e64 v22, v22, v23, s[14:15]
	v_add_u32_e32 v26, 1, v26
	v_cmp_ne_u32_e64 s[8:9], v29, v33
	v_alignbit_b32 v23, v27, v22, 30
	v_cndmask_b32_e64 v26, 33, v26, s[8:9]
	v_alignbit_b32 v21, v22, v21, 30
	v_xor_b32_e32 v23, v23, v33
	v_sub_u32_e32 v27, 32, v26
	v_xor_b32_e32 v21, v21, v33
	v_alignbit_b32 v28, v34, v23, v27
	v_alignbit_b32 v21, v23, v21, v27
	;; [unrolled: 1-line block ×3, first 2 shown]
	v_ffbh_u32_e32 v23, v22
	v_min_u32_e32 v23, 32, v23
	v_lshrrev_b32_e32 v30, 29, v2
	v_sub_u32_e32 v27, 31, v23
	v_alignbit_b32 v21, v22, v21, v27
	v_lshlrev_b32_e32 v22, 31, v30
	v_or_b32_e32 v27, 0x33800000, v22
	v_add_lshl_u32 v23, v23, v26, 23
	v_lshrrev_b32_e32 v21, 9, v21
	v_sub_u32_e32 v23, v27, v23
	v_or_b32_e32 v21, v23, v21
	v_alignbit_b32 v23, v26, v28, 9
	v_or_b32_e32 v22, v23, v22
	v_xor_b32_e32 v22, 1.0, v22
	v_mul_f32_e32 v23, 0x3fc90fda, v22
	v_fma_f32 v26, v22, s43, -v23
	v_fmac_f32_e32 v26, 0x33a22168, v22
	v_fmac_f32_e32 v26, 0x3fc90fda, v21
	v_lshrrev_b32_e32 v2, 30, v2
	v_add_f32_e32 v22, v23, v26
	v_add_u32_e32 v23, v32, v2
.LBB103_14:                             ;   in Loop: Header=BB103_4 Depth=1
	s_andn2_saveexec_b64 s[8:9], s[26:27]
; %bb.15:                               ;   in Loop: Header=BB103_4 Depth=1
	v_mul_f32_e64 v2, |v18|, s44
	v_rndne_f32_e32 v2, v2
	v_cvt_i32_f32_e32 v23, v2
	v_fma_f32 v22, v2, s45, |v18|
	v_fmac_f32_e32 v22, 0xb3a22168, v2
	v_fmac_f32_e32 v22, 0xa7c234c4, v2
; %bb.16:                               ;   in Loop: Header=BB103_4 Depth=1
	s_or_b64 exec, exec, s[8:9]
	v_lshlrev_b32_e32 v20, 16, v20
	v_and_b32_e32 v21, 0x7fffffff, v20
	v_cmp_nlt_f32_e64 s[8:9], |v20|, s35
                                        ; implicit-def: $vgpr28
                                        ; implicit-def: $vgpr27
	s_and_saveexec_b64 s[10:11], s[8:9]
	s_xor_b64 s[26:27], exec, s[10:11]
	s_cbranch_execz .LBB103_18
; %bb.17:                               ;   in Loop: Header=BB103_4 Depth=1
	v_lshrrev_b32_e32 v2, 23, v21
	v_add_u32_e32 v2, 0xffffff88, v2
	v_cmp_lt_u32_e64 s[8:9], 63, v2
	v_cndmask_b32_e64 v26, 0, v14, s[8:9]
	v_add_u32_e32 v2, v26, v2
	v_cmp_lt_u32_e64 s[10:11], 31, v2
	v_cndmask_b32_e64 v26, 0, v15, s[10:11]
	;; [unrolled: 3-line block ×3, first 2 shown]
	v_add_u32_e32 v40, v26, v2
	v_and_b32_e32 v2, 0x7fffff, v21
	v_or_b32_e32 v38, 0x800000, v2
	v_mad_u64_u32 v[26:27], s[14:15], v38, s36, 0
	v_mov_b32_e32 v2, v27
	v_mad_u64_u32 v[28:29], s[14:15], v38, s37, v[2:3]
	v_mov_b32_e32 v2, v29
	;; [unrolled: 2-line block ×6, first 2 shown]
	v_mad_u64_u32 v[38:39], s[14:15], v38, s42, v[2:3]
	v_cndmask_b32_e64 v27, v36, v32, s[8:9]
	v_cndmask_b32_e64 v2, v38, v34, s[8:9]
	;; [unrolled: 1-line block ×10, first 2 shown]
	v_sub_u32_e32 v33, 32, v40
	v_cndmask_b32_e64 v31, v31, v28, s[10:11]
	v_alignbit_b32 v34, v2, v29, v33
	v_cmp_eq_u32_e64 s[14:15], 0, v40
	v_cndmask_b32_e64 v27, v27, v31, s[12:13]
	v_cndmask_b32_e64 v26, v30, v26, s[8:9]
	;; [unrolled: 1-line block ×3, first 2 shown]
	v_alignbit_b32 v32, v29, v27, v33
	v_cndmask_b32_e64 v26, v28, v26, s[10:11]
	v_cndmask_b32_e64 v29, v32, v29, s[14:15]
	v_bfe_u32 v35, v2, 29, 1
	v_cndmask_b32_e64 v26, v31, v26, s[12:13]
	v_alignbit_b32 v32, v2, v29, 30
	v_sub_u32_e32 v36, 0, v35
	v_alignbit_b32 v28, v27, v26, v33
	v_xor_b32_e32 v37, v32, v36
	v_cndmask_b32_e64 v27, v28, v27, s[14:15]
	v_alignbit_b32 v28, v29, v27, 30
	v_ffbh_u32_e32 v29, v37
	v_add_u32_e32 v29, 1, v29
	v_cmp_ne_u32_e64 s[8:9], v32, v36
	v_cndmask_b32_e64 v29, 33, v29, s[8:9]
	v_alignbit_b32 v26, v27, v26, 30
	v_xor_b32_e32 v28, v28, v36
	v_sub_u32_e32 v30, 32, v29
	v_xor_b32_e32 v26, v26, v36
	v_alignbit_b32 v31, v37, v28, v30
	v_alignbit_b32 v26, v28, v26, v30
	v_alignbit_b32 v27, v31, v26, 9
	v_ffbh_u32_e32 v28, v27
	v_min_u32_e32 v28, 32, v28
	v_lshrrev_b32_e32 v34, 29, v2
	v_sub_u32_e32 v30, 31, v28
	v_alignbit_b32 v26, v27, v26, v30
	v_lshlrev_b32_e32 v27, 31, v34
	v_or_b32_e32 v30, 0x33800000, v27
	v_add_lshl_u32 v28, v28, v29, 23
	v_lshrrev_b32_e32 v26, 9, v26
	v_sub_u32_e32 v28, v30, v28
	v_or_b32_e32 v26, v28, v26
	v_alignbit_b32 v28, v29, v31, 9
	v_or_b32_e32 v27, v28, v27
	v_xor_b32_e32 v27, 1.0, v27
	v_mul_f32_e32 v28, 0x3fc90fda, v27
	v_fma_f32 v29, v27, s43, -v28
	v_fmac_f32_e32 v29, 0x33a22168, v27
	v_fmac_f32_e32 v29, 0x3fc90fda, v26
	v_lshrrev_b32_e32 v2, 30, v2
	v_add_f32_e32 v27, v28, v29
	v_add_u32_e32 v28, v35, v2
.LBB103_18:                             ;   in Loop: Header=BB103_4 Depth=1
	s_andn2_saveexec_b64 s[8:9], s[26:27]
; %bb.19:                               ;   in Loop: Header=BB103_4 Depth=1
	v_mul_f32_e64 v2, |v20|, s44
	v_rndne_f32_e32 v2, v2
	v_cvt_i32_f32_e32 v28, v2
	v_fma_f32 v27, v2, s45, |v20|
	v_fmac_f32_e32 v27, 0xb3a22168, v2
	v_fmac_f32_e32 v27, 0xa7c234c4, v2
; %bb.20:                               ;   in Loop: Header=BB103_4 Depth=1
	s_or_b64 exec, exec, s[8:9]
	v_lshlrev_b32_e32 v25, 16, v25
	v_and_b32_e32 v26, 0x7fffffff, v25
	v_cmp_nlt_f32_e64 s[8:9], |v25|, s35
                                        ; implicit-def: $vgpr31
                                        ; implicit-def: $vgpr30
	s_and_saveexec_b64 s[10:11], s[8:9]
	s_xor_b64 s[26:27], exec, s[10:11]
	s_cbranch_execz .LBB103_22
; %bb.21:                               ;   in Loop: Header=BB103_4 Depth=1
	v_lshrrev_b32_e32 v2, 23, v26
	v_add_u32_e32 v2, 0xffffff88, v2
	v_cmp_lt_u32_e64 s[8:9], 63, v2
	v_cndmask_b32_e64 v29, 0, v14, s[8:9]
	v_add_u32_e32 v2, v29, v2
	v_cmp_lt_u32_e64 s[10:11], 31, v2
	v_cndmask_b32_e64 v29, 0, v15, s[10:11]
	;; [unrolled: 3-line block ×3, first 2 shown]
	v_add_u32_e32 v29, v29, v2
	v_and_b32_e32 v2, 0x7fffff, v26
	v_or_b32_e32 v42, 0x800000, v2
	v_mad_u64_u32 v[30:31], s[14:15], v42, s36, 0
	v_mov_b32_e32 v2, v31
	v_mad_u64_u32 v[32:33], s[14:15], v42, s37, v[2:3]
	v_mov_b32_e32 v2, v33
	;; [unrolled: 2-line block ×6, first 2 shown]
	v_mad_u64_u32 v[42:43], s[14:15], v42, s42, v[2:3]
	v_cndmask_b32_e64 v31, v40, v36, s[8:9]
	v_cndmask_b32_e64 v2, v42, v38, s[8:9]
	;; [unrolled: 1-line block ×7, first 2 shown]
	v_sub_u32_e32 v37, 32, v29
	v_cmp_eq_u32_e64 s[14:15], 0, v29
	v_cndmask_b32_e64 v29, v36, v32, s[8:9]
	v_cndmask_b32_e64 v2, v2, v33, s[12:13]
	;; [unrolled: 1-line block ×4, first 2 shown]
	v_alignbit_b32 v38, v2, v33, v37
	v_cndmask_b32_e64 v31, v31, v32, s[12:13]
	v_cndmask_b32_e64 v2, v38, v2, s[14:15]
	v_alignbit_b32 v35, v33, v31, v37
	v_cndmask_b32_e64 v33, v35, v33, s[14:15]
	v_bfe_u32 v38, v2, 29, 1
	v_cndmask_b32_e64 v30, v34, v30, s[8:9]
	v_alignbit_b32 v35, v2, v33, 30
	v_sub_u32_e32 v39, 0, v38
	v_cndmask_b32_e64 v29, v29, v30, s[10:11]
	v_xor_b32_e32 v40, v35, v39
	v_cndmask_b32_e64 v29, v32, v29, s[12:13]
	v_alignbit_b32 v30, v31, v29, v37
	v_ffbh_u32_e32 v32, v40
	v_cndmask_b32_e64 v30, v30, v31, s[14:15]
	v_add_u32_e32 v32, 1, v32
	v_cmp_ne_u32_e64 s[8:9], v35, v39
	v_alignbit_b32 v31, v33, v30, 30
	v_cndmask_b32_e64 v32, 33, v32, s[8:9]
	v_alignbit_b32 v29, v30, v29, 30
	v_xor_b32_e32 v31, v31, v39
	v_sub_u32_e32 v33, 32, v32
	v_xor_b32_e32 v29, v29, v39
	v_alignbit_b32 v34, v40, v31, v33
	v_alignbit_b32 v29, v31, v29, v33
	;; [unrolled: 1-line block ×3, first 2 shown]
	v_ffbh_u32_e32 v31, v30
	v_min_u32_e32 v31, 32, v31
	v_lshrrev_b32_e32 v36, 29, v2
	v_sub_u32_e32 v33, 31, v31
	v_alignbit_b32 v29, v30, v29, v33
	v_lshlrev_b32_e32 v30, 31, v36
	v_or_b32_e32 v33, 0x33800000, v30
	v_add_lshl_u32 v31, v31, v32, 23
	v_lshrrev_b32_e32 v29, 9, v29
	v_sub_u32_e32 v31, v33, v31
	v_or_b32_e32 v29, v31, v29
	v_alignbit_b32 v31, v32, v34, 9
	v_or_b32_e32 v30, v31, v30
	v_xor_b32_e32 v30, 1.0, v30
	v_mul_f32_e32 v31, 0x3fc90fda, v30
	v_fma_f32 v32, v30, s43, -v31
	v_fmac_f32_e32 v32, 0x33a22168, v30
	v_fmac_f32_e32 v32, 0x3fc90fda, v29
	v_lshrrev_b32_e32 v2, 30, v2
	v_add_f32_e32 v30, v31, v32
	v_add_u32_e32 v31, v38, v2
.LBB103_22:                             ;   in Loop: Header=BB103_4 Depth=1
	s_andn2_saveexec_b64 s[8:9], s[26:27]
; %bb.23:                               ;   in Loop: Header=BB103_4 Depth=1
	v_mul_f32_e64 v2, |v25|, s44
	v_rndne_f32_e32 v2, v2
	v_cvt_i32_f32_e32 v31, v2
	v_fma_f32 v30, v2, s45, |v25|
	v_fmac_f32_e32 v30, 0xb3a22168, v2
	v_fmac_f32_e32 v30, 0xa7c234c4, v2
; %bb.24:                               ;   in Loop: Header=BB103_4 Depth=1
	s_or_b64 exec, exec, s[8:9]
	v_lshlrev_b32_e32 v24, 16, v24
	v_and_b32_e32 v29, 0x7fffffff, v24
	v_cmp_nlt_f32_e64 s[8:9], |v24|, s35
                                        ; implicit-def: $vgpr32
                                        ; implicit-def: $vgpr2
	s_and_saveexec_b64 s[10:11], s[8:9]
	s_xor_b64 s[26:27], exec, s[10:11]
	s_cbranch_execnz .LBB103_30
; %bb.25:                               ;   in Loop: Header=BB103_4 Depth=1
	s_andn2_saveexec_b64 s[8:9], s[26:27]
	s_cbranch_execnz .LBB103_31
.LBB103_26:                             ;   in Loop: Header=BB103_4 Depth=1
	s_or_b64 exec, exec, s[8:9]
	s_and_saveexec_b64 s[8:9], s[6:7]
	s_xor_b64 s[8:9], exec, s[8:9]
	s_cbranch_execnz .LBB103_32
.LBB103_27:                             ;   in Loop: Header=BB103_4 Depth=1
	s_or_b64 exec, exec, s[8:9]
	s_and_saveexec_b64 s[6:7], s[2:3]
	s_cbranch_execnz .LBB103_33
.LBB103_28:                             ;   in Loop: Header=BB103_4 Depth=1
	s_or_b64 exec, exec, s[6:7]
	s_and_saveexec_b64 s[2:3], s[0:1]
	s_cbranch_execnz .LBB103_34
.LBB103_29:                             ;   in Loop: Header=BB103_4 Depth=1
	s_or_b64 exec, exec, s[2:3]
	s_and_saveexec_b64 s[0:1], vcc
	s_cbranch_execz .LBB103_3
	s_branch .LBB103_35
.LBB103_30:                             ;   in Loop: Header=BB103_4 Depth=1
	v_lshrrev_b32_e32 v2, 23, v29
	v_add_u32_e32 v2, 0xffffff88, v2
	v_cmp_lt_u32_e64 s[8:9], 63, v2
	v_cndmask_b32_e64 v32, 0, v14, s[8:9]
	v_add_u32_e32 v2, v32, v2
	v_cmp_lt_u32_e64 s[10:11], 31, v2
	v_cndmask_b32_e64 v32, 0, v15, s[10:11]
	;; [unrolled: 3-line block ×3, first 2 shown]
	v_add_u32_e32 v46, v32, v2
	v_and_b32_e32 v2, 0x7fffff, v29
	v_or_b32_e32 v44, 0x800000, v2
	v_mad_u64_u32 v[32:33], s[14:15], v44, s36, 0
	v_mov_b32_e32 v2, v33
	v_mad_u64_u32 v[34:35], s[14:15], v44, s37, v[2:3]
	v_mov_b32_e32 v2, v35
	;; [unrolled: 2-line block ×6, first 2 shown]
	v_mad_u64_u32 v[44:45], s[14:15], v44, s42, v[2:3]
	v_cndmask_b32_e64 v33, v42, v38, s[8:9]
	v_cndmask_b32_e64 v2, v44, v40, s[8:9]
	;; [unrolled: 1-line block ×9, first 2 shown]
	v_sub_u32_e32 v39, 32, v46
	v_alignbit_b32 v40, v2, v35, v39
	v_cmp_eq_u32_e64 s[14:15], 0, v46
	v_cndmask_b32_e64 v40, v40, v2, s[14:15]
	v_cndmask_b32_e64 v2, v38, v34, s[8:9]
	v_cndmask_b32_e64 v34, v37, v2, s[10:11]
	v_cndmask_b32_e64 v33, v33, v34, s[12:13]
	v_alignbit_b32 v37, v35, v33, v39
	v_cndmask_b32_e64 v35, v37, v35, s[14:15]
	v_bfe_u32 v41, v40, 29, 1
	v_cndmask_b32_e64 v32, v36, v32, s[8:9]
	v_alignbit_b32 v37, v40, v35, 30
	v_sub_u32_e32 v42, 0, v41
	v_cndmask_b32_e64 v2, v2, v32, s[10:11]
	v_xor_b32_e32 v43, v37, v42
	v_cndmask_b32_e64 v2, v34, v2, s[12:13]
	v_alignbit_b32 v32, v33, v2, v39
	v_ffbh_u32_e32 v34, v43
	v_cndmask_b32_e64 v32, v32, v33, s[14:15]
	v_add_u32_e32 v34, 1, v34
	v_cmp_ne_u32_e64 s[8:9], v37, v42
	v_alignbit_b32 v33, v35, v32, 30
	v_cndmask_b32_e64 v34, 33, v34, s[8:9]
	v_alignbit_b32 v2, v32, v2, 30
	v_xor_b32_e32 v33, v33, v42
	v_sub_u32_e32 v35, 32, v34
	v_xor_b32_e32 v2, v2, v42
	v_alignbit_b32 v36, v43, v33, v35
	v_alignbit_b32 v2, v33, v2, v35
	;; [unrolled: 1-line block ×3, first 2 shown]
	v_ffbh_u32_e32 v33, v32
	v_min_u32_e32 v33, 32, v33
	v_lshrrev_b32_e32 v38, 29, v40
	v_sub_u32_e32 v35, 31, v33
	v_alignbit_b32 v2, v32, v2, v35
	v_lshlrev_b32_e32 v32, 31, v38
	v_or_b32_e32 v35, 0x33800000, v32
	v_add_lshl_u32 v33, v33, v34, 23
	v_lshrrev_b32_e32 v2, 9, v2
	v_sub_u32_e32 v33, v35, v33
	v_or_b32_e32 v2, v33, v2
	v_alignbit_b32 v33, v34, v36, 9
	v_or_b32_e32 v32, v33, v32
	v_xor_b32_e32 v32, 1.0, v32
	v_mul_f32_e32 v33, 0x3fc90fda, v32
	v_fma_f32 v34, v32, s43, -v33
	v_fmac_f32_e32 v34, 0x33a22168, v32
	v_fmac_f32_e32 v34, 0x3fc90fda, v2
	v_lshrrev_b32_e32 v32, 30, v40
	v_add_f32_e32 v2, v33, v34
	v_add_u32_e32 v32, v41, v32
	s_andn2_saveexec_b64 s[8:9], s[26:27]
	s_cbranch_execz .LBB103_26
.LBB103_31:                             ;   in Loop: Header=BB103_4 Depth=1
	v_mul_f32_e64 v2, |v24|, s44
	v_rndne_f32_e32 v33, v2
	v_cvt_i32_f32_e32 v32, v33
	v_fma_f32 v2, v33, s45, |v24|
	v_fmac_f32_e32 v2, 0xb3a22168, v33
	v_fmac_f32_e32 v2, 0xa7c234c4, v33
	s_or_b64 exec, exec, s[8:9]
	s_and_saveexec_b64 s[8:9], s[6:7]
	s_xor_b64 s[8:9], exec, s[8:9]
	s_cbranch_execz .LBB103_27
.LBB103_32:                             ;   in Loop: Header=BB103_4 Depth=1
	v_mul_f32_e32 v33, v22, v22
	v_mov_b32_e32 v34, 0xbf039337
	v_fmac_f32_e32 v34, 0x3c971480, v33
	v_fma_f32 v34, v33, v34, v13
	v_rcp_f32_e32 v34, v34
	v_mov_b32_e32 v35, 0x3ec54587
	v_fmac_f32_e32 v35, 0xbc8cedd3, v33
	v_and_b32_e32 v23, 1, v23
	v_mul_f32_e32 v34, v35, v34
	v_mul_f32_e32 v33, v33, v34
	v_fma_f32 v34, v33, v22, v22
	v_rcp_f32_e32 v35, v34
	v_sub_f32_e32 v36, v34, v22
	v_fma_f32 v22, v33, v22, -v36
	v_cmp_eq_u32_e64 s[6:7], 0, v23
	v_fma_f32 v33, v34, -v35, 1.0
	v_fma_f32 v22, v22, -v35, v33
	v_fma_f32 v22, v22, -v35, -v35
	v_cndmask_b32_e64 v22, v22, v34, s[6:7]
	v_xor_b32_e32 v19, v19, v22
	v_xor_b32_e32 v19, v19, v18
	v_cmp_class_f32_e64 s[6:7], v18, s46
	v_cndmask_b32_e64 v18, v16, v19, s[6:7]
	v_bfe_u32 v19, v18, 16, 1
	v_add3_u32 v19, v18, v19, s47
	v_lshrrev_b32_e32 v19, 16, v19
	v_cmp_o_f32_e64 s[6:7], v18, v18
	v_cndmask_b32_e64 v18, v17, v19, s[6:7]
	global_store_short v[4:5], v18, off
	s_or_b64 exec, exec, s[8:9]
	s_and_saveexec_b64 s[6:7], s[2:3]
	s_cbranch_execz .LBB103_28
.LBB103_33:                             ;   in Loop: Header=BB103_4 Depth=1
	v_mul_f32_e32 v18, v27, v27
	v_mov_b32_e32 v19, 0xbf039337
	v_fmac_f32_e32 v19, 0x3c971480, v18
	v_fma_f32 v19, v18, v19, v13
	v_rcp_f32_e32 v19, v19
	v_mov_b32_e32 v22, 0x3ec54587
	v_fmac_f32_e32 v22, 0xbc8cedd3, v18
	v_and_b32_e32 v23, 1, v28
	v_mul_f32_e32 v19, v22, v19
	v_mul_f32_e32 v18, v18, v19
	v_fma_f32 v19, v18, v27, v27
	v_rcp_f32_e32 v22, v19
	v_sub_f32_e32 v28, v19, v27
	v_fma_f32 v18, v18, v27, -v28
	v_cmp_eq_u32_e64 s[2:3], 0, v23
	v_fma_f32 v27, v19, -v22, 1.0
	v_fma_f32 v18, v18, -v22, v27
	v_fma_f32 v18, v18, -v22, -v22
	v_cndmask_b32_e64 v18, v18, v19, s[2:3]
	v_xor_b32_e32 v18, v21, v18
	v_xor_b32_e32 v18, v18, v20
	v_cmp_class_f32_e64 s[2:3], v20, s46
	v_cndmask_b32_e64 v18, v16, v18, s[2:3]
	v_bfe_u32 v19, v18, 16, 1
	v_add3_u32 v19, v18, v19, s47
	v_lshrrev_b32_e32 v19, 16, v19
	v_cmp_o_f32_e64 s[2:3], v18, v18
	v_cndmask_b32_e64 v18, v17, v19, s[2:3]
	global_store_short v[6:7], v18, off
	s_or_b64 exec, exec, s[6:7]
	s_and_saveexec_b64 s[2:3], s[0:1]
	s_cbranch_execz .LBB103_29
.LBB103_34:                             ;   in Loop: Header=BB103_4 Depth=1
	v_mul_f32_e32 v18, v30, v30
	v_mov_b32_e32 v19, 0xbf039337
	v_fmac_f32_e32 v19, 0x3c971480, v18
	v_fma_f32 v19, v18, v19, v13
	v_rcp_f32_e32 v19, v19
	v_mov_b32_e32 v20, 0x3ec54587
	v_fmac_f32_e32 v20, 0xbc8cedd3, v18
	v_and_b32_e32 v21, 1, v31
	v_mul_f32_e32 v19, v20, v19
	v_mul_f32_e32 v18, v18, v19
	v_fma_f32 v19, v18, v30, v30
	v_rcp_f32_e32 v20, v19
	v_sub_f32_e32 v22, v19, v30
	v_fma_f32 v18, v18, v30, -v22
	v_cmp_eq_u32_e64 s[0:1], 0, v21
	v_fma_f32 v22, v19, -v20, 1.0
	v_fma_f32 v18, v18, -v20, v22
	v_fma_f32 v18, v18, -v20, -v20
	v_cndmask_b32_e64 v18, v18, v19, s[0:1]
	v_xor_b32_e32 v18, v26, v18
	v_xor_b32_e32 v18, v18, v25
	v_cmp_class_f32_e64 s[0:1], v25, s46
	v_cndmask_b32_e64 v18, v16, v18, s[0:1]
	v_bfe_u32 v19, v18, 16, 1
	v_add3_u32 v19, v18, v19, s47
	v_lshrrev_b32_e32 v19, 16, v19
	v_cmp_o_f32_e64 s[0:1], v18, v18
	v_cndmask_b32_e64 v20, v17, v19, s[0:1]
	v_mov_b32_e32 v19, s28
	v_add_co_u32_e64 v18, s[0:1], s29, v4
	v_addc_co_u32_e64 v19, s[0:1], v5, v19, s[0:1]
	global_store_short v[18:19], v20, off
	s_or_b64 exec, exec, s[2:3]
	s_and_saveexec_b64 s[0:1], vcc
	s_cbranch_execz .LBB103_3
.LBB103_35:                             ;   in Loop: Header=BB103_4 Depth=1
	v_mul_f32_e32 v18, v2, v2
	v_mov_b32_e32 v19, 0xbf039337
	v_fmac_f32_e32 v19, 0x3c971480, v18
	v_fma_f32 v19, v18, v19, v13
	v_rcp_f32_e32 v19, v19
	v_mov_b32_e32 v20, 0x3ec54587
	v_fmac_f32_e32 v20, 0xbc8cedd3, v18
	v_and_b32_e32 v21, 1, v32
	v_mul_f32_e32 v19, v20, v19
	v_mul_f32_e32 v18, v18, v19
	v_fma_f32 v19, v18, v2, v2
	v_rcp_f32_e32 v20, v19
	v_sub_f32_e32 v22, v19, v2
	v_fma_f32 v2, v18, v2, -v22
	v_cmp_eq_u32_e32 vcc, 0, v21
	v_fma_f32 v18, v19, -v20, 1.0
	v_fma_f32 v2, v2, -v20, v18
	v_fma_f32 v2, v2, -v20, -v20
	v_cndmask_b32_e32 v2, v2, v19, vcc
	v_xor_b32_e32 v2, v29, v2
	v_xor_b32_e32 v2, v2, v24
	v_cmp_class_f32_e64 vcc, v24, s46
	v_cndmask_b32_e32 v2, v16, v2, vcc
	v_bfe_u32 v18, v2, 16, 1
	v_add3_u32 v18, v2, v18, s47
	v_lshrrev_b32_e32 v18, 16, v18
	v_cmp_o_f32_e32 vcc, v2, v2
	v_cndmask_b32_e32 v2, v17, v18, vcc
	v_mov_b32_e32 v19, s34
	v_add_co_u32_e32 v18, vcc, s33, v4
	v_addc_co_u32_e32 v19, vcc, v5, v19, vcc
	global_store_short v[18:19], v2, off
	s_branch .LBB103_3
.LBB103_36:
	s_cbranch_execz .LBB103_38
	s_branch .LBB103_57
.LBB103_37:
.LBB103_38:
	v_mov_b32_e32 v3, 0
	v_lshlrev_b32_e32 v2, 2, v0
	s_mov_b32 s12, 0
	v_cmp_gt_i64_e32 vcc, s[16:17], v[2:3]
	s_and_saveexec_b64 s[0:1], vcc
	s_cbranch_execz .LBB103_57
; %bb.39:
	s_load_dword s0, s[4:5], 0xd3c
	v_lshlrev_b32_e32 v1, 3, v0
	s_mov_b32 s15, s12
	s_mov_b64 s[6:7], 0
	s_mov_b32 s22, 0xf534ddc0
	s_waitcnt lgkmcnt(0)
	s_and_b32 s0, s0, 0xffff
	s_add_u32 s1, s18, s20
	s_addc_u32 s2, s19, s21
	v_mov_b32_e32 v2, s2
	v_add_co_u32_e32 v4, vcc, s1, v1
	v_addc_co_u32_e32 v5, vcc, 0, v2, vcc
	v_add_lshl_u32 v2, v0, s0, 2
	s_lshl_b32 s13, s0, 3
	s_lshl_b32 s14, s0, 2
	s_brev_b32 s18, 18
	s_mov_b32 s19, 0xfe5163ab
	s_mov_b32 s20, 0x3c439041
	s_mov_b32 s21, 0xdb629599
	s_mov_b32 s23, 0xfc2757d1
	s_mov_b32 s24, 0x4e441529
	s_mov_b32 s25, 0xa2f9836e
	s_mov_b32 s26, 0x3fc90fda
	s_mov_b32 s27, 0x3f22f983
	s_mov_b32 s28, 0xbfc90fda
	v_mov_b32_e32 v8, 0x3f93f425
	s_movk_i32 s29, 0x1f8
	s_movk_i32 s30, 0x7fff
	s_mov_b64 s[8:9], 0xffff
	v_not_b32_e32 v9, 63
	v_not_b32_e32 v10, 31
	v_mov_b32_e32 v11, 0x7fc00000
	v_mov_b32_e32 v12, 0x7fc0
	v_pk_mov_b32 v[0:1], v[2:3], v[2:3] op_sel:[0,1]
	s_branch .LBB103_41
.LBB103_40:                             ;   in Loop: Header=BB103_41 Depth=1
	s_or_b64 exec, exec, s[0:1]
	v_mul_f32_e32 v26, v23, v23
	v_mov_b32_e32 v27, 0xbf039337
	v_fmac_f32_e32 v27, 0x3c971480, v26
	v_fma_f32 v27, v26, v27, v8
	v_rcp_f32_e32 v27, v27
	v_mov_b32_e32 v28, 0x3ec54587
	v_fmac_f32_e32 v28, 0xbc8cedd3, v26
	v_and_b32_e32 v24, 1, v24
	v_mul_f32_e32 v27, v28, v27
	v_mul_f32_e32 v26, v26, v27
	v_fma_f32 v27, v26, v23, v23
	v_rcp_f32_e32 v28, v27
	v_sub_f32_e32 v29, v27, v23
	v_fma_f32 v23, v26, v23, -v29
	v_cmp_eq_u32_e32 vcc, 0, v24
	v_fma_f32 v26, v27, -v28, 1.0
	v_fma_f32 v23, v23, -v28, v26
	v_fma_f32 v23, v23, -v28, -v28
	v_cndmask_b32_e32 v23, v23, v27, vcc
	v_xor_b32_e32 v21, v21, v23
	v_mul_f32_e32 v23, v19, v19
	v_mov_b32_e32 v24, 0xbf039337
	v_fmac_f32_e32 v24, 0x3c971480, v23
	v_fma_f32 v24, v23, v24, v8
	v_rcp_f32_e32 v24, v24
	v_mov_b32_e32 v26, 0x3ec54587
	v_fmac_f32_e32 v26, 0xbc8cedd3, v23
	v_xor_b32_e32 v21, v21, v6
	v_mul_f32_e32 v24, v26, v24
	v_mul_f32_e32 v23, v23, v24
	v_fma_f32 v24, v23, v19, v19
	v_rcp_f32_e32 v26, v24
	v_sub_f32_e32 v27, v24, v19
	v_fma_f32 v19, v23, v19, -v27
	v_cmp_class_f32_e64 vcc, v6, s29
	v_fma_f32 v23, v24, -v26, 1.0
	v_and_b32_e32 v20, 1, v20
	v_fma_f32 v19, v19, -v26, v23
	v_cndmask_b32_e32 v6, v11, v21, vcc
	v_fma_f32 v19, v19, -v26, -v26
	v_cmp_eq_u32_e32 vcc, 0, v20
	v_cndmask_b32_e32 v19, v19, v24, vcc
	v_xor_b32_e32 v18, v18, v19
	v_mul_f32_e32 v19, v15, v15
	v_mov_b32_e32 v20, 0xbf039337
	v_fmac_f32_e32 v20, 0x3c971480, v19
	v_fma_f32 v20, v19, v20, v8
	v_rcp_f32_e32 v20, v20
	v_mov_b32_e32 v23, 0x3ec54587
	v_fmac_f32_e32 v23, 0xbc8cedd3, v19
	v_xor_b32_e32 v18, v18, v17
	v_mul_f32_e32 v20, v23, v20
	v_mul_f32_e32 v19, v19, v20
	v_fma_f32 v20, v19, v15, v15
	v_rcp_f32_e32 v23, v20
	v_sub_f32_e32 v24, v20, v15
	v_fma_f32 v15, v19, v15, -v24
	v_cmp_class_f32_e64 vcc, v17, s29
	v_fma_f32 v19, v20, -v23, 1.0
	v_and_b32_e32 v16, 1, v16
	v_fma_f32 v15, v15, -v23, v19
	v_cndmask_b32_e32 v17, v11, v18, vcc
	v_fma_f32 v15, v15, -v23, -v23
	v_cmp_eq_u32_e32 vcc, 0, v16
	;; [unrolled: 23-line block ×3, first 2 shown]
	v_cndmask_b32_e32 v2, v2, v16, vcc
	v_xor_b32_e32 v2, v22, v2
	v_xor_b32_e32 v2, v2, v7
	v_cmp_class_f32_e64 vcc, v7, s29
	v_cndmask_b32_e32 v2, v11, v2, vcc
	v_bfe_u32 v7, v2, 16, 1
	v_bfe_u32 v21, v6, 16, 1
	v_add3_u32 v7, v2, v7, s30
	v_add3_u32 v21, v6, v21, s30
	v_bfe_u32 v18, v17, 16, 1
	v_and_b32_e32 v7, 0xffff0000, v7
	v_cmp_o_f32_e32 vcc, v2, v2
	v_lshrrev_b32_e32 v21, 16, v21
	v_add3_u32 v18, v17, v18, s30
	v_bfe_u32 v14, v13, 16, 1
	v_cndmask_b32_e32 v2, v11, v7, vcc
	v_cmp_o_f32_e32 vcc, v6, v6
	v_and_b32_e32 v18, 0xffff0000, v18
	v_add3_u32 v14, v13, v14, s30
	v_cndmask_b32_e32 v6, v12, v21, vcc
	v_cmp_o_f32_e32 vcc, v17, v17
	v_lshrrev_b32_e32 v14, 16, v14
	v_cndmask_b32_e32 v7, v11, v18, vcc
	v_cmp_o_f32_e32 vcc, v13, v13
	v_cndmask_b32_e32 v13, v12, v14, vcc
	v_or_b32_e32 v13, v7, v13
	v_or3_b32 v7, 0, v6, v2
	v_or3_b32 v6, v13, 0, 0
	v_cmp_le_i64_e32 vcc, s[16:17], v[0:1]
	v_cmp_lt_u64_e64 s[0:1], s[8:9], v[0:1]
	global_store_dwordx2 v[4:5], v[6:7], off
	s_or_b64 s[0:1], vcc, s[0:1]
	v_mov_b32_e32 v2, s12
	v_add_co_u32_e32 v4, vcc, s13, v4
	v_addc_co_u32_e32 v5, vcc, v5, v2, vcc
	v_mov_b32_e32 v2, s15
	s_and_b64 s[0:1], exec, s[0:1]
	v_add_co_u32_e32 v0, vcc, s14, v0
	s_or_b64 s[6:7], s[0:1], s[6:7]
	v_addc_co_u32_e32 v1, vcc, v1, v2, vcc
	s_andn2_b64 exec, exec, s[6:7]
	s_cbranch_execz .LBB103_57
.LBB103_41:                             ; =>This Inner Loop Header: Depth=1
	global_load_dwordx2 v[6:7], v[4:5], off
                                        ; implicit-def: $vgpr16
                                        ; implicit-def: $vgpr15
	s_waitcnt vmcnt(0)
	v_lshlrev_b32_e32 v13, 16, v6
	v_and_b32_e32 v14, 0x7fffffff, v13
	v_cmp_nlt_f32_e64 s[0:1], |v13|, s18
	s_and_saveexec_b64 s[2:3], s[0:1]
	s_xor_b64 s[10:11], exec, s[2:3]
	s_cbranch_execz .LBB103_43
; %bb.42:                               ;   in Loop: Header=BB103_41 Depth=1
	v_lshrrev_b32_e32 v2, 23, v14
	v_add_u32_e32 v2, 0xffffff88, v2
	v_cmp_lt_u32_e32 vcc, 63, v2
	v_cndmask_b32_e32 v15, 0, v9, vcc
	v_add_u32_e32 v2, v15, v2
	v_cmp_lt_u32_e64 s[0:1], 31, v2
	v_cndmask_b32_e64 v15, 0, v10, s[0:1]
	v_add_u32_e32 v2, v15, v2
	v_cmp_lt_u32_e64 s[2:3], 31, v2
	v_cndmask_b32_e64 v15, 0, v10, s[2:3]
	v_add_u32_e32 v15, v15, v2
	v_and_b32_e32 v2, 0x7fffff, v14
	v_or_b32_e32 v28, 0x800000, v2
	v_mad_u64_u32 v[16:17], s[4:5], v28, s19, 0
	v_mov_b32_e32 v2, v17
	v_mad_u64_u32 v[18:19], s[4:5], v28, s20, v[2:3]
	v_mov_b32_e32 v2, v19
	;; [unrolled: 2-line block ×6, first 2 shown]
	v_mad_u64_u32 v[28:29], s[4:5], v28, s25, v[2:3]
	v_cndmask_b32_e32 v17, v26, v22, vcc
	v_cndmask_b32_e32 v2, v28, v24, vcc
	;; [unrolled: 1-line block ×3, first 2 shown]
	v_cndmask_b32_e64 v19, v2, v17, s[0:1]
	v_cndmask_b32_e64 v2, v21, v2, s[0:1]
	v_cndmask_b32_e32 v21, v24, v20, vcc
	v_cndmask_b32_e64 v17, v17, v21, s[0:1]
	v_sub_u32_e32 v23, 32, v15
	v_cmp_eq_u32_e64 s[4:5], 0, v15
	v_cndmask_b32_e32 v15, v22, v18, vcc
	v_cndmask_b32_e64 v2, v2, v19, s[2:3]
	v_cndmask_b32_e64 v19, v19, v17, s[2:3]
	;; [unrolled: 1-line block ×3, first 2 shown]
	v_alignbit_b32 v24, v2, v19, v23
	v_cndmask_b32_e64 v17, v17, v18, s[2:3]
	v_cndmask_b32_e64 v2, v24, v2, s[4:5]
	v_alignbit_b32 v21, v19, v17, v23
	v_cndmask_b32_e64 v19, v21, v19, s[4:5]
	v_bfe_u32 v24, v2, 29, 1
	v_cndmask_b32_e32 v16, v20, v16, vcc
	v_alignbit_b32 v21, v2, v19, 30
	v_sub_u32_e32 v25, 0, v24
	v_cndmask_b32_e64 v15, v15, v16, s[0:1]
	v_xor_b32_e32 v26, v21, v25
	v_cndmask_b32_e64 v15, v18, v15, s[2:3]
	v_alignbit_b32 v16, v17, v15, v23
	v_ffbh_u32_e32 v18, v26
	v_cndmask_b32_e64 v16, v16, v17, s[4:5]
	v_add_u32_e32 v18, 1, v18
	v_cmp_ne_u32_e32 vcc, v21, v25
	v_alignbit_b32 v17, v19, v16, 30
	v_cndmask_b32_e32 v18, 33, v18, vcc
	v_alignbit_b32 v15, v16, v15, 30
	v_xor_b32_e32 v17, v17, v25
	v_sub_u32_e32 v19, 32, v18
	v_xor_b32_e32 v15, v15, v25
	v_alignbit_b32 v20, v26, v17, v19
	v_alignbit_b32 v15, v17, v15, v19
	;; [unrolled: 1-line block ×3, first 2 shown]
	v_ffbh_u32_e32 v17, v16
	v_min_u32_e32 v17, 32, v17
	v_lshrrev_b32_e32 v22, 29, v2
	v_sub_u32_e32 v19, 31, v17
	v_alignbit_b32 v15, v16, v15, v19
	v_lshlrev_b32_e32 v16, 31, v22
	v_or_b32_e32 v19, 0x33800000, v16
	v_add_lshl_u32 v17, v17, v18, 23
	v_lshrrev_b32_e32 v15, 9, v15
	v_sub_u32_e32 v17, v19, v17
	v_or_b32_e32 v15, v17, v15
	v_alignbit_b32 v17, v18, v20, 9
	v_or_b32_e32 v16, v17, v16
	v_xor_b32_e32 v16, 1.0, v16
	v_mul_f32_e32 v17, 0x3fc90fda, v16
	v_fma_f32 v18, v16, s26, -v17
	v_fmac_f32_e32 v18, 0x33a22168, v16
	v_fmac_f32_e32 v18, 0x3fc90fda, v15
	v_lshrrev_b32_e32 v2, 30, v2
	v_add_f32_e32 v15, v17, v18
	v_add_u32_e32 v16, v24, v2
.LBB103_43:                             ;   in Loop: Header=BB103_41 Depth=1
	s_andn2_saveexec_b64 s[0:1], s[10:11]
; %bb.44:                               ;   in Loop: Header=BB103_41 Depth=1
	v_mul_f32_e64 v2, |v13|, s27
	v_rndne_f32_e32 v2, v2
	v_cvt_i32_f32_e32 v16, v2
	v_fma_f32 v15, v2, s28, |v13|
	v_fmac_f32_e32 v15, 0xb3a22168, v2
	v_fmac_f32_e32 v15, 0xa7c234c4, v2
; %bb.45:                               ;   in Loop: Header=BB103_41 Depth=1
	s_or_b64 exec, exec, s[0:1]
	v_and_b32_e32 v17, 0xffff0000, v6
	v_and_b32_e32 v18, 0x7fffffff, v17
	v_cmp_nlt_f32_e64 s[0:1], |v17|, s18
                                        ; implicit-def: $vgpr20
                                        ; implicit-def: $vgpr19
	s_and_saveexec_b64 s[2:3], s[0:1]
	s_xor_b64 s[10:11], exec, s[2:3]
	s_cbranch_execz .LBB103_47
; %bb.46:                               ;   in Loop: Header=BB103_41 Depth=1
	v_lshrrev_b32_e32 v2, 23, v18
	v_add_u32_e32 v2, 0xffffff88, v2
	v_cmp_lt_u32_e32 vcc, 63, v2
	v_cndmask_b32_e32 v19, 0, v9, vcc
	v_add_u32_e32 v2, v19, v2
	v_cmp_lt_u32_e64 s[0:1], 31, v2
	v_cndmask_b32_e64 v19, 0, v10, s[0:1]
	v_add_u32_e32 v2, v19, v2
	v_cmp_lt_u32_e64 s[2:3], 31, v2
	v_cndmask_b32_e64 v19, 0, v10, s[2:3]
	v_add_u32_e32 v19, v19, v2
	v_and_b32_e32 v2, 0x7fffff, v18
	v_or_b32_e32 v32, 0x800000, v2
	v_mad_u64_u32 v[20:21], s[4:5], v32, s19, 0
	v_mov_b32_e32 v2, v21
	v_mad_u64_u32 v[22:23], s[4:5], v32, s20, v[2:3]
	v_mov_b32_e32 v2, v23
	;; [unrolled: 2-line block ×6, first 2 shown]
	v_mad_u64_u32 v[32:33], s[4:5], v32, s25, v[2:3]
	v_cndmask_b32_e32 v21, v30, v26, vcc
	v_cndmask_b32_e32 v2, v32, v28, vcc
	;; [unrolled: 1-line block ×3, first 2 shown]
	v_cndmask_b32_e64 v23, v2, v21, s[0:1]
	v_cndmask_b32_e64 v2, v25, v2, s[0:1]
	v_cndmask_b32_e32 v25, v28, v24, vcc
	v_cndmask_b32_e64 v21, v21, v25, s[0:1]
	v_sub_u32_e32 v27, 32, v19
	v_cmp_eq_u32_e64 s[4:5], 0, v19
	v_cndmask_b32_e32 v19, v26, v22, vcc
	v_cndmask_b32_e64 v2, v2, v23, s[2:3]
	v_cndmask_b32_e64 v23, v23, v21, s[2:3]
	;; [unrolled: 1-line block ×3, first 2 shown]
	v_alignbit_b32 v28, v2, v23, v27
	v_cndmask_b32_e64 v21, v21, v22, s[2:3]
	v_cndmask_b32_e64 v2, v28, v2, s[4:5]
	v_alignbit_b32 v25, v23, v21, v27
	v_cndmask_b32_e64 v23, v25, v23, s[4:5]
	v_bfe_u32 v28, v2, 29, 1
	v_cndmask_b32_e32 v20, v24, v20, vcc
	v_alignbit_b32 v25, v2, v23, 30
	v_sub_u32_e32 v29, 0, v28
	v_cndmask_b32_e64 v19, v19, v20, s[0:1]
	v_xor_b32_e32 v30, v25, v29
	v_cndmask_b32_e64 v19, v22, v19, s[2:3]
	v_alignbit_b32 v20, v21, v19, v27
	v_ffbh_u32_e32 v22, v30
	v_cndmask_b32_e64 v20, v20, v21, s[4:5]
	v_add_u32_e32 v22, 1, v22
	v_cmp_ne_u32_e32 vcc, v25, v29
	v_alignbit_b32 v21, v23, v20, 30
	v_cndmask_b32_e32 v22, 33, v22, vcc
	v_alignbit_b32 v19, v20, v19, 30
	v_xor_b32_e32 v21, v21, v29
	v_sub_u32_e32 v23, 32, v22
	v_xor_b32_e32 v19, v19, v29
	v_alignbit_b32 v24, v30, v21, v23
	v_alignbit_b32 v19, v21, v19, v23
	;; [unrolled: 1-line block ×3, first 2 shown]
	v_ffbh_u32_e32 v21, v20
	v_min_u32_e32 v21, 32, v21
	v_lshrrev_b32_e32 v26, 29, v2
	v_sub_u32_e32 v23, 31, v21
	v_alignbit_b32 v19, v20, v19, v23
	v_lshlrev_b32_e32 v20, 31, v26
	v_or_b32_e32 v23, 0x33800000, v20
	v_add_lshl_u32 v21, v21, v22, 23
	v_lshrrev_b32_e32 v19, 9, v19
	v_sub_u32_e32 v21, v23, v21
	v_or_b32_e32 v19, v21, v19
	v_alignbit_b32 v21, v22, v24, 9
	v_or_b32_e32 v20, v21, v20
	v_xor_b32_e32 v20, 1.0, v20
	v_mul_f32_e32 v21, 0x3fc90fda, v20
	v_fma_f32 v22, v20, s26, -v21
	v_fmac_f32_e32 v22, 0x33a22168, v20
	v_fmac_f32_e32 v22, 0x3fc90fda, v19
	v_lshrrev_b32_e32 v2, 30, v2
	v_add_f32_e32 v19, v21, v22
	v_add_u32_e32 v20, v28, v2
.LBB103_47:                             ;   in Loop: Header=BB103_41 Depth=1
	s_andn2_saveexec_b64 s[0:1], s[10:11]
; %bb.48:                               ;   in Loop: Header=BB103_41 Depth=1
	v_mul_f32_e64 v2, |v17|, s27
	v_rndne_f32_e32 v2, v2
	v_cvt_i32_f32_e32 v20, v2
	v_fma_f32 v19, v2, s28, |v17|
	v_fmac_f32_e32 v19, 0xb3a22168, v2
	v_fmac_f32_e32 v19, 0xa7c234c4, v2
; %bb.49:                               ;   in Loop: Header=BB103_41 Depth=1
	s_or_b64 exec, exec, s[0:1]
	v_alignbit_b32 v2, v7, v6, 16
	v_and_b32_e32 v6, 0xffff0000, v2
	v_and_b32_e32 v21, 0x7fffffff, v6
	v_cmp_nlt_f32_e64 s[0:1], |v6|, s18
                                        ; implicit-def: $vgpr24
                                        ; implicit-def: $vgpr23
	s_and_saveexec_b64 s[2:3], s[0:1]
	s_xor_b64 s[10:11], exec, s[2:3]
	s_cbranch_execz .LBB103_51
; %bb.50:                               ;   in Loop: Header=BB103_41 Depth=1
	v_lshrrev_b32_e32 v2, 23, v21
	v_add_u32_e32 v2, 0xffffff88, v2
	v_cmp_lt_u32_e32 vcc, 63, v2
	v_cndmask_b32_e32 v22, 0, v9, vcc
	v_add_u32_e32 v2, v22, v2
	v_cmp_lt_u32_e64 s[0:1], 31, v2
	v_cndmask_b32_e64 v22, 0, v10, s[0:1]
	v_add_u32_e32 v2, v22, v2
	v_cmp_lt_u32_e64 s[2:3], 31, v2
	v_cndmask_b32_e64 v22, 0, v10, s[2:3]
	v_add_u32_e32 v36, v22, v2
	v_and_b32_e32 v2, 0x7fffff, v21
	v_or_b32_e32 v34, 0x800000, v2
	v_mad_u64_u32 v[22:23], s[4:5], v34, s19, 0
	v_mov_b32_e32 v2, v23
	v_mad_u64_u32 v[24:25], s[4:5], v34, s20, v[2:3]
	v_mov_b32_e32 v2, v25
	;; [unrolled: 2-line block ×6, first 2 shown]
	v_mad_u64_u32 v[34:35], s[4:5], v34, s25, v[2:3]
	v_cndmask_b32_e32 v23, v32, v28, vcc
	v_cndmask_b32_e32 v2, v34, v30, vcc
	;; [unrolled: 1-line block ×3, first 2 shown]
	v_cndmask_b32_e64 v25, v2, v23, s[0:1]
	v_cndmask_b32_e64 v2, v27, v2, s[0:1]
	v_cndmask_b32_e32 v27, v30, v26, vcc
	v_cndmask_b32_e64 v23, v23, v27, s[0:1]
	v_cndmask_b32_e32 v24, v28, v24, vcc
	v_cndmask_b32_e64 v2, v2, v25, s[2:3]
	v_cndmask_b32_e64 v25, v25, v23, s[2:3]
	v_sub_u32_e32 v29, 32, v36
	v_cndmask_b32_e64 v27, v27, v24, s[0:1]
	v_alignbit_b32 v30, v2, v25, v29
	v_cmp_eq_u32_e64 s[4:5], 0, v36
	v_cndmask_b32_e64 v23, v23, v27, s[2:3]
	v_cndmask_b32_e32 v22, v26, v22, vcc
	v_cndmask_b32_e64 v2, v30, v2, s[4:5]
	v_alignbit_b32 v28, v25, v23, v29
	v_cndmask_b32_e64 v22, v24, v22, s[0:1]
	v_cndmask_b32_e64 v25, v28, v25, s[4:5]
	v_bfe_u32 v31, v2, 29, 1
	v_cndmask_b32_e64 v22, v27, v22, s[2:3]
	v_alignbit_b32 v28, v2, v25, 30
	v_sub_u32_e32 v32, 0, v31
	v_alignbit_b32 v24, v23, v22, v29
	v_xor_b32_e32 v33, v28, v32
	v_cndmask_b32_e64 v23, v24, v23, s[4:5]
	v_alignbit_b32 v24, v25, v23, 30
	v_ffbh_u32_e32 v25, v33
	v_add_u32_e32 v25, 1, v25
	v_cmp_ne_u32_e32 vcc, v28, v32
	v_cndmask_b32_e32 v25, 33, v25, vcc
	v_alignbit_b32 v22, v23, v22, 30
	v_xor_b32_e32 v24, v24, v32
	v_sub_u32_e32 v26, 32, v25
	v_xor_b32_e32 v22, v22, v32
	v_alignbit_b32 v27, v33, v24, v26
	v_alignbit_b32 v22, v24, v22, v26
	;; [unrolled: 1-line block ×3, first 2 shown]
	v_ffbh_u32_e32 v24, v23
	v_min_u32_e32 v24, 32, v24
	v_lshrrev_b32_e32 v30, 29, v2
	v_sub_u32_e32 v26, 31, v24
	v_alignbit_b32 v22, v23, v22, v26
	v_lshlrev_b32_e32 v23, 31, v30
	v_or_b32_e32 v26, 0x33800000, v23
	v_add_lshl_u32 v24, v24, v25, 23
	v_lshrrev_b32_e32 v22, 9, v22
	v_sub_u32_e32 v24, v26, v24
	v_or_b32_e32 v22, v24, v22
	v_alignbit_b32 v24, v25, v27, 9
	v_or_b32_e32 v23, v24, v23
	v_xor_b32_e32 v23, 1.0, v23
	v_mul_f32_e32 v24, 0x3fc90fda, v23
	v_fma_f32 v25, v23, s26, -v24
	v_fmac_f32_e32 v25, 0x33a22168, v23
	v_fmac_f32_e32 v25, 0x3fc90fda, v22
	v_lshrrev_b32_e32 v2, 30, v2
	v_add_f32_e32 v23, v24, v25
	v_add_u32_e32 v24, v31, v2
.LBB103_51:                             ;   in Loop: Header=BB103_41 Depth=1
	s_andn2_saveexec_b64 s[0:1], s[10:11]
; %bb.52:                               ;   in Loop: Header=BB103_41 Depth=1
	v_mul_f32_e64 v2, |v6|, s27
	v_rndne_f32_e32 v2, v2
	v_cvt_i32_f32_e32 v24, v2
	v_fma_f32 v23, v2, s28, |v6|
	v_fmac_f32_e32 v23, 0xb3a22168, v2
	v_fmac_f32_e32 v23, 0xa7c234c4, v2
; %bb.53:                               ;   in Loop: Header=BB103_41 Depth=1
	s_or_b64 exec, exec, s[0:1]
	v_and_b32_e32 v7, 0xffff0000, v7
	v_and_b32_e32 v22, 0x7fffffff, v7
	v_cmp_nlt_f32_e64 s[0:1], |v7|, s18
                                        ; implicit-def: $vgpr25
                                        ; implicit-def: $vgpr2
	s_and_saveexec_b64 s[2:3], s[0:1]
	s_xor_b64 s[10:11], exec, s[2:3]
	s_cbranch_execz .LBB103_55
; %bb.54:                               ;   in Loop: Header=BB103_41 Depth=1
	v_lshrrev_b32_e32 v2, 23, v22
	v_add_u32_e32 v2, 0xffffff88, v2
	v_cmp_lt_u32_e32 vcc, 63, v2
	v_cndmask_b32_e32 v25, 0, v9, vcc
	v_add_u32_e32 v2, v25, v2
	v_cmp_lt_u32_e64 s[0:1], 31, v2
	v_cndmask_b32_e64 v25, 0, v10, s[0:1]
	v_add_u32_e32 v2, v25, v2
	v_cmp_lt_u32_e64 s[2:3], 31, v2
	v_cndmask_b32_e64 v25, 0, v10, s[2:3]
	v_add_u32_e32 v25, v25, v2
	v_and_b32_e32 v2, 0x7fffff, v22
	v_or_b32_e32 v38, 0x800000, v2
	v_mad_u64_u32 v[26:27], s[4:5], v38, s19, 0
	v_mov_b32_e32 v2, v27
	v_mad_u64_u32 v[28:29], s[4:5], v38, s20, v[2:3]
	v_mov_b32_e32 v2, v29
	;; [unrolled: 2-line block ×6, first 2 shown]
	v_mad_u64_u32 v[38:39], s[4:5], v38, s25, v[2:3]
	v_cndmask_b32_e32 v27, v36, v32, vcc
	v_cndmask_b32_e32 v2, v38, v34, vcc
	;; [unrolled: 1-line block ×3, first 2 shown]
	v_cndmask_b32_e64 v29, v2, v27, s[0:1]
	v_cndmask_b32_e64 v2, v31, v2, s[0:1]
	v_cndmask_b32_e32 v31, v34, v30, vcc
	v_cndmask_b32_e64 v27, v27, v31, s[0:1]
	v_cndmask_b32_e64 v2, v2, v29, s[2:3]
	;; [unrolled: 1-line block ×3, first 2 shown]
	v_sub_u32_e32 v33, 32, v25
	v_alignbit_b32 v34, v2, v29, v33
	v_cmp_eq_u32_e64 s[4:5], 0, v25
	v_cndmask_b32_e64 v25, v34, v2, s[4:5]
	v_cndmask_b32_e32 v2, v32, v28, vcc
	v_cndmask_b32_e64 v28, v31, v2, s[0:1]
	v_cndmask_b32_e64 v27, v27, v28, s[2:3]
	v_alignbit_b32 v31, v29, v27, v33
	v_cndmask_b32_e64 v29, v31, v29, s[4:5]
	v_bfe_u32 v34, v25, 29, 1
	v_cndmask_b32_e32 v26, v30, v26, vcc
	v_alignbit_b32 v31, v25, v29, 30
	v_sub_u32_e32 v35, 0, v34
	v_cndmask_b32_e64 v2, v2, v26, s[0:1]
	v_xor_b32_e32 v36, v31, v35
	v_cndmask_b32_e64 v2, v28, v2, s[2:3]
	v_alignbit_b32 v26, v27, v2, v33
	v_ffbh_u32_e32 v28, v36
	v_cndmask_b32_e64 v26, v26, v27, s[4:5]
	v_add_u32_e32 v28, 1, v28
	v_cmp_ne_u32_e32 vcc, v31, v35
	v_alignbit_b32 v27, v29, v26, 30
	v_cndmask_b32_e32 v28, 33, v28, vcc
	v_alignbit_b32 v2, v26, v2, 30
	v_xor_b32_e32 v27, v27, v35
	v_sub_u32_e32 v29, 32, v28
	v_xor_b32_e32 v2, v2, v35
	v_alignbit_b32 v30, v36, v27, v29
	v_alignbit_b32 v2, v27, v2, v29
	;; [unrolled: 1-line block ×3, first 2 shown]
	v_ffbh_u32_e32 v27, v26
	v_min_u32_e32 v27, 32, v27
	v_lshrrev_b32_e32 v32, 29, v25
	v_sub_u32_e32 v29, 31, v27
	v_alignbit_b32 v2, v26, v2, v29
	v_lshlrev_b32_e32 v26, 31, v32
	v_or_b32_e32 v29, 0x33800000, v26
	v_add_lshl_u32 v27, v27, v28, 23
	v_lshrrev_b32_e32 v2, 9, v2
	v_sub_u32_e32 v27, v29, v27
	v_or_b32_e32 v2, v27, v2
	v_alignbit_b32 v27, v28, v30, 9
	v_or_b32_e32 v26, v27, v26
	v_xor_b32_e32 v26, 1.0, v26
	v_mul_f32_e32 v27, 0x3fc90fda, v26
	v_fma_f32 v28, v26, s26, -v27
	v_fmac_f32_e32 v28, 0x33a22168, v26
	v_fmac_f32_e32 v28, 0x3fc90fda, v2
	v_lshrrev_b32_e32 v25, 30, v25
	v_add_f32_e32 v2, v27, v28
	v_add_u32_e32 v25, v34, v25
.LBB103_55:                             ;   in Loop: Header=BB103_41 Depth=1
	s_andn2_saveexec_b64 s[0:1], s[10:11]
	s_cbranch_execz .LBB103_40
; %bb.56:                               ;   in Loop: Header=BB103_41 Depth=1
	v_mul_f32_e64 v2, |v7|, s27
	v_rndne_f32_e32 v26, v2
	v_cvt_i32_f32_e32 v25, v26
	v_fma_f32 v2, v26, s28, |v7|
	v_fmac_f32_e32 v2, 0xb3a22168, v26
	v_fmac_f32_e32 v2, 0xa7c234c4, v26
	s_branch .LBB103_40
.LBB103_57:
	s_endpgm
	.section	.rodata,"a",@progbits
	.p2align	6, 0x0
	.amdhsa_kernel _ZN2at6native12_GLOBAL__N_125multi_tensor_apply_kernelINS1_18TensorListMetadataILi1EEENS1_14UnaryOpFunctorIN3c108BFloat16ELi1ELi1ELi0EEEJNS0_3TanIfEEEEEvT_T0_DpT1_
		.amdhsa_group_segment_fixed_size 0
		.amdhsa_private_segment_fixed_size 0
		.amdhsa_kernarg_size 3632
		.amdhsa_user_sgpr_count 6
		.amdhsa_user_sgpr_private_segment_buffer 1
		.amdhsa_user_sgpr_dispatch_ptr 0
		.amdhsa_user_sgpr_queue_ptr 0
		.amdhsa_user_sgpr_kernarg_segment_ptr 1
		.amdhsa_user_sgpr_dispatch_id 0
		.amdhsa_user_sgpr_flat_scratch_init 0
		.amdhsa_user_sgpr_kernarg_preload_length 0
		.amdhsa_user_sgpr_kernarg_preload_offset 0
		.amdhsa_user_sgpr_private_segment_size 0
		.amdhsa_uses_dynamic_stack 0
		.amdhsa_system_sgpr_private_segment_wavefront_offset 0
		.amdhsa_system_sgpr_workgroup_id_x 1
		.amdhsa_system_sgpr_workgroup_id_y 0
		.amdhsa_system_sgpr_workgroup_id_z 0
		.amdhsa_system_sgpr_workgroup_info 0
		.amdhsa_system_vgpr_workitem_id 0
		.amdhsa_next_free_vgpr 47
		.amdhsa_next_free_sgpr 48
		.amdhsa_accum_offset 48
		.amdhsa_reserve_vcc 1
		.amdhsa_reserve_flat_scratch 0
		.amdhsa_float_round_mode_32 0
		.amdhsa_float_round_mode_16_64 0
		.amdhsa_float_denorm_mode_32 3
		.amdhsa_float_denorm_mode_16_64 3
		.amdhsa_dx10_clamp 1
		.amdhsa_ieee_mode 1
		.amdhsa_fp16_overflow 0
		.amdhsa_tg_split 0
		.amdhsa_exception_fp_ieee_invalid_op 0
		.amdhsa_exception_fp_denorm_src 0
		.amdhsa_exception_fp_ieee_div_zero 0
		.amdhsa_exception_fp_ieee_overflow 0
		.amdhsa_exception_fp_ieee_underflow 0
		.amdhsa_exception_fp_ieee_inexact 0
		.amdhsa_exception_int_div_zero 0
	.end_amdhsa_kernel
	.section	.text._ZN2at6native12_GLOBAL__N_125multi_tensor_apply_kernelINS1_18TensorListMetadataILi1EEENS1_14UnaryOpFunctorIN3c108BFloat16ELi1ELi1ELi0EEEJNS0_3TanIfEEEEEvT_T0_DpT1_,"axG",@progbits,_ZN2at6native12_GLOBAL__N_125multi_tensor_apply_kernelINS1_18TensorListMetadataILi1EEENS1_14UnaryOpFunctorIN3c108BFloat16ELi1ELi1ELi0EEEJNS0_3TanIfEEEEEvT_T0_DpT1_,comdat
.Lfunc_end103:
	.size	_ZN2at6native12_GLOBAL__N_125multi_tensor_apply_kernelINS1_18TensorListMetadataILi1EEENS1_14UnaryOpFunctorIN3c108BFloat16ELi1ELi1ELi0EEEJNS0_3TanIfEEEEEvT_T0_DpT1_, .Lfunc_end103-_ZN2at6native12_GLOBAL__N_125multi_tensor_apply_kernelINS1_18TensorListMetadataILi1EEENS1_14UnaryOpFunctorIN3c108BFloat16ELi1ELi1ELi0EEEJNS0_3TanIfEEEEEvT_T0_DpT1_
                                        ; -- End function
	.section	.AMDGPU.csdata,"",@progbits
; Kernel info:
; codeLenInByte = 7648
; NumSgprs: 52
; NumVgprs: 47
; NumAgprs: 0
; TotalNumVgprs: 47
; ScratchSize: 0
; MemoryBound: 0
; FloatMode: 240
; IeeeMode: 1
; LDSByteSize: 0 bytes/workgroup (compile time only)
; SGPRBlocks: 6
; VGPRBlocks: 5
; NumSGPRsForWavesPerEU: 52
; NumVGPRsForWavesPerEU: 47
; AccumOffset: 48
; Occupancy: 8
; WaveLimiterHint : 0
; COMPUTE_PGM_RSRC2:SCRATCH_EN: 0
; COMPUTE_PGM_RSRC2:USER_SGPR: 6
; COMPUTE_PGM_RSRC2:TRAP_HANDLER: 0
; COMPUTE_PGM_RSRC2:TGID_X_EN: 1
; COMPUTE_PGM_RSRC2:TGID_Y_EN: 0
; COMPUTE_PGM_RSRC2:TGID_Z_EN: 0
; COMPUTE_PGM_RSRC2:TIDIG_COMP_CNT: 0
; COMPUTE_PGM_RSRC3_GFX90A:ACCUM_OFFSET: 11
; COMPUTE_PGM_RSRC3_GFX90A:TG_SPLIT: 0
	.section	.text._ZN2at6native12_GLOBAL__N_125multi_tensor_apply_kernelINS1_18TensorListMetadataILi2EEENS1_14UnaryOpFunctorIdLi2ELi1ELi1EEEJNS0_3SinIdEEEEEvT_T0_DpT1_,"axG",@progbits,_ZN2at6native12_GLOBAL__N_125multi_tensor_apply_kernelINS1_18TensorListMetadataILi2EEENS1_14UnaryOpFunctorIdLi2ELi1ELi1EEEJNS0_3SinIdEEEEEvT_T0_DpT1_,comdat
	.globl	_ZN2at6native12_GLOBAL__N_125multi_tensor_apply_kernelINS1_18TensorListMetadataILi2EEENS1_14UnaryOpFunctorIdLi2ELi1ELi1EEEJNS0_3SinIdEEEEEvT_T0_DpT1_ ; -- Begin function _ZN2at6native12_GLOBAL__N_125multi_tensor_apply_kernelINS1_18TensorListMetadataILi2EEENS1_14UnaryOpFunctorIdLi2ELi1ELi1EEEJNS0_3SinIdEEEEEvT_T0_DpT1_
	.p2align	8
	.type	_ZN2at6native12_GLOBAL__N_125multi_tensor_apply_kernelINS1_18TensorListMetadataILi2EEENS1_14UnaryOpFunctorIdLi2ELi1ELi1EEEJNS0_3SinIdEEEEEvT_T0_DpT1_,@function
_ZN2at6native12_GLOBAL__N_125multi_tensor_apply_kernelINS1_18TensorListMetadataILi2EEENS1_14UnaryOpFunctorIdLi2ELi1ELi1EEEJNS0_3SinIdEEEEEvT_T0_DpT1_: ; @_ZN2at6native12_GLOBAL__N_125multi_tensor_apply_kernelINS1_18TensorListMetadataILi2EEENS1_14UnaryOpFunctorIdLi2ELi1ELi1EEEJNS0_3SinIdEEEEEvT_T0_DpT1_
; %bb.0:
	v_mov_b32_e32 v1, s6
	global_load_ubyte v1, v1, s[4:5] offset:1536
	s_add_u32 s0, s4, s6
	s_mul_hi_u32 s3, s6, 3
	s_mul_i32 s6, s6, 3
	s_addc_u32 s7, s5, 0
	s_add_u32 s2, s0, s6
	s_addc_u32 s3, s7, s3
	s_load_dword s14, s[2:3], 0x740
	s_mov_b32 s9, 0
	s_mov_b32 s13, s9
	s_mov_b32 s1, s9
	s_waitcnt lgkmcnt(0)
	s_ashr_i32 s15, s14, 31
	s_lshl_b64 s[10:11], s[14:15], 19
	s_waitcnt vmcnt(0)
	v_readfirstlane_b32 s0, v1
	s_lshl_b32 s0, s0, 3
	s_load_dwordx2 s[6:7], s[4:5], s0 offset:0x0
	s_load_dwordx2 s[16:17], s[4:5], s0 offset:0x400
	;; [unrolled: 1-line block ×3, first 2 shown]
	s_waitcnt lgkmcnt(0)
	s_add_u32 s33, s6, s10
	s_addc_u32 s68, s7, s11
	s_and_b32 s8, s33, 31
	s_add_u32 s69, s2, s10
	s_addc_u32 s70, s3, s11
	s_and_b32 s12, s16, 3
	s_and_b32 s0, s69, 31
	s_or_b64 s[12:13], s[8:9], s[12:13]
	s_or_b64 s[0:1], s[0:1], s[12:13]
	s_lshl_b64 s[12:13], s[14:15], 16
	s_sub_u32 s12, s16, s12
	s_subb_u32 s13, s17, s13
	s_cmp_eq_u64 s[0:1], 0
	s_mov_b64 s[0:1], -1
	s_cbranch_scc0 .LBB104_21
; %bb.1:
	v_mov_b32_e32 v10, 0
	v_lshlrev_b32_e32 v2, 2, v0
	v_mov_b32_e32 v3, v10
	v_cmp_gt_i64_e32 vcc, s[12:13], v[2:3]
	s_and_saveexec_b64 s[14:15], vcc
	s_cbranch_execz .LBB104_20
; %bb.2:
	s_load_dword s0, s[4:5], 0xc5c
	s_mov_b32 s18, 0
	s_mov_b32 s20, 0
	;; [unrolled: 1-line block ×4, first 2 shown]
	s_waitcnt lgkmcnt(0)
	s_and_b32 s0, s0, 0xffff
	s_mov_b32 s34, 0x6dc9c883
	s_mov_b32 s36, 0x33145c00
	;; [unrolled: 1-line block ×15, first 2 shown]
	v_mov_b32_e32 v13, v10
	v_lshlrev_b32_e32 v14, 5, v0
	v_add_lshl_u32 v12, v0, s0, 2
	s_lshl_b32 s8, s0, 2
	s_lshl_b32 s71, s0, 5
	s_mov_b64 s[16:17], 0
	s_mov_b32 s19, 0x41d00000
	s_mov_b32 s21, 0x7b000000
	s_movk_i32 s72, 0xff80
	s_mov_b32 s23, 0x7ff00000
	s_mov_b32 s25, 0x3ff921fb
	s_mov_b32 s27, 0xbff921fb
	s_mov_b32 s29, 0x3c91a626
	s_mov_b32 s30, 0x33145c07
	s_mov_b32 s35, 0x3fe45f30
	s_mov_b32 s37, 0xbc91a626
	s_mov_b32 s39, 0xb97b839a
	s_mov_b32 s41, 0x3e21eeb6
	s_mov_b32 s43, 0xbda907db
	s_mov_b32 s45, 0xbe927e4f
	s_mov_b32 s47, 0x3efa01a0
	s_mov_b32 s49, 0xbf56c16c
	s_mov_b32 s51, 0x3fa55555
	s_mov_b32 s53, 0xbfc55555
	s_mov_b32 s55, 0xbe5ae600
	s_mov_b32 s57, 0x3de5e0b2
	s_mov_b32 s59, 0x3ec71de3
	s_mov_b32 s61, 0xbf2a01a0
	s_mov_b32 s63, 0x3f811111
	s_movk_i32 s73, 0x1f8
	s_mov_b64 s[64:65], 0xffff
	v_mov_b32_e32 v1, 0x40100000
	v_mov_b32_e32 v15, 0x3ff00000
	;; [unrolled: 1-line block ×3, first 2 shown]
	s_branch .LBB104_4
.LBB104_3:                              ;   in Loop: Header=BB104_4 Depth=1
	s_or_b64 exec, exec, s[0:1]
	v_mul_f64 v[38:39], v[24:25], v[24:25]
	v_pk_mov_b32 v[46:47], s[40:41], s[40:41] op_sel:[0,1]
	v_mul_f64 v[40:41], v[38:39], 0.5
	v_fma_f64 v[48:49], s[42:43], v[38:39], v[46:47]
	v_add_f64 v[42:43], -v[40:41], 1.0
	v_fma_f64 v[48:49], v[38:39], v[48:49], s[44:45]
	v_add_f64 v[44:45], -v[42:43], 1.0
	v_fma_f64 v[48:49], v[38:39], v[48:49], s[46:47]
	v_add_f64 v[40:41], v[44:45], -v[40:41]
	v_fma_f64 v[48:49], v[38:39], v[48:49], s[48:49]
	v_mul_f64 v[44:45], v[38:39], v[38:39]
	v_fma_f64 v[48:49], v[38:39], v[48:49], s[50:51]
	v_fma_f64 v[40:41], v[24:25], -v[26:27], v[40:41]
	v_fmac_f64_e32 v[40:41], v[44:45], v[48:49]
	v_add_f64 v[40:41], v[42:43], v[40:41]
	v_pk_mov_b32 v[42:43], s[54:55], s[54:55] op_sel:[0,1]
	v_fma_f64 v[44:45], s[56:57], v[38:39], v[42:43]
	v_fma_f64 v[44:45], v[38:39], v[44:45], s[58:59]
	;; [unrolled: 1-line block ×4, first 2 shown]
	v_mul_f64 v[48:49], v[24:25], -v[38:39]
	v_mul_f64 v[50:51], v[26:27], 0.5
	v_fmac_f64_e32 v[50:51], v[48:49], v[44:45]
	v_fma_f64 v[26:27], v[38:39], v[50:51], -v[26:27]
	v_fmac_f64_e32 v[26:27], s[52:53], v[48:49]
	v_and_b32_e32 v11, 1, v35
	v_add_f64 v[24:25], v[24:25], -v[26:27]
	v_cmp_eq_u32_e32 vcc, 0, v11
	v_cndmask_b32_e32 v11, v40, v24, vcc
	v_cndmask_b32_e32 v24, v41, v25, vcc
	v_lshlrev_b32_e32 v25, 30, v35
	v_xor_b32_e32 v25, v25, v3
	v_and_b32_e32 v25, 0x80000000, v25
	v_xor_b32_e32 v24, v24, v25
	v_cmp_class_f64_e64 vcc, v[2:3], s73
	v_cndmask_b32_e32 v3, v32, v24, vcc
	v_mul_f64 v[24:25], v[20:21], v[20:21]
	v_mul_f64 v[26:27], v[24:25], 0.5
	v_fma_f64 v[44:45], s[42:43], v[24:25], v[46:47]
	v_add_f64 v[38:39], -v[26:27], 1.0
	v_fma_f64 v[44:45], v[24:25], v[44:45], s[44:45]
	v_add_f64 v[40:41], -v[38:39], 1.0
	v_fma_f64 v[44:45], v[24:25], v[44:45], s[46:47]
	v_add_f64 v[26:27], v[40:41], -v[26:27]
	v_fma_f64 v[44:45], v[24:25], v[44:45], s[48:49]
	v_mul_f64 v[40:41], v[24:25], v[24:25]
	v_fma_f64 v[44:45], v[24:25], v[44:45], s[50:51]
	v_fma_f64 v[26:27], v[20:21], -v[22:23], v[26:27]
	v_fmac_f64_e32 v[26:27], v[40:41], v[44:45]
	v_add_f64 v[26:27], v[38:39], v[26:27]
	v_fma_f64 v[38:39], s[56:57], v[24:25], v[42:43]
	v_fma_f64 v[38:39], v[24:25], v[38:39], s[58:59]
	v_fma_f64 v[38:39], v[24:25], v[38:39], s[60:61]
	v_fma_f64 v[38:39], v[24:25], v[38:39], s[62:63]
	v_mul_f64 v[40:41], v[20:21], -v[24:25]
	v_mul_f64 v[44:45], v[22:23], 0.5
	v_fmac_f64_e32 v[44:45], v[40:41], v[38:39]
	v_fma_f64 v[22:23], v[24:25], v[44:45], -v[22:23]
	v_cndmask_b32_e32 v2, 0, v11, vcc
	v_fmac_f64_e32 v[22:23], s[52:53], v[40:41]
	v_and_b32_e32 v11, 1, v34
	v_add_f64 v[20:21], v[20:21], -v[22:23]
	v_cmp_eq_u32_e32 vcc, 0, v11
	v_cndmask_b32_e32 v11, v26, v20, vcc
	v_cndmask_b32_e32 v20, v27, v21, vcc
	v_lshlrev_b32_e32 v21, 30, v34
	v_xor_b32_e32 v21, v21, v9
	v_and_b32_e32 v21, 0x80000000, v21
	v_xor_b32_e32 v20, v20, v21
	v_cmp_class_f64_e64 vcc, v[8:9], s73
	v_cndmask_b32_e32 v9, v32, v20, vcc
	v_mul_f64 v[20:21], v[16:17], v[16:17]
	v_mul_f64 v[22:23], v[20:21], 0.5
	v_fma_f64 v[34:35], s[42:43], v[20:21], v[46:47]
	v_add_f64 v[24:25], -v[22:23], 1.0
	v_fma_f64 v[34:35], v[20:21], v[34:35], s[44:45]
	v_add_f64 v[26:27], -v[24:25], 1.0
	v_fma_f64 v[34:35], v[20:21], v[34:35], s[46:47]
	v_add_f64 v[22:23], v[26:27], -v[22:23]
	v_fma_f64 v[34:35], v[20:21], v[34:35], s[48:49]
	v_mul_f64 v[26:27], v[20:21], v[20:21]
	v_fma_f64 v[34:35], v[20:21], v[34:35], s[50:51]
	v_fma_f64 v[22:23], v[16:17], -v[18:19], v[22:23]
	v_fmac_f64_e32 v[22:23], v[26:27], v[34:35]
	v_add_f64 v[22:23], v[24:25], v[22:23]
	v_fma_f64 v[24:25], s[56:57], v[20:21], v[42:43]
	v_fma_f64 v[24:25], v[20:21], v[24:25], s[58:59]
	v_fma_f64 v[24:25], v[20:21], v[24:25], s[60:61]
	v_fma_f64 v[24:25], v[20:21], v[24:25], s[62:63]
	v_mul_f64 v[26:27], v[16:17], -v[20:21]
	v_mul_f64 v[34:35], v[18:19], 0.5
	v_fmac_f64_e32 v[34:35], v[26:27], v[24:25]
	v_fma_f64 v[18:19], v[20:21], v[34:35], -v[18:19]
	v_cndmask_b32_e32 v8, 0, v11, vcc
	;; [unrolled: 35-line block ×3, first 2 shown]
	v_fmac_f64_e32 v[16:17], s[52:53], v[22:23]
	v_and_b32_e32 v11, 1, v36
	v_add_f64 v[16:17], v[28:29], -v[16:17]
	v_cmp_eq_u32_e32 vcc, 0, v11
	v_cndmask_b32_e32 v11, v18, v16, vcc
	v_cndmask_b32_e32 v16, v19, v17, vcc
	v_lshlrev_b32_e32 v17, 30, v36
	v_xor_b32_e32 v17, v17, v5
	v_and_b32_e32 v17, 0x80000000, v17
	v_xor_b32_e32 v16, v16, v17
	v_cmp_class_f64_e64 vcc, v[4:5], s73
	v_cndmask_b32_e32 v4, 0, v11, vcc
	v_cndmask_b32_e32 v5, v32, v16, vcc
	v_mov_b32_e32 v11, s70
	v_add_co_u32_e32 v16, vcc, s69, v14
	v_addc_co_u32_e32 v17, vcc, 0, v11, vcc
	v_cmp_le_i64_e32 vcc, s[12:13], v[12:13]
	v_cmp_lt_u64_e64 s[0:1], s[64:65], v[12:13]
	s_or_b64 s[0:1], vcc, s[0:1]
	s_add_u32 s33, s33, s71
	s_addc_u32 s68, s68, 0
	s_add_u32 s69, s69, s71
	s_addc_u32 s70, s70, 0
	global_store_dwordx4 v[16:17], v[6:9], off
	global_store_dwordx4 v[16:17], v[2:5], off offset:16
	s_and_b64 s[0:1], exec, s[0:1]
	v_mov_b32_e32 v2, s9
	v_add_co_u32_e32 v12, vcc, s8, v12
	s_or_b64 s[16:17], s[0:1], s[16:17]
	v_addc_co_u32_e32 v13, vcc, v13, v2, vcc
	s_andn2_b64 exec, exec, s[16:17]
	s_cbranch_execz .LBB104_20
.LBB104_4:                              ; =>This Inner Loop Header: Depth=1
	v_mov_b32_e32 v3, s68
	v_add_co_u32_e32 v2, vcc, s33, v14
	v_addc_co_u32_e32 v3, vcc, 0, v3, vcc
	global_load_dwordx4 v[6:9], v[2:3], off
	s_nop 0
	global_load_dwordx4 v[2:5], v[2:3], off offset:16
                                        ; implicit-def: $vgpr33
                                        ; implicit-def: $vgpr16_vgpr17
                                        ; implicit-def: $vgpr18_vgpr19
	s_waitcnt vmcnt(1)
	v_cmp_nlt_f64_e64 s[0:1], |v[6:7]|, s[18:19]
	s_and_saveexec_b64 s[66:67], s[0:1]
	s_xor_b64 s[66:67], exec, s[66:67]
	s_cbranch_execz .LBB104_6
; %bb.5:                                ;   in Loop: Header=BB104_4 Depth=1
	v_and_b32_e32 v11, 0x7fffffff, v7
	v_ldexp_f64 v[20:21], |v[6:7]|, s72
	v_cmp_ge_f64_e64 vcc, |v[6:7]|, s[20:21]
	v_trig_preop_f64 v[16:17], |v[6:7]|, 0
	v_cndmask_b32_e32 v21, v11, v21, vcc
	v_cndmask_b32_e32 v20, v6, v20, vcc
	v_trig_preop_f64 v[18:19], |v[6:7]|, 1
	v_mul_f64 v[24:25], v[16:17], v[20:21]
	v_mul_f64 v[22:23], v[18:19], v[20:21]
	v_fma_f64 v[16:17], v[16:17], v[20:21], -v[24:25]
	v_add_f64 v[26:27], v[22:23], v[16:17]
	v_add_f64 v[28:29], v[24:25], v[26:27]
	v_ldexp_f64 v[30:31], v[28:29], -2
	v_fract_f64_e32 v[34:35], v[30:31]
	v_cmp_neq_f64_e64 vcc, |v[30:31]|, s[22:23]
	v_cndmask_b32_e32 v31, 0, v35, vcc
	v_cndmask_b32_e32 v30, 0, v34, vcc
	v_add_f64 v[34:35], v[26:27], -v[22:23]
	v_add_f64 v[16:17], v[16:17], -v[34:35]
	v_add_f64 v[34:35], v[26:27], -v[34:35]
	v_add_f64 v[34:35], v[22:23], -v[34:35]
	v_fma_f64 v[18:19], v[18:19], v[20:21], -v[22:23]
	v_trig_preop_f64 v[22:23], |v[6:7]|, 2
	v_add_f64 v[16:17], v[16:17], v[34:35]
	v_mul_f64 v[34:35], v[22:23], v[20:21]
	v_add_f64 v[36:37], v[34:35], v[18:19]
	v_add_f64 v[38:39], v[36:37], v[16:17]
	v_add_f64 v[24:25], v[28:29], -v[24:25]
	v_add_f64 v[28:29], v[38:39], -v[36:37]
	;; [unrolled: 1-line block ×5, first 2 shown]
	v_add_f64 v[16:17], v[16:17], v[28:29]
	v_add_f64 v[28:29], v[36:37], -v[34:35]
	v_add_f64 v[18:19], v[18:19], -v[28:29]
	;; [unrolled: 1-line block ×4, first 2 shown]
	v_add_f64 v[18:19], v[18:19], v[28:29]
	v_add_f64 v[24:25], v[26:27], -v[24:25]
	v_add_f64 v[16:17], v[18:19], v[16:17]
	v_fma_f64 v[18:19], v[22:23], v[20:21], -v[34:35]
	v_add_f64 v[26:27], v[24:25], v[38:39]
	v_add_f64 v[16:17], v[18:19], v[16:17]
	v_ldexp_f64 v[18:19], v[30:31], 2
	v_add_f64 v[20:21], v[26:27], v[18:19]
	v_cmp_gt_f64_e32 vcc, 0, v[20:21]
	v_cndmask_b32_e32 v11, 0, v1, vcc
	v_add_f64 v[18:19], v[18:19], v[10:11]
	v_add_f64 v[20:21], v[26:27], v[18:19]
	v_cvt_i32_f64_e32 v11, v[20:21]
	v_cvt_f64_i32_e32 v[20:21], v11
	v_add_f64 v[18:19], v[18:19], -v[20:21]
	v_add_f64 v[24:25], v[26:27], -v[24:25]
	v_add_f64 v[20:21], v[26:27], v[18:19]
	v_add_f64 v[24:25], v[38:39], -v[24:25]
	v_add_f64 v[18:19], v[20:21], -v[18:19]
	v_cmp_le_f64_e32 vcc, 0.5, v[20:21]
	v_add_f64 v[16:17], v[24:25], v[16:17]
	v_add_f64 v[18:19], v[26:27], -v[18:19]
	v_addc_co_u32_e64 v33, s[0:1], 0, v11, vcc
	v_cndmask_b32_e32 v11, 0, v15, vcc
	v_add_f64 v[16:17], v[16:17], v[18:19]
	v_add_f64 v[18:19], v[20:21], -v[10:11]
	v_add_f64 v[20:21], v[18:19], v[16:17]
	v_add_f64 v[18:19], v[20:21], -v[18:19]
	s_mov_b32 s24, s26
	v_add_f64 v[16:17], v[16:17], -v[18:19]
	v_mul_f64 v[18:19], v[20:21], s[24:25]
	v_fma_f64 v[22:23], v[20:21], s[24:25], -v[18:19]
	s_mov_b32 s31, s29
	v_fmac_f64_e32 v[22:23], s[30:31], v[20:21]
	v_fmac_f64_e32 v[22:23], s[24:25], v[16:17]
	v_add_f64 v[16:17], v[18:19], v[22:23]
	v_add_f64 v[18:19], v[16:17], -v[18:19]
	v_add_f64 v[18:19], v[22:23], -v[18:19]
.LBB104_6:                              ;   in Loop: Header=BB104_4 Depth=1
	s_andn2_saveexec_b64 s[0:1], s[66:67]
	s_cbranch_execz .LBB104_8
; %bb.7:                                ;   in Loop: Header=BB104_4 Depth=1
	v_mul_f64 v[16:17], |v[6:7]|, s[34:35]
	v_rndne_f64_e32 v[20:21], v[16:17]
	v_fma_f64 v[16:17], v[20:21], s[26:27], |v[6:7]|
	v_mul_f64 v[22:23], v[20:21], s[36:37]
	v_add_f64 v[26:27], v[16:17], v[22:23]
	v_fma_f64 v[18:19], s[36:37], v[20:21], v[16:17]
	s_mov_b32 s28, s36
	v_add_f64 v[16:17], v[16:17], -v[26:27]
	v_fma_f64 v[24:25], s[28:29], v[20:21], v[22:23]
	v_add_f64 v[16:17], v[16:17], v[22:23]
	v_add_f64 v[22:23], v[26:27], -v[18:19]
	v_add_f64 v[16:17], v[22:23], v[16:17]
	v_add_f64 v[22:23], v[16:17], -v[24:25]
	v_fmac_f64_e32 v[22:23], s[38:39], v[20:21]
	v_add_f64 v[16:17], v[18:19], v[22:23]
	v_add_f64 v[18:19], v[16:17], -v[18:19]
	v_add_f64 v[18:19], v[22:23], -v[18:19]
	v_cvt_i32_f64_e32 v33, v[20:21]
.LBB104_8:                              ;   in Loop: Header=BB104_4 Depth=1
	s_or_b64 exec, exec, s[0:1]
	v_cmp_nlt_f64_e64 s[0:1], |v[8:9]|, s[18:19]
                                        ; implicit-def: $vgpr34
                                        ; implicit-def: $vgpr20_vgpr21
                                        ; implicit-def: $vgpr22_vgpr23
	s_and_saveexec_b64 s[66:67], s[0:1]
	s_xor_b64 s[66:67], exec, s[66:67]
	s_cbranch_execz .LBB104_10
; %bb.9:                                ;   in Loop: Header=BB104_4 Depth=1
	v_and_b32_e32 v11, 0x7fffffff, v9
	v_ldexp_f64 v[24:25], |v[8:9]|, s72
	v_cmp_ge_f64_e64 vcc, |v[8:9]|, s[20:21]
	v_trig_preop_f64 v[20:21], |v[8:9]|, 0
	v_cndmask_b32_e32 v25, v11, v25, vcc
	v_cndmask_b32_e32 v24, v8, v24, vcc
	v_trig_preop_f64 v[22:23], |v[8:9]|, 1
	v_mul_f64 v[28:29], v[20:21], v[24:25]
	v_mul_f64 v[26:27], v[22:23], v[24:25]
	v_fma_f64 v[20:21], v[20:21], v[24:25], -v[28:29]
	v_add_f64 v[30:31], v[26:27], v[20:21]
	v_add_f64 v[34:35], v[28:29], v[30:31]
	v_ldexp_f64 v[36:37], v[34:35], -2
	v_fract_f64_e32 v[38:39], v[36:37]
	v_cmp_neq_f64_e64 vcc, |v[36:37]|, s[22:23]
	v_cndmask_b32_e32 v37, 0, v39, vcc
	v_cndmask_b32_e32 v36, 0, v38, vcc
	v_add_f64 v[38:39], v[30:31], -v[26:27]
	v_add_f64 v[20:21], v[20:21], -v[38:39]
	;; [unrolled: 1-line block ×4, first 2 shown]
	v_fma_f64 v[22:23], v[22:23], v[24:25], -v[26:27]
	v_trig_preop_f64 v[26:27], |v[8:9]|, 2
	v_add_f64 v[20:21], v[20:21], v[38:39]
	v_mul_f64 v[38:39], v[26:27], v[24:25]
	v_add_f64 v[40:41], v[38:39], v[22:23]
	v_add_f64 v[42:43], v[40:41], v[20:21]
	v_add_f64 v[28:29], v[34:35], -v[28:29]
	v_add_f64 v[34:35], v[42:43], -v[40:41]
	;; [unrolled: 1-line block ×5, first 2 shown]
	v_add_f64 v[20:21], v[20:21], v[34:35]
	v_add_f64 v[34:35], v[40:41], -v[38:39]
	v_add_f64 v[22:23], v[22:23], -v[34:35]
	v_add_f64 v[34:35], v[40:41], -v[34:35]
	v_add_f64 v[34:35], v[38:39], -v[34:35]
	v_add_f64 v[22:23], v[22:23], v[34:35]
	v_add_f64 v[28:29], v[30:31], -v[28:29]
	v_add_f64 v[20:21], v[22:23], v[20:21]
	v_fma_f64 v[22:23], v[26:27], v[24:25], -v[38:39]
	v_add_f64 v[30:31], v[28:29], v[42:43]
	v_add_f64 v[20:21], v[22:23], v[20:21]
	v_ldexp_f64 v[22:23], v[36:37], 2
	v_add_f64 v[24:25], v[30:31], v[22:23]
	v_cmp_gt_f64_e32 vcc, 0, v[24:25]
	v_cndmask_b32_e32 v11, 0, v1, vcc
	v_add_f64 v[22:23], v[22:23], v[10:11]
	v_add_f64 v[24:25], v[30:31], v[22:23]
	v_cvt_i32_f64_e32 v11, v[24:25]
	v_cvt_f64_i32_e32 v[24:25], v11
	v_add_f64 v[22:23], v[22:23], -v[24:25]
	v_add_f64 v[28:29], v[30:31], -v[28:29]
	v_add_f64 v[24:25], v[30:31], v[22:23]
	v_add_f64 v[28:29], v[42:43], -v[28:29]
	v_add_f64 v[22:23], v[24:25], -v[22:23]
	v_cmp_le_f64_e32 vcc, 0.5, v[24:25]
	v_add_f64 v[20:21], v[28:29], v[20:21]
	v_add_f64 v[22:23], v[30:31], -v[22:23]
	v_addc_co_u32_e64 v34, s[0:1], 0, v11, vcc
	v_cndmask_b32_e32 v11, 0, v15, vcc
	v_add_f64 v[20:21], v[20:21], v[22:23]
	v_add_f64 v[22:23], v[24:25], -v[10:11]
	v_add_f64 v[24:25], v[22:23], v[20:21]
	v_add_f64 v[22:23], v[24:25], -v[22:23]
	s_mov_b32 s24, s26
	v_add_f64 v[20:21], v[20:21], -v[22:23]
	v_mul_f64 v[22:23], v[24:25], s[24:25]
	v_fma_f64 v[26:27], v[24:25], s[24:25], -v[22:23]
	s_mov_b32 s31, s29
	v_fmac_f64_e32 v[26:27], s[30:31], v[24:25]
	v_fmac_f64_e32 v[26:27], s[24:25], v[20:21]
	v_add_f64 v[20:21], v[22:23], v[26:27]
	v_add_f64 v[22:23], v[20:21], -v[22:23]
	v_add_f64 v[22:23], v[26:27], -v[22:23]
.LBB104_10:                             ;   in Loop: Header=BB104_4 Depth=1
	s_andn2_saveexec_b64 s[0:1], s[66:67]
	s_cbranch_execz .LBB104_12
; %bb.11:                               ;   in Loop: Header=BB104_4 Depth=1
	v_mul_f64 v[20:21], |v[8:9]|, s[34:35]
	v_rndne_f64_e32 v[24:25], v[20:21]
	v_fma_f64 v[20:21], v[24:25], s[26:27], |v[8:9]|
	v_mul_f64 v[26:27], v[24:25], s[36:37]
	v_add_f64 v[30:31], v[20:21], v[26:27]
	v_fma_f64 v[22:23], s[36:37], v[24:25], v[20:21]
	s_mov_b32 s28, s36
	v_add_f64 v[20:21], v[20:21], -v[30:31]
	v_fma_f64 v[28:29], s[28:29], v[24:25], v[26:27]
	v_add_f64 v[20:21], v[20:21], v[26:27]
	v_add_f64 v[26:27], v[30:31], -v[22:23]
	v_add_f64 v[20:21], v[26:27], v[20:21]
	v_add_f64 v[26:27], v[20:21], -v[28:29]
	v_fmac_f64_e32 v[26:27], s[38:39], v[24:25]
	v_add_f64 v[20:21], v[22:23], v[26:27]
	v_add_f64 v[22:23], v[20:21], -v[22:23]
	v_add_f64 v[22:23], v[26:27], -v[22:23]
	v_cvt_i32_f64_e32 v34, v[24:25]
.LBB104_12:                             ;   in Loop: Header=BB104_4 Depth=1
	s_or_b64 exec, exec, s[0:1]
	s_waitcnt vmcnt(0)
	v_cmp_nlt_f64_e64 s[0:1], |v[2:3]|, s[18:19]
                                        ; implicit-def: $vgpr35
                                        ; implicit-def: $vgpr24_vgpr25
                                        ; implicit-def: $vgpr26_vgpr27
	s_and_saveexec_b64 s[66:67], s[0:1]
	s_xor_b64 s[66:67], exec, s[66:67]
	s_cbranch_execz .LBB104_14
; %bb.13:                               ;   in Loop: Header=BB104_4 Depth=1
	v_and_b32_e32 v11, 0x7fffffff, v3
	v_ldexp_f64 v[28:29], |v[2:3]|, s72
	v_cmp_ge_f64_e64 vcc, |v[2:3]|, s[20:21]
	v_trig_preop_f64 v[24:25], |v[2:3]|, 0
	v_cndmask_b32_e32 v29, v11, v29, vcc
	v_cndmask_b32_e32 v28, v2, v28, vcc
	v_trig_preop_f64 v[26:27], |v[2:3]|, 1
	v_mul_f64 v[36:37], v[24:25], v[28:29]
	v_mul_f64 v[30:31], v[26:27], v[28:29]
	v_fma_f64 v[24:25], v[24:25], v[28:29], -v[36:37]
	v_add_f64 v[38:39], v[30:31], v[24:25]
	v_add_f64 v[40:41], v[36:37], v[38:39]
	v_ldexp_f64 v[42:43], v[40:41], -2
	v_fract_f64_e32 v[44:45], v[42:43]
	v_cmp_neq_f64_e64 vcc, |v[42:43]|, s[22:23]
	v_cndmask_b32_e32 v43, 0, v45, vcc
	v_cndmask_b32_e32 v42, 0, v44, vcc
	v_add_f64 v[44:45], v[38:39], -v[30:31]
	v_add_f64 v[24:25], v[24:25], -v[44:45]
	;; [unrolled: 1-line block ×4, first 2 shown]
	v_fma_f64 v[26:27], v[26:27], v[28:29], -v[30:31]
	v_trig_preop_f64 v[30:31], |v[2:3]|, 2
	v_add_f64 v[24:25], v[24:25], v[44:45]
	v_mul_f64 v[44:45], v[30:31], v[28:29]
	v_add_f64 v[46:47], v[44:45], v[26:27]
	v_add_f64 v[48:49], v[46:47], v[24:25]
	v_add_f64 v[36:37], v[40:41], -v[36:37]
	v_add_f64 v[40:41], v[48:49], -v[46:47]
	;; [unrolled: 1-line block ×5, first 2 shown]
	v_add_f64 v[24:25], v[24:25], v[40:41]
	v_add_f64 v[40:41], v[46:47], -v[44:45]
	v_add_f64 v[26:27], v[26:27], -v[40:41]
	;; [unrolled: 1-line block ×4, first 2 shown]
	v_add_f64 v[26:27], v[26:27], v[40:41]
	v_add_f64 v[36:37], v[38:39], -v[36:37]
	v_add_f64 v[24:25], v[26:27], v[24:25]
	v_fma_f64 v[26:27], v[30:31], v[28:29], -v[44:45]
	v_add_f64 v[38:39], v[36:37], v[48:49]
	v_add_f64 v[24:25], v[26:27], v[24:25]
	v_ldexp_f64 v[26:27], v[42:43], 2
	v_add_f64 v[28:29], v[38:39], v[26:27]
	v_cmp_gt_f64_e32 vcc, 0, v[28:29]
	v_cndmask_b32_e32 v11, 0, v1, vcc
	v_add_f64 v[26:27], v[26:27], v[10:11]
	v_add_f64 v[28:29], v[38:39], v[26:27]
	v_cvt_i32_f64_e32 v11, v[28:29]
	v_cvt_f64_i32_e32 v[28:29], v11
	v_add_f64 v[26:27], v[26:27], -v[28:29]
	v_add_f64 v[36:37], v[38:39], -v[36:37]
	v_add_f64 v[28:29], v[38:39], v[26:27]
	v_add_f64 v[36:37], v[48:49], -v[36:37]
	v_add_f64 v[26:27], v[28:29], -v[26:27]
	v_cmp_le_f64_e32 vcc, 0.5, v[28:29]
	v_add_f64 v[24:25], v[36:37], v[24:25]
	v_add_f64 v[26:27], v[38:39], -v[26:27]
	v_addc_co_u32_e64 v35, s[0:1], 0, v11, vcc
	v_cndmask_b32_e32 v11, 0, v15, vcc
	v_add_f64 v[24:25], v[24:25], v[26:27]
	v_add_f64 v[26:27], v[28:29], -v[10:11]
	v_add_f64 v[28:29], v[26:27], v[24:25]
	v_add_f64 v[26:27], v[28:29], -v[26:27]
	s_mov_b32 s24, s26
	v_add_f64 v[24:25], v[24:25], -v[26:27]
	v_mul_f64 v[26:27], v[28:29], s[24:25]
	v_fma_f64 v[30:31], v[28:29], s[24:25], -v[26:27]
	s_mov_b32 s31, s29
	v_fmac_f64_e32 v[30:31], s[30:31], v[28:29]
	v_fmac_f64_e32 v[30:31], s[24:25], v[24:25]
	v_add_f64 v[24:25], v[26:27], v[30:31]
	v_add_f64 v[26:27], v[24:25], -v[26:27]
	v_add_f64 v[26:27], v[30:31], -v[26:27]
.LBB104_14:                             ;   in Loop: Header=BB104_4 Depth=1
	s_andn2_saveexec_b64 s[0:1], s[66:67]
	s_cbranch_execz .LBB104_16
; %bb.15:                               ;   in Loop: Header=BB104_4 Depth=1
	v_mul_f64 v[24:25], |v[2:3]|, s[34:35]
	v_rndne_f64_e32 v[28:29], v[24:25]
	v_fma_f64 v[24:25], v[28:29], s[26:27], |v[2:3]|
	v_mul_f64 v[30:31], v[28:29], s[36:37]
	v_add_f64 v[38:39], v[24:25], v[30:31]
	v_fma_f64 v[26:27], s[36:37], v[28:29], v[24:25]
	s_mov_b32 s28, s36
	v_add_f64 v[24:25], v[24:25], -v[38:39]
	v_fma_f64 v[36:37], s[28:29], v[28:29], v[30:31]
	v_add_f64 v[24:25], v[24:25], v[30:31]
	v_add_f64 v[30:31], v[38:39], -v[26:27]
	v_add_f64 v[24:25], v[30:31], v[24:25]
	v_add_f64 v[30:31], v[24:25], -v[36:37]
	v_fmac_f64_e32 v[30:31], s[38:39], v[28:29]
	v_add_f64 v[24:25], v[26:27], v[30:31]
	v_add_f64 v[26:27], v[24:25], -v[26:27]
	v_add_f64 v[26:27], v[30:31], -v[26:27]
	v_cvt_i32_f64_e32 v35, v[28:29]
.LBB104_16:                             ;   in Loop: Header=BB104_4 Depth=1
	s_or_b64 exec, exec, s[0:1]
	v_cmp_nlt_f64_e64 s[0:1], |v[4:5]|, s[18:19]
                                        ; implicit-def: $vgpr36
                                        ; implicit-def: $vgpr28_vgpr29
                                        ; implicit-def: $vgpr30_vgpr31
	s_and_saveexec_b64 s[66:67], s[0:1]
	s_xor_b64 s[66:67], exec, s[66:67]
	s_cbranch_execz .LBB104_18
; %bb.17:                               ;   in Loop: Header=BB104_4 Depth=1
	v_and_b32_e32 v11, 0x7fffffff, v5
	v_ldexp_f64 v[36:37], |v[4:5]|, s72
	v_cmp_ge_f64_e64 vcc, |v[4:5]|, s[20:21]
	v_trig_preop_f64 v[28:29], |v[4:5]|, 0
	v_cndmask_b32_e32 v37, v11, v37, vcc
	v_cndmask_b32_e32 v36, v4, v36, vcc
	v_trig_preop_f64 v[30:31], |v[4:5]|, 1
	v_mul_f64 v[40:41], v[28:29], v[36:37]
	v_mul_f64 v[38:39], v[30:31], v[36:37]
	v_fma_f64 v[28:29], v[28:29], v[36:37], -v[40:41]
	v_add_f64 v[42:43], v[38:39], v[28:29]
	v_add_f64 v[44:45], v[40:41], v[42:43]
	v_ldexp_f64 v[46:47], v[44:45], -2
	v_fract_f64_e32 v[48:49], v[46:47]
	v_cmp_neq_f64_e64 vcc, |v[46:47]|, s[22:23]
	v_cndmask_b32_e32 v47, 0, v49, vcc
	v_cndmask_b32_e32 v46, 0, v48, vcc
	v_add_f64 v[48:49], v[42:43], -v[38:39]
	v_add_f64 v[28:29], v[28:29], -v[48:49]
	;; [unrolled: 1-line block ×4, first 2 shown]
	v_fma_f64 v[30:31], v[30:31], v[36:37], -v[38:39]
	v_trig_preop_f64 v[38:39], |v[4:5]|, 2
	v_add_f64 v[28:29], v[28:29], v[48:49]
	v_mul_f64 v[48:49], v[38:39], v[36:37]
	v_add_f64 v[50:51], v[48:49], v[30:31]
	v_add_f64 v[52:53], v[50:51], v[28:29]
	v_add_f64 v[40:41], v[44:45], -v[40:41]
	v_add_f64 v[44:45], v[52:53], -v[50:51]
	;; [unrolled: 1-line block ×5, first 2 shown]
	v_add_f64 v[28:29], v[28:29], v[44:45]
	v_add_f64 v[44:45], v[50:51], -v[48:49]
	v_add_f64 v[30:31], v[30:31], -v[44:45]
	;; [unrolled: 1-line block ×4, first 2 shown]
	v_add_f64 v[30:31], v[30:31], v[44:45]
	v_add_f64 v[40:41], v[42:43], -v[40:41]
	v_add_f64 v[28:29], v[30:31], v[28:29]
	v_fma_f64 v[30:31], v[38:39], v[36:37], -v[48:49]
	v_add_f64 v[42:43], v[40:41], v[52:53]
	v_add_f64 v[28:29], v[30:31], v[28:29]
	v_ldexp_f64 v[30:31], v[46:47], 2
	v_add_f64 v[36:37], v[42:43], v[30:31]
	v_cmp_gt_f64_e32 vcc, 0, v[36:37]
	v_cndmask_b32_e32 v11, 0, v1, vcc
	v_add_f64 v[30:31], v[30:31], v[10:11]
	v_add_f64 v[36:37], v[42:43], v[30:31]
	v_cvt_i32_f64_e32 v11, v[36:37]
	v_cvt_f64_i32_e32 v[36:37], v11
	v_add_f64 v[30:31], v[30:31], -v[36:37]
	v_add_f64 v[40:41], v[42:43], -v[40:41]
	v_add_f64 v[38:39], v[42:43], v[30:31]
	v_add_f64 v[40:41], v[52:53], -v[40:41]
	v_add_f64 v[30:31], v[38:39], -v[30:31]
	v_cmp_le_f64_e32 vcc, 0.5, v[38:39]
	v_add_f64 v[28:29], v[40:41], v[28:29]
	v_add_f64 v[30:31], v[42:43], -v[30:31]
	v_addc_co_u32_e64 v36, s[0:1], 0, v11, vcc
	v_cndmask_b32_e32 v11, 0, v15, vcc
	v_add_f64 v[28:29], v[28:29], v[30:31]
	v_add_f64 v[30:31], v[38:39], -v[10:11]
	v_add_f64 v[38:39], v[30:31], v[28:29]
	v_add_f64 v[30:31], v[38:39], -v[30:31]
	s_mov_b32 s24, s26
	v_add_f64 v[28:29], v[28:29], -v[30:31]
	v_mul_f64 v[30:31], v[38:39], s[24:25]
	v_fma_f64 v[40:41], v[38:39], s[24:25], -v[30:31]
	s_mov_b32 s31, s29
	v_fmac_f64_e32 v[40:41], s[30:31], v[38:39]
	v_fmac_f64_e32 v[40:41], s[24:25], v[28:29]
	v_add_f64 v[28:29], v[30:31], v[40:41]
	v_add_f64 v[30:31], v[28:29], -v[30:31]
	v_add_f64 v[30:31], v[40:41], -v[30:31]
.LBB104_18:                             ;   in Loop: Header=BB104_4 Depth=1
	s_andn2_saveexec_b64 s[0:1], s[66:67]
	s_cbranch_execz .LBB104_3
; %bb.19:                               ;   in Loop: Header=BB104_4 Depth=1
	v_mul_f64 v[28:29], |v[4:5]|, s[34:35]
	v_rndne_f64_e32 v[36:37], v[28:29]
	v_fma_f64 v[28:29], v[36:37], s[26:27], |v[4:5]|
	v_mul_f64 v[38:39], v[36:37], s[36:37]
	v_add_f64 v[42:43], v[28:29], v[38:39]
	v_fma_f64 v[30:31], s[36:37], v[36:37], v[28:29]
	s_mov_b32 s28, s36
	v_add_f64 v[28:29], v[28:29], -v[42:43]
	v_fma_f64 v[40:41], s[28:29], v[36:37], v[38:39]
	v_add_f64 v[28:29], v[28:29], v[38:39]
	v_add_f64 v[38:39], v[42:43], -v[30:31]
	v_add_f64 v[28:29], v[38:39], v[28:29]
	v_add_f64 v[38:39], v[28:29], -v[40:41]
	v_fmac_f64_e32 v[38:39], s[38:39], v[36:37]
	v_add_f64 v[28:29], v[30:31], v[38:39]
	v_add_f64 v[30:31], v[28:29], -v[30:31]
	v_add_f64 v[30:31], v[38:39], -v[30:31]
	v_cvt_i32_f64_e32 v36, v[36:37]
	s_branch .LBB104_3
.LBB104_20:
	s_or_b64 exec, exec, s[14:15]
	s_mov_b64 s[0:1], 0
.LBB104_21:
	s_andn2_b64 vcc, exec, s[0:1]
	s_cbranch_vccnz .LBB104_57
; %bb.22:
	v_cmp_lt_i64_e64 s[0:1], s[12:13], 1
	s_and_b64 vcc, exec, s[0:1]
	s_cbranch_vccnz .LBB104_57
; %bb.23:
	s_load_dword s0, s[4:5], 0xc5c
	v_mov_b32_e32 v4, 0x10000
	v_mov_b32_e32 v5, 0
	v_cmp_lt_u64_e32 vcc, s[12:13], v[4:5]
	v_lshlrev_b32_e32 v12, 3, v0
	s_waitcnt lgkmcnt(0)
	s_and_b32 s4, s0, 0xffff
	s_and_b64 s[0:1], vcc, exec
	v_mov_b32_e32 v3, s7
	v_add_co_u32_e32 v4, vcc, s6, v12
	v_mov_b32_e32 v2, 0
	v_addc_co_u32_e32 v1, vcc, 0, v3, vcc
	v_mov_b32_e32 v13, v2
	v_mov_b32_e32 v17, s3
	v_add_co_u32_e32 v6, vcc, s2, v12
	v_addc_co_u32_e32 v5, vcc, 0, v17, vcc
	v_mad_u64_u32 v[10:11], s[0:1], s4, 24, v[12:13]
	v_add_co_u32_e32 v8, vcc, s6, v10
	v_addc_co_u32_e32 v7, vcc, v3, v11, vcc
	v_add_co_u32_e32 v10, vcc, s2, v10
	s_mul_i32 s8, s4, 3
	v_addc_co_u32_e32 v9, vcc, v17, v11, vcc
	v_add_co_u32_e32 v19, vcc, s8, v0
	v_addc_co_u32_e64 v62, s[0:1], 0, 0, vcc
	s_cselect_b32 s15, s13, 0
	s_cselect_b32 s14, s12, 0x10000
	s_lshl_b32 s0, s4, 4
	v_add_co_u32_e32 v13, vcc, s0, v12
	v_addc_co_u32_e64 v15, s[0:1], 0, 0, vcc
	v_add_co_u32_e32 v12, vcc, s6, v13
	v_addc_co_u32_e32 v11, vcc, v3, v15, vcc
	v_add_co_u32_e32 v14, vcc, s2, v13
	s_lshl_b32 s5, s4, 1
	v_addc_co_u32_e32 v13, vcc, v17, v15, vcc
	v_add_co_u32_e32 v63, vcc, s5, v0
	v_addc_co_u32_e64 v64, s[0:1], 0, 0, vcc
	v_add_co_u32_e32 v65, vcc, s4, v0
	v_lshlrev_b32_e32 v18, 3, v65
	v_addc_co_u32_e64 v66, s[0:1], 0, 0, vcc
	v_add_co_u32_e32 v16, vcc, s6, v18
	v_addc_co_u32_e32 v15, vcc, 0, v3, vcc
	v_add_co_u32_e32 v18, vcc, s2, v18
	s_mov_b32 s18, 0
	s_mov_b32 s20, 0
	;; [unrolled: 1-line block ×11, first 2 shown]
	s_lshl_b32 s48, s4, 2
	s_lshl_b32 s49, s4, 5
	v_addc_co_u32_e32 v17, vcc, 0, v17, vcc
	s_mov_b64 s[16:17], 0
	s_mov_b32 s19, 0x41d00000
	s_mov_b32 s21, 0x7b000000
	s_movk_i32 s50, 0xff80
	s_mov_b32 s23, 0x7ff00000
	s_mov_b32 s25, 0x3ff921fb
	;; [unrolled: 1-line block ×11, first 2 shown]
	s_movk_i32 s51, 0x1f8
	v_mov_b32_e32 v20, 0x9037ab78
	v_mov_b32_e32 v21, 0x3e21eeb6
	;; [unrolled: 1-line block ×21, first 2 shown]
	s_branch .LBB104_25
.LBB104_24:                             ;   in Loop: Header=BB104_25 Depth=1
	s_or_b64 exec, exec, s[0:1]
	s_add_u32 s16, s16, s48
	s_addc_u32 s17, s17, 0
	v_pk_mov_b32 v[38:39], s[12:13], s[12:13] op_sel:[0,1]
	v_cmp_ge_i64_e32 vcc, s[16:17], v[38:39]
	v_mov_b32_e32 v38, 0xffff
	v_mov_b32_e32 v39, 0
	v_cmp_gt_u64_e64 s[0:1], s[16:17], v[38:39]
	s_or_b64 s[0:1], vcc, s[0:1]
	v_mov_b32_e32 v3, s33
	v_add_co_u32_e32 v4, vcc, s49, v4
	v_addc_co_u32_e32 v1, vcc, v1, v3, vcc
	v_add_co_u32_e32 v6, vcc, s49, v6
	v_addc_co_u32_e32 v5, vcc, v5, v3, vcc
	;; [unrolled: 2-line block ×8, first 2 shown]
	s_and_b64 vcc, exec, s[0:1]
	s_cbranch_vccnz .LBB104_57
.LBB104_25:                             ; =>This Inner Loop Header: Depth=1
	v_mov_b32_e32 v3, s17
	v_add_co_u32_e32 v38, vcc, s16, v0
	v_addc_co_u32_e32 v39, vcc, 0, v3, vcc
	v_cmp_gt_u64_e64 s[4:5], s[14:15], v[38:39]
	v_mov_b32_e32 v44, 0
	v_mov_b32_e32 v45, 0
	s_and_saveexec_b64 s[0:1], s[4:5]
	s_cbranch_execz .LBB104_27
; %bb.26:                               ;   in Loop: Header=BB104_25 Depth=1
	v_mov_b32_e32 v3, s11
	v_add_co_u32_e32 v38, vcc, s10, v4
	v_addc_co_u32_e32 v39, vcc, v1, v3, vcc
	global_load_dwordx2 v[44:45], v[38:39], off
.LBB104_27:                             ;   in Loop: Header=BB104_25 Depth=1
	s_or_b64 exec, exec, s[0:1]
	v_mov_b32_e32 v3, s17
	v_add_co_u32_e32 v38, vcc, s16, v65
	v_addc_co_u32_e32 v39, vcc, v66, v3, vcc
	v_cmp_gt_u64_e64 s[2:3], s[14:15], v[38:39]
	v_mov_b32_e32 v40, 0
	v_mov_b32_e32 v42, 0
	;; [unrolled: 1-line block ×3, first 2 shown]
	s_and_saveexec_b64 s[0:1], s[2:3]
	s_cbranch_execz .LBB104_29
; %bb.28:                               ;   in Loop: Header=BB104_25 Depth=1
	v_mov_b32_e32 v3, s11
	v_add_co_u32_e32 v38, vcc, s10, v16
	v_addc_co_u32_e32 v39, vcc, v15, v3, vcc
	global_load_dwordx2 v[42:43], v[38:39], off
.LBB104_29:                             ;   in Loop: Header=BB104_25 Depth=1
	s_or_b64 exec, exec, s[0:1]
	v_mov_b32_e32 v3, s17
	v_add_co_u32_e32 v38, vcc, s16, v63
	v_addc_co_u32_e32 v39, vcc, v64, v3, vcc
	v_cmp_gt_u64_e64 s[0:1], s[14:15], v[38:39]
	v_mov_b32_e32 v41, 0
	s_and_saveexec_b64 s[6:7], s[0:1]
	s_cbranch_execz .LBB104_31
; %bb.30:                               ;   in Loop: Header=BB104_25 Depth=1
	v_mov_b32_e32 v3, s11
	v_add_co_u32_e32 v38, vcc, s10, v12
	v_addc_co_u32_e32 v39, vcc, v11, v3, vcc
	global_load_dwordx2 v[40:41], v[38:39], off
.LBB104_31:                             ;   in Loop: Header=BB104_25 Depth=1
	s_or_b64 exec, exec, s[6:7]
	v_mov_b32_e32 v3, s17
	v_add_co_u32_e32 v38, vcc, s16, v19
	v_addc_co_u32_e32 v39, vcc, v62, v3, vcc
	v_cmp_gt_u64_e32 vcc, s[14:15], v[38:39]
	v_pk_mov_b32 v[38:39], 0, 0
	s_and_saveexec_b64 s[8:9], vcc
	s_cbranch_execz .LBB104_33
; %bb.32:                               ;   in Loop: Header=BB104_25 Depth=1
	v_mov_b32_e32 v3, s11
	v_add_co_u32_e64 v38, s[6:7], s10, v8
	v_addc_co_u32_e64 v39, s[6:7], v7, v3, s[6:7]
	global_load_dwordx2 v[38:39], v[38:39], off
.LBB104_33:                             ;   in Loop: Header=BB104_25 Depth=1
	s_or_b64 exec, exec, s[8:9]
	s_waitcnt vmcnt(0)
	v_cmp_nlt_f64_e64 s[6:7], |v[44:45]|, s[18:19]
                                        ; implicit-def: $vgpr70
                                        ; implicit-def: $vgpr46_vgpr47
                                        ; implicit-def: $vgpr48_vgpr49
	s_and_saveexec_b64 s[8:9], s[6:7]
	s_xor_b64 s[46:47], exec, s[8:9]
	s_cbranch_execz .LBB104_35
; %bb.34:                               ;   in Loop: Header=BB104_25 Depth=1
	v_and_b32_e32 v3, 0x7fffffff, v45
	v_ldexp_f64 v[50:51], |v[44:45]|, s50
	v_cmp_ge_f64_e64 s[6:7], |v[44:45]|, s[20:21]
	v_trig_preop_f64 v[46:47], |v[44:45]|, 0
	v_cndmask_b32_e64 v51, v3, v51, s[6:7]
	v_cndmask_b32_e64 v50, v44, v50, s[6:7]
	v_trig_preop_f64 v[48:49], |v[44:45]|, 1
	v_mul_f64 v[54:55], v[46:47], v[50:51]
	v_mul_f64 v[52:53], v[48:49], v[50:51]
	v_fma_f64 v[46:47], v[46:47], v[50:51], -v[54:55]
	v_add_f64 v[56:57], v[52:53], v[46:47]
	v_add_f64 v[58:59], v[54:55], v[56:57]
	v_ldexp_f64 v[60:61], v[58:59], -2
	v_fract_f64_e32 v[70:71], v[60:61]
	v_cmp_neq_f64_e64 s[6:7], |v[60:61]|, s[22:23]
	v_cndmask_b32_e64 v61, 0, v71, s[6:7]
	v_cndmask_b32_e64 v60, 0, v70, s[6:7]
	v_add_f64 v[70:71], v[56:57], -v[52:53]
	v_add_f64 v[46:47], v[46:47], -v[70:71]
	;; [unrolled: 1-line block ×4, first 2 shown]
	v_fma_f64 v[48:49], v[48:49], v[50:51], -v[52:53]
	v_trig_preop_f64 v[52:53], |v[44:45]|, 2
	v_add_f64 v[46:47], v[46:47], v[70:71]
	v_mul_f64 v[70:71], v[52:53], v[50:51]
	v_add_f64 v[72:73], v[70:71], v[48:49]
	v_add_f64 v[74:75], v[72:73], v[46:47]
	v_add_f64 v[54:55], v[58:59], -v[54:55]
	v_add_f64 v[58:59], v[74:75], -v[72:73]
	;; [unrolled: 1-line block ×5, first 2 shown]
	v_add_f64 v[46:47], v[46:47], v[58:59]
	v_add_f64 v[58:59], v[72:73], -v[70:71]
	v_add_f64 v[48:49], v[48:49], -v[58:59]
	;; [unrolled: 1-line block ×4, first 2 shown]
	v_add_f64 v[48:49], v[48:49], v[58:59]
	v_add_f64 v[54:55], v[56:57], -v[54:55]
	v_add_f64 v[46:47], v[48:49], v[46:47]
	v_fma_f64 v[48:49], v[52:53], v[50:51], -v[70:71]
	v_add_f64 v[56:57], v[54:55], v[74:75]
	v_add_f64 v[46:47], v[48:49], v[46:47]
	v_ldexp_f64 v[48:49], v[60:61], 2
	v_add_f64 v[50:51], v[56:57], v[48:49]
	v_cmp_gt_f64_e64 s[6:7], 0, v[50:51]
	v_cndmask_b32_e64 v3, 0, v67, s[6:7]
	v_add_f64 v[48:49], v[48:49], v[2:3]
	v_add_f64 v[50:51], v[56:57], v[48:49]
	v_cvt_i32_f64_e32 v3, v[50:51]
	v_cvt_f64_i32_e32 v[50:51], v3
	v_add_f64 v[48:49], v[48:49], -v[50:51]
	v_add_f64 v[54:55], v[56:57], -v[54:55]
	v_add_f64 v[50:51], v[56:57], v[48:49]
	v_add_f64 v[54:55], v[74:75], -v[54:55]
	v_add_f64 v[48:49], v[50:51], -v[48:49]
	v_cmp_le_f64_e64 s[6:7], 0.5, v[50:51]
	v_add_f64 v[46:47], v[54:55], v[46:47]
	v_add_f64 v[48:49], v[56:57], -v[48:49]
	v_addc_co_u32_e64 v70, s[8:9], 0, v3, s[6:7]
	v_cndmask_b32_e64 v3, 0, v68, s[6:7]
	v_add_f64 v[46:47], v[46:47], v[48:49]
	v_add_f64 v[48:49], v[50:51], -v[2:3]
	v_add_f64 v[50:51], v[48:49], v[46:47]
	v_add_f64 v[48:49], v[50:51], -v[48:49]
	s_mov_b32 s24, s26
	v_add_f64 v[46:47], v[46:47], -v[48:49]
	v_mul_f64 v[48:49], v[50:51], s[24:25]
	v_fma_f64 v[52:53], v[50:51], s[24:25], -v[48:49]
	s_mov_b32 s31, s29
	v_fmac_f64_e32 v[52:53], s[30:31], v[50:51]
	v_fmac_f64_e32 v[52:53], s[24:25], v[46:47]
	v_add_f64 v[46:47], v[48:49], v[52:53]
	v_add_f64 v[48:49], v[46:47], -v[48:49]
	v_add_f64 v[48:49], v[52:53], -v[48:49]
.LBB104_35:                             ;   in Loop: Header=BB104_25 Depth=1
	s_andn2_saveexec_b64 s[6:7], s[46:47]
	s_cbranch_execz .LBB104_37
; %bb.36:                               ;   in Loop: Header=BB104_25 Depth=1
	v_mul_f64 v[46:47], |v[44:45]|, s[34:35]
	v_rndne_f64_e32 v[50:51], v[46:47]
	v_fma_f64 v[46:47], v[50:51], s[26:27], |v[44:45]|
	v_mul_f64 v[52:53], v[50:51], s[36:37]
	v_add_f64 v[56:57], v[46:47], v[52:53]
	v_fma_f64 v[48:49], s[36:37], v[50:51], v[46:47]
	s_mov_b32 s28, s36
	v_add_f64 v[46:47], v[46:47], -v[56:57]
	v_fma_f64 v[54:55], s[28:29], v[50:51], v[52:53]
	v_add_f64 v[46:47], v[46:47], v[52:53]
	v_add_f64 v[52:53], v[56:57], -v[48:49]
	v_add_f64 v[46:47], v[52:53], v[46:47]
	v_add_f64 v[52:53], v[46:47], -v[54:55]
	v_fmac_f64_e32 v[52:53], s[38:39], v[50:51]
	v_add_f64 v[46:47], v[48:49], v[52:53]
	v_add_f64 v[48:49], v[46:47], -v[48:49]
	v_add_f64 v[48:49], v[52:53], -v[48:49]
	v_cvt_i32_f64_e32 v70, v[50:51]
.LBB104_37:                             ;   in Loop: Header=BB104_25 Depth=1
	s_or_b64 exec, exec, s[6:7]
	v_cmp_nlt_f64_e64 s[6:7], |v[42:43]|, s[18:19]
                                        ; implicit-def: $vgpr71
                                        ; implicit-def: $vgpr50_vgpr51
                                        ; implicit-def: $vgpr52_vgpr53
	s_and_saveexec_b64 s[8:9], s[6:7]
	s_xor_b64 s[46:47], exec, s[8:9]
	s_cbranch_execz .LBB104_39
; %bb.38:                               ;   in Loop: Header=BB104_25 Depth=1
	v_and_b32_e32 v3, 0x7fffffff, v43
	v_ldexp_f64 v[54:55], |v[42:43]|, s50
	v_cmp_ge_f64_e64 s[6:7], |v[42:43]|, s[20:21]
	v_trig_preop_f64 v[50:51], |v[42:43]|, 0
	v_cndmask_b32_e64 v55, v3, v55, s[6:7]
	v_cndmask_b32_e64 v54, v42, v54, s[6:7]
	v_trig_preop_f64 v[52:53], |v[42:43]|, 1
	v_mul_f64 v[58:59], v[50:51], v[54:55]
	v_mul_f64 v[56:57], v[52:53], v[54:55]
	v_fma_f64 v[50:51], v[50:51], v[54:55], -v[58:59]
	v_add_f64 v[60:61], v[56:57], v[50:51]
	v_add_f64 v[72:73], v[58:59], v[60:61]
	v_ldexp_f64 v[74:75], v[72:73], -2
	v_fract_f64_e32 v[76:77], v[74:75]
	v_cmp_neq_f64_e64 s[6:7], |v[74:75]|, s[22:23]
	v_cndmask_b32_e64 v75, 0, v77, s[6:7]
	v_cndmask_b32_e64 v74, 0, v76, s[6:7]
	v_add_f64 v[76:77], v[60:61], -v[56:57]
	v_add_f64 v[50:51], v[50:51], -v[76:77]
	v_add_f64 v[76:77], v[60:61], -v[76:77]
	v_add_f64 v[76:77], v[56:57], -v[76:77]
	v_fma_f64 v[52:53], v[52:53], v[54:55], -v[56:57]
	v_trig_preop_f64 v[56:57], |v[42:43]|, 2
	v_add_f64 v[50:51], v[50:51], v[76:77]
	v_mul_f64 v[76:77], v[56:57], v[54:55]
	v_add_f64 v[78:79], v[76:77], v[52:53]
	v_add_f64 v[80:81], v[78:79], v[50:51]
	v_add_f64 v[58:59], v[72:73], -v[58:59]
	v_add_f64 v[72:73], v[80:81], -v[78:79]
	;; [unrolled: 1-line block ×5, first 2 shown]
	v_add_f64 v[50:51], v[50:51], v[72:73]
	v_add_f64 v[72:73], v[78:79], -v[76:77]
	v_add_f64 v[52:53], v[52:53], -v[72:73]
	;; [unrolled: 1-line block ×4, first 2 shown]
	v_add_f64 v[52:53], v[52:53], v[72:73]
	v_add_f64 v[58:59], v[60:61], -v[58:59]
	v_add_f64 v[50:51], v[52:53], v[50:51]
	v_fma_f64 v[52:53], v[56:57], v[54:55], -v[76:77]
	v_add_f64 v[60:61], v[58:59], v[80:81]
	v_add_f64 v[50:51], v[52:53], v[50:51]
	v_ldexp_f64 v[52:53], v[74:75], 2
	v_add_f64 v[54:55], v[60:61], v[52:53]
	v_cmp_gt_f64_e64 s[6:7], 0, v[54:55]
	v_cndmask_b32_e64 v3, 0, v67, s[6:7]
	v_add_f64 v[52:53], v[52:53], v[2:3]
	v_add_f64 v[54:55], v[60:61], v[52:53]
	v_cvt_i32_f64_e32 v3, v[54:55]
	v_cvt_f64_i32_e32 v[54:55], v3
	v_add_f64 v[52:53], v[52:53], -v[54:55]
	v_add_f64 v[58:59], v[60:61], -v[58:59]
	v_add_f64 v[54:55], v[60:61], v[52:53]
	v_add_f64 v[58:59], v[80:81], -v[58:59]
	v_add_f64 v[52:53], v[54:55], -v[52:53]
	v_cmp_le_f64_e64 s[6:7], 0.5, v[54:55]
	v_add_f64 v[50:51], v[58:59], v[50:51]
	v_add_f64 v[52:53], v[60:61], -v[52:53]
	v_addc_co_u32_e64 v71, s[8:9], 0, v3, s[6:7]
	v_cndmask_b32_e64 v3, 0, v68, s[6:7]
	v_add_f64 v[50:51], v[50:51], v[52:53]
	v_add_f64 v[52:53], v[54:55], -v[2:3]
	v_add_f64 v[54:55], v[52:53], v[50:51]
	v_add_f64 v[52:53], v[54:55], -v[52:53]
	s_mov_b32 s24, s26
	v_add_f64 v[50:51], v[50:51], -v[52:53]
	v_mul_f64 v[52:53], v[54:55], s[24:25]
	v_fma_f64 v[56:57], v[54:55], s[24:25], -v[52:53]
	s_mov_b32 s31, s29
	v_fmac_f64_e32 v[56:57], s[30:31], v[54:55]
	v_fmac_f64_e32 v[56:57], s[24:25], v[50:51]
	v_add_f64 v[50:51], v[52:53], v[56:57]
	v_add_f64 v[52:53], v[50:51], -v[52:53]
	v_add_f64 v[52:53], v[56:57], -v[52:53]
.LBB104_39:                             ;   in Loop: Header=BB104_25 Depth=1
	s_andn2_saveexec_b64 s[6:7], s[46:47]
	s_cbranch_execz .LBB104_41
; %bb.40:                               ;   in Loop: Header=BB104_25 Depth=1
	v_mul_f64 v[50:51], |v[42:43]|, s[34:35]
	v_rndne_f64_e32 v[54:55], v[50:51]
	v_fma_f64 v[50:51], v[54:55], s[26:27], |v[42:43]|
	v_mul_f64 v[56:57], v[54:55], s[36:37]
	v_add_f64 v[60:61], v[50:51], v[56:57]
	v_fma_f64 v[52:53], s[36:37], v[54:55], v[50:51]
	s_mov_b32 s28, s36
	v_add_f64 v[50:51], v[50:51], -v[60:61]
	v_fma_f64 v[58:59], s[28:29], v[54:55], v[56:57]
	v_add_f64 v[50:51], v[50:51], v[56:57]
	v_add_f64 v[56:57], v[60:61], -v[52:53]
	v_add_f64 v[50:51], v[56:57], v[50:51]
	v_add_f64 v[56:57], v[50:51], -v[58:59]
	v_fmac_f64_e32 v[56:57], s[38:39], v[54:55]
	v_add_f64 v[50:51], v[52:53], v[56:57]
	v_add_f64 v[52:53], v[50:51], -v[52:53]
	v_add_f64 v[52:53], v[56:57], -v[52:53]
	v_cvt_i32_f64_e32 v71, v[54:55]
.LBB104_41:                             ;   in Loop: Header=BB104_25 Depth=1
	s_or_b64 exec, exec, s[6:7]
	v_cmp_nlt_f64_e64 s[6:7], |v[40:41]|, s[18:19]
                                        ; implicit-def: $vgpr72
                                        ; implicit-def: $vgpr54_vgpr55
                                        ; implicit-def: $vgpr56_vgpr57
	s_and_saveexec_b64 s[8:9], s[6:7]
	s_xor_b64 s[46:47], exec, s[8:9]
	s_cbranch_execz .LBB104_43
; %bb.42:                               ;   in Loop: Header=BB104_25 Depth=1
	v_and_b32_e32 v3, 0x7fffffff, v41
	v_ldexp_f64 v[58:59], |v[40:41]|, s50
	v_cmp_ge_f64_e64 s[6:7], |v[40:41]|, s[20:21]
	v_trig_preop_f64 v[54:55], |v[40:41]|, 0
	v_cndmask_b32_e64 v59, v3, v59, s[6:7]
	v_cndmask_b32_e64 v58, v40, v58, s[6:7]
	v_trig_preop_f64 v[56:57], |v[40:41]|, 1
	v_mul_f64 v[72:73], v[54:55], v[58:59]
	v_mul_f64 v[60:61], v[56:57], v[58:59]
	v_fma_f64 v[54:55], v[54:55], v[58:59], -v[72:73]
	v_add_f64 v[74:75], v[60:61], v[54:55]
	v_add_f64 v[76:77], v[72:73], v[74:75]
	v_ldexp_f64 v[78:79], v[76:77], -2
	v_fract_f64_e32 v[80:81], v[78:79]
	v_cmp_neq_f64_e64 s[6:7], |v[78:79]|, s[22:23]
	v_cndmask_b32_e64 v79, 0, v81, s[6:7]
	v_cndmask_b32_e64 v78, 0, v80, s[6:7]
	v_add_f64 v[80:81], v[74:75], -v[60:61]
	v_add_f64 v[54:55], v[54:55], -v[80:81]
	;; [unrolled: 1-line block ×4, first 2 shown]
	v_fma_f64 v[56:57], v[56:57], v[58:59], -v[60:61]
	v_trig_preop_f64 v[60:61], |v[40:41]|, 2
	v_add_f64 v[54:55], v[54:55], v[80:81]
	v_mul_f64 v[80:81], v[60:61], v[58:59]
	v_add_f64 v[82:83], v[80:81], v[56:57]
	v_add_f64 v[84:85], v[82:83], v[54:55]
	v_add_f64 v[72:73], v[76:77], -v[72:73]
	v_add_f64 v[76:77], v[84:85], -v[82:83]
	;; [unrolled: 1-line block ×5, first 2 shown]
	v_add_f64 v[54:55], v[54:55], v[76:77]
	v_add_f64 v[76:77], v[82:83], -v[80:81]
	v_add_f64 v[56:57], v[56:57], -v[76:77]
	;; [unrolled: 1-line block ×4, first 2 shown]
	v_add_f64 v[56:57], v[56:57], v[76:77]
	v_add_f64 v[72:73], v[74:75], -v[72:73]
	v_add_f64 v[54:55], v[56:57], v[54:55]
	v_fma_f64 v[56:57], v[60:61], v[58:59], -v[80:81]
	v_add_f64 v[74:75], v[72:73], v[84:85]
	v_add_f64 v[54:55], v[56:57], v[54:55]
	v_ldexp_f64 v[56:57], v[78:79], 2
	v_add_f64 v[58:59], v[74:75], v[56:57]
	v_cmp_gt_f64_e64 s[6:7], 0, v[58:59]
	v_cndmask_b32_e64 v3, 0, v67, s[6:7]
	v_add_f64 v[56:57], v[56:57], v[2:3]
	v_add_f64 v[58:59], v[74:75], v[56:57]
	v_cvt_i32_f64_e32 v3, v[58:59]
	v_cvt_f64_i32_e32 v[58:59], v3
	v_add_f64 v[56:57], v[56:57], -v[58:59]
	v_add_f64 v[72:73], v[74:75], -v[72:73]
	v_add_f64 v[58:59], v[74:75], v[56:57]
	v_add_f64 v[72:73], v[84:85], -v[72:73]
	v_add_f64 v[56:57], v[58:59], -v[56:57]
	v_cmp_le_f64_e64 s[6:7], 0.5, v[58:59]
	v_add_f64 v[54:55], v[72:73], v[54:55]
	v_add_f64 v[56:57], v[74:75], -v[56:57]
	v_addc_co_u32_e64 v72, s[8:9], 0, v3, s[6:7]
	v_cndmask_b32_e64 v3, 0, v68, s[6:7]
	v_add_f64 v[54:55], v[54:55], v[56:57]
	v_add_f64 v[56:57], v[58:59], -v[2:3]
	v_add_f64 v[58:59], v[56:57], v[54:55]
	v_add_f64 v[56:57], v[58:59], -v[56:57]
	s_mov_b32 s24, s26
	v_add_f64 v[54:55], v[54:55], -v[56:57]
	v_mul_f64 v[56:57], v[58:59], s[24:25]
	v_fma_f64 v[60:61], v[58:59], s[24:25], -v[56:57]
	s_mov_b32 s31, s29
	v_fmac_f64_e32 v[60:61], s[30:31], v[58:59]
	v_fmac_f64_e32 v[60:61], s[24:25], v[54:55]
	v_add_f64 v[54:55], v[56:57], v[60:61]
	v_add_f64 v[56:57], v[54:55], -v[56:57]
	v_add_f64 v[56:57], v[60:61], -v[56:57]
.LBB104_43:                             ;   in Loop: Header=BB104_25 Depth=1
	s_andn2_saveexec_b64 s[6:7], s[46:47]
	s_cbranch_execz .LBB104_45
; %bb.44:                               ;   in Loop: Header=BB104_25 Depth=1
	v_mul_f64 v[54:55], |v[40:41]|, s[34:35]
	v_rndne_f64_e32 v[58:59], v[54:55]
	v_fma_f64 v[54:55], v[58:59], s[26:27], |v[40:41]|
	v_mul_f64 v[60:61], v[58:59], s[36:37]
	v_add_f64 v[74:75], v[54:55], v[60:61]
	v_fma_f64 v[56:57], s[36:37], v[58:59], v[54:55]
	s_mov_b32 s28, s36
	v_add_f64 v[54:55], v[54:55], -v[74:75]
	v_fma_f64 v[72:73], s[28:29], v[58:59], v[60:61]
	v_add_f64 v[54:55], v[54:55], v[60:61]
	v_add_f64 v[60:61], v[74:75], -v[56:57]
	v_add_f64 v[54:55], v[60:61], v[54:55]
	v_add_f64 v[60:61], v[54:55], -v[72:73]
	v_fmac_f64_e32 v[60:61], s[38:39], v[58:59]
	v_add_f64 v[54:55], v[56:57], v[60:61]
	v_add_f64 v[56:57], v[54:55], -v[56:57]
	v_add_f64 v[56:57], v[60:61], -v[56:57]
	v_cvt_i32_f64_e32 v72, v[58:59]
.LBB104_45:                             ;   in Loop: Header=BB104_25 Depth=1
	s_or_b64 exec, exec, s[6:7]
	v_cmp_nlt_f64_e64 s[6:7], |v[38:39]|, s[18:19]
                                        ; implicit-def: $vgpr73
                                        ; implicit-def: $vgpr58_vgpr59
                                        ; implicit-def: $vgpr60_vgpr61
	s_and_saveexec_b64 s[8:9], s[6:7]
	s_xor_b64 s[46:47], exec, s[8:9]
	s_cbranch_execnz .LBB104_51
; %bb.46:                               ;   in Loop: Header=BB104_25 Depth=1
	s_andn2_saveexec_b64 s[6:7], s[46:47]
	s_cbranch_execnz .LBB104_52
.LBB104_47:                             ;   in Loop: Header=BB104_25 Depth=1
	s_or_b64 exec, exec, s[6:7]
	s_and_saveexec_b64 s[6:7], s[4:5]
	s_xor_b64 s[6:7], exec, s[6:7]
	s_cbranch_execnz .LBB104_53
.LBB104_48:                             ;   in Loop: Header=BB104_25 Depth=1
	s_or_b64 exec, exec, s[6:7]
	s_and_saveexec_b64 s[4:5], s[2:3]
	s_cbranch_execnz .LBB104_54
.LBB104_49:                             ;   in Loop: Header=BB104_25 Depth=1
	s_or_b64 exec, exec, s[4:5]
	s_and_saveexec_b64 s[2:3], s[0:1]
	s_cbranch_execnz .LBB104_55
.LBB104_50:                             ;   in Loop: Header=BB104_25 Depth=1
	s_or_b64 exec, exec, s[2:3]
	s_and_saveexec_b64 s[0:1], vcc
	s_cbranch_execz .LBB104_24
	s_branch .LBB104_56
.LBB104_51:                             ;   in Loop: Header=BB104_25 Depth=1
	v_and_b32_e32 v3, 0x7fffffff, v39
	v_ldexp_f64 v[74:75], |v[38:39]|, s50
	v_cmp_ge_f64_e64 s[6:7], |v[38:39]|, s[20:21]
	v_trig_preop_f64 v[58:59], |v[38:39]|, 0
	v_cndmask_b32_e64 v75, v3, v75, s[6:7]
	v_cndmask_b32_e64 v74, v38, v74, s[6:7]
	v_trig_preop_f64 v[60:61], |v[38:39]|, 1
	v_mul_f64 v[78:79], v[58:59], v[74:75]
	v_mul_f64 v[76:77], v[60:61], v[74:75]
	v_fma_f64 v[58:59], v[58:59], v[74:75], -v[78:79]
	v_add_f64 v[80:81], v[76:77], v[58:59]
	v_add_f64 v[82:83], v[78:79], v[80:81]
	v_ldexp_f64 v[84:85], v[82:83], -2
	v_fract_f64_e32 v[86:87], v[84:85]
	v_cmp_neq_f64_e64 s[6:7], |v[84:85]|, s[22:23]
	v_cndmask_b32_e64 v85, 0, v87, s[6:7]
	v_cndmask_b32_e64 v84, 0, v86, s[6:7]
	v_add_f64 v[86:87], v[80:81], -v[76:77]
	v_add_f64 v[58:59], v[58:59], -v[86:87]
	;; [unrolled: 1-line block ×4, first 2 shown]
	v_fma_f64 v[60:61], v[60:61], v[74:75], -v[76:77]
	v_trig_preop_f64 v[76:77], |v[38:39]|, 2
	v_add_f64 v[58:59], v[58:59], v[86:87]
	v_mul_f64 v[86:87], v[76:77], v[74:75]
	v_add_f64 v[88:89], v[86:87], v[60:61]
	v_add_f64 v[90:91], v[88:89], v[58:59]
	v_add_f64 v[78:79], v[82:83], -v[78:79]
	v_add_f64 v[82:83], v[90:91], -v[88:89]
	;; [unrolled: 1-line block ×5, first 2 shown]
	v_add_f64 v[58:59], v[58:59], v[82:83]
	v_add_f64 v[82:83], v[88:89], -v[86:87]
	v_add_f64 v[60:61], v[60:61], -v[82:83]
	v_add_f64 v[82:83], v[88:89], -v[82:83]
	v_add_f64 v[82:83], v[86:87], -v[82:83]
	v_add_f64 v[60:61], v[60:61], v[82:83]
	v_add_f64 v[78:79], v[80:81], -v[78:79]
	v_add_f64 v[58:59], v[60:61], v[58:59]
	v_fma_f64 v[60:61], v[76:77], v[74:75], -v[86:87]
	v_add_f64 v[80:81], v[78:79], v[90:91]
	v_add_f64 v[58:59], v[60:61], v[58:59]
	v_ldexp_f64 v[60:61], v[84:85], 2
	v_add_f64 v[74:75], v[80:81], v[60:61]
	v_cmp_gt_f64_e64 s[6:7], 0, v[74:75]
	v_cndmask_b32_e64 v3, 0, v67, s[6:7]
	v_add_f64 v[60:61], v[60:61], v[2:3]
	v_add_f64 v[74:75], v[80:81], v[60:61]
	v_cvt_i32_f64_e32 v3, v[74:75]
	v_cvt_f64_i32_e32 v[74:75], v3
	v_add_f64 v[60:61], v[60:61], -v[74:75]
	v_add_f64 v[78:79], v[80:81], -v[78:79]
	v_add_f64 v[74:75], v[80:81], v[60:61]
	v_add_f64 v[78:79], v[90:91], -v[78:79]
	v_add_f64 v[60:61], v[74:75], -v[60:61]
	v_cmp_le_f64_e64 s[6:7], 0.5, v[74:75]
	v_add_f64 v[58:59], v[78:79], v[58:59]
	v_add_f64 v[60:61], v[80:81], -v[60:61]
	v_addc_co_u32_e64 v73, s[8:9], 0, v3, s[6:7]
	v_cndmask_b32_e64 v3, 0, v68, s[6:7]
	v_add_f64 v[58:59], v[58:59], v[60:61]
	v_add_f64 v[60:61], v[74:75], -v[2:3]
	v_add_f64 v[74:75], v[60:61], v[58:59]
	v_add_f64 v[60:61], v[74:75], -v[60:61]
	s_mov_b32 s24, s26
	v_add_f64 v[58:59], v[58:59], -v[60:61]
	v_mul_f64 v[60:61], v[74:75], s[24:25]
	v_fma_f64 v[76:77], v[74:75], s[24:25], -v[60:61]
	s_mov_b32 s31, s29
	v_fmac_f64_e32 v[76:77], s[30:31], v[74:75]
	v_fmac_f64_e32 v[76:77], s[24:25], v[58:59]
	v_add_f64 v[58:59], v[60:61], v[76:77]
	v_add_f64 v[60:61], v[58:59], -v[60:61]
	v_add_f64 v[60:61], v[76:77], -v[60:61]
	s_andn2_saveexec_b64 s[6:7], s[46:47]
	s_cbranch_execz .LBB104_47
.LBB104_52:                             ;   in Loop: Header=BB104_25 Depth=1
	v_mul_f64 v[58:59], |v[38:39]|, s[34:35]
	v_rndne_f64_e32 v[74:75], v[58:59]
	v_fma_f64 v[58:59], v[74:75], s[26:27], |v[38:39]|
	v_mul_f64 v[76:77], v[74:75], s[36:37]
	v_add_f64 v[80:81], v[58:59], v[76:77]
	v_fma_f64 v[60:61], s[36:37], v[74:75], v[58:59]
	s_mov_b32 s28, s36
	v_add_f64 v[58:59], v[58:59], -v[80:81]
	v_fma_f64 v[78:79], s[28:29], v[74:75], v[76:77]
	v_add_f64 v[58:59], v[58:59], v[76:77]
	v_add_f64 v[76:77], v[80:81], -v[60:61]
	v_add_f64 v[58:59], v[76:77], v[58:59]
	v_add_f64 v[76:77], v[58:59], -v[78:79]
	v_fmac_f64_e32 v[76:77], s[38:39], v[74:75]
	v_add_f64 v[58:59], v[60:61], v[76:77]
	v_add_f64 v[60:61], v[58:59], -v[60:61]
	v_add_f64 v[60:61], v[76:77], -v[60:61]
	v_cvt_i32_f64_e32 v73, v[74:75]
	s_or_b64 exec, exec, s[6:7]
	s_and_saveexec_b64 s[6:7], s[4:5]
	s_xor_b64 s[6:7], exec, s[6:7]
	s_cbranch_execz .LBB104_48
.LBB104_53:                             ;   in Loop: Header=BB104_25 Depth=1
	v_mul_f64 v[74:75], v[46:47], v[46:47]
	v_pk_mov_b32 v[82:83], v[20:21], v[20:21] op_sel:[0,1]
	v_mul_f64 v[76:77], v[74:75], 0.5
	v_fmac_f64_e32 v[82:83], s[40:41], v[74:75]
	v_pk_mov_b32 v[84:85], v[22:23], v[22:23] op_sel:[0,1]
	v_add_f64 v[78:79], -v[76:77], 1.0
	v_fmac_f64_e32 v[84:85], v[74:75], v[82:83]
	v_pk_mov_b32 v[82:83], v[24:25], v[24:25] op_sel:[0,1]
	v_add_f64 v[80:81], -v[78:79], 1.0
	v_fmac_f64_e32 v[82:83], v[74:75], v[84:85]
	v_pk_mov_b32 v[84:85], v[26:27], v[26:27] op_sel:[0,1]
	v_add_f64 v[76:77], v[80:81], -v[76:77]
	v_fmac_f64_e32 v[84:85], v[74:75], v[82:83]
	v_pk_mov_b32 v[82:83], v[28:29], v[28:29] op_sel:[0,1]
	v_mul_f64 v[80:81], v[74:75], v[74:75]
	v_fmac_f64_e32 v[82:83], v[74:75], v[84:85]
	v_fma_f64 v[76:77], v[46:47], -v[48:49], v[76:77]
	v_fmac_f64_e32 v[76:77], v[80:81], v[82:83]
	v_add_f64 v[76:77], v[78:79], v[76:77]
	v_pk_mov_b32 v[78:79], v[30:31], v[30:31] op_sel:[0,1]
	v_fmac_f64_e32 v[78:79], s[44:45], v[74:75]
	v_pk_mov_b32 v[80:81], v[32:33], v[32:33] op_sel:[0,1]
	v_fmac_f64_e32 v[80:81], v[74:75], v[78:79]
	;; [unrolled: 2-line block ×4, first 2 shown]
	v_mul_f64 v[78:79], v[46:47], -v[74:75]
	v_mul_f64 v[82:83], v[48:49], 0.5
	v_fmac_f64_e32 v[82:83], v[78:79], v[80:81]
	v_fma_f64 v[48:49], v[74:75], v[82:83], -v[48:49]
	v_fmac_f64_e32 v[48:49], s[42:43], v[78:79]
	v_and_b32_e32 v3, 1, v70
	v_add_f64 v[46:47], v[46:47], -v[48:49]
	v_cmp_eq_u32_e64 s[4:5], 0, v3
	v_cndmask_b32_e64 v3, v76, v46, s[4:5]
	v_cndmask_b32_e64 v46, v77, v47, s[4:5]
	v_lshlrev_b32_e32 v47, 30, v70
	v_xor_b32_e32 v47, v47, v45
	v_and_b32_e32 v47, 0x80000000, v47
	v_xor_b32_e32 v46, v46, v47
	v_cmp_class_f64_e64 s[4:5], v[44:45], s51
	v_cndmask_b32_e64 v44, 0, v3, s[4:5]
	v_cndmask_b32_e64 v45, v69, v46, s[4:5]
	v_mov_b32_e32 v3, s11
	v_add_co_u32_e64 v46, s[4:5], s10, v6
	v_addc_co_u32_e64 v47, s[4:5], v5, v3, s[4:5]
	global_store_dwordx2 v[46:47], v[44:45], off
	s_or_b64 exec, exec, s[6:7]
	s_and_saveexec_b64 s[4:5], s[2:3]
	s_cbranch_execz .LBB104_49
.LBB104_54:                             ;   in Loop: Header=BB104_25 Depth=1
	v_mul_f64 v[44:45], v[50:51], v[50:51]
	v_pk_mov_b32 v[76:77], v[20:21], v[20:21] op_sel:[0,1]
	v_mul_f64 v[46:47], v[44:45], 0.5
	v_fmac_f64_e32 v[76:77], s[40:41], v[44:45]
	v_pk_mov_b32 v[78:79], v[22:23], v[22:23] op_sel:[0,1]
	v_add_f64 v[48:49], -v[46:47], 1.0
	v_fmac_f64_e32 v[78:79], v[44:45], v[76:77]
	v_pk_mov_b32 v[76:77], v[24:25], v[24:25] op_sel:[0,1]
	v_add_f64 v[74:75], -v[48:49], 1.0
	v_fmac_f64_e32 v[76:77], v[44:45], v[78:79]
	v_pk_mov_b32 v[78:79], v[26:27], v[26:27] op_sel:[0,1]
	v_add_f64 v[46:47], v[74:75], -v[46:47]
	v_fmac_f64_e32 v[78:79], v[44:45], v[76:77]
	v_pk_mov_b32 v[76:77], v[28:29], v[28:29] op_sel:[0,1]
	v_mul_f64 v[74:75], v[44:45], v[44:45]
	v_fmac_f64_e32 v[76:77], v[44:45], v[78:79]
	v_fma_f64 v[46:47], v[50:51], -v[52:53], v[46:47]
	v_fmac_f64_e32 v[46:47], v[74:75], v[76:77]
	v_add_f64 v[46:47], v[48:49], v[46:47]
	v_pk_mov_b32 v[48:49], v[30:31], v[30:31] op_sel:[0,1]
	v_fmac_f64_e32 v[48:49], s[44:45], v[44:45]
	v_pk_mov_b32 v[74:75], v[32:33], v[32:33] op_sel:[0,1]
	v_fmac_f64_e32 v[74:75], v[44:45], v[48:49]
	;; [unrolled: 2-line block ×4, first 2 shown]
	v_mul_f64 v[48:49], v[50:51], -v[44:45]
	v_mul_f64 v[76:77], v[52:53], 0.5
	v_fmac_f64_e32 v[76:77], v[48:49], v[74:75]
	v_fma_f64 v[44:45], v[44:45], v[76:77], -v[52:53]
	v_fmac_f64_e32 v[44:45], s[42:43], v[48:49]
	v_and_b32_e32 v3, 1, v71
	v_add_f64 v[44:45], v[50:51], -v[44:45]
	v_cmp_eq_u32_e64 s[2:3], 0, v3
	v_cndmask_b32_e64 v3, v46, v44, s[2:3]
	v_cndmask_b32_e64 v44, v47, v45, s[2:3]
	v_lshlrev_b32_e32 v45, 30, v71
	v_xor_b32_e32 v45, v45, v43
	v_and_b32_e32 v45, 0x80000000, v45
	v_xor_b32_e32 v44, v44, v45
	v_cmp_class_f64_e64 s[2:3], v[42:43], s51
	v_cndmask_b32_e64 v42, 0, v3, s[2:3]
	v_cndmask_b32_e64 v43, v69, v44, s[2:3]
	v_mov_b32_e32 v3, s11
	v_add_co_u32_e64 v44, s[2:3], s10, v18
	v_addc_co_u32_e64 v45, s[2:3], v17, v3, s[2:3]
	global_store_dwordx2 v[44:45], v[42:43], off
	s_or_b64 exec, exec, s[4:5]
	s_and_saveexec_b64 s[2:3], s[0:1]
	s_cbranch_execz .LBB104_50
.LBB104_55:                             ;   in Loop: Header=BB104_25 Depth=1
	v_mul_f64 v[42:43], v[54:55], v[54:55]
	v_pk_mov_b32 v[50:51], v[20:21], v[20:21] op_sel:[0,1]
	v_mul_f64 v[44:45], v[42:43], 0.5
	v_fmac_f64_e32 v[50:51], s[40:41], v[42:43]
	v_pk_mov_b32 v[52:53], v[22:23], v[22:23] op_sel:[0,1]
	v_add_f64 v[46:47], -v[44:45], 1.0
	v_fmac_f64_e32 v[52:53], v[42:43], v[50:51]
	v_pk_mov_b32 v[50:51], v[24:25], v[24:25] op_sel:[0,1]
	v_add_f64 v[48:49], -v[46:47], 1.0
	v_fmac_f64_e32 v[50:51], v[42:43], v[52:53]
	v_pk_mov_b32 v[52:53], v[26:27], v[26:27] op_sel:[0,1]
	v_add_f64 v[44:45], v[48:49], -v[44:45]
	v_fmac_f64_e32 v[52:53], v[42:43], v[50:51]
	v_pk_mov_b32 v[50:51], v[28:29], v[28:29] op_sel:[0,1]
	v_mul_f64 v[48:49], v[42:43], v[42:43]
	v_fmac_f64_e32 v[50:51], v[42:43], v[52:53]
	v_fma_f64 v[44:45], v[54:55], -v[56:57], v[44:45]
	v_fmac_f64_e32 v[44:45], v[48:49], v[50:51]
	v_add_f64 v[44:45], v[46:47], v[44:45]
	v_pk_mov_b32 v[46:47], v[30:31], v[30:31] op_sel:[0,1]
	v_fmac_f64_e32 v[46:47], s[44:45], v[42:43]
	v_pk_mov_b32 v[48:49], v[32:33], v[32:33] op_sel:[0,1]
	v_fmac_f64_e32 v[48:49], v[42:43], v[46:47]
	v_pk_mov_b32 v[46:47], v[34:35], v[34:35] op_sel:[0,1]
	v_fmac_f64_e32 v[46:47], v[42:43], v[48:49]
	v_pk_mov_b32 v[48:49], v[36:37], v[36:37] op_sel:[0,1]
	v_fmac_f64_e32 v[48:49], v[42:43], v[46:47]
	v_mul_f64 v[46:47], v[54:55], -v[42:43]
	v_mul_f64 v[50:51], v[56:57], 0.5
	v_fmac_f64_e32 v[50:51], v[46:47], v[48:49]
	v_fma_f64 v[42:43], v[42:43], v[50:51], -v[56:57]
	v_fmac_f64_e32 v[42:43], s[42:43], v[46:47]
	v_and_b32_e32 v3, 1, v72
	v_add_f64 v[42:43], v[54:55], -v[42:43]
	v_cmp_eq_u32_e64 s[0:1], 0, v3
	v_cndmask_b32_e64 v3, v44, v42, s[0:1]
	v_cndmask_b32_e64 v42, v45, v43, s[0:1]
	v_lshlrev_b32_e32 v43, 30, v72
	v_xor_b32_e32 v43, v43, v41
	v_and_b32_e32 v43, 0x80000000, v43
	v_xor_b32_e32 v42, v42, v43
	v_cmp_class_f64_e64 s[0:1], v[40:41], s51
	v_cndmask_b32_e64 v40, 0, v3, s[0:1]
	v_cndmask_b32_e64 v41, v69, v42, s[0:1]
	v_mov_b32_e32 v3, s11
	v_add_co_u32_e64 v42, s[0:1], s10, v14
	v_addc_co_u32_e64 v43, s[0:1], v13, v3, s[0:1]
	global_store_dwordx2 v[42:43], v[40:41], off
	s_or_b64 exec, exec, s[2:3]
	s_and_saveexec_b64 s[0:1], vcc
	s_cbranch_execz .LBB104_24
.LBB104_56:                             ;   in Loop: Header=BB104_25 Depth=1
	v_mul_f64 v[40:41], v[58:59], v[58:59]
	v_pk_mov_b32 v[48:49], v[20:21], v[20:21] op_sel:[0,1]
	v_mul_f64 v[42:43], v[40:41], 0.5
	v_fmac_f64_e32 v[48:49], s[40:41], v[40:41]
	v_pk_mov_b32 v[50:51], v[22:23], v[22:23] op_sel:[0,1]
	v_add_f64 v[44:45], -v[42:43], 1.0
	v_fmac_f64_e32 v[50:51], v[40:41], v[48:49]
	v_pk_mov_b32 v[48:49], v[24:25], v[24:25] op_sel:[0,1]
	v_add_f64 v[46:47], -v[44:45], 1.0
	v_fmac_f64_e32 v[48:49], v[40:41], v[50:51]
	v_pk_mov_b32 v[50:51], v[26:27], v[26:27] op_sel:[0,1]
	v_add_f64 v[42:43], v[46:47], -v[42:43]
	v_fmac_f64_e32 v[50:51], v[40:41], v[48:49]
	v_pk_mov_b32 v[48:49], v[28:29], v[28:29] op_sel:[0,1]
	v_mul_f64 v[46:47], v[40:41], v[40:41]
	v_fmac_f64_e32 v[48:49], v[40:41], v[50:51]
	v_fma_f64 v[42:43], v[58:59], -v[60:61], v[42:43]
	v_fmac_f64_e32 v[42:43], v[46:47], v[48:49]
	v_add_f64 v[42:43], v[44:45], v[42:43]
	v_pk_mov_b32 v[44:45], v[30:31], v[30:31] op_sel:[0,1]
	v_fmac_f64_e32 v[44:45], s[44:45], v[40:41]
	v_pk_mov_b32 v[46:47], v[32:33], v[32:33] op_sel:[0,1]
	v_fmac_f64_e32 v[46:47], v[40:41], v[44:45]
	;; [unrolled: 2-line block ×4, first 2 shown]
	v_mul_f64 v[44:45], v[58:59], -v[40:41]
	v_mul_f64 v[48:49], v[60:61], 0.5
	v_fmac_f64_e32 v[48:49], v[44:45], v[46:47]
	v_fma_f64 v[40:41], v[40:41], v[48:49], -v[60:61]
	v_fmac_f64_e32 v[40:41], s[42:43], v[44:45]
	v_and_b32_e32 v3, 1, v73
	v_add_f64 v[40:41], v[58:59], -v[40:41]
	v_cmp_eq_u32_e32 vcc, 0, v3
	v_cndmask_b32_e32 v3, v42, v40, vcc
	v_cndmask_b32_e32 v40, v43, v41, vcc
	v_lshlrev_b32_e32 v41, 30, v73
	v_xor_b32_e32 v41, v41, v39
	v_and_b32_e32 v41, 0x80000000, v41
	v_xor_b32_e32 v40, v40, v41
	v_cmp_class_f64_e64 vcc, v[38:39], s51
	v_cndmask_b32_e32 v38, 0, v3, vcc
	v_cndmask_b32_e32 v39, v69, v40, vcc
	v_mov_b32_e32 v3, s11
	v_add_co_u32_e32 v40, vcc, s10, v10
	v_addc_co_u32_e32 v41, vcc, v9, v3, vcc
	global_store_dwordx2 v[40:41], v[38:39], off
	s_branch .LBB104_24
.LBB104_57:
	s_endpgm
	.section	.rodata,"a",@progbits
	.p2align	6, 0x0
	.amdhsa_kernel _ZN2at6native12_GLOBAL__N_125multi_tensor_apply_kernelINS1_18TensorListMetadataILi2EEENS1_14UnaryOpFunctorIdLi2ELi1ELi1EEEJNS0_3SinIdEEEEEvT_T0_DpT1_
		.amdhsa_group_segment_fixed_size 0
		.amdhsa_private_segment_fixed_size 0
		.amdhsa_kernarg_size 3408
		.amdhsa_user_sgpr_count 6
		.amdhsa_user_sgpr_private_segment_buffer 1
		.amdhsa_user_sgpr_dispatch_ptr 0
		.amdhsa_user_sgpr_queue_ptr 0
		.amdhsa_user_sgpr_kernarg_segment_ptr 1
		.amdhsa_user_sgpr_dispatch_id 0
		.amdhsa_user_sgpr_flat_scratch_init 0
		.amdhsa_user_sgpr_kernarg_preload_length 0
		.amdhsa_user_sgpr_kernarg_preload_offset 0
		.amdhsa_user_sgpr_private_segment_size 0
		.amdhsa_uses_dynamic_stack 0
		.amdhsa_system_sgpr_private_segment_wavefront_offset 0
		.amdhsa_system_sgpr_workgroup_id_x 1
		.amdhsa_system_sgpr_workgroup_id_y 0
		.amdhsa_system_sgpr_workgroup_id_z 0
		.amdhsa_system_sgpr_workgroup_info 0
		.amdhsa_system_vgpr_workitem_id 0
		.amdhsa_next_free_vgpr 92
		.amdhsa_next_free_sgpr 74
		.amdhsa_accum_offset 92
		.amdhsa_reserve_vcc 1
		.amdhsa_reserve_flat_scratch 0
		.amdhsa_float_round_mode_32 0
		.amdhsa_float_round_mode_16_64 0
		.amdhsa_float_denorm_mode_32 3
		.amdhsa_float_denorm_mode_16_64 3
		.amdhsa_dx10_clamp 1
		.amdhsa_ieee_mode 1
		.amdhsa_fp16_overflow 0
		.amdhsa_tg_split 0
		.amdhsa_exception_fp_ieee_invalid_op 0
		.amdhsa_exception_fp_denorm_src 0
		.amdhsa_exception_fp_ieee_div_zero 0
		.amdhsa_exception_fp_ieee_overflow 0
		.amdhsa_exception_fp_ieee_underflow 0
		.amdhsa_exception_fp_ieee_inexact 0
		.amdhsa_exception_int_div_zero 0
	.end_amdhsa_kernel
	.section	.text._ZN2at6native12_GLOBAL__N_125multi_tensor_apply_kernelINS1_18TensorListMetadataILi2EEENS1_14UnaryOpFunctorIdLi2ELi1ELi1EEEJNS0_3SinIdEEEEEvT_T0_DpT1_,"axG",@progbits,_ZN2at6native12_GLOBAL__N_125multi_tensor_apply_kernelINS1_18TensorListMetadataILi2EEENS1_14UnaryOpFunctorIdLi2ELi1ELi1EEEJNS0_3SinIdEEEEEvT_T0_DpT1_,comdat
.Lfunc_end104:
	.size	_ZN2at6native12_GLOBAL__N_125multi_tensor_apply_kernelINS1_18TensorListMetadataILi2EEENS1_14UnaryOpFunctorIdLi2ELi1ELi1EEEJNS0_3SinIdEEEEEvT_T0_DpT1_, .Lfunc_end104-_ZN2at6native12_GLOBAL__N_125multi_tensor_apply_kernelINS1_18TensorListMetadataILi2EEENS1_14UnaryOpFunctorIdLi2ELi1ELi1EEEJNS0_3SinIdEEEEEvT_T0_DpT1_
                                        ; -- End function
	.section	.AMDGPU.csdata,"",@progbits
; Kernel info:
; codeLenInByte = 9740
; NumSgprs: 78
; NumVgprs: 92
; NumAgprs: 0
; TotalNumVgprs: 92
; ScratchSize: 0
; MemoryBound: 0
; FloatMode: 240
; IeeeMode: 1
; LDSByteSize: 0 bytes/workgroup (compile time only)
; SGPRBlocks: 9
; VGPRBlocks: 11
; NumSGPRsForWavesPerEU: 78
; NumVGPRsForWavesPerEU: 92
; AccumOffset: 92
; Occupancy: 5
; WaveLimiterHint : 0
; COMPUTE_PGM_RSRC2:SCRATCH_EN: 0
; COMPUTE_PGM_RSRC2:USER_SGPR: 6
; COMPUTE_PGM_RSRC2:TRAP_HANDLER: 0
; COMPUTE_PGM_RSRC2:TGID_X_EN: 1
; COMPUTE_PGM_RSRC2:TGID_Y_EN: 0
; COMPUTE_PGM_RSRC2:TGID_Z_EN: 0
; COMPUTE_PGM_RSRC2:TIDIG_COMP_CNT: 0
; COMPUTE_PGM_RSRC3_GFX90A:ACCUM_OFFSET: 22
; COMPUTE_PGM_RSRC3_GFX90A:TG_SPLIT: 0
	.section	.text._ZN2at6native12_GLOBAL__N_125multi_tensor_apply_kernelINS1_18TensorListMetadataILi2EEENS1_14UnaryOpFunctorIfLi2ELi1ELi1EEEJNS0_3SinIfEEEEEvT_T0_DpT1_,"axG",@progbits,_ZN2at6native12_GLOBAL__N_125multi_tensor_apply_kernelINS1_18TensorListMetadataILi2EEENS1_14UnaryOpFunctorIfLi2ELi1ELi1EEEJNS0_3SinIfEEEEEvT_T0_DpT1_,comdat
	.globl	_ZN2at6native12_GLOBAL__N_125multi_tensor_apply_kernelINS1_18TensorListMetadataILi2EEENS1_14UnaryOpFunctorIfLi2ELi1ELi1EEEJNS0_3SinIfEEEEEvT_T0_DpT1_ ; -- Begin function _ZN2at6native12_GLOBAL__N_125multi_tensor_apply_kernelINS1_18TensorListMetadataILi2EEENS1_14UnaryOpFunctorIfLi2ELi1ELi1EEEJNS0_3SinIfEEEEEvT_T0_DpT1_
	.p2align	8
	.type	_ZN2at6native12_GLOBAL__N_125multi_tensor_apply_kernelINS1_18TensorListMetadataILi2EEENS1_14UnaryOpFunctorIfLi2ELi1ELi1EEEJNS0_3SinIfEEEEEvT_T0_DpT1_,@function
_ZN2at6native12_GLOBAL__N_125multi_tensor_apply_kernelINS1_18TensorListMetadataILi2EEENS1_14UnaryOpFunctorIfLi2ELi1ELi1EEEJNS0_3SinIfEEEEEvT_T0_DpT1_: ; @_ZN2at6native12_GLOBAL__N_125multi_tensor_apply_kernelINS1_18TensorListMetadataILi2EEENS1_14UnaryOpFunctorIfLi2ELi1ELi1EEEJNS0_3SinIfEEEEEvT_T0_DpT1_
; %bb.0:
	v_mov_b32_e32 v1, s6
	global_load_ubyte v1, v1, s[4:5] offset:1536
	s_add_u32 s0, s4, s6
	s_mul_hi_u32 s2, s6, 3
	s_mul_i32 s6, s6, 3
	s_addc_u32 s7, s5, 0
	s_add_u32 s6, s0, s6
	s_addc_u32 s7, s7, s2
	s_load_dword s6, s[6:7], 0x740
	s_mov_b32 s13, 0
	s_mov_b32 s3, s13
	;; [unrolled: 1-line block ×3, first 2 shown]
	s_waitcnt lgkmcnt(0)
	s_ashr_i32 s7, s6, 31
	s_lshl_b64 s[14:15], s[6:7], 18
	s_waitcnt vmcnt(0)
	v_readfirstlane_b32 s0, v1
	s_lshl_b32 s0, s0, 3
	s_load_dwordx2 s[10:11], s[4:5], s0 offset:0x0
	s_load_dwordx2 s[16:17], s[4:5], s0 offset:0x400
	;; [unrolled: 1-line block ×3, first 2 shown]
	s_waitcnt lgkmcnt(0)
	s_add_u32 s26, s10, s14
	s_addc_u32 s27, s11, s15
	s_and_b32 s12, s26, 15
	s_add_u32 s28, s8, s14
	s_addc_u32 s29, s9, s15
	s_and_b32 s2, s16, 3
	s_and_b32 s0, s28, 15
	s_or_b64 s[2:3], s[12:13], s[2:3]
	s_or_b64 s[0:1], s[0:1], s[2:3]
	s_lshl_b64 s[2:3], s[6:7], 16
	s_sub_u32 s16, s16, s2
	s_subb_u32 s17, s17, s3
	s_cmp_eq_u64 s[0:1], 0
	s_mov_b64 s[0:1], -1
	s_cbranch_scc0 .LBB105_21
; %bb.1:
	v_mov_b32_e32 v7, 0
	v_lshlrev_b32_e32 v6, 2, v0
	v_cmp_gt_i64_e32 vcc, s[16:17], v[6:7]
	s_and_saveexec_b64 s[18:19], vcc
	s_cbranch_execz .LBB105_20
; %bb.2:
	s_load_dword s0, s[4:5], 0xc5c
	v_lshlrev_b32_e32 v8, 4, v0
	s_mov_b64 s[20:21], 0
	s_brev_b32 s31, 18
	s_mov_b32 s33, 0xfe5163ab
	s_waitcnt lgkmcnt(0)
	s_and_b32 s0, s0, 0xffff
	v_add_lshl_u32 v6, v0, s0, 2
	s_lshl_b32 s12, s0, 2
	s_lshl_b32 s30, s0, 4
	s_mov_b32 s34, 0x3c439041
	s_mov_b32 s35, 0xdb629599
	;; [unrolled: 1-line block ×9, first 2 shown]
	v_mov_b32_e32 v1, 0xbe2aaa9d
	v_mov_b32_e32 v9, 0x3d2aabf7
	;; [unrolled: 1-line block ×3, first 2 shown]
	s_movk_i32 s43, 0x1f8
	s_mov_b64 s[22:23], 0xffff
	v_not_b32_e32 v13, 63
	v_not_b32_e32 v14, 31
	v_mov_b32_e32 v15, 0x7fc00000
	v_pk_mov_b32 v[10:11], v[6:7], v[6:7] op_sel:[0,1]
	s_branch .LBB105_4
.LBB105_3:                              ;   in Loop: Header=BB105_4 Depth=1
	s_or_b64 exec, exec, s[0:1]
	v_mul_f32_e32 v27, v25, v25
	v_mov_b32_e32 v28, 0x3c0881c4
	v_fmac_f32_e32 v28, 0xb94c1982, v27
	v_fma_f32 v28, v27, v28, v1
	v_mul_f32_e32 v28, v27, v28
	v_fmac_f32_e32 v25, v25, v28
	v_mov_b32_e32 v28, 0xbab64f3b
	v_fmac_f32_e32 v28, 0x37d75334, v27
	v_fma_f32 v28, v27, v28, v9
	v_fma_f32 v28, v27, v28, v12
	v_fma_f32 v27, v27, v28, 1.0
	v_and_b32_e32 v28, 1, v24
	v_lshlrev_b32_e32 v24, 30, v24
	v_cmp_eq_u32_e32 vcc, 0, v28
	v_and_b32_e32 v24, 0x80000000, v24
	v_xor_b32_e32 v22, v22, v4
	v_cndmask_b32_e32 v25, v27, v25, vcc
	v_xor_b32_e32 v22, v22, v24
	v_xor_b32_e32 v22, v22, v25
	v_cmp_class_f32_e64 vcc, v4, s43
	v_cndmask_b32_e32 v4, v15, v22, vcc
	v_mul_f32_e32 v22, v21, v21
	v_mov_b32_e32 v24, 0x3c0881c4
	v_fmac_f32_e32 v24, 0xb94c1982, v22
	v_fma_f32 v24, v22, v24, v1
	v_mul_f32_e32 v24, v22, v24
	v_fmac_f32_e32 v21, v21, v24
	v_mov_b32_e32 v24, 0xbab64f3b
	v_fmac_f32_e32 v24, 0x37d75334, v22
	v_fma_f32 v24, v22, v24, v9
	v_fma_f32 v24, v22, v24, v12
	v_fma_f32 v22, v22, v24, 1.0
	v_and_b32_e32 v24, 1, v20
	v_lshlrev_b32_e32 v20, 30, v20
	v_cmp_eq_u32_e32 vcc, 0, v24
	v_and_b32_e32 v20, 0x80000000, v20
	v_xor_b32_e32 v19, v19, v3
	v_cndmask_b32_e32 v21, v22, v21, vcc
	v_xor_b32_e32 v19, v19, v20
	v_xor_b32_e32 v19, v19, v21
	v_cmp_class_f32_e64 vcc, v3, s43
	v_cndmask_b32_e32 v3, v15, v19, vcc
	;; [unrolled: 21-line block ×4, first 2 shown]
	v_mov_b32_e32 v6, s29
	v_add_co_u32_e32 v16, vcc, s28, v8
	v_addc_co_u32_e32 v17, vcc, 0, v6, vcc
	v_cmp_le_i64_e32 vcc, s[16:17], v[10:11]
	v_cmp_lt_u64_e64 s[0:1], s[22:23], v[10:11]
	s_or_b64 s[0:1], vcc, s[0:1]
	s_add_u32 s26, s26, s30
	s_addc_u32 s27, s27, 0
	s_add_u32 s28, s28, s30
	s_addc_u32 s29, s29, 0
	global_store_dwordx4 v[16:17], v[2:5], off
	s_and_b64 s[0:1], exec, s[0:1]
	v_mov_b32_e32 v2, s13
	v_add_co_u32_e32 v10, vcc, s12, v10
	s_or_b64 s[20:21], s[0:1], s[20:21]
	v_addc_co_u32_e32 v11, vcc, v11, v2, vcc
	s_andn2_b64 exec, exec, s[20:21]
	s_cbranch_execz .LBB105_20
.LBB105_4:                              ; =>This Inner Loop Header: Depth=1
	v_mov_b32_e32 v3, s27
	v_add_co_u32_e32 v2, vcc, s26, v8
	v_addc_co_u32_e32 v3, vcc, 0, v3, vcc
	global_load_dwordx4 v[2:5], v[2:3], off
                                        ; implicit-def: $vgpr17
                                        ; implicit-def: $vgpr18
	s_waitcnt vmcnt(0)
	v_and_b32_e32 v16, 0x7fffffff, v2
	v_cmp_nlt_f32_e64 s[0:1], |v2|, s31
	s_and_saveexec_b64 s[2:3], s[0:1]
	s_xor_b64 s[24:25], exec, s[2:3]
	s_cbranch_execz .LBB105_6
; %bb.5:                                ;   in Loop: Header=BB105_4 Depth=1
	v_lshrrev_b32_e32 v6, 23, v16
	v_add_u32_e32 v6, 0xffffff88, v6
	v_cmp_lt_u32_e32 vcc, 63, v6
	v_cndmask_b32_e32 v17, 0, v13, vcc
	v_add_u32_e32 v6, v17, v6
	v_cmp_lt_u32_e64 s[0:1], 31, v6
	v_cndmask_b32_e64 v17, 0, v14, s[0:1]
	v_add_u32_e32 v6, v17, v6
	v_cmp_lt_u32_e64 s[2:3], 31, v6
	v_cndmask_b32_e64 v17, 0, v14, s[2:3]
	v_add_u32_e32 v17, v17, v6
	v_and_b32_e32 v6, 0x7fffff, v16
	v_or_b32_e32 v30, 0x800000, v6
	v_mad_u64_u32 v[18:19], s[6:7], v30, s33, 0
	v_mov_b32_e32 v6, v19
	v_mad_u64_u32 v[20:21], s[6:7], v30, s34, v[6:7]
	v_mov_b32_e32 v6, v21
	v_mad_u64_u32 v[22:23], s[6:7], v30, s35, v[6:7]
	v_mov_b32_e32 v6, v23
	v_mad_u64_u32 v[24:25], s[6:7], v30, s36, v[6:7]
	v_mov_b32_e32 v6, v25
	v_mad_u64_u32 v[26:27], s[6:7], v30, s37, v[6:7]
	v_mov_b32_e32 v6, v27
	v_mad_u64_u32 v[28:29], s[6:7], v30, s38, v[6:7]
	v_mov_b32_e32 v6, v29
	v_mad_u64_u32 v[30:31], s[6:7], v30, s39, v[6:7]
	v_cndmask_b32_e32 v19, v28, v24, vcc
	v_cndmask_b32_e32 v6, v30, v26, vcc
	;; [unrolled: 1-line block ×3, first 2 shown]
	v_cndmask_b32_e64 v21, v6, v19, s[0:1]
	v_cndmask_b32_e64 v6, v23, v6, s[0:1]
	v_cndmask_b32_e32 v23, v26, v22, vcc
	v_cndmask_b32_e64 v19, v19, v23, s[0:1]
	v_sub_u32_e32 v25, 32, v17
	v_cmp_eq_u32_e64 s[6:7], 0, v17
	v_cndmask_b32_e32 v17, v24, v20, vcc
	v_cndmask_b32_e64 v6, v6, v21, s[2:3]
	v_cndmask_b32_e64 v21, v21, v19, s[2:3]
	;; [unrolled: 1-line block ×3, first 2 shown]
	v_alignbit_b32 v26, v6, v21, v25
	v_cndmask_b32_e64 v19, v19, v20, s[2:3]
	v_cndmask_b32_e64 v6, v26, v6, s[6:7]
	v_alignbit_b32 v23, v21, v19, v25
	v_cndmask_b32_e64 v21, v23, v21, s[6:7]
	v_bfe_u32 v26, v6, 29, 1
	v_cndmask_b32_e32 v18, v22, v18, vcc
	v_alignbit_b32 v23, v6, v21, 30
	v_sub_u32_e32 v27, 0, v26
	v_cndmask_b32_e64 v17, v17, v18, s[0:1]
	v_xor_b32_e32 v28, v23, v27
	v_cndmask_b32_e64 v17, v20, v17, s[2:3]
	v_alignbit_b32 v18, v19, v17, v25
	v_ffbh_u32_e32 v20, v28
	v_cndmask_b32_e64 v18, v18, v19, s[6:7]
	v_add_u32_e32 v20, 1, v20
	v_cmp_ne_u32_e32 vcc, v23, v27
	v_alignbit_b32 v19, v21, v18, 30
	v_cndmask_b32_e32 v20, 33, v20, vcc
	v_alignbit_b32 v17, v18, v17, 30
	v_xor_b32_e32 v19, v19, v27
	v_sub_u32_e32 v21, 32, v20
	v_xor_b32_e32 v17, v17, v27
	v_alignbit_b32 v22, v28, v19, v21
	v_alignbit_b32 v17, v19, v17, v21
	;; [unrolled: 1-line block ×3, first 2 shown]
	v_ffbh_u32_e32 v19, v18
	v_min_u32_e32 v19, 32, v19
	v_lshrrev_b32_e32 v24, 29, v6
	v_sub_u32_e32 v21, 31, v19
	v_alignbit_b32 v17, v18, v17, v21
	v_lshlrev_b32_e32 v18, 31, v24
	v_or_b32_e32 v21, 0x33800000, v18
	v_add_lshl_u32 v19, v19, v20, 23
	v_lshrrev_b32_e32 v17, 9, v17
	v_sub_u32_e32 v19, v21, v19
	v_or_b32_e32 v17, v19, v17
	v_alignbit_b32 v19, v20, v22, 9
	v_or_b32_e32 v18, v19, v18
	v_xor_b32_e32 v18, 1.0, v18
	v_mul_f32_e32 v19, 0x3fc90fda, v18
	v_fma_f32 v20, v18, s40, -v19
	v_fmac_f32_e32 v20, 0x33a22168, v18
	v_fmac_f32_e32 v20, 0x3fc90fda, v17
	v_lshrrev_b32_e32 v6, 30, v6
	v_add_f32_e32 v18, v19, v20
	v_add_u32_e32 v17, v26, v6
.LBB105_6:                              ;   in Loop: Header=BB105_4 Depth=1
	s_andn2_saveexec_b64 s[0:1], s[24:25]
; %bb.7:                                ;   in Loop: Header=BB105_4 Depth=1
	v_mul_f32_e64 v6, |v2|, s41
	v_rndne_f32_e32 v6, v6
	v_cvt_i32_f32_e32 v17, v6
	v_fma_f32 v18, v6, s42, |v2|
	v_fmac_f32_e32 v18, 0xb3a22168, v6
	v_fmac_f32_e32 v18, 0xa7c234c4, v6
; %bb.8:                                ;   in Loop: Header=BB105_4 Depth=1
	s_or_b64 exec, exec, s[0:1]
	v_and_b32_e32 v19, 0x7fffffff, v3
	v_cmp_nlt_f32_e64 s[0:1], |v3|, s31
                                        ; implicit-def: $vgpr20
                                        ; implicit-def: $vgpr21
	s_and_saveexec_b64 s[2:3], s[0:1]
	s_xor_b64 s[24:25], exec, s[2:3]
	s_cbranch_execz .LBB105_10
; %bb.9:                                ;   in Loop: Header=BB105_4 Depth=1
	v_lshrrev_b32_e32 v6, 23, v19
	v_add_u32_e32 v6, 0xffffff88, v6
	v_cmp_lt_u32_e32 vcc, 63, v6
	v_cndmask_b32_e32 v20, 0, v13, vcc
	v_add_u32_e32 v6, v20, v6
	v_cmp_lt_u32_e64 s[0:1], 31, v6
	v_cndmask_b32_e64 v20, 0, v14, s[0:1]
	v_add_u32_e32 v6, v20, v6
	v_cmp_lt_u32_e64 s[2:3], 31, v6
	v_cndmask_b32_e64 v20, 0, v14, s[2:3]
	v_add_u32_e32 v34, v20, v6
	v_and_b32_e32 v6, 0x7fffff, v19
	v_or_b32_e32 v32, 0x800000, v6
	v_mad_u64_u32 v[20:21], s[6:7], v32, s33, 0
	v_mov_b32_e32 v6, v21
	v_mad_u64_u32 v[22:23], s[6:7], v32, s34, v[6:7]
	v_mov_b32_e32 v6, v23
	;; [unrolled: 2-line block ×6, first 2 shown]
	v_mad_u64_u32 v[32:33], s[6:7], v32, s39, v[6:7]
	v_cndmask_b32_e32 v21, v30, v26, vcc
	v_cndmask_b32_e32 v6, v32, v28, vcc
	;; [unrolled: 1-line block ×3, first 2 shown]
	v_cndmask_b32_e64 v23, v6, v21, s[0:1]
	v_cndmask_b32_e64 v6, v25, v6, s[0:1]
	v_cndmask_b32_e32 v25, v28, v24, vcc
	v_cndmask_b32_e64 v21, v21, v25, s[0:1]
	v_cndmask_b32_e32 v22, v26, v22, vcc
	v_cndmask_b32_e64 v6, v6, v23, s[2:3]
	v_cndmask_b32_e64 v23, v23, v21, s[2:3]
	v_sub_u32_e32 v27, 32, v34
	v_cndmask_b32_e64 v25, v25, v22, s[0:1]
	v_alignbit_b32 v28, v6, v23, v27
	v_cmp_eq_u32_e64 s[6:7], 0, v34
	v_cndmask_b32_e64 v21, v21, v25, s[2:3]
	v_cndmask_b32_e32 v20, v24, v20, vcc
	v_cndmask_b32_e64 v6, v28, v6, s[6:7]
	v_alignbit_b32 v26, v23, v21, v27
	v_cndmask_b32_e64 v20, v22, v20, s[0:1]
	v_cndmask_b32_e64 v23, v26, v23, s[6:7]
	v_bfe_u32 v29, v6, 29, 1
	v_cndmask_b32_e64 v20, v25, v20, s[2:3]
	v_alignbit_b32 v26, v6, v23, 30
	v_sub_u32_e32 v30, 0, v29
	v_alignbit_b32 v22, v21, v20, v27
	v_xor_b32_e32 v31, v26, v30
	v_cndmask_b32_e64 v21, v22, v21, s[6:7]
	v_alignbit_b32 v22, v23, v21, 30
	v_ffbh_u32_e32 v23, v31
	v_add_u32_e32 v23, 1, v23
	v_cmp_ne_u32_e32 vcc, v26, v30
	v_cndmask_b32_e32 v23, 33, v23, vcc
	v_alignbit_b32 v20, v21, v20, 30
	v_xor_b32_e32 v22, v22, v30
	v_sub_u32_e32 v24, 32, v23
	v_xor_b32_e32 v20, v20, v30
	v_alignbit_b32 v25, v31, v22, v24
	v_alignbit_b32 v20, v22, v20, v24
	;; [unrolled: 1-line block ×3, first 2 shown]
	v_ffbh_u32_e32 v22, v21
	v_min_u32_e32 v22, 32, v22
	v_lshrrev_b32_e32 v28, 29, v6
	v_sub_u32_e32 v24, 31, v22
	v_alignbit_b32 v20, v21, v20, v24
	v_lshlrev_b32_e32 v21, 31, v28
	v_or_b32_e32 v24, 0x33800000, v21
	v_add_lshl_u32 v22, v22, v23, 23
	v_lshrrev_b32_e32 v20, 9, v20
	v_sub_u32_e32 v22, v24, v22
	v_or_b32_e32 v20, v22, v20
	v_alignbit_b32 v22, v23, v25, 9
	v_or_b32_e32 v21, v22, v21
	v_xor_b32_e32 v21, 1.0, v21
	v_mul_f32_e32 v22, 0x3fc90fda, v21
	v_fma_f32 v23, v21, s40, -v22
	v_fmac_f32_e32 v23, 0x33a22168, v21
	v_fmac_f32_e32 v23, 0x3fc90fda, v20
	v_lshrrev_b32_e32 v6, 30, v6
	v_add_f32_e32 v21, v22, v23
	v_add_u32_e32 v20, v29, v6
.LBB105_10:                             ;   in Loop: Header=BB105_4 Depth=1
	s_andn2_saveexec_b64 s[0:1], s[24:25]
; %bb.11:                               ;   in Loop: Header=BB105_4 Depth=1
	v_mul_f32_e64 v6, |v3|, s41
	v_rndne_f32_e32 v6, v6
	v_cvt_i32_f32_e32 v20, v6
	v_fma_f32 v21, v6, s42, |v3|
	v_fmac_f32_e32 v21, 0xb3a22168, v6
	v_fmac_f32_e32 v21, 0xa7c234c4, v6
; %bb.12:                               ;   in Loop: Header=BB105_4 Depth=1
	s_or_b64 exec, exec, s[0:1]
	v_and_b32_e32 v22, 0x7fffffff, v4
	v_cmp_nlt_f32_e64 s[0:1], |v4|, s31
                                        ; implicit-def: $vgpr24
                                        ; implicit-def: $vgpr25
	s_and_saveexec_b64 s[2:3], s[0:1]
	s_xor_b64 s[24:25], exec, s[2:3]
	s_cbranch_execz .LBB105_14
; %bb.13:                               ;   in Loop: Header=BB105_4 Depth=1
	v_lshrrev_b32_e32 v6, 23, v22
	v_add_u32_e32 v6, 0xffffff88, v6
	v_cmp_lt_u32_e32 vcc, 63, v6
	v_cndmask_b32_e32 v23, 0, v13, vcc
	v_add_u32_e32 v6, v23, v6
	v_cmp_lt_u32_e64 s[0:1], 31, v6
	v_cndmask_b32_e64 v23, 0, v14, s[0:1]
	v_add_u32_e32 v6, v23, v6
	v_cmp_lt_u32_e64 s[2:3], 31, v6
	v_cndmask_b32_e64 v23, 0, v14, s[2:3]
	v_add_u32_e32 v23, v23, v6
	v_and_b32_e32 v6, 0x7fffff, v22
	v_or_b32_e32 v36, 0x800000, v6
	v_mad_u64_u32 v[24:25], s[6:7], v36, s33, 0
	v_mov_b32_e32 v6, v25
	v_mad_u64_u32 v[26:27], s[6:7], v36, s34, v[6:7]
	v_mov_b32_e32 v6, v27
	;; [unrolled: 2-line block ×6, first 2 shown]
	v_mad_u64_u32 v[36:37], s[6:7], v36, s39, v[6:7]
	v_cndmask_b32_e32 v25, v34, v30, vcc
	v_cndmask_b32_e32 v6, v36, v32, vcc
	;; [unrolled: 1-line block ×3, first 2 shown]
	v_cndmask_b32_e64 v27, v6, v25, s[0:1]
	v_cndmask_b32_e64 v6, v29, v6, s[0:1]
	v_cndmask_b32_e32 v29, v32, v28, vcc
	v_cndmask_b32_e64 v25, v25, v29, s[0:1]
	v_sub_u32_e32 v31, 32, v23
	v_cmp_eq_u32_e64 s[6:7], 0, v23
	v_cndmask_b32_e32 v23, v30, v26, vcc
	v_cndmask_b32_e64 v6, v6, v27, s[2:3]
	v_cndmask_b32_e64 v27, v27, v25, s[2:3]
	;; [unrolled: 1-line block ×3, first 2 shown]
	v_alignbit_b32 v32, v6, v27, v31
	v_cndmask_b32_e64 v25, v25, v26, s[2:3]
	v_cndmask_b32_e64 v6, v32, v6, s[6:7]
	v_alignbit_b32 v29, v27, v25, v31
	v_cndmask_b32_e64 v27, v29, v27, s[6:7]
	v_bfe_u32 v32, v6, 29, 1
	v_cndmask_b32_e32 v24, v28, v24, vcc
	v_alignbit_b32 v29, v6, v27, 30
	v_sub_u32_e32 v33, 0, v32
	v_cndmask_b32_e64 v23, v23, v24, s[0:1]
	v_xor_b32_e32 v34, v29, v33
	v_cndmask_b32_e64 v23, v26, v23, s[2:3]
	v_alignbit_b32 v24, v25, v23, v31
	v_ffbh_u32_e32 v26, v34
	v_cndmask_b32_e64 v24, v24, v25, s[6:7]
	v_add_u32_e32 v26, 1, v26
	v_cmp_ne_u32_e32 vcc, v29, v33
	v_alignbit_b32 v25, v27, v24, 30
	v_cndmask_b32_e32 v26, 33, v26, vcc
	v_alignbit_b32 v23, v24, v23, 30
	v_xor_b32_e32 v25, v25, v33
	v_sub_u32_e32 v27, 32, v26
	v_xor_b32_e32 v23, v23, v33
	v_alignbit_b32 v28, v34, v25, v27
	v_alignbit_b32 v23, v25, v23, v27
	;; [unrolled: 1-line block ×3, first 2 shown]
	v_ffbh_u32_e32 v25, v24
	v_min_u32_e32 v25, 32, v25
	v_lshrrev_b32_e32 v30, 29, v6
	v_sub_u32_e32 v27, 31, v25
	v_alignbit_b32 v23, v24, v23, v27
	v_lshlrev_b32_e32 v24, 31, v30
	v_or_b32_e32 v27, 0x33800000, v24
	v_add_lshl_u32 v25, v25, v26, 23
	v_lshrrev_b32_e32 v23, 9, v23
	v_sub_u32_e32 v25, v27, v25
	v_or_b32_e32 v23, v25, v23
	v_alignbit_b32 v25, v26, v28, 9
	v_or_b32_e32 v24, v25, v24
	v_xor_b32_e32 v24, 1.0, v24
	v_mul_f32_e32 v25, 0x3fc90fda, v24
	v_fma_f32 v26, v24, s40, -v25
	v_fmac_f32_e32 v26, 0x33a22168, v24
	v_fmac_f32_e32 v26, 0x3fc90fda, v23
	v_lshrrev_b32_e32 v6, 30, v6
	v_add_f32_e32 v25, v25, v26
	v_add_u32_e32 v24, v32, v6
.LBB105_14:                             ;   in Loop: Header=BB105_4 Depth=1
	s_andn2_saveexec_b64 s[0:1], s[24:25]
; %bb.15:                               ;   in Loop: Header=BB105_4 Depth=1
	v_mul_f32_e64 v6, |v4|, s41
	v_rndne_f32_e32 v6, v6
	v_cvt_i32_f32_e32 v24, v6
	v_fma_f32 v25, v6, s42, |v4|
	v_fmac_f32_e32 v25, 0xb3a22168, v6
	v_fmac_f32_e32 v25, 0xa7c234c4, v6
; %bb.16:                               ;   in Loop: Header=BB105_4 Depth=1
	s_or_b64 exec, exec, s[0:1]
	v_and_b32_e32 v23, 0x7fffffff, v5
	v_cmp_nlt_f32_e64 s[0:1], |v5|, s31
                                        ; implicit-def: $vgpr6
                                        ; implicit-def: $vgpr26
	s_and_saveexec_b64 s[2:3], s[0:1]
	s_xor_b64 s[24:25], exec, s[2:3]
	s_cbranch_execz .LBB105_18
; %bb.17:                               ;   in Loop: Header=BB105_4 Depth=1
	v_lshrrev_b32_e32 v6, 23, v23
	v_add_u32_e32 v6, 0xffffff88, v6
	v_cmp_lt_u32_e32 vcc, 63, v6
	v_cndmask_b32_e32 v26, 0, v13, vcc
	v_add_u32_e32 v6, v26, v6
	v_cmp_lt_u32_e64 s[0:1], 31, v6
	v_cndmask_b32_e64 v26, 0, v14, s[0:1]
	v_add_u32_e32 v6, v26, v6
	v_cmp_lt_u32_e64 s[2:3], 31, v6
	v_cndmask_b32_e64 v26, 0, v14, s[2:3]
	v_add_u32_e32 v40, v26, v6
	v_and_b32_e32 v6, 0x7fffff, v23
	v_or_b32_e32 v38, 0x800000, v6
	v_mad_u64_u32 v[26:27], s[6:7], v38, s33, 0
	v_mov_b32_e32 v6, v27
	v_mad_u64_u32 v[28:29], s[6:7], v38, s34, v[6:7]
	v_mov_b32_e32 v6, v29
	;; [unrolled: 2-line block ×6, first 2 shown]
	v_mad_u64_u32 v[38:39], s[6:7], v38, s39, v[6:7]
	v_cndmask_b32_e32 v27, v36, v32, vcc
	v_cndmask_b32_e32 v6, v38, v34, vcc
	;; [unrolled: 1-line block ×3, first 2 shown]
	v_cndmask_b32_e64 v29, v6, v27, s[0:1]
	v_cndmask_b32_e64 v6, v31, v6, s[0:1]
	v_cndmask_b32_e32 v31, v34, v30, vcc
	v_cndmask_b32_e64 v27, v27, v31, s[0:1]
	v_cndmask_b32_e32 v28, v32, v28, vcc
	v_cndmask_b32_e64 v6, v6, v29, s[2:3]
	v_cndmask_b32_e64 v29, v29, v27, s[2:3]
	v_sub_u32_e32 v33, 32, v40
	v_cndmask_b32_e64 v31, v31, v28, s[0:1]
	v_alignbit_b32 v34, v6, v29, v33
	v_cmp_eq_u32_e64 s[6:7], 0, v40
	v_cndmask_b32_e64 v27, v27, v31, s[2:3]
	v_cndmask_b32_e32 v26, v30, v26, vcc
	v_cndmask_b32_e64 v6, v34, v6, s[6:7]
	v_alignbit_b32 v32, v29, v27, v33
	v_cndmask_b32_e64 v26, v28, v26, s[0:1]
	v_cndmask_b32_e64 v29, v32, v29, s[6:7]
	v_bfe_u32 v35, v6, 29, 1
	v_cndmask_b32_e64 v26, v31, v26, s[2:3]
	v_alignbit_b32 v32, v6, v29, 30
	v_sub_u32_e32 v36, 0, v35
	v_alignbit_b32 v28, v27, v26, v33
	v_xor_b32_e32 v37, v32, v36
	v_cndmask_b32_e64 v27, v28, v27, s[6:7]
	v_alignbit_b32 v28, v29, v27, 30
	v_ffbh_u32_e32 v29, v37
	v_add_u32_e32 v29, 1, v29
	v_cmp_ne_u32_e32 vcc, v32, v36
	v_cndmask_b32_e32 v29, 33, v29, vcc
	v_alignbit_b32 v26, v27, v26, 30
	v_xor_b32_e32 v28, v28, v36
	v_sub_u32_e32 v30, 32, v29
	v_xor_b32_e32 v26, v26, v36
	v_alignbit_b32 v31, v37, v28, v30
	v_alignbit_b32 v26, v28, v26, v30
	v_alignbit_b32 v27, v31, v26, 9
	v_ffbh_u32_e32 v28, v27
	v_min_u32_e32 v28, 32, v28
	v_lshrrev_b32_e32 v34, 29, v6
	v_sub_u32_e32 v30, 31, v28
	v_alignbit_b32 v26, v27, v26, v30
	v_lshlrev_b32_e32 v27, 31, v34
	v_or_b32_e32 v30, 0x33800000, v27
	v_add_lshl_u32 v28, v28, v29, 23
	v_lshrrev_b32_e32 v26, 9, v26
	v_sub_u32_e32 v28, v30, v28
	v_or_b32_e32 v26, v28, v26
	v_alignbit_b32 v28, v29, v31, 9
	v_or_b32_e32 v27, v28, v27
	v_xor_b32_e32 v27, 1.0, v27
	v_mul_f32_e32 v28, 0x3fc90fda, v27
	v_fma_f32 v29, v27, s40, -v28
	v_fmac_f32_e32 v29, 0x33a22168, v27
	v_fmac_f32_e32 v29, 0x3fc90fda, v26
	v_lshrrev_b32_e32 v6, 30, v6
	v_add_f32_e32 v26, v28, v29
	v_add_u32_e32 v6, v35, v6
.LBB105_18:                             ;   in Loop: Header=BB105_4 Depth=1
	s_andn2_saveexec_b64 s[0:1], s[24:25]
	s_cbranch_execz .LBB105_3
; %bb.19:                               ;   in Loop: Header=BB105_4 Depth=1
	v_mul_f32_e64 v6, |v5|, s41
	v_rndne_f32_e32 v27, v6
	v_cvt_i32_f32_e32 v6, v27
	v_fma_f32 v26, v27, s42, |v5|
	v_fmac_f32_e32 v26, 0xb3a22168, v27
	v_fmac_f32_e32 v26, 0xa7c234c4, v27
	s_branch .LBB105_3
.LBB105_20:
	s_or_b64 exec, exec, s[18:19]
	s_mov_b64 s[0:1], 0
.LBB105_21:
	s_andn2_b64 vcc, exec, s[0:1]
	s_cbranch_vccnz .LBB105_57
; %bb.22:
	v_cmp_lt_i64_e64 s[0:1], s[16:17], 1
	s_and_b64 vcc, exec, s[0:1]
	s_cbranch_vccnz .LBB105_57
; %bb.23:
	s_load_dword s0, s[4:5], 0xc5c
	v_mov_b32_e32 v4, 0x10000
	v_mov_b32_e32 v5, 0
	v_cmp_lt_u64_e32 vcc, s[16:17], v[4:5]
	v_lshlrev_b32_e32 v2, 2, v0
	s_waitcnt lgkmcnt(0)
	s_and_b32 s2, s0, 0xffff
	s_and_b64 s[0:1], vcc, exec
	v_mov_b32_e32 v15, s11
	v_add_co_u32_e32 v4, vcc, s10, v2
	v_addc_co_u32_e32 v1, vcc, 0, v15, vcc
	v_mov_b32_e32 v3, 0
	v_mov_b32_e32 v17, s9
	v_add_co_u32_e32 v6, vcc, s8, v2
	v_addc_co_u32_e32 v5, vcc, 0, v17, vcc
	v_mad_u64_u32 v[10:11], s[0:1], s2, 12, v[2:3]
	v_add_co_u32_e32 v8, vcc, s10, v10
	v_addc_co_u32_e32 v7, vcc, v15, v11, vcc
	v_add_co_u32_e32 v10, vcc, s8, v10
	s_mul_i32 s4, s2, 3
	v_addc_co_u32_e32 v9, vcc, v17, v11, vcc
	v_add_co_u32_e32 v19, vcc, s4, v0
	v_addc_co_u32_e64 v20, s[0:1], 0, 0, vcc
	s_cselect_b32 s19, s17, 0
	s_cselect_b32 s18, s16, 0x10000
	s_lshl_b32 s0, s2, 3
	v_add_co_u32_e32 v2, vcc, s0, v2
	v_addc_co_u32_e64 v13, s[0:1], 0, 0, vcc
	v_add_co_u32_e32 v12, vcc, s10, v2
	v_addc_co_u32_e32 v11, vcc, v15, v13, vcc
	v_add_co_u32_e32 v14, vcc, s8, v2
	s_lshl_b32 s3, s2, 1
	v_addc_co_u32_e32 v13, vcc, v17, v13, vcc
	v_add_co_u32_e32 v21, vcc, s3, v0
	v_addc_co_u32_e64 v22, s[0:1], 0, 0, vcc
	v_add_co_u32_e32 v23, vcc, s2, v0
	v_lshlrev_b32_e32 v2, 2, v23
	v_addc_co_u32_e64 v24, s[0:1], 0, 0, vcc
	v_add_co_u32_e32 v16, vcc, s10, v2
	v_addc_co_u32_e32 v15, vcc, 0, v15, vcc
	v_add_co_u32_e32 v18, vcc, s8, v2
	s_mov_b32 s24, 0
	s_lshl_b32 s25, s2, 2
	s_lshl_b32 s26, s2, 4
	v_addc_co_u32_e32 v17, vcc, 0, v17, vcc
	s_mov_b64 s[20:21], 0
	s_brev_b32 s27, 18
	s_mov_b32 s28, 0xfe5163ab
	s_mov_b32 s29, 0x3c439041
	;; [unrolled: 1-line block ×10, first 2 shown]
	v_mov_b32_e32 v25, 0xbe2aaa9d
	v_mov_b32_e32 v26, 0x3d2aabf7
	;; [unrolled: 1-line block ×3, first 2 shown]
	s_movk_i32 s39, 0x1f8
	v_not_b32_e32 v28, 63
	v_not_b32_e32 v29, 31
	v_mov_b32_e32 v30, 0x7fc00000
	s_branch .LBB105_25
.LBB105_24:                             ;   in Loop: Header=BB105_25 Depth=1
	s_or_b64 exec, exec, s[0:1]
	s_add_u32 s20, s20, s25
	s_addc_u32 s21, s21, 0
	v_pk_mov_b32 v[32:33], s[16:17], s[16:17] op_sel:[0,1]
	v_cmp_ge_i64_e32 vcc, s[20:21], v[32:33]
	v_mov_b32_e32 v32, 0xffff
	v_mov_b32_e32 v33, 0
	v_cmp_gt_u64_e64 s[0:1], s[20:21], v[32:33]
	s_or_b64 s[0:1], vcc, s[0:1]
	v_mov_b32_e32 v2, s24
	v_add_co_u32_e32 v4, vcc, s26, v4
	v_addc_co_u32_e32 v1, vcc, v1, v2, vcc
	v_add_co_u32_e32 v6, vcc, s26, v6
	v_addc_co_u32_e32 v5, vcc, v5, v2, vcc
	;; [unrolled: 2-line block ×8, first 2 shown]
	s_and_b64 vcc, exec, s[0:1]
	s_cbranch_vccnz .LBB105_57
.LBB105_25:                             ; =>This Inner Loop Header: Depth=1
	v_mov_b32_e32 v2, s21
	v_add_co_u32_e32 v32, vcc, s20, v0
	v_addc_co_u32_e32 v33, vcc, 0, v2, vcc
	v_cmp_gt_u64_e64 s[4:5], s[18:19], v[32:33]
	v_mov_b32_e32 v34, 0
	s_and_saveexec_b64 s[0:1], s[4:5]
	s_cbranch_execz .LBB105_27
; %bb.26:                               ;   in Loop: Header=BB105_25 Depth=1
	v_mov_b32_e32 v2, s15
	v_add_co_u32_e32 v32, vcc, s14, v4
	v_addc_co_u32_e32 v33, vcc, v1, v2, vcc
	global_load_dword v34, v[32:33], off
.LBB105_27:                             ;   in Loop: Header=BB105_25 Depth=1
	s_or_b64 exec, exec, s[0:1]
	v_mov_b32_e32 v2, s21
	v_add_co_u32_e32 v32, vcc, s20, v23
	v_addc_co_u32_e32 v33, vcc, v24, v2, vcc
	v_cmp_gt_u64_e64 s[2:3], s[18:19], v[32:33]
	v_mov_b32_e32 v33, 0
	s_and_saveexec_b64 s[0:1], s[2:3]
	s_cbranch_execz .LBB105_29
; %bb.28:                               ;   in Loop: Header=BB105_25 Depth=1
	v_mov_b32_e32 v2, s15
	v_add_co_u32_e32 v32, vcc, s14, v16
	v_addc_co_u32_e32 v33, vcc, v15, v2, vcc
	global_load_dword v33, v[32:33], off
.LBB105_29:                             ;   in Loop: Header=BB105_25 Depth=1
	s_or_b64 exec, exec, s[0:1]
	v_mov_b32_e32 v2, s21
	v_add_co_u32_e32 v36, vcc, s20, v21
	v_addc_co_u32_e32 v37, vcc, v22, v2, vcc
	v_cmp_gt_u64_e64 s[0:1], s[18:19], v[36:37]
	v_mov_b32_e32 v31, 0
	v_mov_b32_e32 v32, 0
	s_and_saveexec_b64 s[6:7], s[0:1]
	s_cbranch_execz .LBB105_31
; %bb.30:                               ;   in Loop: Header=BB105_25 Depth=1
	v_mov_b32_e32 v2, s15
	v_add_co_u32_e32 v36, vcc, s14, v12
	v_addc_co_u32_e32 v37, vcc, v11, v2, vcc
	global_load_dword v32, v[36:37], off
.LBB105_31:                             ;   in Loop: Header=BB105_25 Depth=1
	s_or_b64 exec, exec, s[6:7]
	v_mov_b32_e32 v2, s21
	v_add_co_u32_e32 v36, vcc, s20, v19
	v_addc_co_u32_e32 v37, vcc, v20, v2, vcc
	v_cmp_gt_u64_e32 vcc, s[18:19], v[36:37]
	s_and_saveexec_b64 s[8:9], vcc
	s_cbranch_execz .LBB105_33
; %bb.32:                               ;   in Loop: Header=BB105_25 Depth=1
	v_mov_b32_e32 v2, s15
	v_add_co_u32_e64 v36, s[6:7], s14, v8
	v_addc_co_u32_e64 v37, s[6:7], v7, v2, s[6:7]
	global_load_dword v31, v[36:37], off
.LBB105_33:                             ;   in Loop: Header=BB105_25 Depth=1
	s_or_b64 exec, exec, s[8:9]
	s_waitcnt vmcnt(0)
	v_and_b32_e32 v35, 0x7fffffff, v34
	v_cmp_nlt_f32_e64 s[6:7], |v34|, s27
                                        ; implicit-def: $vgpr36
                                        ; implicit-def: $vgpr37
	s_and_saveexec_b64 s[8:9], s[6:7]
	s_xor_b64 s[22:23], exec, s[8:9]
	s_cbranch_execz .LBB105_35
; %bb.34:                               ;   in Loop: Header=BB105_25 Depth=1
	v_lshrrev_b32_e32 v2, 23, v35
	v_add_u32_e32 v2, 0xffffff88, v2
	v_cmp_lt_u32_e64 s[6:7], 63, v2
	v_cndmask_b32_e64 v36, 0, v28, s[6:7]
	v_add_u32_e32 v2, v36, v2
	v_cmp_lt_u32_e64 s[8:9], 31, v2
	v_cndmask_b32_e64 v36, 0, v29, s[8:9]
	;; [unrolled: 3-line block ×3, first 2 shown]
	v_add_u32_e32 v50, v36, v2
	v_and_b32_e32 v2, 0x7fffff, v35
	v_or_b32_e32 v48, 0x800000, v2
	v_mad_u64_u32 v[36:37], s[12:13], v48, s28, 0
	v_mov_b32_e32 v2, v37
	v_mad_u64_u32 v[38:39], s[12:13], v48, s29, v[2:3]
	v_mov_b32_e32 v2, v39
	;; [unrolled: 2-line block ×6, first 2 shown]
	v_mad_u64_u32 v[48:49], s[12:13], v48, s35, v[2:3]
	v_cndmask_b32_e64 v37, v46, v42, s[6:7]
	v_cndmask_b32_e64 v2, v48, v44, s[6:7]
	;; [unrolled: 1-line block ×10, first 2 shown]
	v_sub_u32_e32 v43, 32, v50
	v_cndmask_b32_e64 v41, v41, v38, s[8:9]
	v_alignbit_b32 v44, v2, v39, v43
	v_cmp_eq_u32_e64 s[12:13], 0, v50
	v_cndmask_b32_e64 v37, v37, v41, s[10:11]
	v_cndmask_b32_e64 v36, v40, v36, s[6:7]
	;; [unrolled: 1-line block ×3, first 2 shown]
	v_alignbit_b32 v42, v39, v37, v43
	v_cndmask_b32_e64 v36, v38, v36, s[8:9]
	v_cndmask_b32_e64 v39, v42, v39, s[12:13]
	v_bfe_u32 v45, v2, 29, 1
	v_cndmask_b32_e64 v36, v41, v36, s[10:11]
	v_alignbit_b32 v42, v2, v39, 30
	v_sub_u32_e32 v46, 0, v45
	v_alignbit_b32 v38, v37, v36, v43
	v_xor_b32_e32 v47, v42, v46
	v_cndmask_b32_e64 v37, v38, v37, s[12:13]
	v_alignbit_b32 v38, v39, v37, 30
	v_ffbh_u32_e32 v39, v47
	v_add_u32_e32 v39, 1, v39
	v_cmp_ne_u32_e64 s[6:7], v42, v46
	v_cndmask_b32_e64 v39, 33, v39, s[6:7]
	v_alignbit_b32 v36, v37, v36, 30
	v_xor_b32_e32 v38, v38, v46
	v_sub_u32_e32 v40, 32, v39
	v_xor_b32_e32 v36, v36, v46
	v_alignbit_b32 v41, v47, v38, v40
	v_alignbit_b32 v36, v38, v36, v40
	v_alignbit_b32 v37, v41, v36, 9
	v_ffbh_u32_e32 v38, v37
	v_min_u32_e32 v38, 32, v38
	v_lshrrev_b32_e32 v44, 29, v2
	v_sub_u32_e32 v40, 31, v38
	v_alignbit_b32 v36, v37, v36, v40
	v_lshlrev_b32_e32 v37, 31, v44
	v_or_b32_e32 v40, 0x33800000, v37
	v_add_lshl_u32 v38, v38, v39, 23
	v_lshrrev_b32_e32 v36, 9, v36
	v_sub_u32_e32 v38, v40, v38
	v_or_b32_e32 v36, v38, v36
	v_alignbit_b32 v38, v39, v41, 9
	v_or_b32_e32 v37, v38, v37
	v_xor_b32_e32 v37, 1.0, v37
	v_mul_f32_e32 v38, 0x3fc90fda, v37
	v_fma_f32 v39, v37, s36, -v38
	v_fmac_f32_e32 v39, 0x33a22168, v37
	v_fmac_f32_e32 v39, 0x3fc90fda, v36
	v_lshrrev_b32_e32 v2, 30, v2
	v_add_f32_e32 v37, v38, v39
	v_add_u32_e32 v36, v45, v2
.LBB105_35:                             ;   in Loop: Header=BB105_25 Depth=1
	s_andn2_saveexec_b64 s[6:7], s[22:23]
; %bb.36:                               ;   in Loop: Header=BB105_25 Depth=1
	v_mul_f32_e64 v2, |v34|, s37
	v_rndne_f32_e32 v2, v2
	v_cvt_i32_f32_e32 v36, v2
	v_fma_f32 v37, v2, s38, |v34|
	v_fmac_f32_e32 v37, 0xb3a22168, v2
	v_fmac_f32_e32 v37, 0xa7c234c4, v2
; %bb.37:                               ;   in Loop: Header=BB105_25 Depth=1
	s_or_b64 exec, exec, s[6:7]
	v_and_b32_e32 v38, 0x7fffffff, v33
	v_cmp_nlt_f32_e64 s[6:7], |v33|, s27
                                        ; implicit-def: $vgpr39
                                        ; implicit-def: $vgpr40
	s_and_saveexec_b64 s[8:9], s[6:7]
	s_xor_b64 s[22:23], exec, s[8:9]
	s_cbranch_execz .LBB105_39
; %bb.38:                               ;   in Loop: Header=BB105_25 Depth=1
	v_lshrrev_b32_e32 v2, 23, v38
	v_add_u32_e32 v2, 0xffffff88, v2
	v_cmp_lt_u32_e64 s[6:7], 63, v2
	v_cndmask_b32_e64 v39, 0, v28, s[6:7]
	v_add_u32_e32 v2, v39, v2
	v_cmp_lt_u32_e64 s[8:9], 31, v2
	v_cndmask_b32_e64 v39, 0, v29, s[8:9]
	v_add_u32_e32 v2, v39, v2
	v_cmp_lt_u32_e64 s[10:11], 31, v2
	v_cndmask_b32_e64 v39, 0, v29, s[10:11]
	v_add_u32_e32 v39, v39, v2
	v_and_b32_e32 v2, 0x7fffff, v38
	v_or_b32_e32 v52, 0x800000, v2
	v_mad_u64_u32 v[40:41], s[12:13], v52, s28, 0
	v_mov_b32_e32 v2, v41
	v_mad_u64_u32 v[42:43], s[12:13], v52, s29, v[2:3]
	v_mov_b32_e32 v2, v43
	;; [unrolled: 2-line block ×6, first 2 shown]
	v_mad_u64_u32 v[52:53], s[12:13], v52, s35, v[2:3]
	v_cndmask_b32_e64 v41, v50, v46, s[6:7]
	v_cndmask_b32_e64 v2, v52, v48, s[6:7]
	;; [unrolled: 1-line block ×7, first 2 shown]
	v_sub_u32_e32 v47, 32, v39
	v_cmp_eq_u32_e64 s[12:13], 0, v39
	v_cndmask_b32_e64 v39, v46, v42, s[6:7]
	v_cndmask_b32_e64 v2, v2, v43, s[10:11]
	;; [unrolled: 1-line block ×4, first 2 shown]
	v_alignbit_b32 v48, v2, v43, v47
	v_cndmask_b32_e64 v41, v41, v42, s[10:11]
	v_cndmask_b32_e64 v2, v48, v2, s[12:13]
	v_alignbit_b32 v45, v43, v41, v47
	v_cndmask_b32_e64 v43, v45, v43, s[12:13]
	v_bfe_u32 v48, v2, 29, 1
	v_cndmask_b32_e64 v40, v44, v40, s[6:7]
	v_alignbit_b32 v45, v2, v43, 30
	v_sub_u32_e32 v49, 0, v48
	v_cndmask_b32_e64 v39, v39, v40, s[8:9]
	v_xor_b32_e32 v50, v45, v49
	v_cndmask_b32_e64 v39, v42, v39, s[10:11]
	v_alignbit_b32 v40, v41, v39, v47
	v_ffbh_u32_e32 v42, v50
	v_cndmask_b32_e64 v40, v40, v41, s[12:13]
	v_add_u32_e32 v42, 1, v42
	v_cmp_ne_u32_e64 s[6:7], v45, v49
	v_alignbit_b32 v41, v43, v40, 30
	v_cndmask_b32_e64 v42, 33, v42, s[6:7]
	v_alignbit_b32 v39, v40, v39, 30
	v_xor_b32_e32 v41, v41, v49
	v_sub_u32_e32 v43, 32, v42
	v_xor_b32_e32 v39, v39, v49
	v_alignbit_b32 v44, v50, v41, v43
	v_alignbit_b32 v39, v41, v39, v43
	;; [unrolled: 1-line block ×3, first 2 shown]
	v_ffbh_u32_e32 v41, v40
	v_min_u32_e32 v41, 32, v41
	v_lshrrev_b32_e32 v46, 29, v2
	v_sub_u32_e32 v43, 31, v41
	v_alignbit_b32 v39, v40, v39, v43
	v_lshlrev_b32_e32 v40, 31, v46
	v_or_b32_e32 v43, 0x33800000, v40
	v_add_lshl_u32 v41, v41, v42, 23
	v_lshrrev_b32_e32 v39, 9, v39
	v_sub_u32_e32 v41, v43, v41
	v_or_b32_e32 v39, v41, v39
	v_alignbit_b32 v41, v42, v44, 9
	v_or_b32_e32 v40, v41, v40
	v_xor_b32_e32 v40, 1.0, v40
	v_mul_f32_e32 v41, 0x3fc90fda, v40
	v_fma_f32 v42, v40, s36, -v41
	v_fmac_f32_e32 v42, 0x33a22168, v40
	v_fmac_f32_e32 v42, 0x3fc90fda, v39
	v_lshrrev_b32_e32 v2, 30, v2
	v_add_f32_e32 v40, v41, v42
	v_add_u32_e32 v39, v48, v2
.LBB105_39:                             ;   in Loop: Header=BB105_25 Depth=1
	s_andn2_saveexec_b64 s[6:7], s[22:23]
; %bb.40:                               ;   in Loop: Header=BB105_25 Depth=1
	v_mul_f32_e64 v2, |v33|, s37
	v_rndne_f32_e32 v2, v2
	v_cvt_i32_f32_e32 v39, v2
	v_fma_f32 v40, v2, s38, |v33|
	v_fmac_f32_e32 v40, 0xb3a22168, v2
	v_fmac_f32_e32 v40, 0xa7c234c4, v2
; %bb.41:                               ;   in Loop: Header=BB105_25 Depth=1
	s_or_b64 exec, exec, s[6:7]
	v_and_b32_e32 v41, 0x7fffffff, v32
	v_cmp_nlt_f32_e64 s[6:7], |v32|, s27
                                        ; implicit-def: $vgpr42
                                        ; implicit-def: $vgpr43
	s_and_saveexec_b64 s[8:9], s[6:7]
	s_xor_b64 s[22:23], exec, s[8:9]
	s_cbranch_execz .LBB105_43
; %bb.42:                               ;   in Loop: Header=BB105_25 Depth=1
	v_lshrrev_b32_e32 v2, 23, v41
	v_add_u32_e32 v2, 0xffffff88, v2
	v_cmp_lt_u32_e64 s[6:7], 63, v2
	v_cndmask_b32_e64 v42, 0, v28, s[6:7]
	v_add_u32_e32 v2, v42, v2
	v_cmp_lt_u32_e64 s[8:9], 31, v2
	v_cndmask_b32_e64 v42, 0, v29, s[8:9]
	;; [unrolled: 3-line block ×3, first 2 shown]
	v_add_u32_e32 v56, v42, v2
	v_and_b32_e32 v2, 0x7fffff, v41
	v_or_b32_e32 v54, 0x800000, v2
	v_mad_u64_u32 v[42:43], s[12:13], v54, s28, 0
	v_mov_b32_e32 v2, v43
	v_mad_u64_u32 v[44:45], s[12:13], v54, s29, v[2:3]
	v_mov_b32_e32 v2, v45
	;; [unrolled: 2-line block ×6, first 2 shown]
	v_mad_u64_u32 v[54:55], s[12:13], v54, s35, v[2:3]
	v_cndmask_b32_e64 v43, v52, v48, s[6:7]
	v_cndmask_b32_e64 v2, v54, v50, s[6:7]
	;; [unrolled: 1-line block ×10, first 2 shown]
	v_sub_u32_e32 v49, 32, v56
	v_cndmask_b32_e64 v47, v47, v44, s[8:9]
	v_alignbit_b32 v50, v2, v45, v49
	v_cmp_eq_u32_e64 s[12:13], 0, v56
	v_cndmask_b32_e64 v43, v43, v47, s[10:11]
	v_cndmask_b32_e64 v42, v46, v42, s[6:7]
	;; [unrolled: 1-line block ×3, first 2 shown]
	v_alignbit_b32 v48, v45, v43, v49
	v_cndmask_b32_e64 v42, v44, v42, s[8:9]
	v_cndmask_b32_e64 v45, v48, v45, s[12:13]
	v_bfe_u32 v51, v2, 29, 1
	v_cndmask_b32_e64 v42, v47, v42, s[10:11]
	v_alignbit_b32 v48, v2, v45, 30
	v_sub_u32_e32 v52, 0, v51
	v_alignbit_b32 v44, v43, v42, v49
	v_xor_b32_e32 v53, v48, v52
	v_cndmask_b32_e64 v43, v44, v43, s[12:13]
	v_alignbit_b32 v44, v45, v43, 30
	v_ffbh_u32_e32 v45, v53
	v_add_u32_e32 v45, 1, v45
	v_cmp_ne_u32_e64 s[6:7], v48, v52
	v_cndmask_b32_e64 v45, 33, v45, s[6:7]
	v_alignbit_b32 v42, v43, v42, 30
	v_xor_b32_e32 v44, v44, v52
	v_sub_u32_e32 v46, 32, v45
	v_xor_b32_e32 v42, v42, v52
	v_alignbit_b32 v47, v53, v44, v46
	v_alignbit_b32 v42, v44, v42, v46
	v_alignbit_b32 v43, v47, v42, 9
	v_ffbh_u32_e32 v44, v43
	v_min_u32_e32 v44, 32, v44
	v_lshrrev_b32_e32 v50, 29, v2
	v_sub_u32_e32 v46, 31, v44
	v_alignbit_b32 v42, v43, v42, v46
	v_lshlrev_b32_e32 v43, 31, v50
	v_or_b32_e32 v46, 0x33800000, v43
	v_add_lshl_u32 v44, v44, v45, 23
	v_lshrrev_b32_e32 v42, 9, v42
	v_sub_u32_e32 v44, v46, v44
	v_or_b32_e32 v42, v44, v42
	v_alignbit_b32 v44, v45, v47, 9
	v_or_b32_e32 v43, v44, v43
	v_xor_b32_e32 v43, 1.0, v43
	v_mul_f32_e32 v44, 0x3fc90fda, v43
	v_fma_f32 v45, v43, s36, -v44
	v_fmac_f32_e32 v45, 0x33a22168, v43
	v_fmac_f32_e32 v45, 0x3fc90fda, v42
	v_lshrrev_b32_e32 v2, 30, v2
	v_add_f32_e32 v43, v44, v45
	v_add_u32_e32 v42, v51, v2
.LBB105_43:                             ;   in Loop: Header=BB105_25 Depth=1
	s_andn2_saveexec_b64 s[6:7], s[22:23]
; %bb.44:                               ;   in Loop: Header=BB105_25 Depth=1
	v_mul_f32_e64 v2, |v32|, s37
	v_rndne_f32_e32 v2, v2
	v_cvt_i32_f32_e32 v42, v2
	v_fma_f32 v43, v2, s38, |v32|
	v_fmac_f32_e32 v43, 0xb3a22168, v2
	v_fmac_f32_e32 v43, 0xa7c234c4, v2
; %bb.45:                               ;   in Loop: Header=BB105_25 Depth=1
	s_or_b64 exec, exec, s[6:7]
	v_and_b32_e32 v44, 0x7fffffff, v31
	v_cmp_nlt_f32_e64 s[6:7], |v31|, s27
                                        ; implicit-def: $vgpr2
                                        ; implicit-def: $vgpr45
	s_and_saveexec_b64 s[8:9], s[6:7]
	s_xor_b64 s[22:23], exec, s[8:9]
	s_cbranch_execnz .LBB105_51
; %bb.46:                               ;   in Loop: Header=BB105_25 Depth=1
	s_andn2_saveexec_b64 s[6:7], s[22:23]
	s_cbranch_execnz .LBB105_52
.LBB105_47:                             ;   in Loop: Header=BB105_25 Depth=1
	s_or_b64 exec, exec, s[6:7]
	s_and_saveexec_b64 s[6:7], s[4:5]
	s_xor_b64 s[6:7], exec, s[6:7]
	s_cbranch_execnz .LBB105_53
.LBB105_48:                             ;   in Loop: Header=BB105_25 Depth=1
	s_or_b64 exec, exec, s[6:7]
	s_and_saveexec_b64 s[4:5], s[2:3]
	s_cbranch_execnz .LBB105_54
.LBB105_49:                             ;   in Loop: Header=BB105_25 Depth=1
	s_or_b64 exec, exec, s[4:5]
	s_and_saveexec_b64 s[2:3], s[0:1]
	s_cbranch_execnz .LBB105_55
.LBB105_50:                             ;   in Loop: Header=BB105_25 Depth=1
	s_or_b64 exec, exec, s[2:3]
	s_and_saveexec_b64 s[0:1], vcc
	s_cbranch_execz .LBB105_24
	s_branch .LBB105_56
.LBB105_51:                             ;   in Loop: Header=BB105_25 Depth=1
	v_lshrrev_b32_e32 v2, 23, v44
	v_add_u32_e32 v2, 0xffffff88, v2
	v_cmp_lt_u32_e64 s[6:7], 63, v2
	v_cndmask_b32_e64 v45, 0, v28, s[6:7]
	v_add_u32_e32 v2, v45, v2
	v_cmp_lt_u32_e64 s[8:9], 31, v2
	v_cndmask_b32_e64 v45, 0, v29, s[8:9]
	;; [unrolled: 3-line block ×3, first 2 shown]
	v_add_u32_e32 v45, v45, v2
	v_and_b32_e32 v2, 0x7fffff, v44
	v_or_b32_e32 v58, 0x800000, v2
	v_mad_u64_u32 v[46:47], s[12:13], v58, s28, 0
	v_mov_b32_e32 v2, v47
	v_mad_u64_u32 v[48:49], s[12:13], v58, s29, v[2:3]
	v_mov_b32_e32 v2, v49
	;; [unrolled: 2-line block ×6, first 2 shown]
	v_mad_u64_u32 v[58:59], s[12:13], v58, s35, v[2:3]
	v_cndmask_b32_e64 v47, v56, v52, s[6:7]
	v_cndmask_b32_e64 v2, v58, v54, s[6:7]
	;; [unrolled: 1-line block ×7, first 2 shown]
	v_sub_u32_e32 v53, 32, v45
	v_cmp_eq_u32_e64 s[12:13], 0, v45
	v_cndmask_b32_e64 v45, v52, v48, s[6:7]
	v_cndmask_b32_e64 v2, v2, v49, s[10:11]
	;; [unrolled: 1-line block ×4, first 2 shown]
	v_alignbit_b32 v54, v2, v49, v53
	v_cndmask_b32_e64 v47, v47, v48, s[10:11]
	v_cndmask_b32_e64 v2, v54, v2, s[12:13]
	v_alignbit_b32 v51, v49, v47, v53
	v_cndmask_b32_e64 v49, v51, v49, s[12:13]
	v_bfe_u32 v54, v2, 29, 1
	v_cndmask_b32_e64 v46, v50, v46, s[6:7]
	v_alignbit_b32 v51, v2, v49, 30
	v_sub_u32_e32 v55, 0, v54
	v_cndmask_b32_e64 v45, v45, v46, s[8:9]
	v_xor_b32_e32 v56, v51, v55
	v_cndmask_b32_e64 v45, v48, v45, s[10:11]
	v_alignbit_b32 v46, v47, v45, v53
	v_ffbh_u32_e32 v48, v56
	v_cndmask_b32_e64 v46, v46, v47, s[12:13]
	v_add_u32_e32 v48, 1, v48
	v_cmp_ne_u32_e64 s[6:7], v51, v55
	v_alignbit_b32 v47, v49, v46, 30
	v_cndmask_b32_e64 v48, 33, v48, s[6:7]
	v_alignbit_b32 v45, v46, v45, 30
	v_xor_b32_e32 v47, v47, v55
	v_sub_u32_e32 v49, 32, v48
	v_xor_b32_e32 v45, v45, v55
	v_alignbit_b32 v50, v56, v47, v49
	v_alignbit_b32 v45, v47, v45, v49
	v_alignbit_b32 v46, v50, v45, 9
	v_ffbh_u32_e32 v47, v46
	v_min_u32_e32 v47, 32, v47
	v_lshrrev_b32_e32 v52, 29, v2
	v_sub_u32_e32 v49, 31, v47
	v_alignbit_b32 v45, v46, v45, v49
	v_lshlrev_b32_e32 v46, 31, v52
	v_or_b32_e32 v49, 0x33800000, v46
	v_add_lshl_u32 v47, v47, v48, 23
	v_lshrrev_b32_e32 v45, 9, v45
	v_sub_u32_e32 v47, v49, v47
	v_or_b32_e32 v45, v47, v45
	v_alignbit_b32 v47, v48, v50, 9
	v_or_b32_e32 v46, v47, v46
	v_xor_b32_e32 v46, 1.0, v46
	v_mul_f32_e32 v47, 0x3fc90fda, v46
	v_fma_f32 v48, v46, s36, -v47
	v_fmac_f32_e32 v48, 0x33a22168, v46
	v_fmac_f32_e32 v48, 0x3fc90fda, v45
	v_lshrrev_b32_e32 v2, 30, v2
	v_add_f32_e32 v45, v47, v48
	v_add_u32_e32 v2, v54, v2
	s_andn2_saveexec_b64 s[6:7], s[22:23]
	s_cbranch_execz .LBB105_47
.LBB105_52:                             ;   in Loop: Header=BB105_25 Depth=1
	v_mul_f32_e64 v2, |v31|, s37
	v_rndne_f32_e32 v46, v2
	v_cvt_i32_f32_e32 v2, v46
	v_fma_f32 v45, v46, s38, |v31|
	v_fmac_f32_e32 v45, 0xb3a22168, v46
	v_fmac_f32_e32 v45, 0xa7c234c4, v46
	s_or_b64 exec, exec, s[6:7]
	s_and_saveexec_b64 s[6:7], s[4:5]
	s_xor_b64 s[6:7], exec, s[6:7]
	s_cbranch_execz .LBB105_48
.LBB105_53:                             ;   in Loop: Header=BB105_25 Depth=1
	v_mul_f32_e32 v46, v37, v37
	v_mov_b32_e32 v47, 0x3c0881c4
	v_fmac_f32_e32 v47, 0xb94c1982, v46
	v_fma_f32 v47, v46, v47, v25
	v_mul_f32_e32 v47, v46, v47
	v_fmac_f32_e32 v37, v37, v47
	v_mov_b32_e32 v47, 0xbab64f3b
	v_fmac_f32_e32 v47, 0x37d75334, v46
	v_fma_f32 v47, v46, v47, v26
	v_fma_f32 v47, v46, v47, v27
	v_fma_f32 v46, v46, v47, 1.0
	v_and_b32_e32 v47, 1, v36
	v_lshlrev_b32_e32 v36, 30, v36
	v_cmp_eq_u32_e64 s[4:5], 0, v47
	v_and_b32_e32 v36, 0x80000000, v36
	v_xor_b32_e32 v35, v35, v34
	v_cndmask_b32_e64 v37, v46, v37, s[4:5]
	v_xor_b32_e32 v35, v35, v36
	v_xor_b32_e32 v35, v35, v37
	v_cmp_class_f32_e64 s[4:5], v34, s39
	v_cndmask_b32_e64 v36, v30, v35, s[4:5]
	v_mov_b32_e32 v35, s15
	v_add_co_u32_e64 v34, s[4:5], s14, v6
	v_addc_co_u32_e64 v35, s[4:5], v5, v35, s[4:5]
	global_store_dword v[34:35], v36, off
	s_or_b64 exec, exec, s[6:7]
	s_and_saveexec_b64 s[4:5], s[2:3]
	s_cbranch_execz .LBB105_49
.LBB105_54:                             ;   in Loop: Header=BB105_25 Depth=1
	v_mul_f32_e32 v34, v40, v40
	v_mov_b32_e32 v35, 0x3c0881c4
	v_fmac_f32_e32 v35, 0xb94c1982, v34
	v_fma_f32 v35, v34, v35, v25
	v_mul_f32_e32 v35, v34, v35
	v_fmac_f32_e32 v40, v40, v35
	v_mov_b32_e32 v35, 0xbab64f3b
	v_fmac_f32_e32 v35, 0x37d75334, v34
	v_fma_f32 v35, v34, v35, v26
	v_fma_f32 v35, v34, v35, v27
	v_fma_f32 v34, v34, v35, 1.0
	v_and_b32_e32 v35, 1, v39
	v_cmp_eq_u32_e64 s[2:3], 0, v35
	v_lshlrev_b32_e32 v35, 30, v39
	v_and_b32_e32 v35, 0x80000000, v35
	v_xor_b32_e32 v36, v38, v33
	v_cndmask_b32_e64 v34, v34, v40, s[2:3]
	v_xor_b32_e32 v35, v36, v35
	v_xor_b32_e32 v34, v35, v34
	v_cmp_class_f32_e64 s[2:3], v33, s39
	v_cndmask_b32_e64 v33, v30, v34, s[2:3]
	v_mov_b32_e32 v35, s15
	v_add_co_u32_e64 v34, s[2:3], s14, v18
	v_addc_co_u32_e64 v35, s[2:3], v17, v35, s[2:3]
	global_store_dword v[34:35], v33, off
	s_or_b64 exec, exec, s[4:5]
	s_and_saveexec_b64 s[2:3], s[0:1]
	s_cbranch_execz .LBB105_50
.LBB105_55:                             ;   in Loop: Header=BB105_25 Depth=1
	v_mul_f32_e32 v33, v43, v43
	v_mov_b32_e32 v34, 0x3c0881c4
	v_fmac_f32_e32 v34, 0xb94c1982, v33
	v_fma_f32 v34, v33, v34, v25
	v_mul_f32_e32 v34, v33, v34
	v_fmac_f32_e32 v43, v43, v34
	v_mov_b32_e32 v34, 0xbab64f3b
	v_fmac_f32_e32 v34, 0x37d75334, v33
	v_fma_f32 v34, v33, v34, v26
	v_fma_f32 v34, v33, v34, v27
	v_fma_f32 v33, v33, v34, 1.0
	v_and_b32_e32 v34, 1, v42
	v_cmp_eq_u32_e64 s[0:1], 0, v34
	v_lshlrev_b32_e32 v34, 30, v42
	v_and_b32_e32 v34, 0x80000000, v34
	v_xor_b32_e32 v35, v41, v32
	v_cndmask_b32_e64 v33, v33, v43, s[0:1]
	v_xor_b32_e32 v34, v35, v34
	v_xor_b32_e32 v33, v34, v33
	v_cmp_class_f32_e64 s[0:1], v32, s39
	v_cndmask_b32_e64 v34, v30, v33, s[0:1]
	v_mov_b32_e32 v33, s15
	v_add_co_u32_e64 v32, s[0:1], s14, v14
	v_addc_co_u32_e64 v33, s[0:1], v13, v33, s[0:1]
	global_store_dword v[32:33], v34, off
	s_or_b64 exec, exec, s[2:3]
	s_and_saveexec_b64 s[0:1], vcc
	s_cbranch_execz .LBB105_24
.LBB105_56:                             ;   in Loop: Header=BB105_25 Depth=1
	v_mul_f32_e32 v32, v45, v45
	v_mov_b32_e32 v33, 0x3c0881c4
	v_fmac_f32_e32 v33, 0xb94c1982, v32
	v_fma_f32 v33, v32, v33, v25
	v_mul_f32_e32 v33, v32, v33
	v_fmac_f32_e32 v45, v45, v33
	v_mov_b32_e32 v33, 0xbab64f3b
	v_fmac_f32_e32 v33, 0x37d75334, v32
	v_fma_f32 v33, v32, v33, v26
	v_fma_f32 v33, v32, v33, v27
	v_fma_f32 v32, v32, v33, 1.0
	v_and_b32_e32 v33, 1, v2
	v_lshlrev_b32_e32 v2, 30, v2
	v_cmp_eq_u32_e32 vcc, 0, v33
	v_and_b32_e32 v2, 0x80000000, v2
	v_xor_b32_e32 v33, v44, v31
	v_cndmask_b32_e32 v32, v32, v45, vcc
	v_xor_b32_e32 v2, v33, v2
	v_xor_b32_e32 v2, v2, v32
	v_cmp_class_f32_e64 vcc, v31, s39
	v_cndmask_b32_e32 v2, v30, v2, vcc
	v_mov_b32_e32 v31, s15
	v_add_co_u32_e32 v32, vcc, s14, v10
	v_addc_co_u32_e32 v33, vcc, v9, v31, vcc
	global_store_dword v[32:33], v2, off
	s_branch .LBB105_24
.LBB105_57:
	s_endpgm
	.section	.rodata,"a",@progbits
	.p2align	6, 0x0
	.amdhsa_kernel _ZN2at6native12_GLOBAL__N_125multi_tensor_apply_kernelINS1_18TensorListMetadataILi2EEENS1_14UnaryOpFunctorIfLi2ELi1ELi1EEEJNS0_3SinIfEEEEEvT_T0_DpT1_
		.amdhsa_group_segment_fixed_size 0
		.amdhsa_private_segment_fixed_size 0
		.amdhsa_kernarg_size 3408
		.amdhsa_user_sgpr_count 6
		.amdhsa_user_sgpr_private_segment_buffer 1
		.amdhsa_user_sgpr_dispatch_ptr 0
		.amdhsa_user_sgpr_queue_ptr 0
		.amdhsa_user_sgpr_kernarg_segment_ptr 1
		.amdhsa_user_sgpr_dispatch_id 0
		.amdhsa_user_sgpr_flat_scratch_init 0
		.amdhsa_user_sgpr_kernarg_preload_length 0
		.amdhsa_user_sgpr_kernarg_preload_offset 0
		.amdhsa_user_sgpr_private_segment_size 0
		.amdhsa_uses_dynamic_stack 0
		.amdhsa_system_sgpr_private_segment_wavefront_offset 0
		.amdhsa_system_sgpr_workgroup_id_x 1
		.amdhsa_system_sgpr_workgroup_id_y 0
		.amdhsa_system_sgpr_workgroup_id_z 0
		.amdhsa_system_sgpr_workgroup_info 0
		.amdhsa_system_vgpr_workitem_id 0
		.amdhsa_next_free_vgpr 60
		.amdhsa_next_free_sgpr 44
		.amdhsa_accum_offset 60
		.amdhsa_reserve_vcc 1
		.amdhsa_reserve_flat_scratch 0
		.amdhsa_float_round_mode_32 0
		.amdhsa_float_round_mode_16_64 0
		.amdhsa_float_denorm_mode_32 3
		.amdhsa_float_denorm_mode_16_64 3
		.amdhsa_dx10_clamp 1
		.amdhsa_ieee_mode 1
		.amdhsa_fp16_overflow 0
		.amdhsa_tg_split 0
		.amdhsa_exception_fp_ieee_invalid_op 0
		.amdhsa_exception_fp_denorm_src 0
		.amdhsa_exception_fp_ieee_div_zero 0
		.amdhsa_exception_fp_ieee_overflow 0
		.amdhsa_exception_fp_ieee_underflow 0
		.amdhsa_exception_fp_ieee_inexact 0
		.amdhsa_exception_int_div_zero 0
	.end_amdhsa_kernel
	.section	.text._ZN2at6native12_GLOBAL__N_125multi_tensor_apply_kernelINS1_18TensorListMetadataILi2EEENS1_14UnaryOpFunctorIfLi2ELi1ELi1EEEJNS0_3SinIfEEEEEvT_T0_DpT1_,"axG",@progbits,_ZN2at6native12_GLOBAL__N_125multi_tensor_apply_kernelINS1_18TensorListMetadataILi2EEENS1_14UnaryOpFunctorIfLi2ELi1ELi1EEEJNS0_3SinIfEEEEEvT_T0_DpT1_,comdat
.Lfunc_end105:
	.size	_ZN2at6native12_GLOBAL__N_125multi_tensor_apply_kernelINS1_18TensorListMetadataILi2EEENS1_14UnaryOpFunctorIfLi2ELi1ELi1EEEJNS0_3SinIfEEEEEvT_T0_DpT1_, .Lfunc_end105-_ZN2at6native12_GLOBAL__N_125multi_tensor_apply_kernelINS1_18TensorListMetadataILi2EEENS1_14UnaryOpFunctorIfLi2ELi1ELi1EEEJNS0_3SinIfEEEEEvT_T0_DpT1_
                                        ; -- End function
	.section	.AMDGPU.csdata,"",@progbits
; Kernel info:
; codeLenInByte = 7448
; NumSgprs: 48
; NumVgprs: 60
; NumAgprs: 0
; TotalNumVgprs: 60
; ScratchSize: 0
; MemoryBound: 0
; FloatMode: 240
; IeeeMode: 1
; LDSByteSize: 0 bytes/workgroup (compile time only)
; SGPRBlocks: 5
; VGPRBlocks: 7
; NumSGPRsForWavesPerEU: 48
; NumVGPRsForWavesPerEU: 60
; AccumOffset: 60
; Occupancy: 8
; WaveLimiterHint : 0
; COMPUTE_PGM_RSRC2:SCRATCH_EN: 0
; COMPUTE_PGM_RSRC2:USER_SGPR: 6
; COMPUTE_PGM_RSRC2:TRAP_HANDLER: 0
; COMPUTE_PGM_RSRC2:TGID_X_EN: 1
; COMPUTE_PGM_RSRC2:TGID_Y_EN: 0
; COMPUTE_PGM_RSRC2:TGID_Z_EN: 0
; COMPUTE_PGM_RSRC2:TIDIG_COMP_CNT: 0
; COMPUTE_PGM_RSRC3_GFX90A:ACCUM_OFFSET: 14
; COMPUTE_PGM_RSRC3_GFX90A:TG_SPLIT: 0
	.text
	.p2align	2                               ; -- Begin function _ZN6thrust23THRUST_200600_302600_NS6detail7complex5csinhERKNS0_7complexIdEE
	.type	_ZN6thrust23THRUST_200600_302600_NS6detail7complex5csinhERKNS0_7complexIdEE,@function
_ZN6thrust23THRUST_200600_302600_NS6detail7complex5csinhERKNS0_7complexIdEE: ; @_ZN6thrust23THRUST_200600_302600_NS6detail7complex5csinhERKNS0_7complexIdEE
; %bb.0:
	s_waitcnt vmcnt(0) expcnt(0) lgkmcnt(0)
	s_xor_saveexec_b64 s[4:5], -1
	buffer_store_dword v37, off, s[0:3], s32 ; 4-byte Folded Spill
	s_mov_b64 exec, s[4:5]
	v_writelane_b32 v37, s34, 0
	v_writelane_b32 v37, s35, 1
	;; [unrolled: 1-line block ×8, first 2 shown]
	v_and_b32_e32 v8, 0x7fffffff, v1
	v_and_b32_e32 v9, 0x7fffffff, v3
	s_mov_b32 s6, 0x7ff00000
	v_max_u32_e32 v4, v8, v9
	s_mov_b32 s7, 0x7fefffff
	v_cmp_gt_u32_e64 s[4:5], s6, v8
	v_cmp_lt_u32_e32 vcc, s7, v4
                                        ; implicit-def: $vgpr6_vgpr7
                                        ; implicit-def: $vgpr4_vgpr5
	s_and_saveexec_b64 s[8:9], vcc
	s_xor_b64 s[12:13], exec, s[8:9]
	s_cbranch_execz .LBB106_32
; %bb.1:
	v_or_b32_e32 v4, v8, v0
	v_cmp_gt_u32_e32 vcc, s6, v9
	v_cmp_lt_u32_e64 s[6:7], s7, v9
	v_cmp_ne_u32_e64 s[8:9], 0, v4
	s_xor_b64 s[10:11], s[6:7], -1
	s_or_b64 s[8:9], s[8:9], s[10:11]
                                        ; implicit-def: $vgpr6_vgpr7
                                        ; implicit-def: $vgpr4_vgpr5
	s_and_saveexec_b64 s[10:11], s[8:9]
	s_xor_b64 s[14:15], exec, s[10:11]
	s_cbranch_execz .LBB106_29
; %bb.2:
	v_or_b32_e32 v4, v9, v2
	s_mov_b32 s16, 0x7ff00000
	v_cmp_ne_u32_e64 s[10:11], 0, v4
	s_mov_b32 s8, 0x7fefffff
	v_cmp_gt_u32_e64 s[16:17], s16, v8
	v_cmp_lt_u32_e64 s[8:9], s8, v8
	s_or_b64 s[10:11], s[16:17], s[10:11]
                                        ; implicit-def: $vgpr6_vgpr7
                                        ; implicit-def: $vgpr4_vgpr5
	s_and_saveexec_b64 s[18:19], s[10:11]
	s_xor_b64 s[10:11], exec, s[18:19]
	s_cbranch_execz .LBB106_26
; %bb.3:
	s_and_b64 s[4:5], s[4:5], s[6:7]
	s_xor_b64 s[4:5], s[4:5], -1
                                        ; implicit-def: $vgpr6_vgpr7
                                        ; implicit-def: $vgpr4_vgpr5
	s_and_saveexec_b64 s[6:7], s[4:5]
	s_xor_b64 s[6:7], exec, s[6:7]
	s_cbranch_execz .LBB106_23
; %bb.4:
	s_mov_b64 s[18:19], 0
	s_and_saveexec_b64 s[20:21], s[8:9]
; %bb.5:
	s_mov_b32 s4, 0xfffff
	v_and_or_b32 v4, v1, s4, v0
	v_cmp_ne_u32_e64 s[4:5], 0, v4
	s_andn2_b64 s[8:9], s[16:17], exec
	s_and_b64 s[4:5], s[4:5], exec
	s_mov_b64 s[18:19], exec
	s_or_b64 s[16:17], s[8:9], s[4:5]
; %bb.6:
	s_or_b64 exec, exec, s[20:21]
                                        ; implicit-def: $vgpr6_vgpr7
                                        ; implicit-def: $vgpr4_vgpr5
	s_and_saveexec_b64 s[4:5], s[16:17]
	s_xor_b64 s[4:5], exec, s[4:5]
	s_cbranch_execz .LBB106_8
; %bb.7:
	v_mul_f64 v[4:5], v[0:1], v[0:1]
	v_add_f64 v[6:7], v[2:3], -v[2:3]
	v_add_f64 v[8:9], v[0:1], v[0:1]
	v_mul_f64 v[4:5], v[4:5], v[6:7]
	v_mul_f64 v[6:7], v[8:9], v[6:7]
	s_andn2_b64 s[18:19], s[18:19], exec
	s_or_b64 exec, exec, s[4:5]
	s_and_saveexec_b64 s[8:9], s[18:19]
	s_cbranch_execz .LBB106_22
	s_branch .LBB106_9
.LBB106_8:
	s_or_b64 exec, exec, s[4:5]
	s_and_saveexec_b64 s[8:9], s[18:19]
	s_cbranch_execz .LBB106_22
.LBB106_9:
                                        ; implicit-def: $vgpr6_vgpr7
                                        ; implicit-def: $vgpr4_vgpr5
	s_and_saveexec_b64 s[4:5], vcc
	s_xor_b64 s[16:17], exec, s[4:5]
	s_cbranch_execz .LBB106_19
; %bb.10:
	s_mov_b32 s4, 0
	s_mov_b32 s5, 0x41d00000
	v_cmp_nlt_f64_e64 s[18:19], |v[2:3]|, s[4:5]
                                        ; implicit-def: $vgpr12
                                        ; implicit-def: $vgpr4_vgpr5
                                        ; implicit-def: $vgpr6_vgpr7
	s_and_saveexec_b64 s[4:5], s[18:19]
	s_xor_b64 s[20:21], exec, s[4:5]
	s_cbranch_execz .LBB106_12
; %bb.11:
	s_mov_b32 s4, 0
	s_mov_b32 s5, 0x7b000000
	s_movk_i32 s22, 0xff80
	v_and_b32_e32 v10, 0x7fffffff, v3
	v_ldexp_f64 v[8:9], |v[2:3]|, s22
	v_cmp_ge_f64_e64 vcc, |v[2:3]|, s[4:5]
	v_trig_preop_f64 v[4:5], |v[2:3]|, 0
	v_cndmask_b32_e32 v9, v10, v9, vcc
	v_cndmask_b32_e32 v8, v2, v8, vcc
	v_trig_preop_f64 v[6:7], |v[2:3]|, 1
	v_mul_f64 v[12:13], v[4:5], v[8:9]
	v_mul_f64 v[10:11], v[6:7], v[8:9]
	v_fma_f64 v[4:5], v[4:5], v[8:9], -v[12:13]
	v_add_f64 v[14:15], v[10:11], v[4:5]
	v_add_f64 v[16:17], v[12:13], v[14:15]
	s_mov_b32 s4, 0
	v_ldexp_f64 v[18:19], v[16:17], -2
	s_mov_b32 s5, 0x7ff00000
	v_fract_f64_e32 v[20:21], v[18:19]
	v_cmp_neq_f64_e64 vcc, |v[18:19]|, s[4:5]
	v_cndmask_b32_e32 v19, 0, v21, vcc
	v_cndmask_b32_e32 v18, 0, v20, vcc
	v_add_f64 v[20:21], v[14:15], -v[10:11]
	v_add_f64 v[4:5], v[4:5], -v[20:21]
	;; [unrolled: 1-line block ×4, first 2 shown]
	v_fma_f64 v[6:7], v[6:7], v[8:9], -v[10:11]
	v_trig_preop_f64 v[10:11], |v[2:3]|, 2
	v_add_f64 v[4:5], v[4:5], v[20:21]
	v_mul_f64 v[20:21], v[10:11], v[8:9]
	v_add_f64 v[24:25], v[20:21], v[6:7]
	v_add_f64 v[26:27], v[24:25], v[4:5]
	v_add_f64 v[12:13], v[16:17], -v[12:13]
	v_add_f64 v[16:17], v[26:27], -v[24:25]
	;; [unrolled: 1-line block ×5, first 2 shown]
	v_add_f64 v[4:5], v[4:5], v[16:17]
	v_add_f64 v[16:17], v[24:25], -v[20:21]
	v_add_f64 v[6:7], v[6:7], -v[16:17]
	;; [unrolled: 1-line block ×4, first 2 shown]
	v_add_f64 v[6:7], v[6:7], v[16:17]
	v_add_f64 v[12:13], v[14:15], -v[12:13]
	v_add_f64 v[4:5], v[6:7], v[4:5]
	v_fma_f64 v[6:7], v[10:11], v[8:9], -v[20:21]
	v_add_f64 v[14:15], v[12:13], v[26:27]
	v_add_f64 v[4:5], v[6:7], v[4:5]
	v_ldexp_f64 v[6:7], v[18:19], 2
	v_add_f64 v[8:9], v[14:15], v[6:7]
	v_mov_b32_e32 v10, 0x40100000
	v_cmp_gt_f64_e32 vcc, 0, v[8:9]
	v_mov_b32_e32 v22, 0
	v_cndmask_b32_e32 v23, 0, v10, vcc
	v_add_f64 v[6:7], v[6:7], v[22:23]
	v_add_f64 v[8:9], v[14:15], v[6:7]
	v_cvt_i32_f64_e32 v10, v[8:9]
	v_cvt_f64_i32_e32 v[8:9], v10
	v_add_f64 v[6:7], v[6:7], -v[8:9]
	v_add_f64 v[12:13], v[14:15], -v[12:13]
	v_add_f64 v[8:9], v[14:15], v[6:7]
	v_add_f64 v[12:13], v[26:27], -v[12:13]
	v_add_f64 v[6:7], v[8:9], -v[6:7]
	v_add_f64 v[4:5], v[12:13], v[4:5]
	v_add_f64 v[6:7], v[14:15], -v[6:7]
	v_add_f64 v[4:5], v[4:5], v[6:7]
	v_cmp_le_f64_e32 vcc, 0.5, v[8:9]
	v_mov_b32_e32 v6, 0x3ff00000
	v_cndmask_b32_e32 v23, 0, v6, vcc
	v_addc_co_u32_e64 v12, s[4:5], 0, v10, vcc
	v_add_f64 v[6:7], v[8:9], -v[22:23]
	v_add_f64 v[8:9], v[6:7], v[4:5]
	s_mov_b32 s4, 0x54442d18
	v_add_f64 v[6:7], v[8:9], -v[6:7]
	s_mov_b32 s5, 0x3ff921fb
	v_add_f64 v[4:5], v[4:5], -v[6:7]
	v_mul_f64 v[6:7], v[8:9], s[4:5]
	s_mov_b32 s22, 0x33145c07
	v_fma_f64 v[10:11], v[8:9], s[4:5], -v[6:7]
	s_mov_b32 s23, 0x3c91a626
	v_fmac_f64_e32 v[10:11], s[22:23], v[8:9]
	v_fmac_f64_e32 v[10:11], s[4:5], v[4:5]
	v_add_f64 v[4:5], v[6:7], v[10:11]
	v_add_f64 v[6:7], v[4:5], -v[6:7]
	v_add_f64 v[6:7], v[10:11], -v[6:7]
	s_andn2_saveexec_b64 s[4:5], s[20:21]
	s_cbranch_execz .LBB106_14
	s_branch .LBB106_13
.LBB106_12:
	s_andn2_saveexec_b64 s[4:5], s[20:21]
	s_cbranch_execz .LBB106_14
.LBB106_13:
	s_mov_b32 s20, 0x6dc9c883
	s_mov_b32 s21, 0x3fe45f30
	v_mul_f64 v[4:5], |v[2:3]|, s[20:21]
	s_mov_b32 s20, 0x54442d18
	v_rndne_f64_e32 v[8:9], v[4:5]
	s_mov_b32 s21, 0xbff921fb
	v_fma_f64 v[4:5], v[8:9], s[20:21], |v[2:3]|
	s_mov_b32 s21, 0xbc91a626
	s_mov_b32 s20, 0x33145c00
	v_mul_f64 v[10:11], v[8:9], s[20:21]
	v_add_f64 v[14:15], v[4:5], v[10:11]
	v_fma_f64 v[6:7], s[20:21], v[8:9], v[4:5]
	s_mov_b32 s21, 0x3c91a626
	v_add_f64 v[4:5], v[4:5], -v[14:15]
	v_fma_f64 v[12:13], s[20:21], v[8:9], v[10:11]
	v_add_f64 v[4:5], v[4:5], v[10:11]
	v_add_f64 v[10:11], v[14:15], -v[6:7]
	v_add_f64 v[4:5], v[10:11], v[4:5]
	s_mov_b32 s20, 0x252049c0
	v_add_f64 v[10:11], v[4:5], -v[12:13]
	s_mov_b32 s21, 0xb97b839a
	v_fmac_f64_e32 v[10:11], s[20:21], v[8:9]
	v_add_f64 v[4:5], v[6:7], v[10:11]
	v_add_f64 v[6:7], v[4:5], -v[6:7]
	v_add_f64 v[6:7], v[10:11], -v[6:7]
	v_cvt_i32_f64_e32 v12, v[8:9]
.LBB106_14:
	s_or_b64 exec, exec, s[4:5]
                                        ; implicit-def: $vgpr13
                                        ; implicit-def: $vgpr8_vgpr9
                                        ; implicit-def: $vgpr10_vgpr11
	s_and_saveexec_b64 s[4:5], s[18:19]
	s_xor_b64 s[18:19], exec, s[4:5]
	s_cbranch_execz .LBB106_16
; %bb.15:
	s_mov_b32 s4, 0
	s_mov_b32 s5, 0x7b000000
	s_movk_i32 s20, 0xff80
	v_and_b32_e32 v13, 0x7fffffff, v3
	v_ldexp_f64 v[14:15], |v[2:3]|, s20
	v_cmp_ge_f64_e64 vcc, |v[2:3]|, s[4:5]
	v_trig_preop_f64 v[8:9], |v[2:3]|, 0
	v_cndmask_b32_e32 v15, v13, v15, vcc
	v_cndmask_b32_e32 v14, v2, v14, vcc
	v_trig_preop_f64 v[10:11], |v[2:3]|, 1
	v_mul_f64 v[18:19], v[8:9], v[14:15]
	v_mul_f64 v[16:17], v[10:11], v[14:15]
	v_fma_f64 v[8:9], v[8:9], v[14:15], -v[18:19]
	v_add_f64 v[20:21], v[16:17], v[8:9]
	v_add_f64 v[22:23], v[18:19], v[20:21]
	s_mov_b32 s4, 0
	v_ldexp_f64 v[24:25], v[22:23], -2
	s_mov_b32 s5, 0x7ff00000
	v_fract_f64_e32 v[26:27], v[24:25]
	v_cmp_neq_f64_e64 vcc, |v[24:25]|, s[4:5]
	v_cndmask_b32_e32 v25, 0, v27, vcc
	v_cndmask_b32_e32 v24, 0, v26, vcc
	v_add_f64 v[26:27], v[20:21], -v[16:17]
	v_add_f64 v[8:9], v[8:9], -v[26:27]
	;; [unrolled: 1-line block ×4, first 2 shown]
	v_fma_f64 v[10:11], v[10:11], v[14:15], -v[16:17]
	v_trig_preop_f64 v[16:17], |v[2:3]|, 2
	v_add_f64 v[8:9], v[8:9], v[26:27]
	v_mul_f64 v[26:27], v[16:17], v[14:15]
	v_add_f64 v[30:31], v[26:27], v[10:11]
	v_add_f64 v[32:33], v[30:31], v[8:9]
	v_add_f64 v[18:19], v[22:23], -v[18:19]
	v_add_f64 v[22:23], v[32:33], -v[30:31]
	;; [unrolled: 1-line block ×5, first 2 shown]
	v_add_f64 v[8:9], v[8:9], v[22:23]
	v_add_f64 v[22:23], v[30:31], -v[26:27]
	v_add_f64 v[10:11], v[10:11], -v[22:23]
	;; [unrolled: 1-line block ×4, first 2 shown]
	v_add_f64 v[10:11], v[10:11], v[22:23]
	v_add_f64 v[18:19], v[20:21], -v[18:19]
	v_add_f64 v[8:9], v[10:11], v[8:9]
	v_fma_f64 v[10:11], v[16:17], v[14:15], -v[26:27]
	v_add_f64 v[20:21], v[18:19], v[32:33]
	v_add_f64 v[8:9], v[10:11], v[8:9]
	v_ldexp_f64 v[10:11], v[24:25], 2
	v_add_f64 v[14:15], v[20:21], v[10:11]
	v_mov_b32_e32 v13, 0x40100000
	v_cmp_gt_f64_e32 vcc, 0, v[14:15]
	v_mov_b32_e32 v28, 0
	v_cndmask_b32_e32 v29, 0, v13, vcc
	v_add_f64 v[10:11], v[10:11], v[28:29]
	v_add_f64 v[14:15], v[20:21], v[10:11]
	v_cvt_i32_f64_e32 v13, v[14:15]
	v_cvt_f64_i32_e32 v[14:15], v13
	v_add_f64 v[10:11], v[10:11], -v[14:15]
	v_add_f64 v[18:19], v[20:21], -v[18:19]
	v_add_f64 v[14:15], v[20:21], v[10:11]
	v_add_f64 v[18:19], v[32:33], -v[18:19]
	v_add_f64 v[10:11], v[14:15], -v[10:11]
	v_add_f64 v[8:9], v[18:19], v[8:9]
	v_add_f64 v[10:11], v[20:21], -v[10:11]
	v_add_f64 v[8:9], v[8:9], v[10:11]
	v_cmp_le_f64_e32 vcc, 0.5, v[14:15]
	v_mov_b32_e32 v10, 0x3ff00000
	v_cndmask_b32_e32 v29, 0, v10, vcc
	v_addc_co_u32_e64 v13, s[4:5], 0, v13, vcc
	v_add_f64 v[10:11], v[14:15], -v[28:29]
	v_add_f64 v[14:15], v[10:11], v[8:9]
	s_mov_b32 s4, 0x54442d18
	v_add_f64 v[10:11], v[14:15], -v[10:11]
	s_mov_b32 s5, 0x3ff921fb
	v_add_f64 v[8:9], v[8:9], -v[10:11]
	v_mul_f64 v[10:11], v[14:15], s[4:5]
	s_mov_b32 s20, 0x33145c07
	v_fma_f64 v[16:17], v[14:15], s[4:5], -v[10:11]
	s_mov_b32 s21, 0x3c91a626
	v_fmac_f64_e32 v[16:17], s[20:21], v[14:15]
	v_fmac_f64_e32 v[16:17], s[4:5], v[8:9]
	v_add_f64 v[8:9], v[10:11], v[16:17]
	v_add_f64 v[10:11], v[8:9], -v[10:11]
	v_add_f64 v[10:11], v[16:17], -v[10:11]
	s_andn2_saveexec_b64 s[4:5], s[18:19]
	s_cbranch_execnz .LBB106_17
	s_branch .LBB106_18
.LBB106_16:
	s_andn2_saveexec_b64 s[4:5], s[18:19]
	s_cbranch_execz .LBB106_18
.LBB106_17:
	s_mov_b32 s18, 0x6dc9c883
	s_mov_b32 s19, 0x3fe45f30
	v_mul_f64 v[8:9], |v[2:3]|, s[18:19]
	s_mov_b32 s18, 0x54442d18
	v_rndne_f64_e32 v[14:15], v[8:9]
	s_mov_b32 s19, 0xbff921fb
	v_fma_f64 v[8:9], v[14:15], s[18:19], |v[2:3]|
	s_mov_b32 s19, 0xbc91a626
	s_mov_b32 s18, 0x33145c00
	v_mul_f64 v[16:17], v[14:15], s[18:19]
	v_add_f64 v[20:21], v[8:9], v[16:17]
	v_fma_f64 v[10:11], s[18:19], v[14:15], v[8:9]
	s_mov_b32 s19, 0x3c91a626
	v_add_f64 v[8:9], v[8:9], -v[20:21]
	v_fma_f64 v[18:19], s[18:19], v[14:15], v[16:17]
	v_add_f64 v[8:9], v[8:9], v[16:17]
	v_add_f64 v[16:17], v[20:21], -v[10:11]
	v_add_f64 v[8:9], v[16:17], v[8:9]
	s_mov_b32 s18, 0x252049c0
	v_add_f64 v[16:17], v[8:9], -v[18:19]
	s_mov_b32 s19, 0xb97b839a
	v_fmac_f64_e32 v[16:17], s[18:19], v[14:15]
	v_add_f64 v[8:9], v[10:11], v[16:17]
	v_add_f64 v[10:11], v[8:9], -v[10:11]
	v_add_f64 v[10:11], v[16:17], -v[10:11]
	v_cvt_i32_f64_e32 v13, v[14:15]
.LBB106_18:
	s_or_b64 exec, exec, s[4:5]
	s_mov_b32 s18, 0x9037ab78
	s_mov_b32 s19, 0x3e21eeb6
	;; [unrolled: 1-line block ×3, first 2 shown]
	v_mul_f64 v[14:15], v[4:5], v[4:5]
	s_mov_b32 s5, 0xbda907db
	v_pk_mov_b32 v[22:23], s[18:19], s[18:19] op_sel:[0,1]
	s_mov_b32 s18, 0xa17f65f6
	v_mul_f64 v[16:17], v[14:15], 0.5
	v_fma_f64 v[24:25], s[4:5], v[14:15], v[22:23]
	s_mov_b32 s19, 0xbe927e4f
	s_mov_b32 s20, 0x19f4ec90
	v_add_f64 v[18:19], -v[16:17], 1.0
	v_fma_f64 v[24:25], v[14:15], v[24:25], s[18:19]
	s_mov_b32 s21, 0x3efa01a0
	s_mov_b32 s22, 0x16c16967
	v_add_f64 v[20:21], -v[18:19], 1.0
	v_fma_f64 v[24:25], v[14:15], v[24:25], s[20:21]
	s_mov_b32 s23, 0xbf56c16c
	s_mov_b32 s24, 0x55555555
	v_add_f64 v[16:17], v[20:21], -v[16:17]
	v_fma_f64 v[24:25], v[14:15], v[24:25], s[22:23]
	s_mov_b32 s25, 0x3fa55555
	v_mul_f64 v[20:21], v[14:15], v[14:15]
	v_fma_f64 v[24:25], v[14:15], v[24:25], s[24:25]
	v_fma_f64 v[16:17], v[4:5], -v[6:7], v[16:17]
	s_mov_b32 s26, 0xb42fdfa7
	v_fmac_f64_e32 v[16:17], v[20:21], v[24:25]
	s_mov_b32 s27, 0xbe5ae600
	s_mov_b32 s28, 0xf9a43bb8
	v_add_f64 v[16:17], v[18:19], v[16:17]
	s_mov_b32 s29, 0x3de5e0b2
	v_pk_mov_b32 v[18:19], s[26:27], s[26:27] op_sel:[0,1]
	s_mov_b32 s26, 0x796cde01
	v_fma_f64 v[20:21], s[28:29], v[14:15], v[18:19]
	s_mov_b32 s27, 0x3ec71de3
	s_mov_b32 s30, 0x19e83e5c
	v_fma_f64 v[20:21], v[14:15], v[20:21], s[26:27]
	s_mov_b32 s31, 0xbf2a01a0
	;; [unrolled: 3-line block ×3, first 2 shown]
	v_fma_f64 v[20:21], v[14:15], v[20:21], s[34:35]
	v_mul_f64 v[24:25], v[4:5], -v[14:15]
	v_mul_f64 v[26:27], v[6:7], 0.5
	v_fmac_f64_e32 v[26:27], v[24:25], v[20:21]
	v_fma_f64 v[6:7], v[14:15], v[26:27], -v[6:7]
	s_mov_b32 s37, 0xbfc55555
	s_mov_b32 s36, s24
	v_fmac_f64_e32 v[6:7], s[36:37], v[24:25]
	v_add_f64 v[4:5], v[4:5], -v[6:7]
	v_and_b32_e32 v6, 1, v12
	v_xor_b32_e32 v5, 0x80000000, v5
	v_cmp_eq_u32_e32 vcc, 0, v6
	v_lshlrev_b32_e32 v6, 30, v12
	v_cndmask_b32_e32 v4, v4, v16, vcc
	v_cndmask_b32_e32 v5, v5, v17, vcc
	v_and_b32_e32 v6, 0x80000000, v6
	s_movk_i32 vcc_lo, 0x1f8
	v_xor_b32_e32 v5, v5, v6
	v_cmp_class_f64_e64 vcc, v[2:3], vcc_lo
	v_mov_b32_e32 v2, 0x7ff80000
	v_cndmask_b32_e32 v4, 0, v4, vcc
	v_cndmask_b32_e32 v5, v2, v5, vcc
	v_mul_f64 v[4:5], v[4:5], v[0:1]
	v_mul_f64 v[0:1], v[8:9], v[8:9]
	v_mul_f64 v[6:7], v[0:1], 0.5
	v_fmac_f64_e32 v[22:23], s[4:5], v[0:1]
	v_add_f64 v[14:15], -v[6:7], 1.0
	v_fma_f64 v[20:21], v[0:1], v[22:23], s[18:19]
	v_add_f64 v[16:17], -v[14:15], 1.0
	v_fma_f64 v[20:21], v[0:1], v[20:21], s[20:21]
	v_add_f64 v[6:7], v[16:17], -v[6:7]
	v_fma_f64 v[20:21], v[0:1], v[20:21], s[22:23]
	v_mul_f64 v[16:17], v[0:1], v[0:1]
	v_fma_f64 v[20:21], v[0:1], v[20:21], s[24:25]
	v_fma_f64 v[6:7], v[8:9], -v[10:11], v[6:7]
	v_fmac_f64_e32 v[6:7], v[16:17], v[20:21]
	v_fmac_f64_e32 v[18:19], s[28:29], v[0:1]
	v_add_f64 v[6:7], v[14:15], v[6:7]
	v_fma_f64 v[14:15], v[0:1], v[18:19], s[26:27]
	v_fma_f64 v[14:15], v[0:1], v[14:15], s[30:31]
	;; [unrolled: 1-line block ×3, first 2 shown]
	v_mul_f64 v[16:17], v[8:9], -v[0:1]
	v_mul_f64 v[18:19], v[10:11], 0.5
	v_fmac_f64_e32 v[18:19], v[16:17], v[14:15]
	v_fma_f64 v[0:1], v[0:1], v[18:19], -v[10:11]
	v_fmac_f64_e32 v[0:1], s[36:37], v[16:17]
	v_add_f64 v[0:1], v[8:9], -v[0:1]
	v_and_b32_e32 v8, 1, v13
	v_cmp_eq_u32_e64 s[4:5], 0, v8
	v_cndmask_b32_e64 v0, v6, v0, s[4:5]
	v_lshlrev_b32_e32 v6, 30, v13
	v_xor_b32_e32 v3, v6, v3
	v_cndmask_b32_e64 v1, v7, v1, s[4:5]
	v_and_b32_e32 v3, 0x80000000, v3
	v_xor_b32_e32 v1, v1, v3
	s_mov_b32 s4, 0
	v_cndmask_b32_e32 v0, 0, v0, vcc
	v_cndmask_b32_e32 v1, v2, v1, vcc
	s_mov_b32 s5, 0x7ff00000
	v_mul_f64 v[6:7], v[0:1], s[4:5]
                                        ; implicit-def: $vgpr0_vgpr1
                                        ; implicit-def: $vgpr2_vgpr3
.LBB106_19:
	s_andn2_saveexec_b64 s[4:5], s[16:17]
; %bb.20:
	v_add_f64 v[2:3], v[2:3], -v[2:3]
	v_mul_f64 v[4:5], v[0:1], v[0:1]
	v_mul_f64 v[6:7], v[2:3], v[0:1]
; %bb.21:
	s_or_b64 exec, exec, s[4:5]
.LBB106_22:
	s_or_b64 exec, exec, s[8:9]
                                        ; implicit-def: $vgpr2_vgpr3
                                        ; implicit-def: $vgpr0_vgpr1
.LBB106_23:
	s_andn2_saveexec_b64 s[4:5], s[6:7]
; %bb.24:
	v_add_f64 v[4:5], v[2:3], -v[2:3]
	v_mul_f64 v[6:7], v[4:5], v[0:1]
; %bb.25:
	s_or_b64 exec, exec, s[4:5]
                                        ; implicit-def: $vgpr1
                                        ; implicit-def: $vgpr2_vgpr3
.LBB106_26:
	s_andn2_saveexec_b64 s[4:5], s[10:11]
; %bb.27:
	s_mov_b32 s6, 0xfffff
	v_and_or_b32 v4, v1, s6, v0
	v_and_b32_e32 v5, 0x80000000, v3
	v_cmp_eq_u32_e32 vcc, 0, v4
	v_cndmask_b32_e32 v7, v5, v3, vcc
	v_cndmask_b32_e32 v6, 0, v2, vcc
	v_pk_mov_b32 v[4:5], v[0:1], v[0:1] op_sel:[0,1]
; %bb.28:
	s_or_b64 exec, exec, s[4:5]
                                        ; implicit-def: $vgpr2_vgpr3
                                        ; implicit-def: $vgpr0_vgpr1
.LBB106_29:
	s_andn2_saveexec_b64 s[4:5], s[14:15]
; %bb.30:
	v_add_f64 v[6:7], v[2:3], -v[2:3]
	v_mul_f64 v[0:1], v[6:7], v[0:1]
	s_brev_b32 s6, -2
	v_mov_b32_e32 v4, 0
	v_bfi_b32 v5, s6, 0, v1
; %bb.31:
	s_or_b64 exec, exec, s[4:5]
                                        ; implicit-def: $vgpr2_vgpr3
                                        ; implicit-def: $vgpr0_vgpr1
                                        ; implicit-def: $vgpr9
                                        ; implicit-def: $vgpr8
.LBB106_32:
	s_andn2_saveexec_b64 s[8:9], s[12:13]
	s_cbranch_execz .LBB106_82
; %bb.33:
	v_or_b32_e32 v4, v9, v2
	v_cmp_ne_u32_e32 vcc, 0, v4
                                        ; implicit-def: $vgpr6_vgpr7
                                        ; implicit-def: $vgpr4_vgpr5
	s_and_saveexec_b64 s[4:5], vcc
	s_xor_b64 s[10:11], exec, s[4:5]
	s_cbranch_execz .LBB106_79
; %bb.34:
	s_mov_b32 s4, 0x4035ffff
	v_cmp_lt_u32_e32 vcc, s4, v8
                                        ; implicit-def: $vgpr6_vgpr7
                                        ; implicit-def: $vgpr4_vgpr5
	s_and_saveexec_b64 s[4:5], vcc
	s_xor_b64 s[12:13], exec, s[4:5]
	s_cbranch_execz .LBB106_68
; %bb.35:
	s_mov_b32 s4, 0x40862e41
	v_cmp_lt_u32_e32 vcc, s4, v8
	;; [unrolled: 8-line block ×3, first 2 shown]
	s_mov_b32 s4, 0
	s_mov_b32 s5, 0x41d00000
	v_cmp_nlt_f64_e64 s[6:7], |v[2:3]|, s[4:5]
                                        ; implicit-def: $vgpr6_vgpr7
                                        ; implicit-def: $vgpr4_vgpr5
	s_and_saveexec_b64 s[4:5], vcc
	s_xor_b64 s[16:17], exec, s[4:5]
	s_cbranch_execz .LBB106_46
; %bb.37:
                                        ; implicit-def: $vgpr12
                                        ; implicit-def: $vgpr4_vgpr5
                                        ; implicit-def: $vgpr6_vgpr7
	s_and_saveexec_b64 s[4:5], s[6:7]
	s_xor_b64 s[18:19], exec, s[4:5]
	s_cbranch_execz .LBB106_39
; %bb.38:
	s_mov_b32 s4, 0
	s_mov_b32 s5, 0x7b000000
	s_movk_i32 s20, 0xff80
	v_and_b32_e32 v10, 0x7fffffff, v3
	v_ldexp_f64 v[8:9], |v[2:3]|, s20
	v_cmp_ge_f64_e64 vcc, |v[2:3]|, s[4:5]
	v_trig_preop_f64 v[4:5], |v[2:3]|, 0
	v_cndmask_b32_e32 v9, v10, v9, vcc
	v_cndmask_b32_e32 v8, v2, v8, vcc
	v_trig_preop_f64 v[6:7], |v[2:3]|, 1
	v_mul_f64 v[12:13], v[4:5], v[8:9]
	v_mul_f64 v[10:11], v[6:7], v[8:9]
	v_fma_f64 v[4:5], v[4:5], v[8:9], -v[12:13]
	v_add_f64 v[14:15], v[10:11], v[4:5]
	v_add_f64 v[16:17], v[12:13], v[14:15]
	s_mov_b32 s4, 0
	v_ldexp_f64 v[18:19], v[16:17], -2
	s_mov_b32 s5, 0x7ff00000
	v_fract_f64_e32 v[20:21], v[18:19]
	v_cmp_neq_f64_e64 vcc, |v[18:19]|, s[4:5]
	v_cndmask_b32_e32 v19, 0, v21, vcc
	v_cndmask_b32_e32 v18, 0, v20, vcc
	v_add_f64 v[20:21], v[14:15], -v[10:11]
	v_add_f64 v[4:5], v[4:5], -v[20:21]
	;; [unrolled: 1-line block ×4, first 2 shown]
	v_fma_f64 v[6:7], v[6:7], v[8:9], -v[10:11]
	v_trig_preop_f64 v[10:11], |v[2:3]|, 2
	v_add_f64 v[4:5], v[4:5], v[20:21]
	v_mul_f64 v[20:21], v[10:11], v[8:9]
	v_add_f64 v[24:25], v[20:21], v[6:7]
	v_add_f64 v[26:27], v[24:25], v[4:5]
	v_add_f64 v[12:13], v[16:17], -v[12:13]
	v_add_f64 v[16:17], v[26:27], -v[24:25]
	;; [unrolled: 1-line block ×5, first 2 shown]
	v_add_f64 v[4:5], v[4:5], v[16:17]
	v_add_f64 v[16:17], v[24:25], -v[20:21]
	v_add_f64 v[6:7], v[6:7], -v[16:17]
	;; [unrolled: 1-line block ×4, first 2 shown]
	v_add_f64 v[6:7], v[6:7], v[16:17]
	v_add_f64 v[12:13], v[14:15], -v[12:13]
	v_add_f64 v[4:5], v[6:7], v[4:5]
	v_fma_f64 v[6:7], v[10:11], v[8:9], -v[20:21]
	v_add_f64 v[14:15], v[12:13], v[26:27]
	v_add_f64 v[4:5], v[6:7], v[4:5]
	v_ldexp_f64 v[6:7], v[18:19], 2
	v_add_f64 v[8:9], v[14:15], v[6:7]
	v_mov_b32_e32 v10, 0x40100000
	v_cmp_gt_f64_e32 vcc, 0, v[8:9]
	v_mov_b32_e32 v22, 0
	v_cndmask_b32_e32 v23, 0, v10, vcc
	v_add_f64 v[6:7], v[6:7], v[22:23]
	v_add_f64 v[8:9], v[14:15], v[6:7]
	v_cvt_i32_f64_e32 v10, v[8:9]
	v_cvt_f64_i32_e32 v[8:9], v10
	v_add_f64 v[6:7], v[6:7], -v[8:9]
	v_add_f64 v[12:13], v[14:15], -v[12:13]
	v_add_f64 v[8:9], v[14:15], v[6:7]
	v_add_f64 v[12:13], v[26:27], -v[12:13]
	v_add_f64 v[6:7], v[8:9], -v[6:7]
	v_add_f64 v[4:5], v[12:13], v[4:5]
	v_add_f64 v[6:7], v[14:15], -v[6:7]
	v_add_f64 v[4:5], v[4:5], v[6:7]
	v_cmp_le_f64_e32 vcc, 0.5, v[8:9]
	v_mov_b32_e32 v6, 0x3ff00000
	v_cndmask_b32_e32 v23, 0, v6, vcc
	v_addc_co_u32_e64 v12, s[4:5], 0, v10, vcc
	v_add_f64 v[6:7], v[8:9], -v[22:23]
	v_add_f64 v[8:9], v[6:7], v[4:5]
	s_mov_b32 s4, 0x54442d18
	v_add_f64 v[6:7], v[8:9], -v[6:7]
	s_mov_b32 s5, 0x3ff921fb
	v_add_f64 v[4:5], v[4:5], -v[6:7]
	v_mul_f64 v[6:7], v[8:9], s[4:5]
	s_mov_b32 s20, 0x33145c07
	v_fma_f64 v[10:11], v[8:9], s[4:5], -v[6:7]
	s_mov_b32 s21, 0x3c91a626
	v_fmac_f64_e32 v[10:11], s[20:21], v[8:9]
	v_fmac_f64_e32 v[10:11], s[4:5], v[4:5]
	v_add_f64 v[4:5], v[6:7], v[10:11]
	v_add_f64 v[6:7], v[4:5], -v[6:7]
	v_add_f64 v[6:7], v[10:11], -v[6:7]
	s_andn2_saveexec_b64 s[4:5], s[18:19]
	s_cbranch_execz .LBB106_41
	s_branch .LBB106_40
.LBB106_39:
	s_andn2_saveexec_b64 s[4:5], s[18:19]
	s_cbranch_execz .LBB106_41
.LBB106_40:
	s_mov_b32 s18, 0x6dc9c883
	s_mov_b32 s19, 0x3fe45f30
	v_mul_f64 v[4:5], |v[2:3]|, s[18:19]
	s_mov_b32 s18, 0x54442d18
	v_rndne_f64_e32 v[8:9], v[4:5]
	s_mov_b32 s19, 0xbff921fb
	v_fma_f64 v[4:5], v[8:9], s[18:19], |v[2:3]|
	s_mov_b32 s19, 0xbc91a626
	s_mov_b32 s18, 0x33145c00
	v_mul_f64 v[10:11], v[8:9], s[18:19]
	v_add_f64 v[14:15], v[4:5], v[10:11]
	v_fma_f64 v[6:7], s[18:19], v[8:9], v[4:5]
	s_mov_b32 s19, 0x3c91a626
	v_add_f64 v[4:5], v[4:5], -v[14:15]
	v_fma_f64 v[12:13], s[18:19], v[8:9], v[10:11]
	v_add_f64 v[4:5], v[4:5], v[10:11]
	v_add_f64 v[10:11], v[14:15], -v[6:7]
	v_add_f64 v[4:5], v[10:11], v[4:5]
	s_mov_b32 s18, 0x252049c0
	v_add_f64 v[10:11], v[4:5], -v[12:13]
	s_mov_b32 s19, 0xb97b839a
	v_fmac_f64_e32 v[10:11], s[18:19], v[8:9]
	v_add_f64 v[4:5], v[6:7], v[10:11]
	v_add_f64 v[6:7], v[4:5], -v[6:7]
	v_add_f64 v[6:7], v[10:11], -v[6:7]
	v_cvt_i32_f64_e32 v12, v[8:9]
.LBB106_41:
	s_or_b64 exec, exec, s[4:5]
                                        ; implicit-def: $vgpr13
                                        ; implicit-def: $vgpr8_vgpr9
                                        ; implicit-def: $vgpr10_vgpr11
	s_and_saveexec_b64 s[4:5], s[6:7]
	s_xor_b64 s[18:19], exec, s[4:5]
	s_cbranch_execz .LBB106_43
; %bb.42:
	s_mov_b32 s4, 0
	s_mov_b32 s5, 0x7b000000
	s_movk_i32 s20, 0xff80
	v_and_b32_e32 v13, 0x7fffffff, v3
	v_ldexp_f64 v[14:15], |v[2:3]|, s20
	v_cmp_ge_f64_e64 vcc, |v[2:3]|, s[4:5]
	v_trig_preop_f64 v[8:9], |v[2:3]|, 0
	v_cndmask_b32_e32 v15, v13, v15, vcc
	v_cndmask_b32_e32 v14, v2, v14, vcc
	v_trig_preop_f64 v[10:11], |v[2:3]|, 1
	v_mul_f64 v[18:19], v[8:9], v[14:15]
	v_mul_f64 v[16:17], v[10:11], v[14:15]
	v_fma_f64 v[8:9], v[8:9], v[14:15], -v[18:19]
	v_add_f64 v[20:21], v[16:17], v[8:9]
	v_add_f64 v[22:23], v[18:19], v[20:21]
	s_mov_b32 s4, 0
	v_ldexp_f64 v[24:25], v[22:23], -2
	s_mov_b32 s5, 0x7ff00000
	v_fract_f64_e32 v[26:27], v[24:25]
	v_cmp_neq_f64_e64 vcc, |v[24:25]|, s[4:5]
	v_cndmask_b32_e32 v25, 0, v27, vcc
	v_cndmask_b32_e32 v24, 0, v26, vcc
	v_add_f64 v[26:27], v[20:21], -v[16:17]
	v_add_f64 v[8:9], v[8:9], -v[26:27]
	;; [unrolled: 1-line block ×4, first 2 shown]
	v_fma_f64 v[10:11], v[10:11], v[14:15], -v[16:17]
	v_trig_preop_f64 v[16:17], |v[2:3]|, 2
	v_add_f64 v[8:9], v[8:9], v[26:27]
	v_mul_f64 v[26:27], v[16:17], v[14:15]
	v_add_f64 v[30:31], v[26:27], v[10:11]
	v_add_f64 v[32:33], v[30:31], v[8:9]
	v_add_f64 v[18:19], v[22:23], -v[18:19]
	v_add_f64 v[22:23], v[32:33], -v[30:31]
	;; [unrolled: 1-line block ×5, first 2 shown]
	v_add_f64 v[8:9], v[8:9], v[22:23]
	v_add_f64 v[22:23], v[30:31], -v[26:27]
	v_add_f64 v[10:11], v[10:11], -v[22:23]
	;; [unrolled: 1-line block ×4, first 2 shown]
	v_add_f64 v[10:11], v[10:11], v[22:23]
	v_add_f64 v[18:19], v[20:21], -v[18:19]
	v_add_f64 v[8:9], v[10:11], v[8:9]
	v_fma_f64 v[10:11], v[16:17], v[14:15], -v[26:27]
	v_add_f64 v[20:21], v[18:19], v[32:33]
	v_add_f64 v[8:9], v[10:11], v[8:9]
	v_ldexp_f64 v[10:11], v[24:25], 2
	v_add_f64 v[14:15], v[20:21], v[10:11]
	v_mov_b32_e32 v13, 0x40100000
	v_cmp_gt_f64_e32 vcc, 0, v[14:15]
	v_mov_b32_e32 v28, 0
	v_cndmask_b32_e32 v29, 0, v13, vcc
	v_add_f64 v[10:11], v[10:11], v[28:29]
	v_add_f64 v[14:15], v[20:21], v[10:11]
	v_cvt_i32_f64_e32 v13, v[14:15]
	v_cvt_f64_i32_e32 v[14:15], v13
	v_add_f64 v[10:11], v[10:11], -v[14:15]
	v_add_f64 v[18:19], v[20:21], -v[18:19]
	v_add_f64 v[14:15], v[20:21], v[10:11]
	v_add_f64 v[18:19], v[32:33], -v[18:19]
	v_add_f64 v[10:11], v[14:15], -v[10:11]
	v_add_f64 v[8:9], v[18:19], v[8:9]
	v_add_f64 v[10:11], v[20:21], -v[10:11]
	v_add_f64 v[8:9], v[8:9], v[10:11]
	v_cmp_le_f64_e32 vcc, 0.5, v[14:15]
	v_mov_b32_e32 v10, 0x3ff00000
	v_cndmask_b32_e32 v29, 0, v10, vcc
	v_addc_co_u32_e64 v13, s[4:5], 0, v13, vcc
	v_add_f64 v[10:11], v[14:15], -v[28:29]
	v_add_f64 v[14:15], v[10:11], v[8:9]
	s_mov_b32 s4, 0x54442d18
	v_add_f64 v[10:11], v[14:15], -v[10:11]
	s_mov_b32 s5, 0x3ff921fb
	v_add_f64 v[8:9], v[8:9], -v[10:11]
	v_mul_f64 v[10:11], v[14:15], s[4:5]
	s_mov_b32 s20, 0x33145c07
	v_fma_f64 v[16:17], v[14:15], s[4:5], -v[10:11]
	s_mov_b32 s21, 0x3c91a626
	v_fmac_f64_e32 v[16:17], s[20:21], v[14:15]
	v_fmac_f64_e32 v[16:17], s[4:5], v[8:9]
	v_add_f64 v[8:9], v[10:11], v[16:17]
	v_add_f64 v[10:11], v[8:9], -v[10:11]
	v_add_f64 v[10:11], v[16:17], -v[10:11]
	s_andn2_saveexec_b64 s[4:5], s[18:19]
	s_cbranch_execnz .LBB106_44
	s_branch .LBB106_45
.LBB106_43:
	s_andn2_saveexec_b64 s[4:5], s[18:19]
	s_cbranch_execz .LBB106_45
.LBB106_44:
	s_mov_b32 s18, 0x6dc9c883
	s_mov_b32 s19, 0x3fe45f30
	v_mul_f64 v[8:9], |v[2:3]|, s[18:19]
	s_mov_b32 s18, 0x54442d18
	v_rndne_f64_e32 v[14:15], v[8:9]
	s_mov_b32 s19, 0xbff921fb
	v_fma_f64 v[8:9], v[14:15], s[18:19], |v[2:3]|
	s_mov_b32 s19, 0xbc91a626
	s_mov_b32 s18, 0x33145c00
	v_mul_f64 v[16:17], v[14:15], s[18:19]
	v_add_f64 v[20:21], v[8:9], v[16:17]
	v_fma_f64 v[10:11], s[18:19], v[14:15], v[8:9]
	s_mov_b32 s19, 0x3c91a626
	v_add_f64 v[8:9], v[8:9], -v[20:21]
	v_fma_f64 v[18:19], s[18:19], v[14:15], v[16:17]
	v_add_f64 v[8:9], v[8:9], v[16:17]
	v_add_f64 v[16:17], v[20:21], -v[10:11]
	v_add_f64 v[8:9], v[16:17], v[8:9]
	s_mov_b32 s18, 0x252049c0
	v_add_f64 v[16:17], v[8:9], -v[18:19]
	s_mov_b32 s19, 0xb97b839a
	v_fmac_f64_e32 v[16:17], s[18:19], v[14:15]
	v_add_f64 v[8:9], v[10:11], v[16:17]
	v_add_f64 v[10:11], v[8:9], -v[10:11]
	v_add_f64 v[10:11], v[16:17], -v[10:11]
	v_cvt_i32_f64_e32 v13, v[14:15]
.LBB106_45:
	s_or_b64 exec, exec, s[4:5]
	s_movk_i32 s4, 0x3ff
	s_mov_b32 s18, 0x9037ab78
	v_ldexp_f64 v[0:1], v[0:1], s4
	s_mov_b32 s19, 0x3e21eeb6
	s_mov_b32 s4, 0x46cc5e42
	v_mul_f64 v[14:15], v[4:5], v[4:5]
	s_mov_b32 s5, 0xbda907db
	v_pk_mov_b32 v[22:23], s[18:19], s[18:19] op_sel:[0,1]
	s_mov_b32 s18, 0xa17f65f6
	v_mul_f64 v[16:17], v[14:15], 0.5
	v_fma_f64 v[24:25], s[4:5], v[14:15], v[22:23]
	s_mov_b32 s19, 0xbe927e4f
	s_mov_b32 s20, 0x19f4ec90
	v_add_f64 v[18:19], -v[16:17], 1.0
	v_fma_f64 v[24:25], v[14:15], v[24:25], s[18:19]
	s_mov_b32 s21, 0x3efa01a0
	s_mov_b32 s22, 0x16c16967
	v_add_f64 v[20:21], -v[18:19], 1.0
	v_fma_f64 v[24:25], v[14:15], v[24:25], s[20:21]
	s_mov_b32 s23, 0xbf56c16c
	s_mov_b32 s24, 0x55555555
	v_add_f64 v[16:17], v[20:21], -v[16:17]
	v_fma_f64 v[24:25], v[14:15], v[24:25], s[22:23]
	s_mov_b32 s25, 0x3fa55555
	v_mul_f64 v[20:21], v[14:15], v[14:15]
	v_fma_f64 v[24:25], v[14:15], v[24:25], s[24:25]
	v_fma_f64 v[16:17], v[4:5], -v[6:7], v[16:17]
	s_mov_b32 s26, 0xb42fdfa7
	v_fmac_f64_e32 v[16:17], v[20:21], v[24:25]
	s_mov_b32 s27, 0xbe5ae600
	s_mov_b32 s28, 0xf9a43bb8
	v_add_f64 v[16:17], v[18:19], v[16:17]
	s_mov_b32 s29, 0x3de5e0b2
	v_pk_mov_b32 v[18:19], s[26:27], s[26:27] op_sel:[0,1]
	s_mov_b32 s26, 0x796cde01
	v_fma_f64 v[20:21], s[28:29], v[14:15], v[18:19]
	s_mov_b32 s27, 0x3ec71de3
	s_mov_b32 s30, 0x19e83e5c
	v_fma_f64 v[20:21], v[14:15], v[20:21], s[26:27]
	s_mov_b32 s31, 0xbf2a01a0
	;; [unrolled: 3-line block ×3, first 2 shown]
	v_fma_f64 v[20:21], v[14:15], v[20:21], s[34:35]
	v_mul_f64 v[24:25], v[4:5], -v[14:15]
	v_mul_f64 v[26:27], v[6:7], 0.5
	v_fmac_f64_e32 v[26:27], v[24:25], v[20:21]
	v_fma_f64 v[6:7], v[14:15], v[26:27], -v[6:7]
	s_mov_b32 s37, 0xbfc55555
	s_mov_b32 s36, s24
	v_fmac_f64_e32 v[6:7], s[36:37], v[24:25]
	v_add_f64 v[4:5], v[4:5], -v[6:7]
	v_and_b32_e32 v6, 1, v12
	v_xor_b32_e32 v5, 0x80000000, v5
	v_cmp_eq_u32_e32 vcc, 0, v6
	v_lshlrev_b32_e32 v6, 30, v12
	v_cndmask_b32_e32 v5, v5, v17, vcc
	v_and_b32_e32 v6, 0x80000000, v6
	v_xor_b32_e32 v5, v5, v6
	v_mul_f64 v[6:7], v[8:9], v[8:9]
	v_mul_f64 v[14:15], v[6:7], 0.5
	v_fmac_f64_e32 v[22:23], s[4:5], v[6:7]
	v_cndmask_b32_e32 v4, v4, v16, vcc
	v_add_f64 v[16:17], -v[14:15], 1.0
	v_fma_f64 v[22:23], v[6:7], v[22:23], s[18:19]
	v_add_f64 v[20:21], -v[16:17], 1.0
	v_fma_f64 v[22:23], v[6:7], v[22:23], s[20:21]
	v_add_f64 v[14:15], v[20:21], -v[14:15]
	v_fma_f64 v[22:23], v[6:7], v[22:23], s[22:23]
	v_mul_f64 v[20:21], v[6:7], v[6:7]
	v_fma_f64 v[22:23], v[6:7], v[22:23], s[24:25]
	v_fma_f64 v[14:15], v[8:9], -v[10:11], v[14:15]
	v_fmac_f64_e32 v[14:15], v[20:21], v[22:23]
	v_fmac_f64_e32 v[18:19], s[28:29], v[6:7]
	v_add_f64 v[14:15], v[16:17], v[14:15]
	v_fma_f64 v[16:17], v[6:7], v[18:19], s[26:27]
	v_fma_f64 v[16:17], v[6:7], v[16:17], s[30:31]
	v_fma_f64 v[16:17], v[6:7], v[16:17], s[34:35]
	v_mul_f64 v[18:19], v[8:9], -v[6:7]
	v_mul_f64 v[20:21], v[10:11], 0.5
	v_fmac_f64_e32 v[20:21], v[18:19], v[16:17]
	s_movk_i32 vcc_lo, 0x1f8
	v_fma_f64 v[6:7], v[6:7], v[20:21], -v[10:11]
	v_cmp_class_f64_e64 vcc, v[2:3], vcc_lo
	v_fmac_f64_e32 v[6:7], s[36:37], v[18:19]
	v_and_b32_e32 v2, 1, v13
	v_add_f64 v[6:7], v[8:9], -v[6:7]
	v_cmp_eq_u32_e64 s[4:5], 0, v2
	v_cndmask_b32_e64 v2, v14, v6, s[4:5]
	v_cndmask_b32_e64 v6, v15, v7, s[4:5]
	v_lshlrev_b32_e32 v7, 30, v13
	v_xor_b32_e32 v3, v7, v3
	v_mov_b32_e32 v12, 0x7ff80000
	v_and_b32_e32 v3, 0x80000000, v3
	v_cndmask_b32_e32 v4, 0, v4, vcc
	v_cndmask_b32_e32 v5, v12, v5, vcc
	v_xor_b32_e32 v3, v6, v3
	v_mul_f64 v[4:5], v[0:1], v[4:5]
	v_mul_f64 v[0:1], v[0:1], v[0:1]
	v_cndmask_b32_e32 v2, 0, v2, vcc
	v_cndmask_b32_e32 v3, v12, v3, vcc
	v_mul_f64 v[6:7], v[0:1], v[2:3]
                                        ; implicit-def: $vgpr2_vgpr3
                                        ; implicit-def: $vgpr0_vgpr1
.LBB106_46:
	s_andn2_saveexec_b64 s[16:17], s[16:17]
	s_cbranch_execz .LBB106_56
; %bb.47:
                                        ; implicit-def: $vgpr16
                                        ; implicit-def: $vgpr4_vgpr5
                                        ; implicit-def: $vgpr6_vgpr7
	s_and_saveexec_b64 s[4:5], s[6:7]
	s_xor_b64 s[18:19], exec, s[4:5]
	s_cbranch_execz .LBB106_49
; %bb.48:
	s_mov_b32 s4, 0
	s_mov_b32 s5, 0x7b000000
	s_movk_i32 s20, 0xff80
	v_and_b32_e32 v10, 0x7fffffff, v3
	v_ldexp_f64 v[8:9], |v[2:3]|, s20
	v_cmp_ge_f64_e64 vcc, |v[2:3]|, s[4:5]
	v_trig_preop_f64 v[4:5], |v[2:3]|, 0
	v_cndmask_b32_e32 v9, v10, v9, vcc
	v_cndmask_b32_e32 v8, v2, v8, vcc
	v_trig_preop_f64 v[6:7], |v[2:3]|, 1
	v_mul_f64 v[12:13], v[4:5], v[8:9]
	v_mul_f64 v[10:11], v[6:7], v[8:9]
	v_fma_f64 v[4:5], v[4:5], v[8:9], -v[12:13]
	v_add_f64 v[14:15], v[10:11], v[4:5]
	v_add_f64 v[16:17], v[12:13], v[14:15]
	s_mov_b32 s4, 0
	v_ldexp_f64 v[18:19], v[16:17], -2
	s_mov_b32 s5, 0x7ff00000
	v_fract_f64_e32 v[20:21], v[18:19]
	v_cmp_neq_f64_e64 vcc, |v[18:19]|, s[4:5]
	v_cndmask_b32_e32 v19, 0, v21, vcc
	v_cndmask_b32_e32 v18, 0, v20, vcc
	v_add_f64 v[20:21], v[14:15], -v[10:11]
	v_add_f64 v[4:5], v[4:5], -v[20:21]
	;; [unrolled: 1-line block ×4, first 2 shown]
	v_fma_f64 v[6:7], v[6:7], v[8:9], -v[10:11]
	v_trig_preop_f64 v[10:11], |v[2:3]|, 2
	v_add_f64 v[4:5], v[4:5], v[20:21]
	v_mul_f64 v[20:21], v[10:11], v[8:9]
	v_add_f64 v[24:25], v[20:21], v[6:7]
	v_add_f64 v[26:27], v[24:25], v[4:5]
	v_add_f64 v[12:13], v[16:17], -v[12:13]
	v_add_f64 v[16:17], v[26:27], -v[24:25]
	;; [unrolled: 1-line block ×5, first 2 shown]
	v_add_f64 v[4:5], v[4:5], v[16:17]
	v_add_f64 v[16:17], v[24:25], -v[20:21]
	v_add_f64 v[6:7], v[6:7], -v[16:17]
	;; [unrolled: 1-line block ×4, first 2 shown]
	v_add_f64 v[6:7], v[6:7], v[16:17]
	v_add_f64 v[12:13], v[14:15], -v[12:13]
	v_add_f64 v[4:5], v[6:7], v[4:5]
	v_fma_f64 v[6:7], v[10:11], v[8:9], -v[20:21]
	v_add_f64 v[14:15], v[12:13], v[26:27]
	v_add_f64 v[4:5], v[6:7], v[4:5]
	v_ldexp_f64 v[6:7], v[18:19], 2
	v_add_f64 v[8:9], v[14:15], v[6:7]
	v_mov_b32_e32 v10, 0x40100000
	v_cmp_gt_f64_e32 vcc, 0, v[8:9]
	v_mov_b32_e32 v22, 0
	v_cndmask_b32_e32 v23, 0, v10, vcc
	v_add_f64 v[6:7], v[6:7], v[22:23]
	v_add_f64 v[8:9], v[14:15], v[6:7]
	v_cvt_i32_f64_e32 v10, v[8:9]
	v_cvt_f64_i32_e32 v[8:9], v10
	v_add_f64 v[6:7], v[6:7], -v[8:9]
	v_add_f64 v[12:13], v[14:15], -v[12:13]
	v_add_f64 v[8:9], v[14:15], v[6:7]
	v_add_f64 v[12:13], v[26:27], -v[12:13]
	v_add_f64 v[6:7], v[8:9], -v[6:7]
	v_add_f64 v[4:5], v[12:13], v[4:5]
	v_add_f64 v[6:7], v[14:15], -v[6:7]
	v_add_f64 v[4:5], v[4:5], v[6:7]
	v_cmp_le_f64_e32 vcc, 0.5, v[8:9]
	v_mov_b32_e32 v6, 0x3ff00000
	v_cndmask_b32_e32 v23, 0, v6, vcc
	v_addc_co_u32_e64 v16, s[4:5], 0, v10, vcc
	v_add_f64 v[6:7], v[8:9], -v[22:23]
	v_add_f64 v[8:9], v[6:7], v[4:5]
	s_mov_b32 s4, 0x54442d18
	v_add_f64 v[6:7], v[8:9], -v[6:7]
	s_mov_b32 s5, 0x3ff921fb
	v_add_f64 v[4:5], v[4:5], -v[6:7]
	v_mul_f64 v[6:7], v[8:9], s[4:5]
	s_mov_b32 s20, 0x33145c07
	v_fma_f64 v[10:11], v[8:9], s[4:5], -v[6:7]
	s_mov_b32 s21, 0x3c91a626
	v_fmac_f64_e32 v[10:11], s[20:21], v[8:9]
	v_fmac_f64_e32 v[10:11], s[4:5], v[4:5]
	v_add_f64 v[4:5], v[6:7], v[10:11]
	v_add_f64 v[6:7], v[4:5], -v[6:7]
	v_add_f64 v[6:7], v[10:11], -v[6:7]
	s_andn2_saveexec_b64 s[4:5], s[18:19]
	s_cbranch_execz .LBB106_51
	s_branch .LBB106_50
.LBB106_49:
	s_andn2_saveexec_b64 s[4:5], s[18:19]
	s_cbranch_execz .LBB106_51
.LBB106_50:
	s_mov_b32 s18, 0x6dc9c883
	s_mov_b32 s19, 0x3fe45f30
	v_mul_f64 v[4:5], |v[2:3]|, s[18:19]
	s_mov_b32 s18, 0x54442d18
	v_rndne_f64_e32 v[8:9], v[4:5]
	s_mov_b32 s19, 0xbff921fb
	v_fma_f64 v[4:5], v[8:9], s[18:19], |v[2:3]|
	s_mov_b32 s19, 0xbc91a626
	s_mov_b32 s18, 0x33145c00
	v_mul_f64 v[10:11], v[8:9], s[18:19]
	v_add_f64 v[14:15], v[4:5], v[10:11]
	v_fma_f64 v[6:7], s[18:19], v[8:9], v[4:5]
	s_mov_b32 s19, 0x3c91a626
	v_add_f64 v[4:5], v[4:5], -v[14:15]
	v_fma_f64 v[12:13], s[18:19], v[8:9], v[10:11]
	v_add_f64 v[4:5], v[4:5], v[10:11]
	v_add_f64 v[10:11], v[14:15], -v[6:7]
	v_add_f64 v[4:5], v[10:11], v[4:5]
	s_mov_b32 s18, 0x252049c0
	v_add_f64 v[10:11], v[4:5], -v[12:13]
	s_mov_b32 s19, 0xb97b839a
	v_fmac_f64_e32 v[10:11], s[18:19], v[8:9]
	v_add_f64 v[4:5], v[6:7], v[10:11]
	v_add_f64 v[6:7], v[4:5], -v[6:7]
	v_add_f64 v[6:7], v[10:11], -v[6:7]
	v_cvt_i32_f64_e32 v16, v[8:9]
.LBB106_51:
	s_or_b64 exec, exec, s[4:5]
                                        ; implicit-def: $vgpr17
                                        ; implicit-def: $vgpr8_vgpr9
                                        ; implicit-def: $vgpr10_vgpr11
	s_and_saveexec_b64 s[4:5], s[6:7]
	s_xor_b64 s[6:7], exec, s[4:5]
	s_cbranch_execz .LBB106_53
; %bb.52:
	s_mov_b32 s4, 0
	s_mov_b32 s5, 0x7b000000
	s_movk_i32 s18, 0xff80
	v_and_b32_e32 v14, 0x7fffffff, v3
	v_ldexp_f64 v[12:13], |v[2:3]|, s18
	v_cmp_ge_f64_e64 vcc, |v[2:3]|, s[4:5]
	v_trig_preop_f64 v[8:9], |v[2:3]|, 0
	v_cndmask_b32_e32 v13, v14, v13, vcc
	v_cndmask_b32_e32 v12, v2, v12, vcc
	v_trig_preop_f64 v[10:11], |v[2:3]|, 1
	v_mul_f64 v[18:19], v[8:9], v[12:13]
	v_mul_f64 v[14:15], v[10:11], v[12:13]
	v_fma_f64 v[8:9], v[8:9], v[12:13], -v[18:19]
	v_add_f64 v[20:21], v[14:15], v[8:9]
	v_add_f64 v[22:23], v[18:19], v[20:21]
	s_mov_b32 s4, 0
	v_ldexp_f64 v[24:25], v[22:23], -2
	s_mov_b32 s5, 0x7ff00000
	v_fract_f64_e32 v[26:27], v[24:25]
	v_cmp_neq_f64_e64 vcc, |v[24:25]|, s[4:5]
	v_cndmask_b32_e32 v25, 0, v27, vcc
	v_cndmask_b32_e32 v24, 0, v26, vcc
	v_add_f64 v[26:27], v[20:21], -v[14:15]
	v_add_f64 v[8:9], v[8:9], -v[26:27]
	;; [unrolled: 1-line block ×4, first 2 shown]
	v_fma_f64 v[10:11], v[10:11], v[12:13], -v[14:15]
	v_trig_preop_f64 v[14:15], |v[2:3]|, 2
	v_add_f64 v[8:9], v[8:9], v[26:27]
	v_mul_f64 v[26:27], v[14:15], v[12:13]
	v_add_f64 v[30:31], v[26:27], v[10:11]
	v_add_f64 v[32:33], v[30:31], v[8:9]
	v_add_f64 v[18:19], v[22:23], -v[18:19]
	v_add_f64 v[22:23], v[32:33], -v[30:31]
	;; [unrolled: 1-line block ×5, first 2 shown]
	v_add_f64 v[8:9], v[8:9], v[22:23]
	v_add_f64 v[22:23], v[30:31], -v[26:27]
	v_add_f64 v[10:11], v[10:11], -v[22:23]
	;; [unrolled: 1-line block ×4, first 2 shown]
	v_add_f64 v[10:11], v[10:11], v[22:23]
	v_add_f64 v[18:19], v[20:21], -v[18:19]
	v_add_f64 v[8:9], v[10:11], v[8:9]
	v_fma_f64 v[10:11], v[14:15], v[12:13], -v[26:27]
	v_add_f64 v[20:21], v[18:19], v[32:33]
	v_add_f64 v[8:9], v[10:11], v[8:9]
	v_ldexp_f64 v[10:11], v[24:25], 2
	v_add_f64 v[12:13], v[20:21], v[10:11]
	v_mov_b32_e32 v14, 0x40100000
	v_cmp_gt_f64_e32 vcc, 0, v[12:13]
	v_mov_b32_e32 v28, 0
	v_cndmask_b32_e32 v29, 0, v14, vcc
	v_add_f64 v[10:11], v[10:11], v[28:29]
	v_add_f64 v[12:13], v[20:21], v[10:11]
	v_cvt_i32_f64_e32 v14, v[12:13]
	v_cvt_f64_i32_e32 v[12:13], v14
	v_add_f64 v[10:11], v[10:11], -v[12:13]
	v_add_f64 v[18:19], v[20:21], -v[18:19]
	v_add_f64 v[12:13], v[20:21], v[10:11]
	v_add_f64 v[18:19], v[32:33], -v[18:19]
	v_add_f64 v[10:11], v[12:13], -v[10:11]
	v_add_f64 v[8:9], v[18:19], v[8:9]
	v_add_f64 v[10:11], v[20:21], -v[10:11]
	v_add_f64 v[8:9], v[8:9], v[10:11]
	v_cmp_le_f64_e32 vcc, 0.5, v[12:13]
	v_mov_b32_e32 v10, 0x3ff00000
	v_cndmask_b32_e32 v29, 0, v10, vcc
	v_addc_co_u32_e64 v17, s[4:5], 0, v14, vcc
	v_add_f64 v[10:11], v[12:13], -v[28:29]
	v_add_f64 v[12:13], v[10:11], v[8:9]
	s_mov_b32 s4, 0x54442d18
	v_add_f64 v[10:11], v[12:13], -v[10:11]
	s_mov_b32 s5, 0x3ff921fb
	v_add_f64 v[8:9], v[8:9], -v[10:11]
	v_mul_f64 v[10:11], v[12:13], s[4:5]
	s_mov_b32 s18, 0x33145c07
	v_fma_f64 v[14:15], v[12:13], s[4:5], -v[10:11]
	s_mov_b32 s19, 0x3c91a626
	v_fmac_f64_e32 v[14:15], s[18:19], v[12:13]
	v_fmac_f64_e32 v[14:15], s[4:5], v[8:9]
	v_add_f64 v[8:9], v[10:11], v[14:15]
	v_add_f64 v[10:11], v[8:9], -v[10:11]
	v_add_f64 v[10:11], v[14:15], -v[10:11]
	s_andn2_saveexec_b64 s[4:5], s[6:7]
	s_cbranch_execnz .LBB106_54
	s_branch .LBB106_55
.LBB106_53:
	s_andn2_saveexec_b64 s[4:5], s[6:7]
	s_cbranch_execz .LBB106_55
.LBB106_54:
	s_mov_b32 s6, 0x6dc9c883
	s_mov_b32 s7, 0x3fe45f30
	v_mul_f64 v[8:9], |v[2:3]|, s[6:7]
	s_mov_b32 s6, 0x54442d18
	v_rndne_f64_e32 v[12:13], v[8:9]
	s_mov_b32 s7, 0xbff921fb
	v_fma_f64 v[8:9], v[12:13], s[6:7], |v[2:3]|
	s_mov_b32 s7, 0xbc91a626
	s_mov_b32 s6, 0x33145c00
	v_mul_f64 v[14:15], v[12:13], s[6:7]
	v_add_f64 v[20:21], v[8:9], v[14:15]
	v_fma_f64 v[10:11], s[6:7], v[12:13], v[8:9]
	s_mov_b32 s7, 0x3c91a626
	v_add_f64 v[8:9], v[8:9], -v[20:21]
	v_fma_f64 v[18:19], s[6:7], v[12:13], v[14:15]
	v_add_f64 v[8:9], v[8:9], v[14:15]
	v_add_f64 v[14:15], v[20:21], -v[10:11]
	v_add_f64 v[8:9], v[14:15], v[8:9]
	s_mov_b32 s6, 0x252049c0
	v_add_f64 v[14:15], v[8:9], -v[18:19]
	s_mov_b32 s7, 0xb97b839a
	v_fmac_f64_e32 v[14:15], s[6:7], v[12:13]
	v_add_f64 v[8:9], v[10:11], v[14:15]
	v_add_f64 v[10:11], v[8:9], -v[10:11]
	v_add_f64 v[10:11], v[14:15], -v[10:11]
	v_cvt_i32_f64_e32 v17, v[12:13]
.LBB106_55:
	s_or_b64 exec, exec, s[4:5]
	s_mov_b32 s4, 0x9037ab78
	s_mov_b32 s5, 0x3e21eeb6
	;; [unrolled: 1-line block ×3, first 2 shown]
	v_mul_f64 v[18:19], v[4:5], v[4:5]
	s_mov_b32 s19, 0xbda907db
	v_pk_mov_b32 v[12:13], s[4:5], s[4:5] op_sel:[0,1]
	s_mov_b32 s20, 0xa17f65f6
	v_mul_f64 v[14:15], v[18:19], 0.5
	v_fma_f64 v[24:25], s[18:19], v[18:19], v[12:13]
	s_mov_b32 s21, 0xbe927e4f
	s_mov_b32 s22, 0x19f4ec90
	v_add_f64 v[20:21], -v[14:15], 1.0
	v_fma_f64 v[24:25], v[18:19], v[24:25], s[20:21]
	s_mov_b32 s23, 0x3efa01a0
	s_mov_b32 s24, 0x16c16967
	v_fma_f64 v[24:25], v[18:19], v[24:25], s[22:23]
	s_mov_b32 s25, 0xbf56c16c
	s_mov_b32 s26, 0x55555555
	v_add_f64 v[26:27], -v[20:21], 1.0
	v_fma_f64 v[24:25], v[18:19], v[24:25], s[24:25]
	s_mov_b32 s27, 0x3fa55555
	v_add_f64 v[14:15], v[26:27], -v[14:15]
	v_mul_f64 v[22:23], v[18:19], v[18:19]
	v_fma_f64 v[24:25], v[18:19], v[24:25], s[26:27]
	v_fma_f64 v[14:15], v[4:5], -v[6:7], v[14:15]
	s_mov_b32 s4, 0xb42fdfa7
	v_fmac_f64_e32 v[14:15], v[22:23], v[24:25]
	s_mov_b32 s5, 0xbe5ae600
	s_mov_b32 s28, 0xf9a43bb8
	v_add_f64 v[20:21], v[20:21], v[14:15]
	s_mov_b32 s29, 0x3de5e0b2
	v_pk_mov_b32 v[14:15], s[4:5], s[4:5] op_sel:[0,1]
	s_mov_b32 s30, 0x796cde01
	v_fma_f64 v[24:25], s[28:29], v[18:19], v[14:15]
	s_mov_b32 s31, 0x3ec71de3
	s_mov_b32 s34, 0x19e83e5c
	v_fma_f64 v[24:25], v[18:19], v[24:25], s[30:31]
	s_mov_b32 s35, 0xbf2a01a0
	;; [unrolled: 3-line block ×3, first 2 shown]
	v_mul_f64 v[22:23], v[4:5], -v[18:19]
	v_fma_f64 v[24:25], v[18:19], v[24:25], s[36:37]
	v_mul_f64 v[26:27], v[6:7], 0.5
	v_fmac_f64_e32 v[26:27], v[22:23], v[24:25]
	v_fma_f64 v[6:7], v[18:19], v[26:27], -v[6:7]
	s_mov_b32 s39, 0xbfc55555
	s_mov_b32 s38, s26
	s_mov_b32 s4, 0x19ba0da4
	v_fmac_f64_e32 v[6:7], s[38:39], v[22:23]
	s_mov_b32 s5, 0xc0937be3
	v_and_b32_e32 v28, 1, v16
	v_add_f64 v[4:5], v[4:5], -v[6:7]
	v_add_f64 v[18:19], |v[0:1]|, s[4:5]
	s_mov_b32 s4, 0x652b82fe
	v_xor_b32_e32 v5, 0x80000000, v5
	v_cmp_eq_u32_e32 vcc, 0, v28
	s_mov_b32 s5, 0x3ff71547
	v_cndmask_b32_e32 v6, v4, v20, vcc
	v_cndmask_b32_e32 v4, v5, v21, vcc
	v_mul_f64 v[20:21], v[18:19], s[4:5]
	s_mov_b32 s4, 0xfefa39ef
	v_rndne_f64_e32 v[20:21], v[20:21]
	s_mov_b32 s5, 0xbfe62e42
	v_fma_f64 v[22:23], s[4:5], v[20:21], v[18:19]
	s_mov_b32 s4, 0x3b39803f
	s_mov_b32 s5, 0xbc7abc9e
	v_fmac_f64_e32 v[22:23], s[4:5], v[20:21]
	s_mov_b32 s4, 0x6a5dcb37
	v_mov_b32_e32 v24, 0xfca7ab0c
	v_mov_b32_e32 v25, 0x3e928af3
	s_mov_b32 s5, 0x3e5ade15
	v_fmac_f64_e32 v[24:25], s[4:5], v[22:23]
	v_mov_b32_e32 v26, 0x623fde64
	v_mov_b32_e32 v27, 0x3ec71dee
	v_fmac_f64_e32 v[26:27], v[22:23], v[24:25]
	v_mov_b32_e32 v24, 0x7c89e6b0
	v_mov_b32_e32 v25, 0x3efa0199
	;; [unrolled: 3-line block ×8, first 2 shown]
	v_fmac_f64_e32 v[24:25], v[22:23], v[26:27]
	s_movk_i32 s6, 0x1f8
	v_fma_f64 v[24:25], v[22:23], v[24:25], 1.0
	s_mov_b32 s4, 0
	v_cmp_class_f64_e64 vcc, v[2:3], s6
	v_fma_f64 v[22:23], v[22:23], v[24:25], 1.0
	v_cvt_i32_f64_e32 v0, v[20:21]
	s_mov_b32 s5, 0x40900000
	s_mov_b32 s6, 0
	v_ldexp_f64 v[20:21], v[22:23], v0
	v_mov_b32_e32 v0, 0x7ff00000
	v_cmp_nlt_f64_e64 s[4:5], s[4:5], v[18:19]
	s_mov_b32 s7, 0xc090cc00
	v_cndmask_b32_e64 v0, v0, v21, s[4:5]
	v_cmp_ngt_f64_e64 s[6:7], s[6:7], v[18:19]
	v_cndmask_b32_e64 v0, 0, v0, s[6:7]
	v_and_b32_e32 v2, 0xfffff, v0
	v_lshrrev_b32_e32 v0, 20, v0
	v_add_u32_e32 v0, 0xffffff08, v0
	v_lshlrev_b32_e32 v5, 30, v16
	v_or_b32_e32 v19, 0x7fe00000, v2
	v_lshrrev_b16_e32 v2, 15, v0
	v_and_b32_e32 v5, 0x80000000, v5
	v_add_u16_e32 v2, v0, v2
	v_xor_b32_e32 v5, v4, v5
	v_mov_b32_e32 v16, 0x7ff80000
	s_and_b64 s[4:5], s[6:7], s[4:5]
	v_ashrrev_i16_e32 v2, 1, v2
	v_cndmask_b32_e32 v6, 0, v6, vcc
	v_cndmask_b32_e32 v7, v16, v5, vcc
	v_cndmask_b32_e64 v18, 0, v20, s[4:5]
	v_bfe_i32 v2, v2, 0, 16
	v_mov_b32_e32 v30, 0x3ff00000
	v_mov_b32_e32 v4, 0
	v_mul_f64 v[6:7], v[18:19], v[6:7]
	v_lshl_add_u32 v5, v2, 20, v30
	v_sub_u32_e32 v0, v0, v2
	v_mul_f64 v[6:7], v[6:7], v[4:5]
	v_lshl_add_u32 v21, v0, 20, v30
	v_mov_b32_e32 v20, v4
	v_mul_f64 v[22:23], v[6:7], v[20:21]
	v_mul_f64 v[6:7], v[8:9], v[8:9]
	v_mul_f64 v[24:25], v[6:7], 0.5
	v_fmac_f64_e32 v[12:13], s[18:19], v[6:7]
	v_add_f64 v[26:27], -v[24:25], 1.0
	v_fma_f64 v[12:13], v[6:7], v[12:13], s[20:21]
	v_add_f64 v[28:29], -v[26:27], 1.0
	v_fma_f64 v[12:13], v[6:7], v[12:13], s[22:23]
	v_add_f64 v[24:25], v[28:29], -v[24:25]
	v_fma_f64 v[12:13], v[6:7], v[12:13], s[24:25]
	v_fmac_f64_e32 v[14:15], s[28:29], v[6:7]
	v_mul_f64 v[28:29], v[6:7], v[6:7]
	v_fma_f64 v[12:13], v[6:7], v[12:13], s[26:27]
	v_fma_f64 v[24:25], v[8:9], -v[10:11], v[24:25]
	v_fma_f64 v[14:15], v[6:7], v[14:15], s[30:31]
	v_fmac_f64_e32 v[24:25], v[28:29], v[12:13]
	v_fma_f64 v[14:15], v[6:7], v[14:15], s[34:35]
	v_add_f64 v[12:13], v[26:27], v[24:25]
	v_fma_f64 v[14:15], v[6:7], v[14:15], s[36:37]
	v_mul_f64 v[24:25], v[8:9], -v[6:7]
	v_mul_f64 v[26:27], v[10:11], 0.5
	v_fmac_f64_e32 v[26:27], v[24:25], v[14:15]
	v_fma_f64 v[6:7], v[6:7], v[26:27], -v[10:11]
	v_fmac_f64_e32 v[6:7], s[38:39], v[24:25]
	v_and_b32_e32 v0, 1, v17
	v_add_f64 v[6:7], v[8:9], -v[6:7]
	v_cmp_eq_u32_e64 s[4:5], 0, v0
	v_cndmask_b32_e64 v0, v12, v6, s[4:5]
	v_lshlrev_b32_e32 v6, 30, v17
	v_xor_b32_e32 v3, v6, v3
	v_cndmask_b32_e64 v2, v13, v7, s[4:5]
	v_and_b32_e32 v3, 0x80000000, v3
	v_xor_b32_e32 v3, v2, v3
	v_cndmask_b32_e32 v2, 0, v0, vcc
	v_cndmask_b32_e32 v3, v16, v3, vcc
	v_mul_f64 v[2:3], v[18:19], v[2:3]
	s_brev_b32 s4, -2
	v_mul_f64 v[2:3], v[2:3], v[4:5]
	v_bfi_b32 v5, s4, v30, v1
	v_mul_f64 v[6:7], v[2:3], v[20:21]
	v_mul_f64 v[4:5], v[4:5], v[22:23]
.LBB106_56:
	s_or_b64 exec, exec, s[16:17]
                                        ; implicit-def: $vgpr0_vgpr1
                                        ; implicit-def: $vgpr2_vgpr3
.LBB106_57:
	s_andn2_saveexec_b64 s[6:7], s[14:15]
	s_cbranch_execz .LBB106_67
; %bb.58:
	s_mov_b32 s4, 0
	s_mov_b32 s5, 0x41d00000
	v_cmp_nlt_f64_e64 s[14:15], |v[2:3]|, s[4:5]
                                        ; implicit-def: $vgpr14
                                        ; implicit-def: $vgpr4_vgpr5
                                        ; implicit-def: $vgpr6_vgpr7
	s_and_saveexec_b64 s[4:5], s[14:15]
	s_xor_b64 s[16:17], exec, s[4:5]
	s_cbranch_execz .LBB106_60
; %bb.59:
	s_mov_b32 s4, 0
	s_mov_b32 s5, 0x7b000000
	s_movk_i32 s18, 0xff80
	v_and_b32_e32 v10, 0x7fffffff, v3
	v_ldexp_f64 v[8:9], |v[2:3]|, s18
	v_cmp_ge_f64_e64 vcc, |v[2:3]|, s[4:5]
	v_trig_preop_f64 v[4:5], |v[2:3]|, 0
	v_cndmask_b32_e32 v9, v10, v9, vcc
	v_cndmask_b32_e32 v8, v2, v8, vcc
	v_trig_preop_f64 v[6:7], |v[2:3]|, 1
	v_mul_f64 v[12:13], v[4:5], v[8:9]
	v_mul_f64 v[10:11], v[6:7], v[8:9]
	v_fma_f64 v[4:5], v[4:5], v[8:9], -v[12:13]
	v_add_f64 v[14:15], v[10:11], v[4:5]
	v_add_f64 v[16:17], v[12:13], v[14:15]
	s_mov_b32 s4, 0
	v_ldexp_f64 v[18:19], v[16:17], -2
	s_mov_b32 s5, 0x7ff00000
	v_fract_f64_e32 v[20:21], v[18:19]
	v_cmp_neq_f64_e64 vcc, |v[18:19]|, s[4:5]
	v_cndmask_b32_e32 v19, 0, v21, vcc
	v_cndmask_b32_e32 v18, 0, v20, vcc
	v_add_f64 v[20:21], v[14:15], -v[10:11]
	v_add_f64 v[4:5], v[4:5], -v[20:21]
	;; [unrolled: 1-line block ×4, first 2 shown]
	v_fma_f64 v[6:7], v[6:7], v[8:9], -v[10:11]
	v_trig_preop_f64 v[10:11], |v[2:3]|, 2
	v_add_f64 v[4:5], v[4:5], v[20:21]
	v_mul_f64 v[20:21], v[10:11], v[8:9]
	v_add_f64 v[24:25], v[20:21], v[6:7]
	v_add_f64 v[26:27], v[24:25], v[4:5]
	v_add_f64 v[12:13], v[16:17], -v[12:13]
	v_add_f64 v[16:17], v[26:27], -v[24:25]
	;; [unrolled: 1-line block ×5, first 2 shown]
	v_add_f64 v[4:5], v[4:5], v[16:17]
	v_add_f64 v[16:17], v[24:25], -v[20:21]
	v_add_f64 v[6:7], v[6:7], -v[16:17]
	;; [unrolled: 1-line block ×4, first 2 shown]
	v_add_f64 v[6:7], v[6:7], v[16:17]
	v_add_f64 v[12:13], v[14:15], -v[12:13]
	v_add_f64 v[4:5], v[6:7], v[4:5]
	v_fma_f64 v[6:7], v[10:11], v[8:9], -v[20:21]
	v_add_f64 v[14:15], v[12:13], v[26:27]
	v_add_f64 v[4:5], v[6:7], v[4:5]
	v_ldexp_f64 v[6:7], v[18:19], 2
	v_add_f64 v[8:9], v[14:15], v[6:7]
	v_mov_b32_e32 v10, 0x40100000
	v_cmp_gt_f64_e32 vcc, 0, v[8:9]
	v_mov_b32_e32 v22, 0
	v_cndmask_b32_e32 v23, 0, v10, vcc
	v_add_f64 v[6:7], v[6:7], v[22:23]
	v_add_f64 v[8:9], v[14:15], v[6:7]
	v_cvt_i32_f64_e32 v10, v[8:9]
	v_cvt_f64_i32_e32 v[8:9], v10
	v_add_f64 v[6:7], v[6:7], -v[8:9]
	v_add_f64 v[12:13], v[14:15], -v[12:13]
	v_add_f64 v[8:9], v[14:15], v[6:7]
	v_add_f64 v[12:13], v[26:27], -v[12:13]
	v_add_f64 v[6:7], v[8:9], -v[6:7]
	v_add_f64 v[4:5], v[12:13], v[4:5]
	v_add_f64 v[6:7], v[14:15], -v[6:7]
	v_add_f64 v[4:5], v[4:5], v[6:7]
	v_cmp_le_f64_e32 vcc, 0.5, v[8:9]
	v_mov_b32_e32 v6, 0x3ff00000
	v_cndmask_b32_e32 v23, 0, v6, vcc
	v_addc_co_u32_e64 v14, s[4:5], 0, v10, vcc
	v_add_f64 v[6:7], v[8:9], -v[22:23]
	v_add_f64 v[8:9], v[6:7], v[4:5]
	s_mov_b32 s4, 0x54442d18
	v_add_f64 v[6:7], v[8:9], -v[6:7]
	s_mov_b32 s5, 0x3ff921fb
	v_add_f64 v[4:5], v[4:5], -v[6:7]
	v_mul_f64 v[6:7], v[8:9], s[4:5]
	s_mov_b32 s18, 0x33145c07
	v_fma_f64 v[10:11], v[8:9], s[4:5], -v[6:7]
	s_mov_b32 s19, 0x3c91a626
	v_fmac_f64_e32 v[10:11], s[18:19], v[8:9]
	v_fmac_f64_e32 v[10:11], s[4:5], v[4:5]
	v_add_f64 v[4:5], v[6:7], v[10:11]
	v_add_f64 v[6:7], v[4:5], -v[6:7]
	v_add_f64 v[6:7], v[10:11], -v[6:7]
	s_andn2_saveexec_b64 s[4:5], s[16:17]
	s_cbranch_execz .LBB106_62
	s_branch .LBB106_61
.LBB106_60:
	s_andn2_saveexec_b64 s[4:5], s[16:17]
	s_cbranch_execz .LBB106_62
.LBB106_61:
	s_mov_b32 s16, 0x6dc9c883
	s_mov_b32 s17, 0x3fe45f30
	v_mul_f64 v[4:5], |v[2:3]|, s[16:17]
	s_mov_b32 s16, 0x54442d18
	v_rndne_f64_e32 v[8:9], v[4:5]
	s_mov_b32 s17, 0xbff921fb
	v_fma_f64 v[4:5], v[8:9], s[16:17], |v[2:3]|
	s_mov_b32 s17, 0xbc91a626
	s_mov_b32 s16, 0x33145c00
	v_mul_f64 v[10:11], v[8:9], s[16:17]
	v_add_f64 v[14:15], v[4:5], v[10:11]
	v_fma_f64 v[6:7], s[16:17], v[8:9], v[4:5]
	s_mov_b32 s17, 0x3c91a626
	v_add_f64 v[4:5], v[4:5], -v[14:15]
	v_fma_f64 v[12:13], s[16:17], v[8:9], v[10:11]
	v_add_f64 v[4:5], v[4:5], v[10:11]
	v_add_f64 v[10:11], v[14:15], -v[6:7]
	v_add_f64 v[4:5], v[10:11], v[4:5]
	s_mov_b32 s16, 0x252049c0
	v_add_f64 v[10:11], v[4:5], -v[12:13]
	s_mov_b32 s17, 0xb97b839a
	v_fmac_f64_e32 v[10:11], s[16:17], v[8:9]
	v_add_f64 v[4:5], v[6:7], v[10:11]
	v_add_f64 v[6:7], v[4:5], -v[6:7]
	v_add_f64 v[6:7], v[10:11], -v[6:7]
	v_cvt_i32_f64_e32 v14, v[8:9]
.LBB106_62:
	s_or_b64 exec, exec, s[4:5]
                                        ; implicit-def: $vgpr15
                                        ; implicit-def: $vgpr8_vgpr9
                                        ; implicit-def: $vgpr10_vgpr11
	s_and_saveexec_b64 s[4:5], s[14:15]
	s_xor_b64 s[14:15], exec, s[4:5]
	s_cbranch_execz .LBB106_64
; %bb.63:
	s_mov_b32 s4, 0
	s_mov_b32 s5, 0x7b000000
	s_movk_i32 s16, 0xff80
	v_and_b32_e32 v15, 0x7fffffff, v3
	v_ldexp_f64 v[12:13], |v[2:3]|, s16
	v_cmp_ge_f64_e64 vcc, |v[2:3]|, s[4:5]
	v_trig_preop_f64 v[8:9], |v[2:3]|, 0
	v_cndmask_b32_e32 v13, v15, v13, vcc
	v_cndmask_b32_e32 v12, v2, v12, vcc
	v_trig_preop_f64 v[10:11], |v[2:3]|, 1
	v_mul_f64 v[18:19], v[8:9], v[12:13]
	v_mul_f64 v[16:17], v[10:11], v[12:13]
	v_fma_f64 v[8:9], v[8:9], v[12:13], -v[18:19]
	v_add_f64 v[20:21], v[16:17], v[8:9]
	v_add_f64 v[22:23], v[18:19], v[20:21]
	s_mov_b32 s4, 0
	v_ldexp_f64 v[24:25], v[22:23], -2
	s_mov_b32 s5, 0x7ff00000
	v_fract_f64_e32 v[26:27], v[24:25]
	v_cmp_neq_f64_e64 vcc, |v[24:25]|, s[4:5]
	v_cndmask_b32_e32 v25, 0, v27, vcc
	v_cndmask_b32_e32 v24, 0, v26, vcc
	v_add_f64 v[26:27], v[20:21], -v[16:17]
	v_add_f64 v[8:9], v[8:9], -v[26:27]
	;; [unrolled: 1-line block ×4, first 2 shown]
	v_fma_f64 v[10:11], v[10:11], v[12:13], -v[16:17]
	v_trig_preop_f64 v[16:17], |v[2:3]|, 2
	v_add_f64 v[8:9], v[8:9], v[26:27]
	v_mul_f64 v[26:27], v[16:17], v[12:13]
	v_add_f64 v[30:31], v[26:27], v[10:11]
	v_add_f64 v[32:33], v[30:31], v[8:9]
	v_add_f64 v[18:19], v[22:23], -v[18:19]
	v_add_f64 v[22:23], v[32:33], -v[30:31]
	;; [unrolled: 1-line block ×5, first 2 shown]
	v_add_f64 v[8:9], v[8:9], v[22:23]
	v_add_f64 v[22:23], v[30:31], -v[26:27]
	v_add_f64 v[10:11], v[10:11], -v[22:23]
	;; [unrolled: 1-line block ×4, first 2 shown]
	v_add_f64 v[10:11], v[10:11], v[22:23]
	v_add_f64 v[18:19], v[20:21], -v[18:19]
	v_add_f64 v[8:9], v[10:11], v[8:9]
	v_fma_f64 v[10:11], v[16:17], v[12:13], -v[26:27]
	v_add_f64 v[20:21], v[18:19], v[32:33]
	v_add_f64 v[8:9], v[10:11], v[8:9]
	v_ldexp_f64 v[10:11], v[24:25], 2
	v_add_f64 v[12:13], v[20:21], v[10:11]
	v_mov_b32_e32 v15, 0x40100000
	v_cmp_gt_f64_e32 vcc, 0, v[12:13]
	v_mov_b32_e32 v28, 0
	v_cndmask_b32_e32 v29, 0, v15, vcc
	v_add_f64 v[10:11], v[10:11], v[28:29]
	v_add_f64 v[12:13], v[20:21], v[10:11]
	v_cvt_i32_f64_e32 v15, v[12:13]
	v_cvt_f64_i32_e32 v[12:13], v15
	v_add_f64 v[10:11], v[10:11], -v[12:13]
	v_add_f64 v[18:19], v[20:21], -v[18:19]
	v_add_f64 v[12:13], v[20:21], v[10:11]
	v_add_f64 v[18:19], v[32:33], -v[18:19]
	v_add_f64 v[10:11], v[12:13], -v[10:11]
	v_add_f64 v[8:9], v[18:19], v[8:9]
	v_add_f64 v[10:11], v[20:21], -v[10:11]
	v_add_f64 v[8:9], v[8:9], v[10:11]
	v_cmp_le_f64_e32 vcc, 0.5, v[12:13]
	v_mov_b32_e32 v10, 0x3ff00000
	v_cndmask_b32_e32 v29, 0, v10, vcc
	v_addc_co_u32_e64 v15, s[4:5], 0, v15, vcc
	v_add_f64 v[10:11], v[12:13], -v[28:29]
	v_add_f64 v[12:13], v[10:11], v[8:9]
	s_mov_b32 s4, 0x54442d18
	v_add_f64 v[10:11], v[12:13], -v[10:11]
	s_mov_b32 s5, 0x3ff921fb
	v_add_f64 v[8:9], v[8:9], -v[10:11]
	v_mul_f64 v[10:11], v[12:13], s[4:5]
	s_mov_b32 s16, 0x33145c07
	v_fma_f64 v[16:17], v[12:13], s[4:5], -v[10:11]
	s_mov_b32 s17, 0x3c91a626
	v_fmac_f64_e32 v[16:17], s[16:17], v[12:13]
	v_fmac_f64_e32 v[16:17], s[4:5], v[8:9]
	v_add_f64 v[8:9], v[10:11], v[16:17]
	v_add_f64 v[10:11], v[8:9], -v[10:11]
	v_add_f64 v[10:11], v[16:17], -v[10:11]
	s_andn2_saveexec_b64 s[4:5], s[14:15]
	s_cbranch_execnz .LBB106_65
	s_branch .LBB106_66
.LBB106_64:
	s_andn2_saveexec_b64 s[4:5], s[14:15]
	s_cbranch_execz .LBB106_66
.LBB106_65:
	s_mov_b32 s14, 0x6dc9c883
	s_mov_b32 s15, 0x3fe45f30
	v_mul_f64 v[8:9], |v[2:3]|, s[14:15]
	s_mov_b32 s14, 0x54442d18
	v_rndne_f64_e32 v[12:13], v[8:9]
	s_mov_b32 s15, 0xbff921fb
	v_fma_f64 v[8:9], v[12:13], s[14:15], |v[2:3]|
	s_mov_b32 s15, 0xbc91a626
	s_mov_b32 s14, 0x33145c00
	v_mul_f64 v[16:17], v[12:13], s[14:15]
	v_add_f64 v[20:21], v[8:9], v[16:17]
	v_fma_f64 v[10:11], s[14:15], v[12:13], v[8:9]
	s_mov_b32 s15, 0x3c91a626
	v_add_f64 v[8:9], v[8:9], -v[20:21]
	v_fma_f64 v[18:19], s[14:15], v[12:13], v[16:17]
	v_add_f64 v[8:9], v[8:9], v[16:17]
	v_add_f64 v[16:17], v[20:21], -v[10:11]
	v_add_f64 v[8:9], v[16:17], v[8:9]
	s_mov_b32 s14, 0x252049c0
	v_add_f64 v[16:17], v[8:9], -v[18:19]
	s_mov_b32 s15, 0xb97b839a
	v_fmac_f64_e32 v[16:17], s[14:15], v[12:13]
	v_add_f64 v[8:9], v[10:11], v[16:17]
	v_add_f64 v[10:11], v[8:9], -v[10:11]
	v_add_f64 v[10:11], v[16:17], -v[10:11]
	v_cvt_i32_f64_e32 v15, v[12:13]
.LBB106_66:
	s_or_b64 exec, exec, s[4:5]
	s_mov_b32 s4, 0x652b82fe
	s_mov_b32 s5, 0x3ff71547
	v_mul_f64 v[12:13], |v[0:1]|, s[4:5]
	s_mov_b32 s4, 0xfefa39ef
	v_rndne_f64_e32 v[12:13], v[12:13]
	s_mov_b32 s5, 0xbfe62e42
	v_fma_f64 v[16:17], v[12:13], s[4:5], |v[0:1]|
	s_mov_b32 s4, 0x3b39803f
	s_mov_b32 s5, 0xbc7abc9e
	v_fmac_f64_e32 v[16:17], s[4:5], v[12:13]
	s_mov_b32 s4, 0x6a5dcb37
	v_mov_b32_e32 v18, 0xfca7ab0c
	v_mov_b32_e32 v19, 0x3e928af3
	s_mov_b32 s5, 0x3e5ade15
	v_fmac_f64_e32 v[18:19], s[4:5], v[16:17]
	v_mov_b32_e32 v20, 0x623fde64
	v_mov_b32_e32 v21, 0x3ec71dee
	v_fmac_f64_e32 v[20:21], v[16:17], v[18:19]
	v_mov_b32_e32 v18, 0x7c89e6b0
	v_mov_b32_e32 v19, 0x3efa0199
	v_fmac_f64_e32 v[18:19], v[16:17], v[20:21]
	v_mov_b32_e32 v20, 0x14761f6e
	v_mov_b32_e32 v21, 0x3f2a01a0
	v_fmac_f64_e32 v[20:21], v[16:17], v[18:19]
	v_mov_b32_e32 v18, 0x1852b7b0
	v_mov_b32_e32 v19, 0x3f56c16c
	v_fmac_f64_e32 v[18:19], v[16:17], v[20:21]
	v_mov_b32_e32 v20, 0x11122322
	v_mov_b32_e32 v21, 0x3f811111
	v_fmac_f64_e32 v[20:21], v[16:17], v[18:19]
	v_mov_b32_e32 v18, 0x555502a1
	v_mov_b32_e32 v19, 0x3fa55555
	v_fmac_f64_e32 v[18:19], v[16:17], v[20:21]
	v_mov_b32_e32 v20, 0x55555511
	v_mov_b32_e32 v21, 0x3fc55555
	v_fmac_f64_e32 v[20:21], v[16:17], v[18:19]
	v_mov_b32_e32 v18, 11
	v_mov_b32_e32 v19, 0x3fe00000
	v_fmac_f64_e32 v[18:19], v[16:17], v[20:21]
	v_fma_f64 v[18:19], v[16:17], v[18:19], 1.0
	v_fma_f64 v[16:17], v[16:17], v[18:19], 1.0
	v_cvt_i32_f64_e32 v12, v[12:13]
	s_mov_b32 s16, 0
	v_ldexp_f64 v[12:13], v[16:17], v12
	s_mov_b32 s17, 0x40900000
	v_mul_f64 v[12:13], v[12:13], 0.5
	v_mov_b32_e32 v16, 0x7ff00000
	v_cmp_ngt_f64_e64 vcc, |v[0:1]|, s[16:17]
	v_cndmask_b32_e32 v13, v16, v13, vcc
	s_brev_b32 s16, -2
	s_mov_b32 s18, 0x9037ab78
	v_bfi_b32 v1, s16, v13, v1
	s_mov_b32 s19, 0x3e21eeb6
	s_mov_b32 s16, 0x46cc5e42
	v_mul_f64 v[16:17], v[4:5], v[4:5]
	s_mov_b32 s17, 0xbda907db
	v_pk_mov_b32 v[24:25], s[18:19], s[18:19] op_sel:[0,1]
	s_mov_b32 s18, 0xa17f65f6
	v_mul_f64 v[18:19], v[16:17], 0.5
	v_fma_f64 v[26:27], s[16:17], v[16:17], v[24:25]
	s_mov_b32 s19, 0xbe927e4f
	s_mov_b32 s20, 0x19f4ec90
	v_add_f64 v[20:21], -v[18:19], 1.0
	v_fma_f64 v[26:27], v[16:17], v[26:27], s[18:19]
	s_mov_b32 s21, 0x3efa01a0
	s_mov_b32 s22, 0x16c16967
	;; [unrolled: 1-line block ×3, first 2 shown]
	v_add_f64 v[22:23], -v[20:21], 1.0
	v_fma_f64 v[26:27], v[16:17], v[26:27], s[20:21]
	s_mov_b32 s23, 0xbf56c16c
	s_mov_b32 s15, 0x3fa55555
	v_add_f64 v[18:19], v[22:23], -v[18:19]
	v_fma_f64 v[26:27], v[16:17], v[26:27], s[22:23]
	v_mul_f64 v[22:23], v[16:17], v[16:17]
	v_fma_f64 v[26:27], v[16:17], v[26:27], s[14:15]
	v_fma_f64 v[18:19], v[4:5], -v[6:7], v[18:19]
	s_mov_b32 s24, 0xb42fdfa7
	v_fmac_f64_e32 v[18:19], v[22:23], v[26:27]
	s_mov_b32 s25, 0xbe5ae600
	s_mov_b32 s26, 0xf9a43bb8
	v_add_f64 v[18:19], v[20:21], v[18:19]
	s_mov_b32 s27, 0x3de5e0b2
	v_pk_mov_b32 v[20:21], s[24:25], s[24:25] op_sel:[0,1]
	s_mov_b32 s24, 0x796cde01
	v_fma_f64 v[22:23], s[26:27], v[16:17], v[20:21]
	s_mov_b32 s25, 0x3ec71de3
	s_mov_b32 s28, 0x19e83e5c
	;; [unrolled: 1-line block ×3, first 2 shown]
	v_fma_f64 v[22:23], v[16:17], v[22:23], s[24:25]
	s_mov_b32 s29, 0xbf2a01a0
	s_mov_b32 s5, 0x3f811111
	v_fma_f64 v[22:23], v[16:17], v[22:23], s[28:29]
	v_fma_f64 v[22:23], v[16:17], v[22:23], s[4:5]
	v_mul_f64 v[26:27], v[4:5], -v[16:17]
	v_mul_f64 v[28:29], v[6:7], 0.5
	v_fmac_f64_e32 v[28:29], v[26:27], v[22:23]
	v_fma_f64 v[6:7], v[16:17], v[28:29], -v[6:7]
	s_mov_b32 s31, 0xbfc55555
	s_mov_b32 s30, s14
	v_fmac_f64_e32 v[6:7], s[30:31], v[26:27]
	v_add_f64 v[4:5], v[4:5], -v[6:7]
	v_and_b32_e32 v6, 1, v14
	v_cndmask_b32_e32 v12, 0, v12, vcc
	v_xor_b32_e32 v5, 0x80000000, v5
	v_cmp_eq_u32_e32 vcc, 0, v6
	v_lshlrev_b32_e32 v6, 30, v14
	v_cndmask_b32_e32 v4, v4, v18, vcc
	v_cndmask_b32_e32 v5, v5, v19, vcc
	v_and_b32_e32 v6, 0x80000000, v6
	s_movk_i32 vcc_lo, 0x1f8
	v_xor_b32_e32 v5, v5, v6
	v_cmp_class_f64_e64 vcc, v[2:3], vcc_lo
	v_mov_b32_e32 v2, 0x7ff80000
	v_mov_b32_e32 v0, v12
	v_cndmask_b32_e32 v4, 0, v4, vcc
	v_cndmask_b32_e32 v5, v2, v5, vcc
	v_mul_f64 v[4:5], v[0:1], v[4:5]
	v_mul_f64 v[0:1], v[8:9], v[8:9]
	v_mul_f64 v[6:7], v[0:1], 0.5
	v_fmac_f64_e32 v[24:25], s[16:17], v[0:1]
	v_add_f64 v[16:17], -v[6:7], 1.0
	v_fma_f64 v[22:23], v[0:1], v[24:25], s[18:19]
	v_add_f64 v[18:19], -v[16:17], 1.0
	v_fma_f64 v[22:23], v[0:1], v[22:23], s[20:21]
	v_add_f64 v[6:7], v[18:19], -v[6:7]
	v_fma_f64 v[22:23], v[0:1], v[22:23], s[22:23]
	v_mul_f64 v[18:19], v[0:1], v[0:1]
	v_fma_f64 v[22:23], v[0:1], v[22:23], s[14:15]
	v_fma_f64 v[6:7], v[8:9], -v[10:11], v[6:7]
	v_fmac_f64_e32 v[6:7], v[18:19], v[22:23]
	v_fmac_f64_e32 v[20:21], s[26:27], v[0:1]
	v_add_f64 v[6:7], v[16:17], v[6:7]
	v_fma_f64 v[16:17], v[0:1], v[20:21], s[24:25]
	v_fma_f64 v[16:17], v[0:1], v[16:17], s[28:29]
	;; [unrolled: 1-line block ×3, first 2 shown]
	v_mul_f64 v[18:19], v[8:9], -v[0:1]
	v_mul_f64 v[20:21], v[10:11], 0.5
	v_fmac_f64_e32 v[20:21], v[18:19], v[16:17]
	v_fma_f64 v[0:1], v[0:1], v[20:21], -v[10:11]
	v_fmac_f64_e32 v[0:1], s[30:31], v[18:19]
	v_add_f64 v[0:1], v[8:9], -v[0:1]
	v_and_b32_e32 v8, 1, v15
	v_cmp_eq_u32_e64 s[4:5], 0, v8
	v_cndmask_b32_e64 v0, v6, v0, s[4:5]
	v_lshlrev_b32_e32 v6, 30, v15
	v_xor_b32_e32 v3, v6, v3
	v_cndmask_b32_e64 v1, v7, v1, s[4:5]
	v_and_b32_e32 v3, 0x80000000, v3
	v_xor_b32_e32 v1, v1, v3
	v_cndmask_b32_e32 v0, 0, v0, vcc
	v_cndmask_b32_e32 v1, v2, v1, vcc
	v_mul_f64 v[6:7], v[12:13], v[0:1]
.LBB106_67:
	s_or_b64 exec, exec, s[6:7]
                                        ; implicit-def: $vgpr0_vgpr1
                                        ; implicit-def: $vgpr2_vgpr3
.LBB106_68:
	s_andn2_saveexec_b64 s[6:7], s[12:13]
	s_cbranch_execz .LBB106_78
; %bb.69:
	s_mov_b32 s4, 0
	s_mov_b32 s5, 0x41d00000
	v_cmp_nlt_f64_e64 s[12:13], |v[2:3]|, s[4:5]
	v_trig_preop_f64 v[16:17], |v[2:3]|, 0
	v_trig_preop_f64 v[14:15], |v[2:3]|, 1
	;; [unrolled: 1-line block ×3, first 2 shown]
                                        ; implicit-def: $vgpr20
                                        ; implicit-def: $vgpr4_vgpr5
                                        ; implicit-def: $vgpr6_vgpr7
	s_and_saveexec_b64 s[4:5], s[12:13]
	s_xor_b64 s[14:15], exec, s[4:5]
	s_cbranch_execz .LBB106_71
; %bb.70:
	s_mov_b32 s4, 0
	s_mov_b32 s5, 0x7b000000
	s_movk_i32 s16, 0xff80
	v_and_b32_e32 v6, 0x7fffffff, v3
	v_ldexp_f64 v[4:5], |v[2:3]|, s16
	v_cmp_ge_f64_e64 vcc, |v[2:3]|, s[4:5]
	v_cndmask_b32_e32 v5, v6, v5, vcc
	v_cndmask_b32_e32 v4, v2, v4, vcc
	v_mul_f64 v[8:9], v[16:17], v[4:5]
	v_mul_f64 v[6:7], v[14:15], v[4:5]
	v_fma_f64 v[10:11], v[16:17], v[4:5], -v[8:9]
	v_add_f64 v[18:19], v[6:7], v[10:11]
	v_add_f64 v[20:21], v[8:9], v[18:19]
	s_mov_b32 s4, 0
	v_ldexp_f64 v[22:23], v[20:21], -2
	s_mov_b32 s5, 0x7ff00000
	v_fract_f64_e32 v[24:25], v[22:23]
	v_cmp_neq_f64_e64 vcc, |v[22:23]|, s[4:5]
	v_cndmask_b32_e32 v23, 0, v25, vcc
	v_cndmask_b32_e32 v22, 0, v24, vcc
	v_add_f64 v[24:25], v[18:19], -v[6:7]
	v_add_f64 v[10:11], v[10:11], -v[24:25]
	v_add_f64 v[24:25], v[18:19], -v[24:25]
	v_add_f64 v[24:25], v[6:7], -v[24:25]
	v_add_f64 v[10:11], v[10:11], v[24:25]
	v_fma_f64 v[6:7], v[14:15], v[4:5], -v[6:7]
	v_mul_f64 v[24:25], v[12:13], v[4:5]
	v_add_f64 v[28:29], v[24:25], v[6:7]
	v_add_f64 v[30:31], v[28:29], v[10:11]
	v_add_f64 v[8:9], v[20:21], -v[8:9]
	v_add_f64 v[20:21], v[30:31], -v[28:29]
	;; [unrolled: 1-line block ×5, first 2 shown]
	v_add_f64 v[10:11], v[10:11], v[20:21]
	v_add_f64 v[20:21], v[28:29], -v[24:25]
	v_add_f64 v[6:7], v[6:7], -v[20:21]
	;; [unrolled: 1-line block ×5, first 2 shown]
	v_add_f64 v[18:19], v[8:9], v[30:31]
	v_add_f64 v[6:7], v[6:7], v[20:21]
	v_add_f64 v[8:9], v[18:19], -v[8:9]
	v_add_f64 v[6:7], v[6:7], v[10:11]
	v_fma_f64 v[4:5], v[12:13], v[4:5], -v[24:25]
	v_add_f64 v[8:9], v[30:31], -v[8:9]
	v_add_f64 v[4:5], v[4:5], v[6:7]
	v_ldexp_f64 v[6:7], v[22:23], 2
	v_add_f64 v[4:5], v[8:9], v[4:5]
	v_add_f64 v[8:9], v[18:19], v[6:7]
	v_mov_b32_e32 v10, 0x40100000
	v_cmp_gt_f64_e32 vcc, 0, v[8:9]
	v_mov_b32_e32 v26, 0
	v_cndmask_b32_e32 v27, 0, v10, vcc
	v_add_f64 v[6:7], v[6:7], v[26:27]
	v_add_f64 v[8:9], v[18:19], v[6:7]
	v_cvt_i32_f64_e32 v10, v[8:9]
	v_cvt_f64_i32_e32 v[8:9], v10
	v_add_f64 v[6:7], v[6:7], -v[8:9]
	v_add_f64 v[8:9], v[18:19], v[6:7]
	v_add_f64 v[6:7], v[8:9], -v[6:7]
	v_add_f64 v[6:7], v[18:19], -v[6:7]
	v_add_f64 v[4:5], v[4:5], v[6:7]
	v_cmp_le_f64_e32 vcc, 0.5, v[8:9]
	v_mov_b32_e32 v6, 0x3ff00000
	v_cndmask_b32_e32 v27, 0, v6, vcc
	v_addc_co_u32_e64 v20, s[4:5], 0, v10, vcc
	v_add_f64 v[6:7], v[8:9], -v[26:27]
	v_add_f64 v[8:9], v[6:7], v[4:5]
	s_mov_b32 s4, 0x54442d18
	v_add_f64 v[6:7], v[8:9], -v[6:7]
	s_mov_b32 s5, 0x3ff921fb
	v_add_f64 v[4:5], v[4:5], -v[6:7]
	v_mul_f64 v[6:7], v[8:9], s[4:5]
	s_mov_b32 s16, 0x33145c07
	v_fma_f64 v[10:11], v[8:9], s[4:5], -v[6:7]
	s_mov_b32 s17, 0x3c91a626
	v_fmac_f64_e32 v[10:11], s[16:17], v[8:9]
	v_fmac_f64_e32 v[10:11], s[4:5], v[4:5]
	v_add_f64 v[4:5], v[6:7], v[10:11]
	v_add_f64 v[6:7], v[4:5], -v[6:7]
	v_add_f64 v[6:7], v[10:11], -v[6:7]
	s_andn2_saveexec_b64 s[4:5], s[14:15]
	s_cbranch_execz .LBB106_73
	s_branch .LBB106_72
.LBB106_71:
	s_andn2_saveexec_b64 s[4:5], s[14:15]
	s_cbranch_execz .LBB106_73
.LBB106_72:
	s_mov_b32 s14, 0x6dc9c883
	s_mov_b32 s15, 0x3fe45f30
	v_mul_f64 v[4:5], |v[2:3]|, s[14:15]
	s_mov_b32 s14, 0x54442d18
	v_rndne_f64_e32 v[8:9], v[4:5]
	s_mov_b32 s15, 0xbff921fb
	v_fma_f64 v[4:5], v[8:9], s[14:15], |v[2:3]|
	s_mov_b32 s15, 0xbc91a626
	s_mov_b32 s14, 0x33145c00
	v_mul_f64 v[10:11], v[8:9], s[14:15]
	v_add_f64 v[20:21], v[4:5], v[10:11]
	v_fma_f64 v[6:7], s[14:15], v[8:9], v[4:5]
	s_mov_b32 s15, 0x3c91a626
	v_add_f64 v[4:5], v[4:5], -v[20:21]
	v_fma_f64 v[18:19], s[14:15], v[8:9], v[10:11]
	v_add_f64 v[4:5], v[4:5], v[10:11]
	v_add_f64 v[10:11], v[20:21], -v[6:7]
	v_add_f64 v[4:5], v[10:11], v[4:5]
	s_mov_b32 s14, 0x252049c0
	v_add_f64 v[10:11], v[4:5], -v[18:19]
	s_mov_b32 s15, 0xb97b839a
	v_fmac_f64_e32 v[10:11], s[14:15], v[8:9]
	v_add_f64 v[4:5], v[6:7], v[10:11]
	v_add_f64 v[6:7], v[4:5], -v[6:7]
	v_add_f64 v[6:7], v[10:11], -v[6:7]
	v_cvt_i32_f64_e32 v20, v[8:9]
.LBB106_73:
	s_or_b64 exec, exec, s[4:5]
                                        ; implicit-def: $vgpr21
                                        ; implicit-def: $vgpr8_vgpr9
                                        ; implicit-def: $vgpr10_vgpr11
	s_and_saveexec_b64 s[4:5], s[12:13]
	s_xor_b64 s[12:13], exec, s[4:5]
	s_cbranch_execz .LBB106_75
; %bb.74:
	s_mov_b32 s4, 0
	s_mov_b32 s5, 0x7b000000
	s_movk_i32 s14, 0xff80
	v_and_b32_e32 v10, 0x7fffffff, v3
	v_ldexp_f64 v[8:9], |v[2:3]|, s14
	v_cmp_ge_f64_e64 vcc, |v[2:3]|, s[4:5]
	v_cndmask_b32_e32 v9, v10, v9, vcc
	v_cndmask_b32_e32 v8, v2, v8, vcc
	v_mul_f64 v[18:19], v[16:17], v[8:9]
	v_mul_f64 v[10:11], v[14:15], v[8:9]
	v_fma_f64 v[16:17], v[16:17], v[8:9], -v[18:19]
	v_add_f64 v[22:23], v[10:11], v[16:17]
	v_add_f64 v[24:25], v[18:19], v[22:23]
	s_mov_b32 s4, 0
	v_ldexp_f64 v[26:27], v[24:25], -2
	s_mov_b32 s5, 0x7ff00000
	v_fract_f64_e32 v[28:29], v[26:27]
	v_cmp_neq_f64_e64 vcc, |v[26:27]|, s[4:5]
	v_cndmask_b32_e32 v27, 0, v29, vcc
	v_cndmask_b32_e32 v26, 0, v28, vcc
	v_add_f64 v[28:29], v[22:23], -v[10:11]
	v_add_f64 v[16:17], v[16:17], -v[28:29]
	;; [unrolled: 1-line block ×4, first 2 shown]
	v_fma_f64 v[10:11], v[14:15], v[8:9], -v[10:11]
	v_mul_f64 v[14:15], v[12:13], v[8:9]
	v_add_f64 v[16:17], v[16:17], v[28:29]
	v_add_f64 v[28:29], v[14:15], v[10:11]
	;; [unrolled: 1-line block ×3, first 2 shown]
	v_add_f64 v[18:19], v[24:25], -v[18:19]
	v_add_f64 v[24:25], v[32:33], -v[28:29]
	;; [unrolled: 1-line block ×5, first 2 shown]
	v_add_f64 v[16:17], v[16:17], v[24:25]
	v_add_f64 v[24:25], v[28:29], -v[14:15]
	v_add_f64 v[10:11], v[10:11], -v[24:25]
	;; [unrolled: 1-line block ×4, first 2 shown]
	v_add_f64 v[10:11], v[10:11], v[24:25]
	v_add_f64 v[18:19], v[22:23], -v[18:19]
	v_add_f64 v[10:11], v[10:11], v[16:17]
	v_fma_f64 v[8:9], v[12:13], v[8:9], -v[14:15]
	v_add_f64 v[22:23], v[18:19], v[32:33]
	v_add_f64 v[8:9], v[8:9], v[10:11]
	v_ldexp_f64 v[10:11], v[26:27], 2
	v_add_f64 v[12:13], v[22:23], v[10:11]
	v_mov_b32_e32 v14, 0x40100000
	v_cmp_gt_f64_e32 vcc, 0, v[12:13]
	v_mov_b32_e32 v30, 0
	v_cndmask_b32_e32 v31, 0, v14, vcc
	v_add_f64 v[10:11], v[10:11], v[30:31]
	v_add_f64 v[12:13], v[22:23], v[10:11]
	v_cvt_i32_f64_e32 v14, v[12:13]
	v_cvt_f64_i32_e32 v[12:13], v14
	v_add_f64 v[10:11], v[10:11], -v[12:13]
	v_add_f64 v[18:19], v[22:23], -v[18:19]
	v_add_f64 v[12:13], v[22:23], v[10:11]
	v_add_f64 v[18:19], v[32:33], -v[18:19]
	v_add_f64 v[10:11], v[12:13], -v[10:11]
	v_add_f64 v[8:9], v[18:19], v[8:9]
	v_add_f64 v[10:11], v[22:23], -v[10:11]
	v_add_f64 v[8:9], v[8:9], v[10:11]
	v_cmp_le_f64_e32 vcc, 0.5, v[12:13]
	v_mov_b32_e32 v10, 0x3ff00000
	v_cndmask_b32_e32 v31, 0, v10, vcc
	v_addc_co_u32_e64 v21, s[4:5], 0, v14, vcc
	v_add_f64 v[10:11], v[12:13], -v[30:31]
	v_add_f64 v[12:13], v[10:11], v[8:9]
	s_mov_b32 s4, 0x54442d18
	v_add_f64 v[10:11], v[12:13], -v[10:11]
	s_mov_b32 s5, 0x3ff921fb
	v_add_f64 v[8:9], v[8:9], -v[10:11]
	v_mul_f64 v[10:11], v[12:13], s[4:5]
	s_mov_b32 s14, 0x33145c07
	v_fma_f64 v[14:15], v[12:13], s[4:5], -v[10:11]
	s_mov_b32 s15, 0x3c91a626
	v_fmac_f64_e32 v[14:15], s[14:15], v[12:13]
	v_fmac_f64_e32 v[14:15], s[4:5], v[8:9]
	v_add_f64 v[8:9], v[10:11], v[14:15]
	v_add_f64 v[10:11], v[8:9], -v[10:11]
	v_add_f64 v[10:11], v[14:15], -v[10:11]
	s_andn2_saveexec_b64 s[4:5], s[12:13]
	s_cbranch_execnz .LBB106_76
	s_branch .LBB106_77
.LBB106_75:
	s_andn2_saveexec_b64 s[4:5], s[12:13]
	s_cbranch_execz .LBB106_77
.LBB106_76:
	s_mov_b32 s12, 0x6dc9c883
	s_mov_b32 s13, 0x3fe45f30
	v_mul_f64 v[8:9], |v[2:3]|, s[12:13]
	s_mov_b32 s12, 0x54442d18
	v_rndne_f64_e32 v[12:13], v[8:9]
	s_mov_b32 s13, 0xbff921fb
	v_fma_f64 v[8:9], v[12:13], s[12:13], |v[2:3]|
	s_mov_b32 s13, 0xbc91a626
	s_mov_b32 s12, 0x33145c00
	v_mul_f64 v[14:15], v[12:13], s[12:13]
	v_add_f64 v[18:19], v[8:9], v[14:15]
	v_fma_f64 v[10:11], s[12:13], v[12:13], v[8:9]
	s_mov_b32 s13, 0x3c91a626
	v_add_f64 v[8:9], v[8:9], -v[18:19]
	v_fma_f64 v[16:17], s[12:13], v[12:13], v[14:15]
	v_add_f64 v[8:9], v[8:9], v[14:15]
	v_add_f64 v[14:15], v[18:19], -v[10:11]
	v_add_f64 v[8:9], v[14:15], v[8:9]
	s_mov_b32 s12, 0x252049c0
	v_add_f64 v[14:15], v[8:9], -v[16:17]
	s_mov_b32 s13, 0xb97b839a
	v_fmac_f64_e32 v[14:15], s[12:13], v[12:13]
	v_add_f64 v[8:9], v[10:11], v[14:15]
	v_add_f64 v[10:11], v[8:9], -v[10:11]
	v_add_f64 v[10:11], v[14:15], -v[10:11]
	v_cvt_i32_f64_e32 v21, v[12:13]
.LBB106_77:
	s_or_b64 exec, exec, s[4:5]
	s_mov_b32 s5, 0xbfe62e42
	s_mov_b32 s4, 0xfefa39ef
	v_add_f64 v[12:13], |v[0:1]|, s[4:5]
	v_add_f64 v[14:15], v[12:13], -|v[0:1]|
	v_add_f64 v[16:17], v[14:15], -v[12:13]
	s_mov_b32 s13, 0x3fe62e42
	s_mov_b32 s12, s4
	v_add_f64 v[16:17], |v[0:1]|, v[16:17]
	v_add_f64 v[14:15], v[14:15], s[12:13]
	s_mov_b32 s12, 0x3b39803f
	v_add_f64 v[14:15], v[16:17], -v[14:15]
	s_mov_b32 s13, 0xbc7abc9e
	v_add_f64 v[14:15], v[14:15], s[12:13]
	v_add_f64 v[16:17], v[12:13], v[14:15]
	s_mov_b32 s12, 0x652b82fe
	v_add_f64 v[12:13], v[12:13], -v[16:17]
	s_mov_b32 s13, 0x3ff71547
	v_add_f64 v[14:15], v[14:15], v[12:13]
	v_mul_f64 v[12:13], v[16:17], s[12:13]
	v_rndne_f64_e32 v[12:13], v[12:13]
	s_mov_b32 s4, 0xfefa3000
	v_fmac_f64_e32 v[16:17], s[4:5], v[12:13]
	v_add_f64 v[18:19], v[14:15], v[16:17]
	s_mov_b32 s4, 0xf278e000
	v_add_f64 v[16:17], v[16:17], -v[18:19]
	s_mov_b32 s5, 0xbd53de6a
	v_add_f64 v[14:15], v[14:15], v[16:17]
	v_mul_f64 v[16:17], v[12:13], s[4:5]
	v_add_f64 v[22:23], v[18:19], v[16:17]
	v_add_f64 v[18:19], v[18:19], -v[22:23]
	v_add_f64 v[16:17], v[18:19], v[16:17]
	v_add_f64 v[14:15], v[14:15], v[16:17]
	;; [unrolled: 1-line block ×3, first 2 shown]
	s_mov_b32 s4, 0xf97b57a0
	v_add_f64 v[18:19], v[22:23], -v[16:17]
	s_mov_b32 s5, 0xbac9cc01
	v_add_f64 v[14:15], v[14:15], v[18:19]
	v_mul_f64 v[18:19], v[12:13], s[4:5]
	v_add_f64 v[22:23], v[16:17], v[18:19]
	v_add_f64 v[16:17], v[16:17], -v[22:23]
	v_add_f64 v[16:17], v[16:17], v[18:19]
	v_add_f64 v[14:15], v[14:15], v[16:17]
	;; [unrolled: 1-line block ×3, first 2 shown]
	v_add_f64 v[18:19], v[22:23], -v[16:17]
	s_mov_b32 s4, 0x6a5dcb37
	v_add_f64 v[14:15], v[14:15], v[18:19]
	v_mov_b32_e32 v18, 0xfca7ab0c
	v_mov_b32_e32 v19, 0x3e928af3
	s_mov_b32 s5, 0x3e5ade15
	v_fmac_f64_e32 v[18:19], s[4:5], v[16:17]
	v_mov_b32_e32 v22, 0x623fde64
	v_mov_b32_e32 v23, 0x3ec71dee
	v_fmac_f64_e32 v[22:23], v[16:17], v[18:19]
	v_mov_b32_e32 v18, 0x7c89e6b0
	v_mov_b32_e32 v19, 0x3efa0199
	;; [unrolled: 3-line block ×8, first 2 shown]
	v_fmac_f64_e32 v[18:19], v[16:17], v[22:23]
	v_mul_f64 v[22:23], v[16:17], v[16:17]
	v_fma_f64 v[24:25], v[16:17], v[16:17], -v[22:23]
	v_add_f64 v[26:27], v[14:15], v[14:15]
	v_fmac_f64_e32 v[24:25], v[16:17], v[26:27]
	v_add_f64 v[26:27], v[22:23], v[24:25]
	v_add_f64 v[22:23], v[26:27], -v[22:23]
	v_add_f64 v[22:23], v[24:25], -v[22:23]
	v_mul_f64 v[24:25], v[26:27], v[18:19]
	v_fma_f64 v[26:27], v[26:27], v[18:19], -v[24:25]
	v_fmac_f64_e32 v[26:27], v[22:23], v[18:19]
	v_add_f64 v[18:19], v[24:25], v[26:27]
	v_add_f64 v[22:23], v[18:19], -v[24:25]
	v_add_f64 v[24:25], v[16:17], v[18:19]
	v_add_f64 v[22:23], v[26:27], -v[22:23]
	v_add_f64 v[16:17], v[24:25], -v[16:17]
	v_add_f64 v[16:17], v[18:19], -v[16:17]
	v_add_f64 v[14:15], v[14:15], v[22:23]
	v_add_f64 v[14:15], v[14:15], v[16:17]
	;; [unrolled: 1-line block ×3, first 2 shown]
	v_add_f64 v[18:19], v[16:17], -v[24:25]
	v_add_f64 v[14:15], v[14:15], -v[18:19]
	v_add_f64 v[18:19], v[16:17], 1.0
	v_add_f64 v[22:23], v[18:19], -1.0
	v_add_f64 v[16:17], v[16:17], -v[22:23]
	v_add_f64 v[14:15], v[14:15], v[16:17]
	v_add_f64 v[16:17], v[18:19], v[14:15]
	v_cvt_i32_f64_e32 v24, v[12:13]
	v_ldexp_f64 v[12:13], v[16:17], v24
	v_rcp_f64_e32 v[22:23], v[12:13]
	v_add_f64 v[16:17], v[16:17], -v[18:19]
	v_add_f64 v[14:15], v[14:15], -v[16:17]
	v_ldexp_f64 v[14:15], v[14:15], v24
	v_fma_f64 v[16:17], -v[12:13], v[22:23], 1.0
	v_fmac_f64_e32 v[22:23], v[16:17], v[22:23]
	v_fma_f64 v[16:17], -v[12:13], v[22:23], 1.0
	v_fmac_f64_e32 v[22:23], v[16:17], v[22:23]
	v_mul_f64 v[16:17], v[12:13], v[22:23]
	v_fma_f64 v[18:19], v[22:23], v[12:13], -v[16:17]
	v_fmac_f64_e32 v[18:19], v[22:23], v[14:15]
	v_add_f64 v[24:25], v[16:17], v[18:19]
	v_add_f64 v[26:27], -v[24:25], 1.0
	v_add_f64 v[16:17], v[24:25], -v[16:17]
	v_add_f64 v[28:29], -v[26:27], 1.0
	v_add_f64 v[24:25], v[28:29], -v[24:25]
	v_add_f64 v[16:17], v[16:17], -v[18:19]
	v_add_f64 v[16:17], v[16:17], v[24:25]
	v_add_f64 v[18:19], v[26:27], v[16:17]
	v_add_f64 v[24:25], v[26:27], -v[18:19]
	v_add_f64 v[16:17], v[16:17], v[24:25]
	v_mul_f64 v[24:25], v[22:23], v[18:19]
	v_mul_f64 v[26:27], v[12:13], v[24:25]
	v_fma_f64 v[28:29], v[24:25], v[12:13], -v[26:27]
	v_fmac_f64_e32 v[28:29], v[24:25], v[14:15]
	v_add_f64 v[30:31], v[26:27], v[28:29]
	v_add_f64 v[32:33], v[18:19], -v[30:31]
	v_add_f64 v[18:19], v[18:19], -v[32:33]
	;; [unrolled: 1-line block ×4, first 2 shown]
	v_add_f64 v[16:17], v[16:17], v[18:19]
	v_add_f64 v[18:19], v[26:27], -v[28:29]
	v_add_f64 v[16:17], v[18:19], v[16:17]
	v_add_f64 v[16:17], v[32:33], v[16:17]
	;; [unrolled: 1-line block ×3, first 2 shown]
	v_mul_f64 v[16:17], v[22:23], v[16:17]
	v_add_f64 v[22:23], v[18:19], -v[22:23]
	v_add_f64 v[22:23], v[24:25], -v[22:23]
	v_add_f64 v[16:17], v[22:23], v[16:17]
	v_add_f64 v[22:23], v[18:19], v[16:17]
	v_add_f64 v[18:19], v[22:23], -v[18:19]
	v_add_f64 v[18:19], v[16:17], -v[18:19]
	v_ldexp_f64 v[16:17], v[22:23], -2
	v_add_f64 v[22:23], v[12:13], -v[16:17]
	v_add_f64 v[24:25], v[12:13], -v[22:23]
	;; [unrolled: 1-line block ×3, first 2 shown]
	s_mov_b32 s4, 0x8fb9f87e
	v_ldexp_f64 v[18:19], v[18:19], -2
	v_add_f64 v[24:25], v[14:15], v[24:25]
	s_mov_b32 s5, 0x408633ce
	v_add_f64 v[24:25], v[24:25], -v[18:19]
	v_cmp_ge_f64_e64 vcc, |v[0:1]|, s[4:5]
	s_mov_b32 s4, 0
	v_add_f64 v[22:23], v[22:23], v[24:25]
	v_mov_b32_e32 v36, 0x7ff00000
	s_mov_b32 s5, 0x3e400000
	v_and_b32_e32 v34, 0x7fffffff, v1
	v_cndmask_b32_e32 v23, v23, v36, vcc
	v_cndmask_b32_e64 v22, v22, 0, vcc
	v_cmp_lt_f64_e64 s[4:5], |v[0:1]|, s[4:5]
	s_brev_b32 s16, -2
	v_cndmask_b32_e64 v0, v22, v0, s[4:5]
	v_cndmask_b32_e64 v22, v23, v34, s[4:5]
	s_mov_b32 s4, 0x9037ab78
	v_bfi_b32 v1, s16, v22, v1
	s_mov_b32 s5, 0x3e21eeb6
	s_mov_b32 s16, 0x46cc5e42
	v_mul_f64 v[22:23], v[4:5], v[4:5]
	s_mov_b32 s17, 0xbda907db
	v_pk_mov_b32 v[30:31], s[4:5], s[4:5] op_sel:[0,1]
	s_mov_b32 s18, 0xa17f65f6
	v_mul_f64 v[24:25], v[22:23], 0.5
	v_fma_f64 v[32:33], s[16:17], v[22:23], v[30:31]
	s_mov_b32 s19, 0xbe927e4f
	s_mov_b32 s20, 0x19f4ec90
	v_add_f64 v[26:27], -v[24:25], 1.0
	v_fma_f64 v[32:33], v[22:23], v[32:33], s[18:19]
	s_mov_b32 s21, 0x3efa01a0
	s_mov_b32 s22, 0x16c16967
	;; [unrolled: 1-line block ×3, first 2 shown]
	v_add_f64 v[28:29], -v[26:27], 1.0
	v_fma_f64 v[32:33], v[22:23], v[32:33], s[20:21]
	s_mov_b32 s23, 0xbf56c16c
	s_mov_b32 s15, 0x3fa55555
	v_add_f64 v[24:25], v[28:29], -v[24:25]
	v_fma_f64 v[32:33], v[22:23], v[32:33], s[22:23]
	v_mul_f64 v[28:29], v[22:23], v[22:23]
	v_fma_f64 v[32:33], v[22:23], v[32:33], s[14:15]
	v_fma_f64 v[24:25], v[4:5], -v[6:7], v[24:25]
	s_mov_b32 s4, 0xb42fdfa7
	v_fmac_f64_e32 v[24:25], v[28:29], v[32:33]
	s_mov_b32 s5, 0xbe5ae600
	s_mov_b32 s24, 0xf9a43bb8
	v_add_f64 v[24:25], v[26:27], v[24:25]
	s_mov_b32 s25, 0x3de5e0b2
	v_pk_mov_b32 v[26:27], s[4:5], s[4:5] op_sel:[0,1]
	s_mov_b32 s26, 0x796cde01
	v_fma_f64 v[28:29], s[24:25], v[22:23], v[26:27]
	s_mov_b32 s27, 0x3ec71de3
	s_mov_b32 s28, 0x19e83e5c
	;; [unrolled: 1-line block ×3, first 2 shown]
	v_fma_f64 v[28:29], v[22:23], v[28:29], s[26:27]
	s_mov_b32 s29, 0xbf2a01a0
	s_mov_b32 s13, 0x3f811111
	v_fma_f64 v[28:29], v[22:23], v[28:29], s[28:29]
	v_fma_f64 v[28:29], v[22:23], v[28:29], s[12:13]
	v_mul_f64 v[32:33], v[4:5], -v[22:23]
	v_mul_f64 v[34:35], v[6:7], 0.5
	v_fmac_f64_e32 v[34:35], v[32:33], v[28:29]
	v_fma_f64 v[6:7], v[22:23], v[34:35], -v[6:7]
	s_mov_b32 s31, 0xbfc55555
	s_mov_b32 s30, s14
	v_fmac_f64_e32 v[6:7], s[30:31], v[32:33]
	v_add_f64 v[4:5], v[4:5], -v[6:7]
	v_and_b32_e32 v6, 1, v20
	v_xor_b32_e32 v5, 0x80000000, v5
	v_cmp_eq_u32_e64 s[4:5], 0, v6
	v_lshlrev_b32_e32 v6, 30, v20
	v_cndmask_b32_e64 v4, v4, v24, s[4:5]
	v_cndmask_b32_e64 v5, v5, v25, s[4:5]
	v_and_b32_e32 v6, 0x80000000, v6
	s_movk_i32 s4, 0x1f8
	v_xor_b32_e32 v5, v5, v6
	v_cmp_class_f64_e64 s[4:5], v[2:3], s4
	v_mov_b32_e32 v20, 0x7ff80000
	v_cndmask_b32_e64 v4, 0, v4, s[4:5]
	v_cndmask_b32_e64 v5, v20, v5, s[4:5]
	v_mul_f64 v[4:5], v[0:1], v[4:5]
	v_add_f64 v[0:1], v[12:13], v[16:17]
	v_add_f64 v[6:7], v[0:1], -v[12:13]
	v_add_f64 v[6:7], v[16:17], -v[6:7]
	v_add_f64 v[12:13], v[14:15], v[18:19]
	v_add_f64 v[6:7], v[12:13], v[6:7]
	;; [unrolled: 1-line block ×3, first 2 shown]
	v_mul_f64 v[6:7], v[8:9], v[8:9]
	v_mul_f64 v[12:13], v[6:7], 0.5
	v_fmac_f64_e32 v[30:31], s[16:17], v[6:7]
	v_add_f64 v[14:15], -v[12:13], 1.0
	v_fma_f64 v[18:19], v[6:7], v[30:31], s[18:19]
	v_add_f64 v[16:17], -v[14:15], 1.0
	v_fma_f64 v[18:19], v[6:7], v[18:19], s[20:21]
	v_add_f64 v[12:13], v[16:17], -v[12:13]
	v_fma_f64 v[18:19], v[6:7], v[18:19], s[22:23]
	v_mul_f64 v[16:17], v[6:7], v[6:7]
	v_fma_f64 v[18:19], v[6:7], v[18:19], s[14:15]
	v_fma_f64 v[12:13], v[8:9], -v[10:11], v[12:13]
	v_fmac_f64_e32 v[12:13], v[16:17], v[18:19]
	v_fmac_f64_e32 v[26:27], s[24:25], v[6:7]
	v_add_f64 v[12:13], v[14:15], v[12:13]
	v_fma_f64 v[14:15], v[6:7], v[26:27], s[26:27]
	v_fma_f64 v[14:15], v[6:7], v[14:15], s[28:29]
	;; [unrolled: 1-line block ×3, first 2 shown]
	v_mul_f64 v[16:17], v[8:9], -v[6:7]
	v_mul_f64 v[18:19], v[10:11], 0.5
	v_fmac_f64_e32 v[18:19], v[16:17], v[14:15]
	v_fma_f64 v[6:7], v[6:7], v[18:19], -v[10:11]
	v_fmac_f64_e32 v[6:7], s[30:31], v[16:17]
	v_and_b32_e32 v2, 1, v21
	v_cndmask_b32_e32 v1, v1, v36, vcc
	v_cndmask_b32_e64 v0, v0, 0, vcc
	v_add_f64 v[6:7], v[8:9], -v[6:7]
	v_cmp_eq_u32_e32 vcc, 0, v2
	v_cndmask_b32_e32 v2, v12, v6, vcc
	v_cndmask_b32_e32 v6, v13, v7, vcc
	v_lshlrev_b32_e32 v7, 30, v21
	v_xor_b32_e32 v3, v7, v3
	v_and_b32_e32 v3, 0x80000000, v3
	v_xor_b32_e32 v3, v6, v3
	v_cndmask_b32_e64 v2, 0, v2, s[4:5]
	v_cndmask_b32_e64 v3, v20, v3, s[4:5]
	v_mul_f64 v[6:7], v[0:1], v[2:3]
.LBB106_78:
	s_or_b64 exec, exec, s[6:7]
                                        ; implicit-def: $vgpr0_vgpr1
                                        ; implicit-def: $vgpr2_vgpr3
.LBB106_79:
	s_andn2_saveexec_b64 s[4:5], s[10:11]
	s_cbranch_execz .LBB106_81
; %bb.80:
	s_mov_b32 s11, 0xbfe62e42
	s_mov_b32 s10, 0xfefa39ef
	v_add_f64 v[4:5], |v[0:1]|, s[10:11]
	v_add_f64 v[6:7], v[4:5], -|v[0:1]|
	v_add_f64 v[8:9], v[6:7], -v[4:5]
	s_mov_b32 s13, 0x3fe62e42
	s_mov_b32 s12, s10
	v_add_f64 v[8:9], |v[0:1]|, v[8:9]
	v_add_f64 v[6:7], v[6:7], s[12:13]
	s_mov_b32 s12, 0x3b39803f
	v_add_f64 v[6:7], v[8:9], -v[6:7]
	s_mov_b32 s13, 0xbc7abc9e
	v_add_f64 v[6:7], v[6:7], s[12:13]
	v_add_f64 v[8:9], v[4:5], v[6:7]
	s_mov_b32 s12, 0x652b82fe
	v_add_f64 v[4:5], v[4:5], -v[8:9]
	s_mov_b32 s13, 0x3ff71547
	v_add_f64 v[4:5], v[6:7], v[4:5]
	v_mul_f64 v[6:7], v[8:9], s[12:13]
	v_rndne_f64_e32 v[6:7], v[6:7]
	s_mov_b32 s10, 0xfefa3000
	v_fmac_f64_e32 v[8:9], s[10:11], v[6:7]
	v_add_f64 v[10:11], v[4:5], v[8:9]
	s_mov_b32 s10, 0xf278e000
	v_add_f64 v[8:9], v[8:9], -v[10:11]
	s_mov_b32 s11, 0xbd53de6a
	v_add_f64 v[4:5], v[4:5], v[8:9]
	v_mul_f64 v[8:9], v[6:7], s[10:11]
	v_add_f64 v[12:13], v[10:11], v[8:9]
	v_add_f64 v[10:11], v[10:11], -v[12:13]
	v_add_f64 v[8:9], v[10:11], v[8:9]
	v_add_f64 v[4:5], v[4:5], v[8:9]
	;; [unrolled: 1-line block ×3, first 2 shown]
	s_mov_b32 s10, 0xf97b57a0
	v_add_f64 v[10:11], v[12:13], -v[8:9]
	s_mov_b32 s11, 0xbac9cc01
	v_add_f64 v[4:5], v[4:5], v[10:11]
	v_mul_f64 v[10:11], v[6:7], s[10:11]
	v_add_f64 v[12:13], v[8:9], v[10:11]
	v_add_f64 v[8:9], v[8:9], -v[12:13]
	v_add_f64 v[8:9], v[8:9], v[10:11]
	v_add_f64 v[4:5], v[4:5], v[8:9]
	v_add_f64 v[8:9], v[12:13], v[4:5]
	v_add_f64 v[10:11], v[12:13], -v[8:9]
	s_mov_b32 s10, 0x6a5dcb37
	v_add_f64 v[4:5], v[4:5], v[10:11]
	v_mov_b32_e32 v10, 0xfca7ab0c
	v_mov_b32_e32 v11, 0x3e928af3
	s_mov_b32 s11, 0x3e5ade15
	v_fmac_f64_e32 v[10:11], s[10:11], v[8:9]
	v_mov_b32_e32 v12, 0x623fde64
	v_mov_b32_e32 v13, 0x3ec71dee
	v_fmac_f64_e32 v[12:13], v[8:9], v[10:11]
	v_mov_b32_e32 v10, 0x7c89e6b0
	v_mov_b32_e32 v11, 0x3efa0199
	;; [unrolled: 3-line block ×8, first 2 shown]
	v_fmac_f64_e32 v[10:11], v[8:9], v[12:13]
	v_mul_f64 v[12:13], v[8:9], v[8:9]
	v_fma_f64 v[14:15], v[8:9], v[8:9], -v[12:13]
	v_add_f64 v[16:17], v[4:5], v[4:5]
	v_fmac_f64_e32 v[14:15], v[8:9], v[16:17]
	v_add_f64 v[16:17], v[12:13], v[14:15]
	v_add_f64 v[12:13], v[16:17], -v[12:13]
	v_add_f64 v[12:13], v[14:15], -v[12:13]
	v_mul_f64 v[14:15], v[16:17], v[10:11]
	v_fma_f64 v[16:17], v[16:17], v[10:11], -v[14:15]
	v_fmac_f64_e32 v[16:17], v[12:13], v[10:11]
	v_add_f64 v[10:11], v[14:15], v[16:17]
	v_add_f64 v[12:13], v[10:11], -v[14:15]
	v_add_f64 v[14:15], v[8:9], v[10:11]
	v_add_f64 v[12:13], v[16:17], -v[12:13]
	v_add_f64 v[8:9], v[14:15], -v[8:9]
	;; [unrolled: 1-line block ×3, first 2 shown]
	v_add_f64 v[4:5], v[4:5], v[12:13]
	v_add_f64 v[4:5], v[4:5], v[8:9]
	;; [unrolled: 1-line block ×3, first 2 shown]
	v_add_f64 v[10:11], v[8:9], -v[14:15]
	v_add_f64 v[4:5], v[4:5], -v[10:11]
	v_add_f64 v[10:11], v[8:9], 1.0
	v_add_f64 v[12:13], v[10:11], -1.0
	v_add_f64 v[8:9], v[8:9], -v[12:13]
	v_add_f64 v[4:5], v[4:5], v[8:9]
	v_add_f64 v[8:9], v[10:11], v[4:5]
	v_cvt_i32_f64_e32 v14, v[6:7]
	v_ldexp_f64 v[6:7], v[8:9], v14
	v_rcp_f64_e32 v[12:13], v[6:7]
	v_add_f64 v[8:9], v[8:9], -v[10:11]
	v_add_f64 v[4:5], v[4:5], -v[8:9]
	v_ldexp_f64 v[4:5], v[4:5], v14
	v_fma_f64 v[8:9], -v[6:7], v[12:13], 1.0
	v_fmac_f64_e32 v[12:13], v[8:9], v[12:13]
	v_fma_f64 v[8:9], -v[6:7], v[12:13], 1.0
	v_fmac_f64_e32 v[12:13], v[8:9], v[12:13]
	v_mul_f64 v[8:9], v[6:7], v[12:13]
	v_fma_f64 v[10:11], v[12:13], v[6:7], -v[8:9]
	v_fmac_f64_e32 v[10:11], v[12:13], v[4:5]
	v_add_f64 v[14:15], v[8:9], v[10:11]
	v_add_f64 v[16:17], -v[14:15], 1.0
	v_add_f64 v[8:9], v[14:15], -v[8:9]
	v_add_f64 v[18:19], -v[16:17], 1.0
	v_add_f64 v[14:15], v[18:19], -v[14:15]
	v_add_f64 v[8:9], v[8:9], -v[10:11]
	v_add_f64 v[8:9], v[8:9], v[14:15]
	v_add_f64 v[10:11], v[16:17], v[8:9]
	v_add_f64 v[14:15], v[16:17], -v[10:11]
	v_add_f64 v[8:9], v[8:9], v[14:15]
	v_mul_f64 v[14:15], v[12:13], v[10:11]
	v_mul_f64 v[16:17], v[6:7], v[14:15]
	v_fma_f64 v[18:19], v[14:15], v[6:7], -v[16:17]
	v_fmac_f64_e32 v[18:19], v[14:15], v[4:5]
	v_add_f64 v[20:21], v[16:17], v[18:19]
	v_add_f64 v[22:23], v[10:11], -v[20:21]
	v_add_f64 v[10:11], v[10:11], -v[22:23]
	;; [unrolled: 1-line block ×4, first 2 shown]
	v_add_f64 v[8:9], v[8:9], v[10:11]
	v_add_f64 v[10:11], v[16:17], -v[18:19]
	v_add_f64 v[8:9], v[10:11], v[8:9]
	v_add_f64 v[8:9], v[22:23], v[8:9]
	;; [unrolled: 1-line block ×3, first 2 shown]
	v_mul_f64 v[8:9], v[12:13], v[8:9]
	v_add_f64 v[12:13], v[10:11], -v[12:13]
	v_add_f64 v[12:13], v[14:15], -v[12:13]
	v_add_f64 v[8:9], v[12:13], v[8:9]
	v_add_f64 v[12:13], v[10:11], v[8:9]
	v_add_f64 v[10:11], v[12:13], -v[10:11]
	v_add_f64 v[8:9], v[8:9], -v[10:11]
	v_ldexp_f64 v[10:11], v[12:13], -2
	v_add_f64 v[12:13], v[6:7], -v[10:11]
	v_add_f64 v[6:7], v[6:7], -v[12:13]
	;; [unrolled: 1-line block ×3, first 2 shown]
	s_mov_b32 s10, 0x8fb9f87e
	v_ldexp_f64 v[8:9], v[8:9], -2
	v_add_f64 v[4:5], v[4:5], v[6:7]
	s_mov_b32 s11, 0x408633ce
	v_add_f64 v[4:5], v[4:5], -v[8:9]
	v_cmp_nge_f64_e64 vcc, |v[0:1]|, s[10:11]
	s_mov_b32 s10, 0
	v_add_f64 v[4:5], v[12:13], v[4:5]
	v_mov_b32_e32 v6, 0x7ff00000
	s_mov_b32 s11, 0x3e400000
	v_and_b32_e32 v24, 0x7fffffff, v1
	v_cndmask_b32_e32 v5, v6, v5, vcc
	v_cndmask_b32_e32 v4, 0, v4, vcc
	v_cmp_lt_f64_e64 vcc, |v[0:1]|, s[10:11]
	s_brev_b32 s6, -2
	v_cndmask_b32_e32 v4, v4, v0, vcc
	v_cndmask_b32_e32 v0, v5, v24, vcc
	v_bfi_b32 v5, s6, v0, v1
	v_pk_mov_b32 v[6:7], v[2:3], v[2:3] op_sel:[0,1]
.LBB106_81:
	s_or_b64 exec, exec, s[4:5]
.LBB106_82:
	s_or_b64 exec, exec, s[8:9]
	v_readlane_b32 s30, v37, 6
	v_mov_b32_e32 v0, v4
	v_mov_b32_e32 v1, v5
	;; [unrolled: 1-line block ×4, first 2 shown]
	v_readlane_b32 s31, v37, 7
	v_readlane_b32 s39, v37, 5
	;; [unrolled: 1-line block ×7, first 2 shown]
	s_xor_saveexec_b64 s[4:5], -1
	buffer_load_dword v37, off, s[0:3], s32 ; 4-byte Folded Reload
	s_mov_b64 exec, s[4:5]
	s_waitcnt vmcnt(0)
	s_setpc_b64 s[30:31]
.Lfunc_end106:
	.size	_ZN6thrust23THRUST_200600_302600_NS6detail7complex5csinhERKNS0_7complexIdEE, .Lfunc_end106-_ZN6thrust23THRUST_200600_302600_NS6detail7complex5csinhERKNS0_7complexIdEE
                                        ; -- End function
	.section	.AMDGPU.csdata,"",@progbits
; Function info:
; codeLenInByte = 16248
; NumSgprs: 44
; NumVgprs: 38
; NumAgprs: 0
; TotalNumVgprs: 38
; ScratchSize: 8
; MemoryBound: 0
	.section	.text._ZN2at6native12_GLOBAL__N_125multi_tensor_apply_kernelINS1_18TensorListMetadataILi2EEENS1_14UnaryOpFunctorIN3c107complexIdEELi2ELi1ELi1EEEJNS0_3SinIS8_EEEEEvT_T0_DpT1_,"axG",@progbits,_ZN2at6native12_GLOBAL__N_125multi_tensor_apply_kernelINS1_18TensorListMetadataILi2EEENS1_14UnaryOpFunctorIN3c107complexIdEELi2ELi1ELi1EEEJNS0_3SinIS8_EEEEEvT_T0_DpT1_,comdat
	.globl	_ZN2at6native12_GLOBAL__N_125multi_tensor_apply_kernelINS1_18TensorListMetadataILi2EEENS1_14UnaryOpFunctorIN3c107complexIdEELi2ELi1ELi1EEEJNS0_3SinIS8_EEEEEvT_T0_DpT1_ ; -- Begin function _ZN2at6native12_GLOBAL__N_125multi_tensor_apply_kernelINS1_18TensorListMetadataILi2EEENS1_14UnaryOpFunctorIN3c107complexIdEELi2ELi1ELi1EEEJNS0_3SinIS8_EEEEEvT_T0_DpT1_
	.p2align	8
	.type	_ZN2at6native12_GLOBAL__N_125multi_tensor_apply_kernelINS1_18TensorListMetadataILi2EEENS1_14UnaryOpFunctorIN3c107complexIdEELi2ELi1ELi1EEEJNS0_3SinIS8_EEEEEvT_T0_DpT1_,@function
_ZN2at6native12_GLOBAL__N_125multi_tensor_apply_kernelINS1_18TensorListMetadataILi2EEENS1_14UnaryOpFunctorIN3c107complexIdEELi2ELi1ELi1EEEJNS0_3SinIS8_EEEEEvT_T0_DpT1_: ; @_ZN2at6native12_GLOBAL__N_125multi_tensor_apply_kernelINS1_18TensorListMetadataILi2EEENS1_14UnaryOpFunctorIN3c107complexIdEELi2ELi1ELi1EEEJNS0_3SinIS8_EEEEEvT_T0_DpT1_
; %bb.0:
	v_mov_b32_e32 v50, v0
	v_mov_b32_e32 v0, s8
	global_load_ubyte v0, v0, s[4:5] offset:1536
	s_add_u32 flat_scratch_lo, s6, s9
	s_addc_u32 flat_scratch_hi, s7, 0
	s_add_u32 s0, s0, s9
	s_addc_u32 s1, s1, 0
	s_mov_b64 s[40:41], s[4:5]
	s_add_u32 s4, s40, s8
	s_mul_hi_u32 s6, s8, 3
	s_mul_i32 s8, s8, 3
	s_addc_u32 s9, s41, 0
	s_add_u32 s8, s4, s8
	s_addc_u32 s9, s9, s6
	s_load_dword s8, s[8:9], 0x740
	s_mov_b32 s5, 0
	s_mov_b32 s7, s5
	;; [unrolled: 1-line block ×4, first 2 shown]
	s_waitcnt lgkmcnt(0)
	s_ashr_i32 s9, s8, 31
	s_lshl_b64 s[46:47], s[8:9], 20
	s_waitcnt vmcnt(0)
	v_readfirstlane_b32 s4, v0
	s_lshl_b32 s4, s4, 3
	s_load_dwordx2 s[44:45], s[40:41], s4 offset:0x0
	s_load_dwordx2 s[10:11], s[40:41], s4 offset:0x400
	;; [unrolled: 1-line block ×3, first 2 shown]
	s_waitcnt lgkmcnt(0)
	s_add_u32 s33, s44, s46
	s_addc_u32 s56, s45, s47
	s_add_u32 s57, s42, s46
	s_addc_u32 s58, s43, s47
	s_and_b32 s6, s33, 63
	s_and_b32 s12, s10, 3
	;; [unrolled: 1-line block ×3, first 2 shown]
	s_or_b64 s[6:7], s[6:7], s[12:13]
	s_lshl_b64 s[8:9], s[8:9], 16
	s_or_b64 s[6:7], s[4:5], s[6:7]
	s_sub_u32 s48, s10, s8
	s_subb_u32 s49, s11, s9
	s_cmp_eq_u64 s[6:7], 0
	s_mov_b64 s[6:7], -1
	s_cbranch_scc0 .LBB107_5
; %bb.1:
	v_mov_b32_e32 v57, 0
	v_lshlrev_b32_e32 v56, 2, v50
	v_cmp_gt_i64_e32 vcc, s[48:49], v[56:57]
	s_and_saveexec_b64 s[50:51], vcc
	s_cbranch_execz .LBB107_4
; %bb.2:
	s_load_dword s4, s[40:41], 0xc5c
	v_lshlrev_b32_e32 v58, 6, v50
	s_mov_b64 s[52:53], 0
	s_mov_b64 s[54:55], 0xffff
	v_mov_b32_e32 v51, s5
	s_waitcnt lgkmcnt(0)
	s_and_b32 s4, s4, 0xffff
	v_add_lshl_u32 v56, v50, s4, 2
	s_lshl_b32 s59, s4, 2
	s_lshl_b32 s60, s4, 6
.LBB107_3:                              ; =>This Inner Loop Header: Depth=1
	v_mov_b32_e32 v1, s56
	v_add_co_u32_e32 v0, vcc, s33, v58
	v_addc_co_u32_e32 v1, vcc, 0, v1, vcc
	global_load_dwordx4 v[2:5], v[0:1], off
	global_load_dwordx4 v[38:41], v[0:1], off offset:16
	global_load_dwordx4 v[42:45], v[0:1], off offset:48
	;; [unrolled: 1-line block ×3, first 2 shown]
	s_getpc_b64 s[62:63]
	s_add_u32 s62, s62, _ZN6thrust23THRUST_200600_302600_NS6detail7complex5csinhERKNS0_7complexIdEE@rel32@lo+4
	s_addc_u32 s63, s63, _ZN6thrust23THRUST_200600_302600_NS6detail7complex5csinhERKNS0_7complexIdEE@rel32@hi+12
	s_waitcnt vmcnt(3)
	v_xor_b32_e32 v1, 0x80000000, v5
	v_mov_b32_e32 v0, v4
	s_swappc_b64 s[30:31], s[62:63]
	v_mov_b32_e32 v54, v0
	v_mov_b32_e32 v52, v2
	v_mov_b32_e32 v53, v3
	v_xor_b32_e32 v55, 0x80000000, v1
	v_xor_b32_e32 v1, 0x80000000, v41
	v_mov_b32_e32 v0, v40
	v_mov_b32_e32 v2, v38
	v_mov_b32_e32 v3, v39
	s_swappc_b64 s[30:31], s[62:63]
	v_mov_b32_e32 v40, v0
	v_mov_b32_e32 v38, v2
	v_mov_b32_e32 v39, v3
	v_xor_b32_e32 v41, 0x80000000, v1
	v_xor_b32_e32 v1, 0x80000000, v49
	v_mov_b32_e32 v0, v48
	v_mov_b32_e32 v2, v46
	;; [unrolled: 9-line block ×3, first 2 shown]
	v_mov_b32_e32 v3, v43
	s_swappc_b64 s[30:31], s[62:63]
	v_cmp_le_i64_e32 vcc, s[48:49], v[56:57]
	v_cmp_lt_u64_e64 s[4:5], s[54:55], v[56:57]
	s_or_b64 s[4:5], vcc, s[4:5]
	v_add_co_u32_e64 v56, s[6:7], s59, v56
	s_add_u32 s33, s33, s60
	v_addc_co_u32_e64 v57, s[6:7], v57, v51, s[6:7]
	s_addc_u32 s56, s56, 0
	v_mov_b32_e32 v4, v0
	v_add_co_u32_e64 v0, s[6:7], s57, v58
	s_add_u32 s57, s57, s60
	v_mov_b32_e32 v6, s58
	s_addc_u32 s58, s58, 0
	s_and_b64 s[4:5], exec, s[4:5]
	v_xor_b32_e32 v5, 0x80000000, v1
	v_addc_co_u32_e64 v1, s[6:7], 0, v6, s[6:7]
	s_or_b64 s[52:53], s[4:5], s[52:53]
	global_store_dwordx4 v[0:1], v[52:55], off
	global_store_dwordx4 v[0:1], v[38:41], off offset:16
	global_store_dwordx4 v[0:1], v[46:49], off offset:32
	;; [unrolled: 1-line block ×3, first 2 shown]
	s_andn2_b64 exec, exec, s[52:53]
	s_cbranch_execnz .LBB107_3
.LBB107_4:
	s_or_b64 exec, exec, s[50:51]
	s_mov_b64 s[6:7], 0
.LBB107_5:
	s_andn2_b64 vcc, exec, s[6:7]
	s_cbranch_vccnz .LBB107_25
; %bb.6:
	v_cmp_lt_i64_e64 s[4:5], s[48:49], 1
	s_and_b64 vcc, exec, s[4:5]
	s_cbranch_vccnz .LBB107_25
; %bb.7:
	s_load_dword s4, s[40:41], 0xc5c
	v_mov_b32_e32 v0, 0x10000
	v_mov_b32_e32 v1, 0
	v_cmp_lt_u64_e32 vcc, s[48:49], v[0:1]
	v_lshl_or_b32 v0, v50, 4, 8
	s_waitcnt lgkmcnt(0)
	s_and_b32 s58, s4, 0xffff
	s_and_b64 s[4:5], vcc, exec
	v_mov_b32_e32 v4, s45
	v_add_co_u32_e32 v52, vcc, s44, v0
	v_addc_co_u32_e32 v53, vcc, 0, v4, vcc
	v_mov_b32_e32 v5, s43
	v_add_co_u32_e32 v54, vcc, s42, v0
	v_mov_b32_e32 v51, 0
	v_addc_co_u32_e32 v55, vcc, 0, v5, vcc
	v_add_lshl_u32 v6, v50, s58, 4
	v_mov_b32_e32 v1, v51
	v_add_co_u32_e32 v56, vcc, s42, v6
	v_addc_co_u32_e32 v57, vcc, 0, v5, vcc
	v_mad_u64_u32 v[2:3], s[4:5], s58, 48, v[0:1]
	v_add_co_u32_e32 v58, vcc, s44, v2
	v_addc_co_u32_e32 v59, vcc, v4, v3, vcc
	v_add_co_u32_e32 v60, vcc, s44, v6
	v_addc_co_u32_e32 v61, vcc, 0, v4, vcc
	v_add_co_u32_e32 v62, vcc, s42, v2
	s_cselect_b32 s51, s49, 0
	s_cselect_b32 s50, s48, 0x10000
	v_addc_co_u32_e32 v63, vcc, v5, v3, vcc
	s_lshl_b32 s4, s58, 5
	v_add_co_u32_e32 v0, vcc, s4, v0
	v_addc_co_u32_e64 v1, s[4:5], 0, 0, vcc
	v_add_co_u32_e32 v64, vcc, s44, v0
	s_mov_b32 s33, 0
	v_addc_co_u32_e32 v65, vcc, v4, v1, vcc
	s_lshl_b32 s52, s58, 2
	s_mov_b32 s53, s33
	v_add_co_u32_e32 v66, vcc, s42, v0
	s_lshl_b32 s59, s58, 1
	s_mov_b32 s60, s33
	s_mul_i32 s61, s58, 3
	s_mov_b32 s62, s33
	s_lshl_b32 s63, s58, 6
	s_mov_b32 s64, s33
	v_addc_co_u32_e32 v67, vcc, v5, v1, vcc
	s_mov_b64 s[54:55], s[52:53]
	s_branch .LBB107_9
.LBB107_8:                              ;   in Loop: Header=BB107_9 Depth=1
	s_or_b64 exec, exec, s[42:43]
	v_pk_mov_b32 v[0:1], s[48:49], s[48:49] op_sel:[0,1]
	v_cmp_ge_i64_e32 vcc, s[54:55], v[0:1]
	v_mov_b32_e32 v0, 0xffff
	v_mov_b32_e32 v1, 0
	v_cmp_gt_u64_e64 s[4:5], s[54:55], v[0:1]
	s_or_b64 s[4:5], vcc, s[4:5]
	v_mov_b32_e32 v0, s53
	v_add_co_u32_e32 v50, vcc, s52, v50
	v_addc_co_u32_e32 v51, vcc, v51, v0, vcc
	v_mov_b32_e32 v0, s64
	v_add_co_u32_e32 v52, vcc, s63, v52
	v_addc_co_u32_e32 v53, vcc, v53, v0, vcc
	v_add_co_u32_e32 v54, vcc, s63, v54
	v_addc_co_u32_e32 v55, vcc, v55, v0, vcc
	;; [unrolled: 2-line block ×7, first 2 shown]
	v_add_co_u32_e32 v66, vcc, s63, v66
	s_add_u32 s54, s54, s52
	v_addc_co_u32_e32 v67, vcc, v67, v0, vcc
	s_addc_u32 s55, s55, 0
	s_and_b64 vcc, exec, s[4:5]
	s_cbranch_vccnz .LBB107_25
.LBB107_9:                              ; =>This Inner Loop Header: Depth=1
	s_waitcnt vmcnt(0)
	v_pk_mov_b32 v[44:45], 0, 0
	v_cmp_gt_u64_e32 vcc, s[50:51], v[50:51]
	v_pk_mov_b32 v[4:5], v[44:45], v[44:45] op_sel:[0,1]
	v_pk_mov_b32 v[2:3], v[44:45], v[44:45] op_sel:[0,1]
	s_and_saveexec_b64 s[6:7], vcc
	s_cbranch_execz .LBB107_11
; %bb.10:                               ;   in Loop: Header=BB107_9 Depth=1
	v_mov_b32_e32 v1, s47
	v_add_co_u32_e64 v0, s[4:5], s46, v52
	v_addc_co_u32_e64 v1, s[4:5], v53, v1, s[4:5]
	global_load_dwordx4 v[2:5], v[0:1], off offset:-8
.LBB107_11:                             ;   in Loop: Header=BB107_9 Depth=1
	s_or_b64 exec, exec, s[6:7]
	v_mov_b32_e32 v1, s33
	v_add_co_u32_e64 v0, s[4:5], s58, v50
	v_addc_co_u32_e64 v1, s[4:5], v1, v51, s[4:5]
	v_cmp_gt_u64_e64 s[44:45], s[50:51], v[0:1]
	v_pk_mov_b32 v[42:43], v[44:45], v[44:45] op_sel:[0,1]
	s_and_saveexec_b64 s[6:7], s[44:45]
	s_cbranch_execz .LBB107_13
; %bb.12:                               ;   in Loop: Header=BB107_9 Depth=1
	v_mov_b32_e32 v1, s47
	v_add_co_u32_e64 v0, s[4:5], s46, v60
	v_addc_co_u32_e64 v1, s[4:5], v61, v1, s[4:5]
	global_load_dwordx4 v[42:45], v[0:1], off
.LBB107_13:                             ;   in Loop: Header=BB107_9 Depth=1
	s_or_b64 exec, exec, s[6:7]
	v_mov_b32_e32 v1, s60
	v_add_co_u32_e64 v0, s[4:5], s59, v50
	v_addc_co_u32_e64 v1, s[4:5], v1, v51, s[4:5]
	v_pk_mov_b32 v[40:41], 0, 0
	v_cmp_gt_u64_e64 s[42:43], s[50:51], v[0:1]
	v_pk_mov_b32 v[48:49], v[40:41], v[40:41] op_sel:[0,1]
	v_pk_mov_b32 v[46:47], v[40:41], v[40:41] op_sel:[0,1]
	s_and_saveexec_b64 s[6:7], s[42:43]
	s_cbranch_execz .LBB107_15
; %bb.14:                               ;   in Loop: Header=BB107_9 Depth=1
	v_mov_b32_e32 v1, s47
	v_add_co_u32_e64 v0, s[4:5], s46, v64
	v_addc_co_u32_e64 v1, s[4:5], v65, v1, s[4:5]
	global_load_dwordx4 v[46:49], v[0:1], off offset:-8
.LBB107_15:                             ;   in Loop: Header=BB107_9 Depth=1
	s_or_b64 exec, exec, s[6:7]
	v_mov_b32_e32 v1, s62
	v_add_co_u32_e64 v0, s[4:5], s61, v50
	v_addc_co_u32_e64 v1, s[4:5], v1, v51, s[4:5]
	v_cmp_gt_u64_e64 s[40:41], s[50:51], v[0:1]
	v_pk_mov_b32 v[38:39], v[40:41], v[40:41] op_sel:[0,1]
	s_and_saveexec_b64 s[6:7], s[40:41]
	s_cbranch_execnz .LBB107_20
; %bb.16:                               ;   in Loop: Header=BB107_9 Depth=1
	s_or_b64 exec, exec, s[6:7]
	s_and_saveexec_b64 s[56:57], vcc
	s_cbranch_execnz .LBB107_21
.LBB107_17:                             ;   in Loop: Header=BB107_9 Depth=1
	s_or_b64 exec, exec, s[56:57]
	s_and_saveexec_b64 s[56:57], s[44:45]
	s_cbranch_execnz .LBB107_22
.LBB107_18:                             ;   in Loop: Header=BB107_9 Depth=1
	s_or_b64 exec, exec, s[56:57]
	s_and_saveexec_b64 s[44:45], s[42:43]
	s_cbranch_execnz .LBB107_23
.LBB107_19:                             ;   in Loop: Header=BB107_9 Depth=1
	s_or_b64 exec, exec, s[44:45]
	s_and_saveexec_b64 s[42:43], s[40:41]
	s_cbranch_execz .LBB107_8
	s_branch .LBB107_24
.LBB107_20:                             ;   in Loop: Header=BB107_9 Depth=1
	v_mov_b32_e32 v1, s47
	v_add_co_u32_e64 v0, s[4:5], s46, v58
	v_addc_co_u32_e64 v1, s[4:5], v59, v1, s[4:5]
	global_load_dwordx4 v[38:41], v[0:1], off offset:-8
	s_or_b64 exec, exec, s[6:7]
	s_and_saveexec_b64 s[56:57], vcc
	s_cbranch_execz .LBB107_17
.LBB107_21:                             ;   in Loop: Header=BB107_9 Depth=1
	s_waitcnt vmcnt(0)
	v_xor_b32_e32 v1, 0x80000000, v5
	v_mov_b32_e32 v0, v4
	s_getpc_b64 s[4:5]
	s_add_u32 s4, s4, _ZN6thrust23THRUST_200600_302600_NS6detail7complex5csinhERKNS0_7complexIdEE@rel32@lo+4
	s_addc_u32 s5, s5, _ZN6thrust23THRUST_200600_302600_NS6detail7complex5csinhERKNS0_7complexIdEE@rel32@hi+12
	s_swappc_b64 s[30:31], s[4:5]
	v_mov_b32_e32 v4, v0
	v_xor_b32_e32 v5, 0x80000000, v1
	v_mov_b32_e32 v1, s47
	v_add_co_u32_e32 v0, vcc, s46, v54
	v_addc_co_u32_e32 v1, vcc, v55, v1, vcc
	global_store_dwordx4 v[0:1], v[2:5], off offset:-8
	s_or_b64 exec, exec, s[56:57]
	s_and_saveexec_b64 s[56:57], s[44:45]
	s_cbranch_execz .LBB107_18
.LBB107_22:                             ;   in Loop: Header=BB107_9 Depth=1
	s_waitcnt vmcnt(0)
	v_xor_b32_e32 v1, 0x80000000, v45
	v_mov_b32_e32 v0, v44
	v_mov_b32_e32 v2, v42
	;; [unrolled: 1-line block ×3, first 2 shown]
	s_getpc_b64 s[4:5]
	s_add_u32 s4, s4, _ZN6thrust23THRUST_200600_302600_NS6detail7complex5csinhERKNS0_7complexIdEE@rel32@lo+4
	s_addc_u32 s5, s5, _ZN6thrust23THRUST_200600_302600_NS6detail7complex5csinhERKNS0_7complexIdEE@rel32@hi+12
	s_swappc_b64 s[30:31], s[4:5]
	v_mov_b32_e32 v4, v0
	v_xor_b32_e32 v5, 0x80000000, v1
	v_mov_b32_e32 v1, s47
	v_add_co_u32_e32 v0, vcc, s46, v56
	v_addc_co_u32_e32 v1, vcc, v57, v1, vcc
	global_store_dwordx4 v[0:1], v[2:5], off
	s_or_b64 exec, exec, s[56:57]
	s_and_saveexec_b64 s[44:45], s[42:43]
	s_cbranch_execz .LBB107_19
.LBB107_23:                             ;   in Loop: Header=BB107_9 Depth=1
	s_waitcnt vmcnt(0)
	v_xor_b32_e32 v1, 0x80000000, v49
	v_mov_b32_e32 v0, v48
	v_mov_b32_e32 v2, v46
	;; [unrolled: 1-line block ×3, first 2 shown]
	s_getpc_b64 s[4:5]
	s_add_u32 s4, s4, _ZN6thrust23THRUST_200600_302600_NS6detail7complex5csinhERKNS0_7complexIdEE@rel32@lo+4
	s_addc_u32 s5, s5, _ZN6thrust23THRUST_200600_302600_NS6detail7complex5csinhERKNS0_7complexIdEE@rel32@hi+12
	s_swappc_b64 s[30:31], s[4:5]
	v_mov_b32_e32 v4, v0
	v_xor_b32_e32 v5, 0x80000000, v1
	v_mov_b32_e32 v1, s47
	v_add_co_u32_e32 v0, vcc, s46, v66
	v_addc_co_u32_e32 v1, vcc, v67, v1, vcc
	global_store_dwordx4 v[0:1], v[2:5], off offset:-8
	s_or_b64 exec, exec, s[44:45]
	s_and_saveexec_b64 s[42:43], s[40:41]
	s_cbranch_execz .LBB107_8
.LBB107_24:                             ;   in Loop: Header=BB107_9 Depth=1
	s_waitcnt vmcnt(0)
	v_xor_b32_e32 v1, 0x80000000, v41
	v_mov_b32_e32 v0, v40
	v_mov_b32_e32 v2, v38
	;; [unrolled: 1-line block ×3, first 2 shown]
	s_getpc_b64 s[4:5]
	s_add_u32 s4, s4, _ZN6thrust23THRUST_200600_302600_NS6detail7complex5csinhERKNS0_7complexIdEE@rel32@lo+4
	s_addc_u32 s5, s5, _ZN6thrust23THRUST_200600_302600_NS6detail7complex5csinhERKNS0_7complexIdEE@rel32@hi+12
	s_swappc_b64 s[30:31], s[4:5]
	v_mov_b32_e32 v4, v0
	v_xor_b32_e32 v5, 0x80000000, v1
	v_mov_b32_e32 v1, s47
	v_add_co_u32_e32 v0, vcc, s46, v62
	v_addc_co_u32_e32 v1, vcc, v63, v1, vcc
	global_store_dwordx4 v[0:1], v[2:5], off offset:-8
	s_branch .LBB107_8
.LBB107_25:
	s_endpgm
	.section	.rodata,"a",@progbits
	.p2align	6, 0x0
	.amdhsa_kernel _ZN2at6native12_GLOBAL__N_125multi_tensor_apply_kernelINS1_18TensorListMetadataILi2EEENS1_14UnaryOpFunctorIN3c107complexIdEELi2ELi1ELi1EEEJNS0_3SinIS8_EEEEEvT_T0_DpT1_
		.amdhsa_group_segment_fixed_size 0
		.amdhsa_private_segment_fixed_size 8
		.amdhsa_kernarg_size 3408
		.amdhsa_user_sgpr_count 8
		.amdhsa_user_sgpr_private_segment_buffer 1
		.amdhsa_user_sgpr_dispatch_ptr 0
		.amdhsa_user_sgpr_queue_ptr 0
		.amdhsa_user_sgpr_kernarg_segment_ptr 1
		.amdhsa_user_sgpr_dispatch_id 0
		.amdhsa_user_sgpr_flat_scratch_init 1
		.amdhsa_user_sgpr_kernarg_preload_length 0
		.amdhsa_user_sgpr_kernarg_preload_offset 0
		.amdhsa_user_sgpr_private_segment_size 0
		.amdhsa_uses_dynamic_stack 0
		.amdhsa_system_sgpr_private_segment_wavefront_offset 1
		.amdhsa_system_sgpr_workgroup_id_x 1
		.amdhsa_system_sgpr_workgroup_id_y 0
		.amdhsa_system_sgpr_workgroup_id_z 0
		.amdhsa_system_sgpr_workgroup_info 0
		.amdhsa_system_vgpr_workitem_id 0
		.amdhsa_next_free_vgpr 68
		.amdhsa_next_free_sgpr 65
		.amdhsa_accum_offset 68
		.amdhsa_reserve_vcc 1
		.amdhsa_reserve_flat_scratch 1
		.amdhsa_float_round_mode_32 0
		.amdhsa_float_round_mode_16_64 0
		.amdhsa_float_denorm_mode_32 3
		.amdhsa_float_denorm_mode_16_64 3
		.amdhsa_dx10_clamp 1
		.amdhsa_ieee_mode 1
		.amdhsa_fp16_overflow 0
		.amdhsa_tg_split 0
		.amdhsa_exception_fp_ieee_invalid_op 0
		.amdhsa_exception_fp_denorm_src 0
		.amdhsa_exception_fp_ieee_div_zero 0
		.amdhsa_exception_fp_ieee_overflow 0
		.amdhsa_exception_fp_ieee_underflow 0
		.amdhsa_exception_fp_ieee_inexact 0
		.amdhsa_exception_int_div_zero 0
	.end_amdhsa_kernel
	.section	.text._ZN2at6native12_GLOBAL__N_125multi_tensor_apply_kernelINS1_18TensorListMetadataILi2EEENS1_14UnaryOpFunctorIN3c107complexIdEELi2ELi1ELi1EEEJNS0_3SinIS8_EEEEEvT_T0_DpT1_,"axG",@progbits,_ZN2at6native12_GLOBAL__N_125multi_tensor_apply_kernelINS1_18TensorListMetadataILi2EEENS1_14UnaryOpFunctorIN3c107complexIdEELi2ELi1ELi1EEEJNS0_3SinIS8_EEEEEvT_T0_DpT1_,comdat
.Lfunc_end107:
	.size	_ZN2at6native12_GLOBAL__N_125multi_tensor_apply_kernelINS1_18TensorListMetadataILi2EEENS1_14UnaryOpFunctorIN3c107complexIdEELi2ELi1ELi1EEEJNS0_3SinIS8_EEEEEvT_T0_DpT1_, .Lfunc_end107-_ZN2at6native12_GLOBAL__N_125multi_tensor_apply_kernelINS1_18TensorListMetadataILi2EEENS1_14UnaryOpFunctorIN3c107complexIdEELi2ELi1ELi1EEEJNS0_3SinIS8_EEEEEvT_T0_DpT1_
                                        ; -- End function
	.section	.AMDGPU.csdata,"",@progbits
; Kernel info:
; codeLenInByte = 1732
; NumSgprs: 71
; NumVgprs: 68
; NumAgprs: 0
; TotalNumVgprs: 68
; ScratchSize: 8
; MemoryBound: 1
; FloatMode: 240
; IeeeMode: 1
; LDSByteSize: 0 bytes/workgroup (compile time only)
; SGPRBlocks: 8
; VGPRBlocks: 8
; NumSGPRsForWavesPerEU: 71
; NumVGPRsForWavesPerEU: 68
; AccumOffset: 68
; Occupancy: 7
; WaveLimiterHint : 0
; COMPUTE_PGM_RSRC2:SCRATCH_EN: 1
; COMPUTE_PGM_RSRC2:USER_SGPR: 8
; COMPUTE_PGM_RSRC2:TRAP_HANDLER: 0
; COMPUTE_PGM_RSRC2:TGID_X_EN: 1
; COMPUTE_PGM_RSRC2:TGID_Y_EN: 0
; COMPUTE_PGM_RSRC2:TGID_Z_EN: 0
; COMPUTE_PGM_RSRC2:TIDIG_COMP_CNT: 0
; COMPUTE_PGM_RSRC3_GFX90A:ACCUM_OFFSET: 16
; COMPUTE_PGM_RSRC3_GFX90A:TG_SPLIT: 0
	.text
	.p2align	2                               ; -- Begin function _ZN6thrust23THRUST_200600_302600_NS6detail7complex6csinhfERKNS0_7complexIfEE
	.type	_ZN6thrust23THRUST_200600_302600_NS6detail7complex6csinhfERKNS0_7complexIfEE,@function
_ZN6thrust23THRUST_200600_302600_NS6detail7complex6csinhfERKNS0_7complexIfEE: ; @_ZN6thrust23THRUST_200600_302600_NS6detail7complex6csinhfERKNS0_7complexIfEE
; %bb.0:
	s_waitcnt vmcnt(0) expcnt(0) lgkmcnt(0)
	v_mov_b32_e32 v2, v0
	v_and_b32_e32 v4, 0x7fffffff, v2
	v_and_b32_e32 v3, 0x7fffffff, v1
	s_mov_b32 s10, 0x7f800000
	v_max_u32_e32 v0, v4, v3
	s_mov_b32 s6, 0x7f7fffff
	v_cmp_gt_u32_e64 s[4:5], s10, v4
	v_cmp_lt_u32_e32 vcc, s6, v0
	s_and_saveexec_b64 s[8:9], vcc
	s_xor_b64 s[14:15], exec, s[8:9]
	s_cbranch_execz .LBB108_10
; %bb.1:
	v_cmp_ne_u32_e64 s[8:9], 0, v4
	v_cmp_gt_u32_e32 vcc, s10, v3
	v_cmp_lt_u32_e64 s[6:7], s6, v3
	s_or_b64 s[8:9], s[8:9], vcc
	s_and_saveexec_b64 s[10:11], s[8:9]
	s_xor_b64 s[16:17], exec, s[10:11]
	s_cbranch_execz .LBB108_77
; %bb.2:
	s_mov_b32 s12, 0x7f800000
	v_cmp_ne_u32_e64 s[10:11], 0, v3
	s_mov_b32 s8, 0x7f7fffff
	v_cmp_gt_u32_e64 s[12:13], s12, v4
	v_cmp_lt_u32_e64 s[8:9], s8, v4
	s_or_b64 s[10:11], s[12:13], s[10:11]
	s_and_saveexec_b64 s[12:13], s[10:11]
	s_xor_b64 s[10:11], exec, s[12:13]
	s_cbranch_execz .LBB108_74
; %bb.3:
	s_and_b64 s[4:5], s[4:5], s[6:7]
	s_xor_b64 s[4:5], s[4:5], -1
	s_and_saveexec_b64 s[6:7], s[4:5]
	s_xor_b64 s[12:13], exec, s[6:7]
	s_cbranch_execz .LBB108_71
; %bb.4:
	v_and_b32_e32 v0, 0x7fffff, v2
	v_cmp_ne_u32_e64 s[4:5], 0, v0
	s_xor_b64 s[6:7], s[8:9], -1
	s_or_b64 s[4:5], s[6:7], s[4:5]
	s_and_saveexec_b64 s[6:7], s[4:5]
	s_xor_b64 s[4:5], exec, s[6:7]
; %bb.5:
	v_mul_f32_e32 v0, v2, v2
	v_sub_f32_e32 v4, v1, v1
	v_add_f32_e32 v1, v2, v2
	v_pk_mul_f32 v[0:1], v[0:1], v[4:5] op_sel_hi:[1,0]
                                        ; implicit-def: $vgpr2
                                        ; implicit-def: $vgpr3
; %bb.6:
	s_andn2_saveexec_b64 s[18:19], s[4:5]
	s_cbranch_execz .LBB108_70
; %bb.7:
	s_and_saveexec_b64 s[4:5], vcc
	s_xor_b64 s[20:21], exec, s[4:5]
	s_cbranch_execz .LBB108_67
; %bb.8:
	s_brev_b32 s4, 18
	v_cmp_nlt_f32_e64 s[22:23], |v1|, s4
                                        ; implicit-def: $vgpr0
                                        ; implicit-def: $vgpr4
	s_and_saveexec_b64 s[4:5], s[22:23]
	s_xor_b64 s[24:25], exec, s[4:5]
	s_cbranch_execz .LBB108_60
; %bb.9:
	v_lshrrev_b32_e32 v0, 23, v3
	v_add_u32_e32 v0, 0xffffff88, v0
	v_not_b32_e32 v4, 63
	v_cmp_lt_u32_e32 vcc, 63, v0
	v_cndmask_b32_e32 v4, 0, v4, vcc
	v_add_u32_e32 v0, v4, v0
	v_not_b32_e32 v4, 31
	v_cmp_lt_u32_e64 s[4:5], 31, v0
	v_cndmask_b32_e64 v6, 0, v4, s[4:5]
	v_add_u32_e32 v0, v6, v0
	v_cmp_lt_u32_e64 s[6:7], 31, v0
	v_cndmask_b32_e64 v4, 0, v4, s[6:7]
	v_add_u32_e32 v0, v4, v0
	v_and_b32_e32 v4, 0x7fffff, v3
	v_or_b32_e32 v18, 0x800000, v4
	s_mov_b32 s8, 0xfe5163ab
	v_mad_u64_u32 v[6:7], s[8:9], v18, s8, 0
	v_mov_b32_e32 v5, 0
	v_mov_b32_e32 v4, v7
	s_mov_b32 s8, 0x3c439041
	v_mad_u64_u32 v[8:9], s[8:9], v18, s8, v[4:5]
	v_mov_b32_e32 v4, v9
	s_mov_b32 s8, 0xdb629599
	v_mad_u64_u32 v[10:11], s[8:9], v18, s8, v[4:5]
	;; [unrolled: 3-line block ×6, first 2 shown]
	v_cndmask_b32_e32 v7, v16, v12, vcc
	v_cndmask_b32_e32 v4, v4, v14, vcc
	;; [unrolled: 1-line block ×3, first 2 shown]
	v_cndmask_b32_e64 v9, v4, v7, s[4:5]
	v_cndmask_b32_e64 v4, v5, v4, s[4:5]
	v_cndmask_b32_e32 v5, v14, v10, vcc
	v_cndmask_b32_e64 v7, v7, v5, s[4:5]
	v_cndmask_b32_e64 v4, v4, v9, s[6:7]
	v_cndmask_b32_e64 v9, v9, v7, s[6:7]
	v_sub_u32_e32 v11, 32, v0
	v_alignbit_b32 v13, v4, v9, v11
	v_cmp_eq_u32_e64 s[8:9], 0, v0
	v_cndmask_b32_e64 v0, v13, v4, s[8:9]
	v_cndmask_b32_e32 v4, v12, v8, vcc
	v_cndmask_b32_e64 v5, v5, v4, s[4:5]
	v_cndmask_b32_e64 v7, v7, v5, s[6:7]
	v_alignbit_b32 v8, v9, v7, v11
	v_cndmask_b32_e32 v6, v10, v6, vcc
	v_cndmask_b32_e64 v8, v8, v9, s[8:9]
	v_bfe_u32 v13, v0, 29, 1
	v_cndmask_b32_e64 v4, v4, v6, s[4:5]
	v_alignbit_b32 v9, v0, v8, 30
	v_sub_u32_e32 v14, 0, v13
	v_cndmask_b32_e64 v4, v5, v4, s[6:7]
	v_xor_b32_e32 v15, v9, v14
	v_alignbit_b32 v5, v7, v4, v11
	v_cndmask_b32_e64 v5, v5, v7, s[8:9]
	v_ffbh_u32_e32 v7, v15
	v_add_u32_e32 v7, 1, v7
	v_cmp_ne_u32_e32 vcc, v9, v14
	v_alignbit_b32 v6, v8, v5, 30
	v_cndmask_b32_e32 v7, 33, v7, vcc
	v_alignbit_b32 v4, v5, v4, 30
	v_xor_b32_e32 v6, v6, v14
	v_sub_u32_e32 v8, 32, v7
	v_xor_b32_e32 v4, v4, v14
	v_alignbit_b32 v9, v15, v6, v8
	v_alignbit_b32 v4, v6, v4, v8
	;; [unrolled: 1-line block ×3, first 2 shown]
	v_ffbh_u32_e32 v6, v5
	v_min_u32_e32 v6, 32, v6
	v_lshrrev_b32_e32 v12, 29, v0
	v_sub_u32_e32 v8, 31, v6
	v_alignbit_b32 v4, v5, v4, v8
	v_lshlrev_b32_e32 v5, 31, v12
	v_or_b32_e32 v8, 0x33800000, v5
	v_add_lshl_u32 v6, v6, v7, 23
	v_lshrrev_b32_e32 v4, 9, v4
	v_sub_u32_e32 v6, v8, v6
	v_or_b32_e32 v4, v6, v4
	v_alignbit_b32 v6, v7, v9, 9
	v_or_b32_e32 v5, v6, v5
	v_xor_b32_e32 v5, 1.0, v5
	s_mov_b32 s4, 0x3fc90fda
	v_mul_f32_e32 v6, 0x3fc90fda, v5
	v_fma_f32 v7, v5, s4, -v6
	v_fmac_f32_e32 v7, 0x33a22168, v5
	v_fmac_f32_e32 v7, 0x3fc90fda, v4
	v_lshrrev_b32_e32 v0, 30, v0
	v_add_f32_e32 v4, v6, v7
	v_add_u32_e32 v0, v13, v0
	s_andn2_saveexec_b64 s[4:5], s[24:25]
	s_branch .LBB108_61
.LBB108_10:
	s_andn2_saveexec_b64 s[10:11], s[14:15]
	s_cbranch_execz .LBB108_80
.LBB108_11:
	v_cmp_ne_u32_e32 vcc, 0, v3
	s_and_saveexec_b64 s[4:5], vcc
	s_xor_b64 s[12:13], exec, s[4:5]
	s_cbranch_execz .LBB108_57
; %bb.12:
	s_mov_b32 s4, 0x410fffff
	v_cmp_lt_u32_e32 vcc, s4, v4
	s_and_saveexec_b64 s[4:5], vcc
	s_xor_b64 s[14:15], exec, s[4:5]
	s_cbranch_execz .LBB108_46
; %bb.13:
	s_mov_b32 s4, 0x42b17217
	v_cmp_lt_u32_e32 vcc, s4, v4
	;; [unrolled: 6-line block ×3, first 2 shown]
	s_and_saveexec_b64 s[4:5], vcc
	s_xor_b64 s[18:19], exec, s[4:5]
	s_cbranch_execz .LBB108_24
; %bb.15:
	s_brev_b32 s4, 18
	v_cmp_nlt_f32_e64 s[20:21], |v1|, s4
                                        ; implicit-def: $vgpr0
                                        ; implicit-def: $vgpr4
	s_and_saveexec_b64 s[4:5], s[20:21]
	s_xor_b64 s[22:23], exec, s[4:5]
	s_cbranch_execz .LBB108_17
; %bb.16:
	v_lshrrev_b32_e32 v0, 23, v3
	v_add_u32_e32 v0, 0xffffff88, v0
	v_not_b32_e32 v4, 63
	v_cmp_lt_u32_e32 vcc, 63, v0
	v_cndmask_b32_e32 v4, 0, v4, vcc
	v_add_u32_e32 v0, v4, v0
	v_not_b32_e32 v4, 31
	v_cmp_lt_u32_e64 s[4:5], 31, v0
	v_cndmask_b32_e64 v6, 0, v4, s[4:5]
	v_add_u32_e32 v0, v6, v0
	v_cmp_lt_u32_e64 s[6:7], 31, v0
	v_cndmask_b32_e64 v4, 0, v4, s[6:7]
	v_add_u32_e32 v0, v4, v0
	v_and_b32_e32 v4, 0x7fffff, v3
	v_or_b32_e32 v18, 0x800000, v4
	s_mov_b32 s8, 0xfe5163ab
	v_mad_u64_u32 v[6:7], s[8:9], v18, s8, 0
	v_mov_b32_e32 v5, 0
	v_mov_b32_e32 v4, v7
	s_mov_b32 s8, 0x3c439041
	v_mad_u64_u32 v[8:9], s[8:9], v18, s8, v[4:5]
	v_mov_b32_e32 v4, v9
	s_mov_b32 s8, 0xdb629599
	v_mad_u64_u32 v[10:11], s[8:9], v18, s8, v[4:5]
	;; [unrolled: 3-line block ×6, first 2 shown]
	v_cndmask_b32_e32 v7, v16, v12, vcc
	v_cndmask_b32_e32 v4, v4, v14, vcc
	;; [unrolled: 1-line block ×3, first 2 shown]
	v_cndmask_b32_e64 v9, v4, v7, s[4:5]
	v_cndmask_b32_e64 v4, v5, v4, s[4:5]
	v_cndmask_b32_e32 v5, v14, v10, vcc
	v_cndmask_b32_e64 v7, v7, v5, s[4:5]
	v_cndmask_b32_e64 v4, v4, v9, s[6:7]
	;; [unrolled: 1-line block ×3, first 2 shown]
	v_sub_u32_e32 v11, 32, v0
	v_alignbit_b32 v13, v4, v9, v11
	v_cmp_eq_u32_e64 s[8:9], 0, v0
	v_cndmask_b32_e64 v0, v13, v4, s[8:9]
	v_cndmask_b32_e32 v4, v12, v8, vcc
	v_cndmask_b32_e64 v5, v5, v4, s[4:5]
	v_cndmask_b32_e64 v7, v7, v5, s[6:7]
	v_alignbit_b32 v8, v9, v7, v11
	v_cndmask_b32_e32 v6, v10, v6, vcc
	v_cndmask_b32_e64 v8, v8, v9, s[8:9]
	v_bfe_u32 v13, v0, 29, 1
	v_cndmask_b32_e64 v4, v4, v6, s[4:5]
	v_alignbit_b32 v9, v0, v8, 30
	v_sub_u32_e32 v14, 0, v13
	v_cndmask_b32_e64 v4, v5, v4, s[6:7]
	v_xor_b32_e32 v15, v9, v14
	v_alignbit_b32 v5, v7, v4, v11
	v_cndmask_b32_e64 v5, v5, v7, s[8:9]
	v_ffbh_u32_e32 v7, v15
	v_add_u32_e32 v7, 1, v7
	v_cmp_ne_u32_e32 vcc, v9, v14
	v_alignbit_b32 v6, v8, v5, 30
	v_cndmask_b32_e32 v7, 33, v7, vcc
	v_alignbit_b32 v4, v5, v4, 30
	v_xor_b32_e32 v6, v6, v14
	v_sub_u32_e32 v8, 32, v7
	v_xor_b32_e32 v4, v4, v14
	v_alignbit_b32 v9, v15, v6, v8
	v_alignbit_b32 v4, v6, v4, v8
	;; [unrolled: 1-line block ×3, first 2 shown]
	v_ffbh_u32_e32 v6, v5
	v_min_u32_e32 v6, 32, v6
	v_lshrrev_b32_e32 v12, 29, v0
	v_sub_u32_e32 v8, 31, v6
	v_alignbit_b32 v4, v5, v4, v8
	v_lshlrev_b32_e32 v5, 31, v12
	v_or_b32_e32 v8, 0x33800000, v5
	v_add_lshl_u32 v6, v6, v7, 23
	v_lshrrev_b32_e32 v4, 9, v4
	v_sub_u32_e32 v6, v8, v6
	v_or_b32_e32 v4, v6, v4
	v_alignbit_b32 v6, v7, v9, 9
	v_or_b32_e32 v5, v6, v5
	v_xor_b32_e32 v5, 1.0, v5
	s_mov_b32 s4, 0x3fc90fda
	v_mul_f32_e32 v6, 0x3fc90fda, v5
	v_fma_f32 v7, v5, s4, -v6
	v_fmac_f32_e32 v7, 0x33a22168, v5
	v_fmac_f32_e32 v7, 0x3fc90fda, v4
	v_lshrrev_b32_e32 v0, 30, v0
	v_add_f32_e32 v4, v6, v7
	v_add_u32_e32 v0, v13, v0
	s_andn2_saveexec_b64 s[4:5], s[22:23]
	s_branch .LBB108_18
.LBB108_17:
	s_andn2_saveexec_b64 s[4:5], s[22:23]
.LBB108_18:
	s_mov_b32 s6, 0x3f22f983
	v_mul_f32_e64 v0, |v1|, s6
	v_rndne_f32_e32 v5, v0
	s_mov_b32 s6, 0xbfc90fda
	v_cvt_i32_f32_e32 v0, v5
	v_fma_f32 v4, v5, s6, |v1|
	v_fmac_f32_e32 v4, 0xb3a22168, v5
	v_fmac_f32_e32 v4, 0xa7c234c4, v5
; %bb.19:
	s_or_b64 exec, exec, s[4:5]
                                        ; implicit-def: $vgpr5
                                        ; implicit-def: $vgpr6
	s_and_saveexec_b64 s[4:5], s[20:21]
	s_xor_b64 s[20:21], exec, s[4:5]
	s_cbranch_execz .LBB108_21
; %bb.20:
	v_lshrrev_b32_e32 v5, 23, v3
	v_add_u32_e32 v5, 0xffffff88, v5
	v_not_b32_e32 v6, 63
	v_cmp_lt_u32_e32 vcc, 63, v5
	v_cndmask_b32_e32 v6, 0, v6, vcc
	v_add_u32_e32 v5, v6, v5
	v_not_b32_e32 v6, 31
	v_cmp_lt_u32_e64 s[4:5], 31, v5
	v_cndmask_b32_e64 v8, 0, v6, s[4:5]
	v_add_u32_e32 v5, v8, v5
	v_cmp_lt_u32_e64 s[6:7], 31, v5
	v_cndmask_b32_e64 v6, 0, v6, s[6:7]
	v_add_u32_e32 v5, v6, v5
	v_and_b32_e32 v6, 0x7fffff, v3
	v_or_b32_e32 v20, 0x800000, v6
	s_mov_b32 s8, 0xfe5163ab
	v_mad_u64_u32 v[8:9], s[8:9], v20, s8, 0
	v_mov_b32_e32 v7, 0
	v_mov_b32_e32 v6, v9
	s_mov_b32 s8, 0x3c439041
	v_mad_u64_u32 v[10:11], s[8:9], v20, s8, v[6:7]
	v_mov_b32_e32 v6, v11
	s_mov_b32 s8, 0xdb629599
	v_mad_u64_u32 v[12:13], s[8:9], v20, s8, v[6:7]
	v_mov_b32_e32 v6, v13
	s_mov_b32 s8, 0xf534ddc0
	v_mad_u64_u32 v[14:15], s[8:9], v20, s8, v[6:7]
	v_mov_b32_e32 v6, v15
	s_mov_b32 s8, 0xfc2757d1
	v_mad_u64_u32 v[16:17], s[8:9], v20, s8, v[6:7]
	v_mov_b32_e32 v6, v17
	s_mov_b32 s8, 0x4e441529
	v_mad_u64_u32 v[18:19], s[8:9], v20, s8, v[6:7]
	v_mov_b32_e32 v6, v19
	s_mov_b32 s8, 0xa2f9836e
	v_mad_u64_u32 v[6:7], s[8:9], v20, s8, v[6:7]
	v_cndmask_b32_e32 v9, v18, v14, vcc
	v_cndmask_b32_e32 v6, v6, v16, vcc
	;; [unrolled: 1-line block ×3, first 2 shown]
	v_cndmask_b32_e64 v11, v6, v9, s[4:5]
	v_cndmask_b32_e64 v6, v7, v6, s[4:5]
	v_cndmask_b32_e32 v7, v16, v12, vcc
	v_cndmask_b32_e64 v9, v9, v7, s[4:5]
	v_cndmask_b32_e64 v6, v6, v11, s[6:7]
	;; [unrolled: 1-line block ×3, first 2 shown]
	v_sub_u32_e32 v13, 32, v5
	v_alignbit_b32 v15, v6, v11, v13
	v_cmp_eq_u32_e64 s[8:9], 0, v5
	v_cndmask_b32_e64 v5, v15, v6, s[8:9]
	v_cndmask_b32_e32 v6, v14, v10, vcc
	v_cndmask_b32_e64 v7, v7, v6, s[4:5]
	v_cndmask_b32_e64 v9, v9, v7, s[6:7]
	v_alignbit_b32 v10, v11, v9, v13
	v_cndmask_b32_e32 v8, v12, v8, vcc
	v_cndmask_b32_e64 v10, v10, v11, s[8:9]
	v_bfe_u32 v15, v5, 29, 1
	v_cndmask_b32_e64 v6, v6, v8, s[4:5]
	v_alignbit_b32 v11, v5, v10, 30
	v_sub_u32_e32 v16, 0, v15
	v_cndmask_b32_e64 v6, v7, v6, s[6:7]
	v_xor_b32_e32 v17, v11, v16
	v_alignbit_b32 v7, v9, v6, v13
	v_cndmask_b32_e64 v7, v7, v9, s[8:9]
	v_ffbh_u32_e32 v9, v17
	v_add_u32_e32 v9, 1, v9
	v_cmp_ne_u32_e32 vcc, v11, v16
	v_alignbit_b32 v8, v10, v7, 30
	v_cndmask_b32_e32 v9, 33, v9, vcc
	v_alignbit_b32 v6, v7, v6, 30
	v_xor_b32_e32 v8, v8, v16
	v_sub_u32_e32 v10, 32, v9
	v_xor_b32_e32 v6, v6, v16
	v_alignbit_b32 v11, v17, v8, v10
	v_alignbit_b32 v6, v8, v6, v10
	;; [unrolled: 1-line block ×3, first 2 shown]
	v_ffbh_u32_e32 v8, v7
	v_min_u32_e32 v8, 32, v8
	v_lshrrev_b32_e32 v14, 29, v5
	v_sub_u32_e32 v10, 31, v8
	v_alignbit_b32 v6, v7, v6, v10
	v_lshlrev_b32_e32 v7, 31, v14
	v_or_b32_e32 v10, 0x33800000, v7
	v_add_lshl_u32 v8, v8, v9, 23
	v_lshrrev_b32_e32 v6, 9, v6
	v_sub_u32_e32 v8, v10, v8
	v_or_b32_e32 v6, v8, v6
	v_alignbit_b32 v8, v9, v11, 9
	v_or_b32_e32 v7, v8, v7
	v_xor_b32_e32 v7, 1.0, v7
	s_mov_b32 s4, 0x3fc90fda
	v_mul_f32_e32 v8, 0x3fc90fda, v7
	v_fma_f32 v9, v7, s4, -v8
	v_fmac_f32_e32 v9, 0x33a22168, v7
	v_fmac_f32_e32 v9, 0x3fc90fda, v6
	v_lshrrev_b32_e32 v5, 30, v5
	v_add_f32_e32 v6, v8, v9
	v_add_u32_e32 v5, v15, v5
	s_andn2_saveexec_b64 s[4:5], s[20:21]
	s_cbranch_execnz .LBB108_22
	s_branch .LBB108_23
.LBB108_21:
	s_andn2_saveexec_b64 s[4:5], s[20:21]
.LBB108_22:
	s_mov_b32 s6, 0x3f22f983
	v_mul_f32_e64 v5, |v1|, s6
	v_rndne_f32_e32 v7, v5
	s_mov_b32 s6, 0xbfc90fda
	v_cvt_i32_f32_e32 v5, v7
	v_fma_f32 v6, v7, s6, |v1|
	v_fmac_f32_e32 v6, 0xb3a22168, v7
	v_fmac_f32_e32 v6, 0xa7c234c4, v7
.LBB108_23:
	s_or_b64 exec, exec, s[4:5]
	v_mul_f32_e32 v7, v4, v4
	v_mov_b32_e32 v11, 0xbab64f3b
	v_mov_b32_e32 v9, 0x3c0881c4
	v_fmac_f32_e32 v11, 0x37d75334, v7
	v_mov_b32_e32 v12, 0x3d2aabf7
	v_fmac_f32_e32 v9, 0xb94c1982, v7
	v_mov_b32_e32 v10, 0xbe2aaa9d
	v_fma_f32 v11, v7, v11, v12
	v_mov_b32_e32 v13, 0xbf000004
	v_fma_f32 v9, v7, v9, v10
	v_fma_f32 v11, v7, v11, v13
	v_mul_f32_e32 v9, v7, v9
	v_fma_f32 v7, v7, v11, 1.0
	v_and_b32_e32 v11, 1, v0
	v_fmac_f32_e32 v4, v4, v9
	v_cmp_eq_u32_e32 vcc, 0, v11
	v_mov_b32_e32 v8, 0x3c0881c4
	v_cndmask_b32_e64 v4, -v4, v7, vcc
	v_mul_f32_e32 v7, v6, v6
	v_mov_b32_e32 v9, 0xbab64f3b
	v_fmac_f32_e32 v8, 0xb94c1982, v7
	v_fmac_f32_e32 v10, v7, v8
	v_fmac_f32_e32 v9, 0x37d75334, v7
	v_mul_f32_e32 v8, v7, v10
	v_fmac_f32_e32 v12, v7, v9
	s_movk_i32 s4, 0x1f8
	v_fmac_f32_e32 v6, v6, v8
	v_fmac_f32_e32 v13, v7, v12
	v_and_b32_e32 v8, 1, v5
	v_lshlrev_b32_e32 v0, 30, v0
	s_brev_b32 s6, 1
	v_cmp_class_f32_e64 vcc, v1, s4
	v_fma_f32 v7, v7, v13, 1.0
	v_cmp_eq_u32_e64 s[4:5], 0, v8
	v_lshlrev_b32_e32 v5, 30, v5
	v_and_b32_e32 v0, 0x80000000, v0
	v_cndmask_b32_e64 v6, v7, v6, s[4:5]
	v_and_or_b32 v3, v5, s6, v3
	v_xor_b32_e32 v0, v0, v4
	v_mov_b32_e32 v4, 0x7fc00000
	v_xor_b32_e32 v3, v3, v6
	v_mul_f32_e32 v2, 0x7f000000, v2
	v_cndmask_b32_e32 v0, v4, v0, vcc
	v_xor_b32_e32 v1, v3, v1
	v_mul_f32_e32 v0, v2, v0
	v_mul_f32_e32 v2, v2, v2
	v_cndmask_b32_e32 v1, v4, v1, vcc
	v_mul_f32_e32 v1, v2, v1
                                        ; implicit-def: $vgpr2
                                        ; implicit-def: $vgpr3
.LBB108_24:
	s_andn2_saveexec_b64 s[18:19], s[18:19]
	s_cbranch_execz .LBB108_34
; %bb.25:
	s_brev_b32 s4, 18
	v_cmp_nlt_f32_e64 s[20:21], |v1|, s4
                                        ; implicit-def: $vgpr4
                                        ; implicit-def: $vgpr0
	s_and_saveexec_b64 s[4:5], s[20:21]
	s_xor_b64 s[22:23], exec, s[4:5]
	s_cbranch_execz .LBB108_27
; %bb.26:
	v_lshrrev_b32_e32 v0, 23, v3
	v_add_u32_e32 v0, 0xffffff88, v0
	v_not_b32_e32 v4, 63
	v_cmp_lt_u32_e32 vcc, 63, v0
	v_cndmask_b32_e32 v4, 0, v4, vcc
	v_add_u32_e32 v0, v4, v0
	v_not_b32_e32 v4, 31
	v_cmp_lt_u32_e64 s[4:5], 31, v0
	v_cndmask_b32_e64 v6, 0, v4, s[4:5]
	v_add_u32_e32 v0, v6, v0
	v_cmp_lt_u32_e64 s[6:7], 31, v0
	v_cndmask_b32_e64 v4, 0, v4, s[6:7]
	v_add_u32_e32 v0, v4, v0
	v_and_b32_e32 v4, 0x7fffff, v3
	v_or_b32_e32 v18, 0x800000, v4
	s_mov_b32 s8, 0xfe5163ab
	v_mad_u64_u32 v[6:7], s[8:9], v18, s8, 0
	v_mov_b32_e32 v5, 0
	v_mov_b32_e32 v4, v7
	s_mov_b32 s8, 0x3c439041
	v_mad_u64_u32 v[8:9], s[8:9], v18, s8, v[4:5]
	v_mov_b32_e32 v4, v9
	s_mov_b32 s8, 0xdb629599
	v_mad_u64_u32 v[10:11], s[8:9], v18, s8, v[4:5]
	v_mov_b32_e32 v4, v11
	s_mov_b32 s8, 0xf534ddc0
	v_mad_u64_u32 v[12:13], s[8:9], v18, s8, v[4:5]
	v_mov_b32_e32 v4, v13
	s_mov_b32 s8, 0xfc2757d1
	v_mad_u64_u32 v[14:15], s[8:9], v18, s8, v[4:5]
	v_mov_b32_e32 v4, v15
	s_mov_b32 s8, 0x4e441529
	v_mad_u64_u32 v[16:17], s[8:9], v18, s8, v[4:5]
	v_mov_b32_e32 v4, v17
	s_mov_b32 s8, 0xa2f9836e
	v_mad_u64_u32 v[4:5], s[8:9], v18, s8, v[4:5]
	v_cndmask_b32_e32 v7, v16, v12, vcc
	v_cndmask_b32_e32 v4, v4, v14, vcc
	;; [unrolled: 1-line block ×3, first 2 shown]
	v_cndmask_b32_e64 v9, v4, v7, s[4:5]
	v_cndmask_b32_e64 v4, v5, v4, s[4:5]
	v_cndmask_b32_e32 v5, v14, v10, vcc
	v_cndmask_b32_e64 v7, v7, v5, s[4:5]
	v_sub_u32_e32 v11, 32, v0
	v_cmp_eq_u32_e64 s[8:9], 0, v0
	v_cndmask_b32_e32 v0, v12, v8, vcc
	v_cndmask_b32_e64 v4, v4, v9, s[6:7]
	v_cndmask_b32_e64 v9, v9, v7, s[6:7]
	;; [unrolled: 1-line block ×3, first 2 shown]
	v_alignbit_b32 v13, v4, v9, v11
	v_cndmask_b32_e64 v7, v7, v5, s[6:7]
	v_cndmask_b32_e64 v4, v13, v4, s[8:9]
	v_alignbit_b32 v8, v9, v7, v11
	v_cndmask_b32_e32 v6, v10, v6, vcc
	v_cndmask_b32_e64 v8, v8, v9, s[8:9]
	v_bfe_u32 v13, v4, 29, 1
	v_cndmask_b32_e64 v0, v0, v6, s[4:5]
	v_alignbit_b32 v9, v4, v8, 30
	v_sub_u32_e32 v14, 0, v13
	v_cndmask_b32_e64 v0, v5, v0, s[6:7]
	v_xor_b32_e32 v15, v9, v14
	v_alignbit_b32 v5, v7, v0, v11
	v_cndmask_b32_e64 v5, v5, v7, s[8:9]
	v_ffbh_u32_e32 v7, v15
	v_add_u32_e32 v7, 1, v7
	v_cmp_ne_u32_e32 vcc, v9, v14
	v_alignbit_b32 v6, v8, v5, 30
	v_cndmask_b32_e32 v7, 33, v7, vcc
	v_alignbit_b32 v0, v5, v0, 30
	v_xor_b32_e32 v6, v6, v14
	v_sub_u32_e32 v8, 32, v7
	v_xor_b32_e32 v0, v0, v14
	v_alignbit_b32 v9, v15, v6, v8
	v_alignbit_b32 v0, v6, v0, v8
	;; [unrolled: 1-line block ×3, first 2 shown]
	v_ffbh_u32_e32 v6, v5
	v_min_u32_e32 v6, 32, v6
	v_lshrrev_b32_e32 v12, 29, v4
	v_sub_u32_e32 v8, 31, v6
	v_alignbit_b32 v0, v5, v0, v8
	v_lshlrev_b32_e32 v5, 31, v12
	v_or_b32_e32 v8, 0x33800000, v5
	v_add_lshl_u32 v6, v6, v7, 23
	v_lshrrev_b32_e32 v0, 9, v0
	v_sub_u32_e32 v6, v8, v6
	v_or_b32_e32 v0, v6, v0
	v_alignbit_b32 v6, v7, v9, 9
	v_or_b32_e32 v5, v6, v5
	v_xor_b32_e32 v5, 1.0, v5
	s_mov_b32 s4, 0x3fc90fda
	v_mul_f32_e32 v6, 0x3fc90fda, v5
	v_fma_f32 v7, v5, s4, -v6
	v_fmac_f32_e32 v7, 0x33a22168, v5
	v_fmac_f32_e32 v7, 0x3fc90fda, v0
	v_lshrrev_b32_e32 v4, 30, v4
	v_add_f32_e32 v0, v6, v7
	v_add_u32_e32 v4, v13, v4
	s_andn2_saveexec_b64 s[4:5], s[22:23]
	s_branch .LBB108_28
.LBB108_27:
	s_andn2_saveexec_b64 s[4:5], s[22:23]
.LBB108_28:
	s_mov_b32 s6, 0x3f22f983
	v_mul_f32_e64 v0, |v1|, s6
	v_rndne_f32_e32 v5, v0
	s_mov_b32 s6, 0xbfc90fda
	v_cvt_i32_f32_e32 v4, v5
	v_fma_f32 v0, v5, s6, |v1|
	v_fmac_f32_e32 v0, 0xb3a22168, v5
	v_fmac_f32_e32 v0, 0xa7c234c4, v5
; %bb.29:
	s_or_b64 exec, exec, s[4:5]
                                        ; implicit-def: $vgpr5
                                        ; implicit-def: $vgpr6
	s_and_saveexec_b64 s[4:5], s[20:21]
	s_xor_b64 s[20:21], exec, s[4:5]
	s_cbranch_execz .LBB108_31
; %bb.30:
	v_lshrrev_b32_e32 v5, 23, v3
	v_add_u32_e32 v5, 0xffffff88, v5
	v_not_b32_e32 v6, 63
	v_cmp_lt_u32_e32 vcc, 63, v5
	v_cndmask_b32_e32 v6, 0, v6, vcc
	v_add_u32_e32 v5, v6, v5
	v_not_b32_e32 v6, 31
	v_cmp_lt_u32_e64 s[4:5], 31, v5
	v_cndmask_b32_e64 v8, 0, v6, s[4:5]
	v_add_u32_e32 v5, v8, v5
	v_cmp_lt_u32_e64 s[6:7], 31, v5
	v_cndmask_b32_e64 v6, 0, v6, s[6:7]
	v_add_u32_e32 v5, v6, v5
	v_and_b32_e32 v6, 0x7fffff, v3
	v_or_b32_e32 v20, 0x800000, v6
	s_mov_b32 s8, 0xfe5163ab
	v_mad_u64_u32 v[8:9], s[8:9], v20, s8, 0
	v_mov_b32_e32 v7, 0
	v_mov_b32_e32 v6, v9
	s_mov_b32 s8, 0x3c439041
	v_mad_u64_u32 v[10:11], s[8:9], v20, s8, v[6:7]
	v_mov_b32_e32 v6, v11
	s_mov_b32 s8, 0xdb629599
	v_mad_u64_u32 v[12:13], s[8:9], v20, s8, v[6:7]
	;; [unrolled: 3-line block ×6, first 2 shown]
	v_cndmask_b32_e32 v9, v18, v14, vcc
	v_cndmask_b32_e32 v6, v6, v16, vcc
	;; [unrolled: 1-line block ×3, first 2 shown]
	v_cndmask_b32_e64 v11, v6, v9, s[4:5]
	v_cndmask_b32_e64 v6, v7, v6, s[4:5]
	v_cndmask_b32_e32 v7, v16, v12, vcc
	v_cndmask_b32_e64 v9, v9, v7, s[4:5]
	v_cndmask_b32_e64 v6, v6, v11, s[6:7]
	;; [unrolled: 1-line block ×3, first 2 shown]
	v_sub_u32_e32 v13, 32, v5
	v_alignbit_b32 v15, v6, v11, v13
	v_cmp_eq_u32_e64 s[8:9], 0, v5
	v_cndmask_b32_e64 v5, v15, v6, s[8:9]
	v_cndmask_b32_e32 v6, v14, v10, vcc
	v_cndmask_b32_e64 v7, v7, v6, s[4:5]
	v_cndmask_b32_e64 v9, v9, v7, s[6:7]
	v_alignbit_b32 v10, v11, v9, v13
	v_cndmask_b32_e32 v8, v12, v8, vcc
	v_cndmask_b32_e64 v10, v10, v11, s[8:9]
	v_bfe_u32 v15, v5, 29, 1
	v_cndmask_b32_e64 v6, v6, v8, s[4:5]
	v_alignbit_b32 v11, v5, v10, 30
	v_sub_u32_e32 v16, 0, v15
	v_cndmask_b32_e64 v6, v7, v6, s[6:7]
	v_xor_b32_e32 v17, v11, v16
	v_alignbit_b32 v7, v9, v6, v13
	v_cndmask_b32_e64 v7, v7, v9, s[8:9]
	v_ffbh_u32_e32 v9, v17
	v_add_u32_e32 v9, 1, v9
	v_cmp_ne_u32_e32 vcc, v11, v16
	v_alignbit_b32 v8, v10, v7, 30
	v_cndmask_b32_e32 v9, 33, v9, vcc
	v_alignbit_b32 v6, v7, v6, 30
	v_xor_b32_e32 v8, v8, v16
	v_sub_u32_e32 v10, 32, v9
	v_xor_b32_e32 v6, v6, v16
	v_alignbit_b32 v11, v17, v8, v10
	v_alignbit_b32 v6, v8, v6, v10
	v_alignbit_b32 v7, v11, v6, 9
	v_ffbh_u32_e32 v8, v7
	v_min_u32_e32 v8, 32, v8
	v_lshrrev_b32_e32 v14, 29, v5
	v_sub_u32_e32 v10, 31, v8
	v_alignbit_b32 v6, v7, v6, v10
	v_lshlrev_b32_e32 v7, 31, v14
	v_or_b32_e32 v10, 0x33800000, v7
	v_add_lshl_u32 v8, v8, v9, 23
	v_lshrrev_b32_e32 v6, 9, v6
	v_sub_u32_e32 v8, v10, v8
	v_or_b32_e32 v6, v8, v6
	v_alignbit_b32 v8, v9, v11, 9
	v_or_b32_e32 v7, v8, v7
	v_xor_b32_e32 v7, 1.0, v7
	s_mov_b32 s4, 0x3fc90fda
	v_mul_f32_e32 v8, 0x3fc90fda, v7
	v_fma_f32 v9, v7, s4, -v8
	v_fmac_f32_e32 v9, 0x33a22168, v7
	v_fmac_f32_e32 v9, 0x3fc90fda, v6
	v_lshrrev_b32_e32 v5, 30, v5
	v_add_f32_e32 v6, v8, v9
	v_add_u32_e32 v5, v15, v5
	s_andn2_saveexec_b64 s[4:5], s[20:21]
	s_cbranch_execnz .LBB108_32
	s_branch .LBB108_33
.LBB108_31:
	s_andn2_saveexec_b64 s[4:5], s[20:21]
.LBB108_32:
	s_mov_b32 s6, 0x3f22f983
	v_mul_f32_e64 v5, |v1|, s6
	v_rndne_f32_e32 v7, v5
	s_mov_b32 s6, 0xbfc90fda
	v_cvt_i32_f32_e32 v5, v7
	v_fma_f32 v6, v7, s6, |v1|
	v_fmac_f32_e32 v6, 0xb3a22168, v7
	v_fmac_f32_e32 v6, 0xa7c234c4, v7
.LBB108_33:
	s_or_b64 exec, exec, s[4:5]
	v_mul_f32_e32 v8, v0, v0
	v_mov_b32_e32 v10, 0xbab64f3b
	v_fmac_f32_e32 v10, 0x37d75334, v8
	v_mov_b32_e32 v11, 0x3d2aabf7
	v_mov_b32_e32 v14, 0x3c0881c4
	v_fma_f32 v10, v8, v10, v11
	v_mov_b32_e32 v12, 0xbf000004
	v_fmac_f32_e32 v14, 0xb94c1982, v8
	v_mov_b32_e32 v15, 0xbe2aaa9d
	v_fma_f32 v10, v8, v10, v12
	v_fma_f32 v14, v8, v14, v15
	v_lshlrev_b32_e32 v7, 30, v4
	v_and_b32_e32 v4, 1, v4
	v_fma_f32 v10, v8, v10, 1.0
	v_mul_f32_e32 v8, v8, v14
	v_fmac_f32_e32 v0, v0, v8
	v_cmp_eq_u32_e32 vcc, 0, v4
	s_mov_b32 s5, 0xc322e3bc
	v_and_b32_e32 v7, 0x80000000, v7
	v_cndmask_b32_e64 v0, -v0, v10, vcc
	v_add_f32_e64 v4, |v2|, s5
	v_xor_b32_e32 v0, v7, v0
	s_mov_b32 s5, 0x3fb8aa3b
	v_mul_f32_e32 v7, 0x3fb8aa3b, v4
	v_fma_f32 v8, v4, s5, -v7
	v_rndne_f32_e32 v10, v7
	v_fmac_f32_e32 v8, 0x32a5705f, v4
	v_sub_f32_e32 v7, v7, v10
	v_add_f32_e32 v7, v7, v8
	v_exp_f32_e32 v7, v7
	v_cvt_i32_f32_e32 v8, v10
	s_movk_i32 s4, 0x1f8
	v_mov_b32_e32 v10, 0x7fc00000
	v_cmp_class_f32_e64 vcc, v1, s4
	s_mov_b32 s4, 0xc2ce8ed0
	v_cndmask_b32_e32 v14, v10, v0, vcc
	v_ldexp_f32 v0, v7, v8
	v_cmp_ngt_f32_e64 s[4:5], s4, v4
	v_mov_b32_e32 v9, 0xbab64f3b
	v_mov_b32_e32 v13, 0x3c0881c4
	v_cndmask_b32_e64 v0, 0, v0, s[4:5]
	s_mov_b32 s4, 0x42b17218
	v_mul_f32_e32 v8, v6, v6
	v_mov_b32_e32 v7, 0x7f800000
	v_cmp_nlt_f32_e64 s[4:5], s4, v4
	v_fmac_f32_e32 v13, 0xb94c1982, v8
	v_fmac_f32_e32 v9, 0x37d75334, v8
	v_cndmask_b32_e64 v4, v7, v0, s[4:5]
	v_fmac_f32_e32 v15, v8, v13
	v_fmac_f32_e32 v11, v8, v9
	v_lshrrev_b32_e32 v0, 23, v4
	v_mul_f32_e32 v13, v8, v15
	v_fmac_f32_e32 v12, v8, v11
	v_and_b32_e32 v9, 1, v5
	s_brev_b32 s6, 1
	v_subrev_u32_e32 v0, 20, v0
	v_fmac_f32_e32 v6, v6, v13
	v_fma_f32 v8, v8, v12, 1.0
	v_cmp_eq_u32_e64 s[4:5], 0, v9
	v_lshlrev_b32_e32 v5, 30, v5
	v_lshrrev_b16_e32 v7, 15, v0
	v_cndmask_b32_e64 v6, v8, v6, s[4:5]
	v_and_or_b32 v3, v5, s6, v3
	v_add_u16_e32 v7, v0, v7
	v_xor_b32_e32 v3, v3, v6
	v_ashrrev_i16_e32 v7, 1, v7
	v_xor_b32_e32 v1, v3, v1
	v_bfe_i32 v7, v7, 0, 16
	v_cndmask_b32_e32 v5, v10, v1, vcc
	v_and_b32_e32 v1, 0x7fffff, v4
	v_sub_u32_e32 v0, v0, v7
	v_lshl_add_u32 v6, v7, 23, 1.0
	v_or_b32_e32 v7, 0x7f000000, v1
	v_mul_f32_e32 v4, v14, v7
	v_lshl_add_u32 v0, v0, 23, 1.0
	v_pk_mul_f32 v[4:5], v[4:5], v[6:7]
	v_mov_b32_e32 v1, v6
	s_brev_b32 s4, -2
	v_pk_mul_f32 v[4:5], v[4:5], v[0:1]
	v_bfi_b32 v2, s4, 1.0, v2
	v_mov_b32_e32 v3, v0
	v_pk_mul_f32 v[0:1], v[2:3], v[4:5]
.LBB108_34:
	s_or_b64 exec, exec, s[18:19]
                                        ; implicit-def: $vgpr2
                                        ; implicit-def: $vgpr3
.LBB108_35:
	s_andn2_saveexec_b64 s[16:17], s[16:17]
	s_cbranch_execz .LBB108_45
; %bb.36:
	s_brev_b32 s4, 18
	v_cmp_nlt_f32_e64 s[18:19], |v1|, s4
                                        ; implicit-def: $vgpr0
                                        ; implicit-def: $vgpr4
	s_and_saveexec_b64 s[4:5], s[18:19]
	s_xor_b64 s[20:21], exec, s[4:5]
	s_cbranch_execz .LBB108_38
; %bb.37:
	v_lshrrev_b32_e32 v0, 23, v3
	v_add_u32_e32 v0, 0xffffff88, v0
	v_not_b32_e32 v4, 63
	v_cmp_lt_u32_e32 vcc, 63, v0
	v_cndmask_b32_e32 v4, 0, v4, vcc
	v_add_u32_e32 v0, v4, v0
	v_not_b32_e32 v4, 31
	v_cmp_lt_u32_e64 s[4:5], 31, v0
	v_cndmask_b32_e64 v6, 0, v4, s[4:5]
	v_add_u32_e32 v0, v6, v0
	v_cmp_lt_u32_e64 s[6:7], 31, v0
	v_cndmask_b32_e64 v4, 0, v4, s[6:7]
	v_add_u32_e32 v0, v4, v0
	v_and_b32_e32 v4, 0x7fffff, v3
	v_or_b32_e32 v18, 0x800000, v4
	s_mov_b32 s8, 0xfe5163ab
	v_mad_u64_u32 v[6:7], s[8:9], v18, s8, 0
	v_mov_b32_e32 v5, 0
	v_mov_b32_e32 v4, v7
	s_mov_b32 s8, 0x3c439041
	v_mad_u64_u32 v[8:9], s[8:9], v18, s8, v[4:5]
	v_mov_b32_e32 v4, v9
	s_mov_b32 s8, 0xdb629599
	v_mad_u64_u32 v[10:11], s[8:9], v18, s8, v[4:5]
	;; [unrolled: 3-line block ×6, first 2 shown]
	v_cndmask_b32_e32 v7, v16, v12, vcc
	v_cndmask_b32_e32 v4, v4, v14, vcc
	;; [unrolled: 1-line block ×3, first 2 shown]
	v_cndmask_b32_e64 v9, v4, v7, s[4:5]
	v_cndmask_b32_e64 v4, v5, v4, s[4:5]
	v_cndmask_b32_e32 v5, v14, v10, vcc
	v_cndmask_b32_e64 v7, v7, v5, s[4:5]
	v_cndmask_b32_e64 v4, v4, v9, s[6:7]
	v_cndmask_b32_e64 v9, v9, v7, s[6:7]
	v_sub_u32_e32 v11, 32, v0
	v_alignbit_b32 v13, v4, v9, v11
	v_cmp_eq_u32_e64 s[8:9], 0, v0
	v_cndmask_b32_e64 v0, v13, v4, s[8:9]
	v_cndmask_b32_e32 v4, v12, v8, vcc
	v_cndmask_b32_e64 v5, v5, v4, s[4:5]
	v_cndmask_b32_e64 v7, v7, v5, s[6:7]
	v_alignbit_b32 v8, v9, v7, v11
	v_cndmask_b32_e32 v6, v10, v6, vcc
	v_cndmask_b32_e64 v8, v8, v9, s[8:9]
	v_bfe_u32 v13, v0, 29, 1
	v_cndmask_b32_e64 v4, v4, v6, s[4:5]
	v_alignbit_b32 v9, v0, v8, 30
	v_sub_u32_e32 v14, 0, v13
	v_cndmask_b32_e64 v4, v5, v4, s[6:7]
	v_xor_b32_e32 v15, v9, v14
	v_alignbit_b32 v5, v7, v4, v11
	v_cndmask_b32_e64 v5, v5, v7, s[8:9]
	v_ffbh_u32_e32 v7, v15
	v_add_u32_e32 v7, 1, v7
	v_cmp_ne_u32_e32 vcc, v9, v14
	v_alignbit_b32 v6, v8, v5, 30
	v_cndmask_b32_e32 v7, 33, v7, vcc
	v_alignbit_b32 v4, v5, v4, 30
	v_xor_b32_e32 v6, v6, v14
	v_sub_u32_e32 v8, 32, v7
	v_xor_b32_e32 v4, v4, v14
	v_alignbit_b32 v9, v15, v6, v8
	v_alignbit_b32 v4, v6, v4, v8
	;; [unrolled: 1-line block ×3, first 2 shown]
	v_ffbh_u32_e32 v6, v5
	v_min_u32_e32 v6, 32, v6
	v_lshrrev_b32_e32 v12, 29, v0
	v_sub_u32_e32 v8, 31, v6
	v_alignbit_b32 v4, v5, v4, v8
	v_lshlrev_b32_e32 v5, 31, v12
	v_or_b32_e32 v8, 0x33800000, v5
	v_add_lshl_u32 v6, v6, v7, 23
	v_lshrrev_b32_e32 v4, 9, v4
	v_sub_u32_e32 v6, v8, v6
	v_or_b32_e32 v4, v6, v4
	v_alignbit_b32 v6, v7, v9, 9
	v_or_b32_e32 v5, v6, v5
	v_xor_b32_e32 v5, 1.0, v5
	s_mov_b32 s4, 0x3fc90fda
	v_mul_f32_e32 v6, 0x3fc90fda, v5
	v_fma_f32 v7, v5, s4, -v6
	v_fmac_f32_e32 v7, 0x33a22168, v5
	v_fmac_f32_e32 v7, 0x3fc90fda, v4
	v_lshrrev_b32_e32 v0, 30, v0
	v_add_f32_e32 v4, v6, v7
	v_add_u32_e32 v0, v13, v0
	s_andn2_saveexec_b64 s[4:5], s[20:21]
	s_branch .LBB108_39
.LBB108_38:
	s_andn2_saveexec_b64 s[4:5], s[20:21]
.LBB108_39:
	s_mov_b32 s6, 0x3f22f983
	v_mul_f32_e64 v0, |v1|, s6
	v_rndne_f32_e32 v5, v0
	s_mov_b32 s6, 0xbfc90fda
	v_cvt_i32_f32_e32 v0, v5
	v_fma_f32 v4, v5, s6, |v1|
	v_fmac_f32_e32 v4, 0xb3a22168, v5
	v_fmac_f32_e32 v4, 0xa7c234c4, v5
; %bb.40:
	s_or_b64 exec, exec, s[4:5]
                                        ; implicit-def: $vgpr5
                                        ; implicit-def: $vgpr6
	s_and_saveexec_b64 s[4:5], s[18:19]
	s_xor_b64 s[18:19], exec, s[4:5]
	s_cbranch_execz .LBB108_42
; %bb.41:
	v_lshrrev_b32_e32 v5, 23, v3
	v_add_u32_e32 v5, 0xffffff88, v5
	v_not_b32_e32 v6, 63
	v_cmp_lt_u32_e32 vcc, 63, v5
	v_cndmask_b32_e32 v6, 0, v6, vcc
	v_add_u32_e32 v5, v6, v5
	v_not_b32_e32 v6, 31
	v_cmp_lt_u32_e64 s[4:5], 31, v5
	v_cndmask_b32_e64 v8, 0, v6, s[4:5]
	v_add_u32_e32 v5, v8, v5
	v_cmp_lt_u32_e64 s[6:7], 31, v5
	v_cndmask_b32_e64 v6, 0, v6, s[6:7]
	v_add_u32_e32 v5, v6, v5
	v_and_b32_e32 v6, 0x7fffff, v3
	v_or_b32_e32 v20, 0x800000, v6
	s_mov_b32 s8, 0xfe5163ab
	v_mad_u64_u32 v[8:9], s[8:9], v20, s8, 0
	v_mov_b32_e32 v7, 0
	v_mov_b32_e32 v6, v9
	s_mov_b32 s8, 0x3c439041
	v_mad_u64_u32 v[10:11], s[8:9], v20, s8, v[6:7]
	v_mov_b32_e32 v6, v11
	s_mov_b32 s8, 0xdb629599
	v_mad_u64_u32 v[12:13], s[8:9], v20, s8, v[6:7]
	;; [unrolled: 3-line block ×6, first 2 shown]
	v_cndmask_b32_e32 v9, v18, v14, vcc
	v_cndmask_b32_e32 v6, v6, v16, vcc
	;; [unrolled: 1-line block ×3, first 2 shown]
	v_cndmask_b32_e64 v11, v6, v9, s[4:5]
	v_cndmask_b32_e64 v6, v7, v6, s[4:5]
	v_cndmask_b32_e32 v7, v16, v12, vcc
	v_cndmask_b32_e64 v9, v9, v7, s[4:5]
	v_cndmask_b32_e64 v6, v6, v11, s[6:7]
	;; [unrolled: 1-line block ×3, first 2 shown]
	v_sub_u32_e32 v13, 32, v5
	v_alignbit_b32 v15, v6, v11, v13
	v_cmp_eq_u32_e64 s[8:9], 0, v5
	v_cndmask_b32_e64 v5, v15, v6, s[8:9]
	v_cndmask_b32_e32 v6, v14, v10, vcc
	v_cndmask_b32_e64 v7, v7, v6, s[4:5]
	v_cndmask_b32_e64 v9, v9, v7, s[6:7]
	v_alignbit_b32 v10, v11, v9, v13
	v_cndmask_b32_e32 v8, v12, v8, vcc
	v_cndmask_b32_e64 v10, v10, v11, s[8:9]
	v_bfe_u32 v15, v5, 29, 1
	v_cndmask_b32_e64 v6, v6, v8, s[4:5]
	v_alignbit_b32 v11, v5, v10, 30
	v_sub_u32_e32 v16, 0, v15
	v_cndmask_b32_e64 v6, v7, v6, s[6:7]
	v_xor_b32_e32 v17, v11, v16
	v_alignbit_b32 v7, v9, v6, v13
	v_cndmask_b32_e64 v7, v7, v9, s[8:9]
	v_ffbh_u32_e32 v9, v17
	v_add_u32_e32 v9, 1, v9
	v_cmp_ne_u32_e32 vcc, v11, v16
	v_alignbit_b32 v8, v10, v7, 30
	v_cndmask_b32_e32 v9, 33, v9, vcc
	v_alignbit_b32 v6, v7, v6, 30
	v_xor_b32_e32 v8, v8, v16
	v_sub_u32_e32 v10, 32, v9
	v_xor_b32_e32 v6, v6, v16
	v_alignbit_b32 v11, v17, v8, v10
	v_alignbit_b32 v6, v8, v6, v10
	;; [unrolled: 1-line block ×3, first 2 shown]
	v_ffbh_u32_e32 v8, v7
	v_min_u32_e32 v8, 32, v8
	v_lshrrev_b32_e32 v14, 29, v5
	v_sub_u32_e32 v10, 31, v8
	v_alignbit_b32 v6, v7, v6, v10
	v_lshlrev_b32_e32 v7, 31, v14
	v_or_b32_e32 v10, 0x33800000, v7
	v_add_lshl_u32 v8, v8, v9, 23
	v_lshrrev_b32_e32 v6, 9, v6
	v_sub_u32_e32 v8, v10, v8
	v_or_b32_e32 v6, v8, v6
	v_alignbit_b32 v8, v9, v11, 9
	v_or_b32_e32 v7, v8, v7
	v_xor_b32_e32 v7, 1.0, v7
	s_mov_b32 s4, 0x3fc90fda
	v_mul_f32_e32 v8, 0x3fc90fda, v7
	v_fma_f32 v9, v7, s4, -v8
	v_fmac_f32_e32 v9, 0x33a22168, v7
	v_fmac_f32_e32 v9, 0x3fc90fda, v6
	v_lshrrev_b32_e32 v5, 30, v5
	v_add_f32_e32 v6, v8, v9
	v_add_u32_e32 v5, v15, v5
	s_andn2_saveexec_b64 s[4:5], s[18:19]
	s_cbranch_execnz .LBB108_43
	s_branch .LBB108_44
.LBB108_42:
	s_andn2_saveexec_b64 s[4:5], s[18:19]
.LBB108_43:
	s_mov_b32 s6, 0x3f22f983
	v_mul_f32_e64 v5, |v1|, s6
	v_rndne_f32_e32 v7, v5
	s_mov_b32 s6, 0xbfc90fda
	v_cvt_i32_f32_e32 v5, v7
	v_fma_f32 v6, v7, s6, |v1|
	v_fmac_f32_e32 v6, 0xb3a22168, v7
	v_fmac_f32_e32 v6, 0xa7c234c4, v7
.LBB108_44:
	s_or_b64 exec, exec, s[4:5]
	s_mov_b32 s4, 0x3fb8aa3b
	v_mul_f32_e64 v7, |v2|, s4
	v_rndne_f32_e32 v8, v7
	v_sub_f32_e32 v9, v7, v8
	v_fma_f32 v7, |v2|, s4, -v7
	s_mov_b32 s4, 0x32a5705f
	v_fma_f32 v7, |v2|, s4, v7
	v_add_f32_e32 v7, v9, v7
	v_exp_f32_e32 v7, v7
	v_cvt_i32_f32_e32 v8, v8
	s_mov_b32 s4, 0xc2ce8ed0
	v_cmp_nlt_f32_e64 vcc, |v2|, s4
	s_mov_b32 s4, 0x42b17218
	v_ldexp_f32 v7, v7, v8
	v_cndmask_b32_e32 v7, 0, v7, vcc
	v_mov_b32_e32 v8, 0x7f800000
	v_cmp_ngt_f32_e64 vcc, |v2|, s4
	v_cndmask_b32_e32 v7, v8, v7, vcc
	v_mul_f32_e32 v8, v4, v4
	v_mov_b32_e32 v12, 0xbab64f3b
	v_mov_b32_e32 v10, 0x3c0881c4
	v_fmac_f32_e32 v12, 0x37d75334, v8
	v_mov_b32_e32 v13, 0x3d2aabf7
	v_fmac_f32_e32 v10, 0xb94c1982, v8
	v_mov_b32_e32 v11, 0xbe2aaa9d
	v_fma_f32 v12, v8, v12, v13
	v_mov_b32_e32 v14, 0xbf000004
	v_fma_f32 v10, v8, v10, v11
	v_fma_f32 v12, v8, v12, v14
	v_mul_f32_e32 v10, v8, v10
	v_fma_f32 v8, v8, v12, 1.0
	v_and_b32_e32 v12, 1, v0
	v_mul_f32_e32 v7, 0.5, v7
	s_brev_b32 s4, -2
	v_fmac_f32_e32 v4, v4, v10
	v_cmp_eq_u32_e32 vcc, 0, v12
	v_lshlrev_b32_e32 v0, 30, v0
	v_bfi_b32 v2, s4, v7, v2
	v_cndmask_b32_e64 v4, -v4, v8, vcc
	v_and_b32_e32 v0, 0x80000000, v0
	s_movk_i32 s4, 0x1f8
	v_xor_b32_e32 v0, v0, v4
	v_mov_b32_e32 v4, 0x7fc00000
	v_cmp_class_f32_e64 vcc, v1, s4
	v_cndmask_b32_e32 v0, v4, v0, vcc
	v_mov_b32_e32 v9, 0x3c0881c4
	v_mul_f32_e32 v0, v2, v0
	v_mul_f32_e32 v2, v6, v6
	v_mov_b32_e32 v10, 0xbab64f3b
	v_fmac_f32_e32 v9, 0xb94c1982, v2
	v_fmac_f32_e32 v11, v2, v9
	;; [unrolled: 1-line block ×3, first 2 shown]
	v_mul_f32_e32 v8, v2, v11
	v_fmac_f32_e32 v13, v2, v10
	v_fmac_f32_e32 v6, v6, v8
	;; [unrolled: 1-line block ×3, first 2 shown]
	v_and_b32_e32 v8, 1, v5
	s_brev_b32 s6, 1
	v_fma_f32 v2, v2, v14, 1.0
	v_cmp_eq_u32_e64 s[4:5], 0, v8
	v_lshlrev_b32_e32 v5, 30, v5
	v_cndmask_b32_e64 v2, v2, v6, s[4:5]
	v_and_or_b32 v3, v5, s6, v3
	v_xor_b32_e32 v2, v3, v2
	v_xor_b32_e32 v1, v2, v1
	v_cndmask_b32_e32 v1, v4, v1, vcc
	v_mul_f32_e32 v1, v7, v1
.LBB108_45:
	s_or_b64 exec, exec, s[16:17]
                                        ; implicit-def: $vgpr2
                                        ; implicit-def: $vgpr3
.LBB108_46:
	s_andn2_saveexec_b64 s[14:15], s[14:15]
	s_cbranch_execz .LBB108_56
; %bb.47:
	s_brev_b32 s4, 18
	v_cmp_nlt_f32_e64 s[16:17], |v1|, s4
	v_lshrrev_b32_e32 v7, 23, v3
                                        ; implicit-def: $vgpr0
                                        ; implicit-def: $vgpr4
	s_and_saveexec_b64 s[4:5], s[16:17]
	s_xor_b64 s[18:19], exec, s[4:5]
	s_cbranch_execz .LBB108_49
; %bb.48:
	v_add_u32_e32 v0, 0xffffff88, v7
	v_not_b32_e32 v4, 63
	v_cmp_lt_u32_e32 vcc, 63, v0
	v_cndmask_b32_e32 v4, 0, v4, vcc
	v_add_u32_e32 v0, v4, v0
	v_not_b32_e32 v4, 31
	v_cmp_lt_u32_e64 s[4:5], 31, v0
	v_cndmask_b32_e64 v6, 0, v4, s[4:5]
	v_add_u32_e32 v0, v6, v0
	v_cmp_lt_u32_e64 s[6:7], 31, v0
	v_cndmask_b32_e64 v4, 0, v4, s[6:7]
	v_add_u32_e32 v0, v4, v0
	v_and_b32_e32 v4, 0x7fffff, v3
	v_or_b32_e32 v6, 0x800000, v4
	s_mov_b32 s8, 0xfe5163ab
	v_mad_u64_u32 v[8:9], s[8:9], v6, s8, 0
	v_mov_b32_e32 v5, 0
	v_mov_b32_e32 v4, v9
	s_mov_b32 s8, 0x3c439041
	v_mad_u64_u32 v[10:11], s[8:9], v6, s8, v[4:5]
	v_mov_b32_e32 v4, v11
	s_mov_b32 s8, 0xdb629599
	v_mad_u64_u32 v[12:13], s[8:9], v6, s8, v[4:5]
	;; [unrolled: 3-line block ×6, first 2 shown]
	v_cndmask_b32_e32 v9, v18, v14, vcc
	v_cndmask_b32_e32 v4, v4, v16, vcc
	;; [unrolled: 1-line block ×3, first 2 shown]
	v_cndmask_b32_e64 v6, v4, v9, s[4:5]
	v_cndmask_b32_e64 v4, v5, v4, s[4:5]
	v_cndmask_b32_e32 v5, v16, v12, vcc
	v_cndmask_b32_e64 v9, v9, v5, s[4:5]
	v_cndmask_b32_e64 v4, v4, v6, s[6:7]
	;; [unrolled: 1-line block ×3, first 2 shown]
	v_sub_u32_e32 v11, 32, v0
	v_alignbit_b32 v13, v4, v6, v11
	v_cmp_eq_u32_e64 s[8:9], 0, v0
	v_cndmask_b32_e64 v0, v13, v4, s[8:9]
	v_cndmask_b32_e32 v4, v14, v10, vcc
	v_cndmask_b32_e64 v5, v5, v4, s[4:5]
	v_cndmask_b32_e64 v9, v9, v5, s[6:7]
	v_alignbit_b32 v10, v6, v9, v11
	v_cndmask_b32_e64 v6, v10, v6, s[8:9]
	v_bfe_u32 v14, v0, 29, 1
	v_cndmask_b32_e32 v8, v12, v8, vcc
	v_alignbit_b32 v10, v0, v6, 30
	v_sub_u32_e32 v15, 0, v14
	v_cndmask_b32_e64 v4, v4, v8, s[4:5]
	v_xor_b32_e32 v16, v10, v15
	v_cndmask_b32_e64 v4, v5, v4, s[6:7]
	v_alignbit_b32 v5, v9, v4, v11
	v_ffbh_u32_e32 v8, v16
	v_cndmask_b32_e64 v5, v5, v9, s[8:9]
	v_add_u32_e32 v8, 1, v8
	v_cmp_ne_u32_e32 vcc, v10, v15
	v_alignbit_b32 v6, v6, v5, 30
	v_cndmask_b32_e32 v8, 33, v8, vcc
	v_alignbit_b32 v4, v5, v4, 30
	v_xor_b32_e32 v6, v6, v15
	v_sub_u32_e32 v9, 32, v8
	v_xor_b32_e32 v4, v4, v15
	v_alignbit_b32 v10, v16, v6, v9
	v_alignbit_b32 v4, v6, v4, v9
	;; [unrolled: 1-line block ×3, first 2 shown]
	v_ffbh_u32_e32 v6, v5
	v_min_u32_e32 v6, 32, v6
	v_lshrrev_b32_e32 v13, 29, v0
	v_sub_u32_e32 v9, 31, v6
	v_alignbit_b32 v4, v5, v4, v9
	v_lshlrev_b32_e32 v5, 31, v13
	v_or_b32_e32 v9, 0x33800000, v5
	v_add_lshl_u32 v6, v6, v8, 23
	v_lshrrev_b32_e32 v4, 9, v4
	v_sub_u32_e32 v6, v9, v6
	v_or_b32_e32 v4, v6, v4
	v_alignbit_b32 v6, v8, v10, 9
	v_or_b32_e32 v5, v6, v5
	v_xor_b32_e32 v5, 1.0, v5
	s_mov_b32 s4, 0x3fc90fda
	v_mul_f32_e32 v6, 0x3fc90fda, v5
	v_fma_f32 v8, v5, s4, -v6
	v_fmac_f32_e32 v8, 0x33a22168, v5
	v_fmac_f32_e32 v8, 0x3fc90fda, v4
	v_lshrrev_b32_e32 v0, 30, v0
	v_add_f32_e32 v4, v6, v8
	v_add_u32_e32 v0, v14, v0
	s_andn2_saveexec_b64 s[4:5], s[18:19]
	s_branch .LBB108_50
.LBB108_49:
	s_andn2_saveexec_b64 s[4:5], s[18:19]
.LBB108_50:
	s_mov_b32 s6, 0x3f22f983
	v_mul_f32_e64 v0, |v1|, s6
	v_rndne_f32_e32 v5, v0
	s_mov_b32 s6, 0xbfc90fda
	v_cvt_i32_f32_e32 v0, v5
	v_fma_f32 v4, v5, s6, |v1|
	v_fmac_f32_e32 v4, 0xb3a22168, v5
	v_fmac_f32_e32 v4, 0xa7c234c4, v5
; %bb.51:
	s_or_b64 exec, exec, s[4:5]
                                        ; implicit-def: $vgpr5
                                        ; implicit-def: $vgpr6
	s_and_saveexec_b64 s[4:5], s[16:17]
	s_xor_b64 s[16:17], exec, s[4:5]
	s_cbranch_execz .LBB108_53
; %bb.52:
	v_add_u32_e32 v5, 0xffffff88, v7
	v_not_b32_e32 v6, 63
	v_cmp_lt_u32_e32 vcc, 63, v5
	v_cndmask_b32_e32 v6, 0, v6, vcc
	v_add_u32_e32 v5, v6, v5
	v_not_b32_e32 v6, 31
	v_cmp_lt_u32_e64 s[4:5], 31, v5
	v_cndmask_b32_e64 v8, 0, v6, s[4:5]
	v_add_u32_e32 v5, v8, v5
	v_cmp_lt_u32_e64 s[6:7], 31, v5
	v_cndmask_b32_e64 v6, 0, v6, s[6:7]
	v_add_u32_e32 v5, v6, v5
	v_and_b32_e32 v6, 0x7fffff, v3
	v_or_b32_e32 v20, 0x800000, v6
	s_mov_b32 s8, 0xfe5163ab
	v_mad_u64_u32 v[8:9], s[8:9], v20, s8, 0
	v_mov_b32_e32 v7, 0
	v_mov_b32_e32 v6, v9
	s_mov_b32 s8, 0x3c439041
	v_mad_u64_u32 v[10:11], s[8:9], v20, s8, v[6:7]
	v_mov_b32_e32 v6, v11
	s_mov_b32 s8, 0xdb629599
	v_mad_u64_u32 v[12:13], s[8:9], v20, s8, v[6:7]
	;; [unrolled: 3-line block ×6, first 2 shown]
	v_cndmask_b32_e32 v9, v18, v14, vcc
	v_cndmask_b32_e32 v6, v6, v16, vcc
	v_cndmask_b32_e32 v7, v7, v18, vcc
	v_cndmask_b32_e64 v11, v6, v9, s[4:5]
	v_cndmask_b32_e64 v6, v7, v6, s[4:5]
	v_cndmask_b32_e32 v7, v16, v12, vcc
	v_cndmask_b32_e64 v9, v9, v7, s[4:5]
	v_cndmask_b32_e64 v6, v6, v11, s[6:7]
	;; [unrolled: 1-line block ×3, first 2 shown]
	v_sub_u32_e32 v13, 32, v5
	v_alignbit_b32 v15, v6, v11, v13
	v_cmp_eq_u32_e64 s[8:9], 0, v5
	v_cndmask_b32_e64 v5, v15, v6, s[8:9]
	v_cndmask_b32_e32 v6, v14, v10, vcc
	v_cndmask_b32_e64 v7, v7, v6, s[4:5]
	v_cndmask_b32_e64 v9, v9, v7, s[6:7]
	v_alignbit_b32 v10, v11, v9, v13
	v_cndmask_b32_e32 v8, v12, v8, vcc
	v_cndmask_b32_e64 v10, v10, v11, s[8:9]
	v_bfe_u32 v15, v5, 29, 1
	v_cndmask_b32_e64 v6, v6, v8, s[4:5]
	v_alignbit_b32 v11, v5, v10, 30
	v_sub_u32_e32 v16, 0, v15
	v_cndmask_b32_e64 v6, v7, v6, s[6:7]
	v_xor_b32_e32 v17, v11, v16
	v_alignbit_b32 v7, v9, v6, v13
	v_cndmask_b32_e64 v7, v7, v9, s[8:9]
	v_ffbh_u32_e32 v9, v17
	v_add_u32_e32 v9, 1, v9
	v_cmp_ne_u32_e32 vcc, v11, v16
	v_alignbit_b32 v8, v10, v7, 30
	v_cndmask_b32_e32 v9, 33, v9, vcc
	v_alignbit_b32 v6, v7, v6, 30
	v_xor_b32_e32 v8, v8, v16
	v_sub_u32_e32 v10, 32, v9
	v_xor_b32_e32 v6, v6, v16
	v_alignbit_b32 v11, v17, v8, v10
	v_alignbit_b32 v6, v8, v6, v10
	;; [unrolled: 1-line block ×3, first 2 shown]
	v_ffbh_u32_e32 v8, v7
	v_min_u32_e32 v8, 32, v8
	v_lshrrev_b32_e32 v14, 29, v5
	v_sub_u32_e32 v10, 31, v8
	v_alignbit_b32 v6, v7, v6, v10
	v_lshlrev_b32_e32 v7, 31, v14
	v_or_b32_e32 v10, 0x33800000, v7
	v_add_lshl_u32 v8, v8, v9, 23
	v_lshrrev_b32_e32 v6, 9, v6
	v_sub_u32_e32 v8, v10, v8
	v_or_b32_e32 v6, v8, v6
	v_alignbit_b32 v8, v9, v11, 9
	v_or_b32_e32 v7, v8, v7
	v_xor_b32_e32 v7, 1.0, v7
	s_mov_b32 s4, 0x3fc90fda
	v_mul_f32_e32 v8, 0x3fc90fda, v7
	v_fma_f32 v9, v7, s4, -v8
	v_fmac_f32_e32 v9, 0x33a22168, v7
	v_fmac_f32_e32 v9, 0x3fc90fda, v6
	v_lshrrev_b32_e32 v5, 30, v5
	v_add_f32_e32 v6, v8, v9
	v_add_u32_e32 v5, v15, v5
	s_andn2_saveexec_b64 s[4:5], s[16:17]
	s_cbranch_execnz .LBB108_54
	s_branch .LBB108_55
.LBB108_53:
	s_andn2_saveexec_b64 s[4:5], s[16:17]
.LBB108_54:
	s_mov_b32 s6, 0x3f22f983
	v_mul_f32_e64 v5, |v1|, s6
	v_rndne_f32_e32 v7, v5
	s_mov_b32 s6, 0xbfc90fda
	v_cvt_i32_f32_e32 v5, v7
	v_fma_f32 v6, v7, s6, |v1|
	v_fmac_f32_e32 v6, 0xb3a22168, v7
	v_fmac_f32_e32 v6, 0xa7c234c4, v7
.LBB108_55:
	s_or_b64 exec, exec, s[4:5]
	s_mov_b32 s4, 0xbf317218
	v_add_f32_e64 v7, |v2|, s4
	v_sub_f32_e64 v8, v7, |v2|
	v_sub_f32_e32 v9, v8, v7
	v_add_f32_e64 v9, |v2|, v9
	v_add_f32_e32 v8, 0x3f317218, v8
	v_sub_f32_e32 v8, v9, v8
	v_add_f32_e32 v8, 0x3102e308, v8
	v_add_f32_e32 v9, v7, v8
	v_sub_f32_e32 v7, v7, v9
	v_add_f32_e32 v7, v8, v7
	v_mul_f32_e32 v8, 0x3fb8aa3b, v9
	v_rndne_f32_e32 v8, v8
	v_fmac_f32_e32 v9, 0xbf317200, v8
	v_add_f32_e32 v10, v7, v9
	v_sub_f32_e32 v9, v9, v10
	v_add_f32_e32 v7, v7, v9
	v_mul_f32_e32 v9, 0x35bfbc00, v8
	v_sub_f32_e32 v11, v10, v9
	v_sub_f32_e32 v10, v10, v11
	;; [unrolled: 1-line block ×3, first 2 shown]
	v_add_f32_e32 v7, v7, v9
	v_add_f32_e32 v9, v11, v7
	v_sub_f32_e32 v10, v11, v9
	v_add_f32_e32 v7, v7, v10
	v_mul_f32_e32 v10, 0x2ea39ef3, v8
	v_sub_f32_e32 v11, v9, v10
	v_sub_f32_e32 v9, v9, v11
	;; [unrolled: 1-line block ×3, first 2 shown]
	v_add_f32_e32 v7, v7, v9
	v_add_f32_e32 v9, v11, v7
	v_mov_b32_e32 v10, 0x3c091de6
	v_fmac_f32_e32 v10, 0x3ab42872, v9
	v_mov_b32_e32 v12, 0x3d2aadcc
	v_fmac_f32_e32 v12, v9, v10
	;; [unrolled: 2-line block ×4, first 2 shown]
	v_sub_f32_e32 v10, v11, v9
	v_add_f32_e32 v7, v7, v10
	v_mul_f32_e32 v11, v9, v9
	v_add_f32_e32 v10, v7, v7
	v_fma_f32 v13, v9, v9, -v11
	v_fmac_f32_e32 v13, v9, v10
	v_add_f32_e32 v10, v11, v13
	v_sub_f32_e32 v11, v10, v11
	v_sub_f32_e32 v11, v13, v11
	v_mul_f32_e32 v13, v12, v10
	v_fma_f32 v10, v10, v12, -v13
	v_fmac_f32_e32 v10, v11, v12
	v_add_f32_e32 v11, v13, v10
	v_sub_f32_e32 v12, v11, v13
	v_sub_f32_e32 v10, v10, v12
	v_add_f32_e32 v12, v9, v11
	v_sub_f32_e32 v9, v12, v9
	v_sub_f32_e32 v9, v11, v9
	v_add_f32_e32 v7, v7, v10
	v_add_f32_e32 v7, v7, v9
	;; [unrolled: 1-line block ×3, first 2 shown]
	v_sub_f32_e32 v10, v9, v12
	v_sub_f32_e32 v7, v7, v10
	v_add_f32_e32 v10, 1.0, v9
	v_add_f32_e32 v11, -1.0, v10
	v_cvt_i32_f32_e32 v8, v8
	v_sub_f32_e32 v9, v9, v11
	v_add_f32_e32 v7, v7, v9
	v_add_f32_e32 v9, v10, v7
	v_ldexp_f32 v11, v9, v8
	v_rcp_f32_e32 v12, v11
	v_sub_f32_e32 v9, v9, v10
	v_sub_f32_e32 v7, v7, v9
	v_ldexp_f32 v7, v7, v8
	v_mul_f32_e32 v8, v11, v12
	v_fma_f32 v9, v12, v11, -v8
	v_fmac_f32_e32 v9, v12, v7
	v_add_f32_e32 v10, v8, v9
	v_sub_f32_e32 v13, 1.0, v10
	v_sub_f32_e32 v14, 1.0, v13
	v_sub_f32_e32 v8, v10, v8
	v_sub_f32_e32 v14, v14, v10
	v_sub_f32_e32 v8, v8, v9
	v_add_f32_e32 v8, v8, v14
	v_add_f32_e32 v9, v13, v8
	v_mul_f32_e32 v10, v12, v9
	v_mul_f32_e32 v14, v11, v10
	v_fma_f32 v15, v10, v11, -v14
	v_fmac_f32_e32 v15, v10, v7
	v_sub_f32_e32 v13, v13, v9
	v_add_f32_e32 v8, v8, v13
	v_add_f32_e32 v13, v14, v15
	v_sub_f32_e32 v16, v9, v13
	v_sub_f32_e32 v9, v9, v16
	;; [unrolled: 1-line block ×4, first 2 shown]
	v_add_f32_e32 v8, v8, v9
	v_sub_f32_e32 v9, v14, v15
	v_add_f32_e32 v8, v9, v8
	v_add_f32_e32 v8, v16, v8
	;; [unrolled: 1-line block ×3, first 2 shown]
	v_mul_f32_e32 v8, v12, v8
	v_sub_f32_e32 v12, v9, v12
	v_sub_f32_e32 v10, v10, v12
	v_add_f32_e32 v8, v10, v8
	v_add_f32_e32 v10, v9, v8
	v_sub_f32_e32 v9, v10, v9
	v_sub_f32_e32 v8, v8, v9
	v_ldexp_f32 v9, v10, -2
	v_sub_f32_e32 v10, v11, v9
	v_sub_f32_e32 v12, v11, v10
	v_sub_f32_e32 v12, v12, v9
	v_ldexp_f32 v8, v8, -2
	v_add_f32_e32 v12, v7, v12
	v_sub_f32_e32 v12, v12, v8
	s_mov_b32 s4, 0x42b2d4fc
	v_add_f32_e32 v10, v10, v12
	v_mov_b32_e32 v12, 0x7f800000
	v_cmp_gt_f32_e64 vcc, |v2|, s4
	s_mov_b32 s4, 0x39800000
	v_cndmask_b32_e32 v10, v10, v12, vcc
	v_cmp_lt_f32_e64 s[4:5], |v2|, s4
	v_cndmask_b32_e64 v10, v10, |v2|, s[4:5]
	s_brev_b32 s4, -2
	v_bfi_b32 v2, s4, v10, v2
	v_mul_f32_e32 v10, v4, v4
	v_mov_b32_e32 v16, 0xbab64f3b
	v_mov_b32_e32 v14, 0x3c0881c4
	v_fmac_f32_e32 v16, 0x37d75334, v10
	v_mov_b32_e32 v17, 0x3d2aabf7
	v_fmac_f32_e32 v14, 0xb94c1982, v10
	v_mov_b32_e32 v15, 0xbe2aaa9d
	v_fma_f32 v16, v10, v16, v17
	v_mov_b32_e32 v18, 0xbf000004
	v_fma_f32 v14, v10, v14, v15
	v_fma_f32 v16, v10, v16, v18
	v_mul_f32_e32 v14, v10, v14
	v_fma_f32 v10, v10, v16, 1.0
	v_and_b32_e32 v16, 1, v0
	v_fmac_f32_e32 v4, v4, v14
	v_cmp_eq_u32_e64 s[4:5], 0, v16
	v_lshlrev_b32_e32 v0, 30, v0
	v_cndmask_b32_e64 v4, -v4, v10, s[4:5]
	v_and_b32_e32 v0, 0x80000000, v0
	s_movk_i32 s4, 0x1f8
	v_xor_b32_e32 v0, v0, v4
	v_mov_b32_e32 v4, 0x7fc00000
	v_cmp_class_f32_e64 s[4:5], v1, s4
	v_cndmask_b32_e64 v0, v4, v0, s[4:5]
	v_mul_f32_e32 v0, v2, v0
	v_add_f32_e32 v2, v11, v9
	v_sub_f32_e32 v10, v2, v11
	v_sub_f32_e32 v9, v9, v10
	v_add_f32_e32 v7, v7, v8
	v_add_f32_e32 v7, v7, v9
	v_mov_b32_e32 v13, 0x3c0881c4
	v_add_f32_e32 v2, v2, v7
	v_mul_f32_e32 v7, v6, v6
	v_mov_b32_e32 v14, 0xbab64f3b
	v_fmac_f32_e32 v13, 0xb94c1982, v7
	v_fmac_f32_e32 v15, v7, v13
	;; [unrolled: 1-line block ×3, first 2 shown]
	v_mul_f32_e32 v8, v7, v15
	v_fmac_f32_e32 v17, v7, v14
	v_fmac_f32_e32 v6, v6, v8
	;; [unrolled: 1-line block ×3, first 2 shown]
	v_and_b32_e32 v8, 1, v5
	s_brev_b32 s6, 1
	v_cndmask_b32_e32 v2, v2, v12, vcc
	v_fma_f32 v7, v7, v18, 1.0
	v_cmp_eq_u32_e32 vcc, 0, v8
	v_lshlrev_b32_e32 v5, 30, v5
	v_cndmask_b32_e32 v6, v7, v6, vcc
	v_and_or_b32 v3, v5, s6, v3
	v_xor_b32_e32 v3, v3, v6
	v_xor_b32_e32 v1, v3, v1
	v_cndmask_b32_e64 v1, v4, v1, s[4:5]
	v_mul_f32_e32 v1, v2, v1
.LBB108_56:
	s_or_b64 exec, exec, s[14:15]
                                        ; implicit-def: $vgpr2
.LBB108_57:
	s_andn2_saveexec_b64 s[4:5], s[12:13]
	s_cbranch_execz .LBB108_59
; %bb.58:
	s_mov_b32 s6, 0xbf317218
	v_add_f32_e64 v0, |v2|, s6
	v_sub_f32_e64 v7, v0, |v2|
	v_and_b32_e32 v4, 0x7fffffff, v2
	v_sub_f32_e32 v6, v7, v0
	v_mov_b32_e32 v5, 0x3f317218
	v_pk_add_f32 v[4:5], v[4:5], v[6:7]
	v_sub_f32_e32 v3, v4, v5
	v_add_f32_e32 v3, 0x3102e308, v3
	v_add_f32_e32 v4, v0, v3
	v_sub_f32_e32 v0, v0, v4
	v_add_f32_e32 v0, v3, v0
	v_mul_f32_e32 v3, 0x3fb8aa3b, v4
	v_rndne_f32_e32 v3, v3
	v_fmac_f32_e32 v4, 0xbf317200, v3
	v_add_f32_e32 v7, v0, v4
	v_sub_f32_e32 v4, v4, v7
	v_add_f32_e32 v0, v0, v4
	v_mul_f32_e32 v4, 0x35bfbc00, v3
	v_sub_f32_e32 v6, v7, v4
	v_sub_f32_e32 v7, v7, v6
	;; [unrolled: 1-line block ×3, first 2 shown]
	v_add_f32_e32 v0, v0, v4
	v_add_f32_e32 v7, v6, v0
	v_mul_f32_e32 v5, 0x2ea39ef3, v3
	v_mov_b32_e32 v4, v7
	v_pk_add_f32 v[8:9], v[6:7], v[4:5] neg_lo:[0,1] neg_hi:[0,1]
	v_sub_f32_e32 v4, v7, v9
	v_sub_f32_e32 v4, v4, v5
	v_add_f32_e32 v0, v0, v8
	v_add_f32_e32 v0, v0, v4
	;; [unrolled: 1-line block ×3, first 2 shown]
	v_mov_b32_e32 v4, 0x3c091de6
	v_fmac_f32_e32 v4, 0x3ab42872, v5
	v_mov_b32_e32 v6, 0x3d2aadcc
	v_fmac_f32_e32 v6, v5, v4
	;; [unrolled: 2-line block ×4, first 2 shown]
	v_sub_f32_e32 v4, v9, v5
	v_add_f32_e32 v0, v0, v4
	v_mul_f32_e32 v7, v5, v5
	v_add_f32_e32 v4, v0, v0
	v_fma_f32 v8, v5, v5, -v7
	v_fmac_f32_e32 v8, v5, v4
	v_add_f32_e32 v4, v7, v8
	v_sub_f32_e32 v7, v4, v7
	v_sub_f32_e32 v7, v8, v7
	v_mul_f32_e32 v8, v6, v4
	v_fma_f32 v4, v4, v6, -v8
	v_fmac_f32_e32 v4, v7, v6
	v_add_f32_e32 v6, v8, v4
	v_sub_f32_e32 v7, v6, v8
	v_sub_f32_e32 v7, v4, v7
	v_add_f32_e32 v4, v5, v6
	v_sub_f32_e32 v5, v4, v5
	v_sub_f32_e32 v5, v6, v5
	v_add_f32_e32 v0, v0, v7
	v_add_f32_e32 v6, v0, v5
	;; [unrolled: 1-line block ×3, first 2 shown]
	v_add_f32_e32 v9, 1.0, v8
	s_mov_b32 s7, -1.0
	v_mov_b32_e32 v5, -1.0
	v_pk_add_f32 v[4:5], v[8:9], v[4:5] neg_lo:[0,1] neg_hi:[0,1]
	v_pk_add_f32 v[10:11], v[8:9], s[6:7]
	v_mov_b32_e32 v5, v11
	v_mov_b32_e32 v7, v8
	v_cvt_i32_f32_e32 v0, v3
	v_pk_add_f32 v[4:5], v[6:7], v[4:5] neg_lo:[0,1] neg_hi:[0,1]
	v_add_f32_e32 v3, v4, v5
	v_add_f32_e32 v4, v9, v3
	v_ldexp_f32 v12, v4, v0
	v_rcp_f32_e32 v13, v12
	v_sub_f32_e32 v4, v4, v9
	v_sub_f32_e32 v3, v3, v4
	v_ldexp_f32 v0, v3, v0
	v_mul_f32_e32 v4, v12, v13
	v_fma_f32 v6, v13, v12, -v4
	v_fmac_f32_e32 v6, v13, v0
	v_add_f32_e32 v8, v4, v6
	v_sub_f32_e32 v5, 1.0, v8
	v_mov_b32_e32 v9, 1.0
	v_pk_add_f32 v[10:11], v[8:9], v[4:5] neg_lo:[0,1] neg_hi:[0,1]
	v_mov_b32_e32 v7, v8
	v_pk_add_f32 v[6:7], v[10:11], v[6:7] neg_lo:[0,1] neg_hi:[0,1]
	v_add_f32_e32 v3, v6, v7
	v_add_f32_e32 v7, v5, v3
	v_mul_f32_e32 v14, v13, v7
	v_mul_f32_e32 v4, v12, v14
	v_fma_f32 v8, v14, v12, -v4
	v_fmac_f32_e32 v8, v14, v0
	v_sub_f32_e32 v5, v5, v7
	v_add_f32_e32 v6, v4, v8
	v_add_f32_e32 v3, v3, v5
	v_sub_f32_e32 v5, v7, v6
	v_pk_add_f32 v[10:11], v[6:7], v[4:5] neg_lo:[0,1] neg_hi:[0,1]
	v_mov_b32_e32 v9, v6
	v_pk_add_f32 v[6:7], v[10:11], v[8:9] neg_lo:[0,1] neg_hi:[0,1]
	v_add_f32_e32 v3, v3, v7
	v_add_f32_e32 v3, v6, v3
	;; [unrolled: 1-line block ×4, first 2 shown]
	v_sub_f32_e32 v5, v4, v13
	v_mul_f32_e32 v3, v13, v3
	v_sub_f32_e32 v5, v14, v5
	v_add_f32_e32 v3, v5, v3
	v_add_f32_e32 v5, v4, v3
	v_sub_f32_e32 v4, v5, v4
	v_sub_f32_e32 v3, v3, v4
	v_ldexp_f32 v4, v5, -2
	v_sub_f32_e32 v5, v12, v4
	v_sub_f32_e32 v6, v12, v5
	;; [unrolled: 1-line block ×3, first 2 shown]
	v_ldexp_f32 v3, v3, -2
	v_add_f32_e32 v0, v0, v4
	v_sub_f32_e32 v0, v0, v3
	s_mov_b32 s6, 0x42b2d4fc
	v_add_f32_e32 v0, v5, v0
	v_mov_b32_e32 v3, 0x7f800000
	v_cmp_ngt_f32_e64 vcc, |v2|, s6
	s_mov_b32 s6, 0x39800000
	v_cndmask_b32_e32 v0, v3, v0, vcc
	v_cmp_lt_f32_e64 s[6:7], |v2|, s6
	s_brev_b32 s8, -2
	v_cndmask_b32_e64 v0, v0, |v2|, s[6:7]
	v_bfi_b32 v0, s8, v0, v2
.LBB108_59:
	s_or_b64 exec, exec, s[4:5]
	s_or_b64 exec, exec, s[10:11]
	s_setpc_b64 s[30:31]
.LBB108_60:
	s_andn2_saveexec_b64 s[4:5], s[24:25]
.LBB108_61:
	s_mov_b32 s6, 0x3f22f983
	v_mul_f32_e64 v0, |v1|, s6
	v_rndne_f32_e32 v5, v0
	s_mov_b32 s6, 0xbfc90fda
	v_cvt_i32_f32_e32 v0, v5
	v_fma_f32 v4, v5, s6, |v1|
	v_fmac_f32_e32 v4, 0xb3a22168, v5
	v_fmac_f32_e32 v4, 0xa7c234c4, v5
; %bb.62:
	s_or_b64 exec, exec, s[4:5]
                                        ; implicit-def: $vgpr5
                                        ; implicit-def: $vgpr6
	s_and_saveexec_b64 s[4:5], s[22:23]
	s_xor_b64 s[22:23], exec, s[4:5]
	s_cbranch_execz .LBB108_64
; %bb.63:
	v_lshrrev_b32_e32 v5, 23, v3
	v_add_u32_e32 v5, 0xffffff88, v5
	v_not_b32_e32 v6, 63
	v_cmp_lt_u32_e32 vcc, 63, v5
	v_cndmask_b32_e32 v6, 0, v6, vcc
	v_add_u32_e32 v5, v6, v5
	v_not_b32_e32 v6, 31
	v_cmp_lt_u32_e64 s[4:5], 31, v5
	v_cndmask_b32_e64 v8, 0, v6, s[4:5]
	v_add_u32_e32 v5, v8, v5
	v_cmp_lt_u32_e64 s[6:7], 31, v5
	v_cndmask_b32_e64 v6, 0, v6, s[6:7]
	v_add_u32_e32 v5, v6, v5
	v_and_b32_e32 v6, 0x7fffff, v3
	v_or_b32_e32 v20, 0x800000, v6
	s_mov_b32 s8, 0xfe5163ab
	v_mad_u64_u32 v[8:9], s[8:9], v20, s8, 0
	v_mov_b32_e32 v7, 0
	v_mov_b32_e32 v6, v9
	s_mov_b32 s8, 0x3c439041
	v_mad_u64_u32 v[10:11], s[8:9], v20, s8, v[6:7]
	v_mov_b32_e32 v6, v11
	s_mov_b32 s8, 0xdb629599
	v_mad_u64_u32 v[12:13], s[8:9], v20, s8, v[6:7]
	;; [unrolled: 3-line block ×6, first 2 shown]
	v_cndmask_b32_e32 v9, v18, v14, vcc
	v_cndmask_b32_e32 v6, v6, v16, vcc
	;; [unrolled: 1-line block ×3, first 2 shown]
	v_cndmask_b32_e64 v11, v6, v9, s[4:5]
	v_cndmask_b32_e64 v6, v7, v6, s[4:5]
	v_cndmask_b32_e32 v7, v16, v12, vcc
	v_cndmask_b32_e64 v9, v9, v7, s[4:5]
	v_cndmask_b32_e64 v6, v6, v11, s[6:7]
	v_cndmask_b32_e64 v11, v11, v9, s[6:7]
	v_sub_u32_e32 v13, 32, v5
	v_alignbit_b32 v15, v6, v11, v13
	v_cmp_eq_u32_e64 s[8:9], 0, v5
	v_cndmask_b32_e64 v5, v15, v6, s[8:9]
	v_cndmask_b32_e32 v6, v14, v10, vcc
	v_cndmask_b32_e64 v7, v7, v6, s[4:5]
	v_cndmask_b32_e64 v9, v9, v7, s[6:7]
	v_alignbit_b32 v10, v11, v9, v13
	v_cndmask_b32_e32 v8, v12, v8, vcc
	v_cndmask_b32_e64 v10, v10, v11, s[8:9]
	v_bfe_u32 v15, v5, 29, 1
	v_cndmask_b32_e64 v6, v6, v8, s[4:5]
	v_alignbit_b32 v11, v5, v10, 30
	v_sub_u32_e32 v16, 0, v15
	v_cndmask_b32_e64 v6, v7, v6, s[6:7]
	v_xor_b32_e32 v17, v11, v16
	v_alignbit_b32 v7, v9, v6, v13
	v_cndmask_b32_e64 v7, v7, v9, s[8:9]
	v_ffbh_u32_e32 v9, v17
	v_add_u32_e32 v9, 1, v9
	v_cmp_ne_u32_e32 vcc, v11, v16
	v_alignbit_b32 v8, v10, v7, 30
	v_cndmask_b32_e32 v9, 33, v9, vcc
	v_alignbit_b32 v6, v7, v6, 30
	v_xor_b32_e32 v8, v8, v16
	v_sub_u32_e32 v10, 32, v9
	v_xor_b32_e32 v6, v6, v16
	v_alignbit_b32 v11, v17, v8, v10
	v_alignbit_b32 v6, v8, v6, v10
	;; [unrolled: 1-line block ×3, first 2 shown]
	v_ffbh_u32_e32 v8, v7
	v_min_u32_e32 v8, 32, v8
	v_lshrrev_b32_e32 v14, 29, v5
	v_sub_u32_e32 v10, 31, v8
	v_alignbit_b32 v6, v7, v6, v10
	v_lshlrev_b32_e32 v7, 31, v14
	v_or_b32_e32 v10, 0x33800000, v7
	v_add_lshl_u32 v8, v8, v9, 23
	v_lshrrev_b32_e32 v6, 9, v6
	v_sub_u32_e32 v8, v10, v8
	v_or_b32_e32 v6, v8, v6
	v_alignbit_b32 v8, v9, v11, 9
	v_or_b32_e32 v7, v8, v7
	v_xor_b32_e32 v7, 1.0, v7
	s_mov_b32 s4, 0x3fc90fda
	v_mul_f32_e32 v8, 0x3fc90fda, v7
	v_fma_f32 v9, v7, s4, -v8
	v_fmac_f32_e32 v9, 0x33a22168, v7
	v_fmac_f32_e32 v9, 0x3fc90fda, v6
	v_lshrrev_b32_e32 v5, 30, v5
	v_add_f32_e32 v6, v8, v9
	v_add_u32_e32 v5, v15, v5
	s_andn2_saveexec_b64 s[4:5], s[22:23]
	s_cbranch_execnz .LBB108_65
	s_branch .LBB108_66
.LBB108_64:
	s_andn2_saveexec_b64 s[4:5], s[22:23]
.LBB108_65:
	s_mov_b32 s6, 0x3f22f983
	v_mul_f32_e64 v5, |v1|, s6
	v_rndne_f32_e32 v7, v5
	s_mov_b32 s6, 0xbfc90fda
	v_cvt_i32_f32_e32 v5, v7
	v_fma_f32 v6, v7, s6, |v1|
	v_fmac_f32_e32 v6, 0xb3a22168, v7
	v_fmac_f32_e32 v6, 0xa7c234c4, v7
.LBB108_66:
	s_or_b64 exec, exec, s[4:5]
	v_mul_f32_e32 v7, v4, v4
	v_mov_b32_e32 v11, 0xbab64f3b
	v_mov_b32_e32 v9, 0x3c0881c4
	v_fmac_f32_e32 v11, 0x37d75334, v7
	v_mov_b32_e32 v12, 0x3d2aabf7
	v_fmac_f32_e32 v9, 0xb94c1982, v7
	v_mov_b32_e32 v10, 0xbe2aaa9d
	v_fma_f32 v11, v7, v11, v12
	v_mov_b32_e32 v13, 0xbf000004
	v_fma_f32 v9, v7, v9, v10
	v_fma_f32 v11, v7, v11, v13
	v_mul_f32_e32 v9, v7, v9
	v_fma_f32 v7, v7, v11, 1.0
	v_and_b32_e32 v11, 1, v0
	v_fmac_f32_e32 v4, v4, v9
	v_cmp_eq_u32_e32 vcc, 0, v11
	v_lshlrev_b32_e32 v0, 30, v0
	v_cndmask_b32_e64 v4, -v4, v7, vcc
	v_and_b32_e32 v0, 0x80000000, v0
	s_movk_i32 s4, 0x1f8
	v_xor_b32_e32 v0, v0, v4
	v_mov_b32_e32 v4, 0x7fc00000
	v_cmp_class_f32_e64 vcc, v1, s4
	v_cndmask_b32_e32 v0, v4, v0, vcc
	v_mov_b32_e32 v8, 0x3c0881c4
	v_mul_f32_e32 v0, v0, v2
	v_mul_f32_e32 v2, v6, v6
	v_mov_b32_e32 v9, 0xbab64f3b
	v_fmac_f32_e32 v8, 0xb94c1982, v2
	v_fmac_f32_e32 v10, v2, v8
	v_fmac_f32_e32 v9, 0x37d75334, v2
	v_mul_f32_e32 v7, v2, v10
	v_fmac_f32_e32 v12, v2, v9
	v_fmac_f32_e32 v6, v6, v7
	;; [unrolled: 1-line block ×3, first 2 shown]
	v_and_b32_e32 v7, 1, v5
	s_brev_b32 s6, 1
	v_fma_f32 v2, v2, v13, 1.0
	v_cmp_eq_u32_e64 s[4:5], 0, v7
	v_lshlrev_b32_e32 v5, 30, v5
	v_cndmask_b32_e64 v2, v2, v6, s[4:5]
	v_and_or_b32 v3, v5, s6, v3
	v_xor_b32_e32 v2, v3, v2
	v_xor_b32_e32 v1, v2, v1
	v_mul_f32_e32 v1, 0x7f800000, v1
	v_cndmask_b32_e32 v1, v4, v1, vcc
                                        ; implicit-def: $vgpr2
.LBB108_67:
	s_andn2_saveexec_b64 s[4:5], s[20:21]
; %bb.68:
	v_sub_f32_e32 v3, v1, v1
	v_pk_mul_f32 v[0:1], v[2:3], v[2:3] op_sel_hi:[0,1]
; %bb.69:
	s_or_b64 exec, exec, s[4:5]
.LBB108_70:
	s_or_b64 exec, exec, s[18:19]
                                        ; implicit-def: $vgpr2
.LBB108_71:
	s_andn2_saveexec_b64 s[4:5], s[12:13]
; %bb.72:
	v_sub_f32_e32 v0, v1, v1
	v_mul_f32_e32 v1, v0, v2
; %bb.73:
	s_or_b64 exec, exec, s[4:5]
                                        ; implicit-def: $vgpr2
.LBB108_74:
	s_andn2_saveexec_b64 s[4:5], s[10:11]
; %bb.75:
	v_and_b32_e32 v0, 0x7fffff, v2
	s_brev_b32 s6, -2
	v_bfi_b32 v3, s6, 0, v1
	v_cmp_eq_u32_e32 vcc, 0, v0
	v_cndmask_b32_e32 v1, v3, v1, vcc
	v_mov_b32_e32 v0, v2
; %bb.76:
	s_or_b64 exec, exec, s[4:5]
                                        ; implicit-def: $vgpr2
.LBB108_77:
	s_andn2_saveexec_b64 s[4:5], s[16:17]
; %bb.78:
	v_sub_f32_e32 v1, v1, v1
	v_mul_f32_e32 v0, v1, v2
	s_brev_b32 s6, -2
	v_bfi_b32 v0, s6, 0, v0
; %bb.79:
	s_or_b64 exec, exec, s[4:5]
                                        ; implicit-def: $vgpr2
                                        ; implicit-def: $vgpr3
                                        ; implicit-def: $vgpr4
	s_andn2_saveexec_b64 s[10:11], s[14:15]
	s_cbranch_execnz .LBB108_11
.LBB108_80:
	s_or_b64 exec, exec, s[10:11]
	s_setpc_b64 s[30:31]
.Lfunc_end108:
	.size	_ZN6thrust23THRUST_200600_302600_NS6detail7complex6csinhfERKNS0_7complexIfEE, .Lfunc_end108-_ZN6thrust23THRUST_200600_302600_NS6detail7complex6csinhfERKNS0_7complexIfEE
                                        ; -- End function
	.section	.AMDGPU.csdata,"",@progbits
; Function info:
; codeLenInByte = 10520
; NumSgprs: 36
; NumVgprs: 21
; NumAgprs: 0
; TotalNumVgprs: 21
; ScratchSize: 0
; MemoryBound: 0
	.section	.text._ZN2at6native12_GLOBAL__N_125multi_tensor_apply_kernelINS1_18TensorListMetadataILi2EEENS1_14UnaryOpFunctorIN3c107complexIfEELi2ELi1ELi1EEEJNS0_3SinIS8_EEEEEvT_T0_DpT1_,"axG",@progbits,_ZN2at6native12_GLOBAL__N_125multi_tensor_apply_kernelINS1_18TensorListMetadataILi2EEENS1_14UnaryOpFunctorIN3c107complexIfEELi2ELi1ELi1EEEJNS0_3SinIS8_EEEEEvT_T0_DpT1_,comdat
	.globl	_ZN2at6native12_GLOBAL__N_125multi_tensor_apply_kernelINS1_18TensorListMetadataILi2EEENS1_14UnaryOpFunctorIN3c107complexIfEELi2ELi1ELi1EEEJNS0_3SinIS8_EEEEEvT_T0_DpT1_ ; -- Begin function _ZN2at6native12_GLOBAL__N_125multi_tensor_apply_kernelINS1_18TensorListMetadataILi2EEENS1_14UnaryOpFunctorIN3c107complexIfEELi2ELi1ELi1EEEJNS0_3SinIS8_EEEEEvT_T0_DpT1_
	.p2align	8
	.type	_ZN2at6native12_GLOBAL__N_125multi_tensor_apply_kernelINS1_18TensorListMetadataILi2EEENS1_14UnaryOpFunctorIN3c107complexIfEELi2ELi1ELi1EEEJNS0_3SinIS8_EEEEEvT_T0_DpT1_,@function
_ZN2at6native12_GLOBAL__N_125multi_tensor_apply_kernelINS1_18TensorListMetadataILi2EEENS1_14UnaryOpFunctorIN3c107complexIfEELi2ELi1ELi1EEEJNS0_3SinIS8_EEEEEvT_T0_DpT1_: ; @_ZN2at6native12_GLOBAL__N_125multi_tensor_apply_kernelINS1_18TensorListMetadataILi2EEENS1_14UnaryOpFunctorIN3c107complexIfEELi2ELi1ELi1EEEJNS0_3SinIS8_EEEEEvT_T0_DpT1_
; %bb.0:
	v_mov_b32_e32 v22, v0
	v_mov_b32_e32 v0, s8
	global_load_ubyte v0, v0, s[4:5] offset:1536
	s_add_u32 flat_scratch_lo, s6, s9
	s_addc_u32 flat_scratch_hi, s7, 0
	s_add_u32 s0, s0, s9
	s_addc_u32 s1, s1, 0
	s_mov_b64 s[26:27], s[4:5]
	s_add_u32 s4, s26, s8
	s_mul_hi_u32 s6, s8, 3
	s_mul_i32 s8, s8, 3
	s_addc_u32 s9, s27, 0
	s_add_u32 s8, s4, s8
	s_addc_u32 s9, s9, s6
	s_load_dword s8, s[8:9], 0x740
	s_mov_b32 s5, 0
	s_mov_b32 s7, s5
	;; [unrolled: 1-line block ×4, first 2 shown]
	s_waitcnt lgkmcnt(0)
	s_ashr_i32 s9, s8, 31
	s_lshl_b64 s[36:37], s[8:9], 19
	s_waitcnt vmcnt(0)
	v_readfirstlane_b32 s4, v0
	s_lshl_b32 s4, s4, 3
	s_load_dwordx2 s[34:35], s[26:27], s4 offset:0x0
	s_load_dwordx2 s[10:11], s[26:27], s4 offset:0x400
	;; [unrolled: 1-line block ×3, first 2 shown]
	s_waitcnt lgkmcnt(0)
	s_add_u32 s33, s34, s36
	s_addc_u32 s46, s35, s37
	s_add_u32 s47, s28, s36
	s_addc_u32 s48, s29, s37
	s_and_b32 s6, s33, 31
	s_and_b32 s12, s10, 3
	;; [unrolled: 1-line block ×3, first 2 shown]
	s_or_b64 s[6:7], s[6:7], s[12:13]
	s_lshl_b64 s[8:9], s[8:9], 16
	s_or_b64 s[6:7], s[4:5], s[6:7]
	s_sub_u32 s38, s10, s8
	s_subb_u32 s39, s11, s9
	s_cmp_eq_u64 s[6:7], 0
	s_mov_b64 s[6:7], -1
	s_cbranch_scc0 .LBB109_5
; %bb.1:
	v_mov_b32_e32 v25, 0
	v_lshlrev_b32_e32 v24, 2, v22
	v_cmp_gt_i64_e32 vcc, s[38:39], v[24:25]
	s_and_saveexec_b64 s[40:41], vcc
	s_cbranch_execz .LBB109_4
; %bb.2:
	s_load_dword s4, s[26:27], 0xc5c
	v_lshlrev_b32_e32 v26, 5, v22
	s_mov_b64 s[42:43], 0
	s_mov_b64 s[44:45], 0xffff
	v_mov_b32_e32 v21, s5
	s_waitcnt lgkmcnt(0)
	s_and_b32 s4, s4, 0xffff
	v_add_lshl_u32 v24, v22, s4, 2
	s_lshl_b32 s49, s4, 2
	s_lshl_b32 s50, s4, 5
.LBB109_3:                              ; =>This Inner Loop Header: Depth=1
	v_mov_b32_e32 v1, s46
	v_add_co_u32_e32 v0, vcc, s33, v26
	v_addc_co_u32_e32 v1, vcc, 0, v1, vcc
	global_load_dwordx4 v[28:31], v[0:1], off
	global_load_dwordx4 v[32:35], v[0:1], off offset:16
	s_getpc_b64 s[52:53]
	s_add_u32 s52, s52, _ZN6thrust23THRUST_200600_302600_NS6detail7complex6csinhfERKNS0_7complexIfEE@rel32@lo+4
	s_addc_u32 s53, s53, _ZN6thrust23THRUST_200600_302600_NS6detail7complex6csinhfERKNS0_7complexIfEE@rel32@hi+12
	s_waitcnt vmcnt(1)
	v_xor_b32_e32 v0, 0x80000000, v29
	v_mov_b32_e32 v1, v28
	s_swappc_b64 s[30:31], s[52:53]
	v_mov_b32_e32 v28, v1
	v_xor_b32_e32 v29, 0x80000000, v0
	v_xor_b32_e32 v0, 0x80000000, v31
	v_mov_b32_e32 v1, v30
	s_swappc_b64 s[30:31], s[52:53]
	v_mov_b32_e32 v30, v1
	v_xor_b32_e32 v31, 0x80000000, v0
	;; [unrolled: 5-line block ×3, first 2 shown]
	v_xor_b32_e32 v0, 0x80000000, v35
	v_mov_b32_e32 v1, v34
	s_swappc_b64 s[30:31], s[52:53]
	v_cmp_le_i64_e32 vcc, s[38:39], v[24:25]
	v_cmp_lt_u64_e64 s[4:5], s[44:45], v[24:25]
	s_or_b64 s[4:5], vcc, s[4:5]
	v_add_co_u32_e64 v24, s[6:7], s49, v24
	s_add_u32 s33, s33, s50
	v_addc_co_u32_e64 v25, s[6:7], v25, v21, s[6:7]
	s_addc_u32 s46, s46, 0
	v_add_co_u32_e64 v2, s[6:7], s47, v26
	s_add_u32 s47, s47, s50
	v_mov_b32_e32 v34, v1
	v_mov_b32_e32 v1, s48
	s_addc_u32 s48, s48, 0
	s_and_b64 s[4:5], exec, s[4:5]
	v_xor_b32_e32 v35, 0x80000000, v0
	v_addc_co_u32_e64 v3, s[6:7], 0, v1, s[6:7]
	s_or_b64 s[42:43], s[4:5], s[42:43]
	global_store_dwordx4 v[2:3], v[28:31], off
	global_store_dwordx4 v[2:3], v[32:35], off offset:16
	s_andn2_b64 exec, exec, s[42:43]
	s_cbranch_execnz .LBB109_3
.LBB109_4:
	s_or_b64 exec, exec, s[40:41]
	s_mov_b64 s[6:7], 0
.LBB109_5:
	s_andn2_b64 vcc, exec, s[6:7]
	s_cbranch_vccnz .LBB109_25
; %bb.6:
	v_cmp_lt_i64_e64 s[4:5], s[38:39], 1
	s_and_b64 vcc, exec, s[4:5]
	s_cbranch_vccnz .LBB109_25
; %bb.7:
	s_load_dword s4, s[26:27], 0xc5c
	v_mov_b32_e32 v2, 0x10000
	v_mov_b32_e32 v3, 0
	v_cmp_lt_u64_e32 vcc, s[38:39], v[2:3]
	v_lshlrev_b32_e32 v0, 3, v22
	s_waitcnt lgkmcnt(0)
	s_and_b32 s6, s4, 0xffff
	s_and_b64 s[4:5], vcc, exec
	v_mov_b32_e32 v4, s35
	v_add_co_u32_e32 v24, vcc, s34, v0
	v_addc_co_u32_e32 v23, vcc, 0, v4, vcc
	v_mov_b32_e32 v1, 0
	v_mov_b32_e32 v5, s29
	v_add_co_u32_e32 v26, vcc, s28, v0
	v_addc_co_u32_e32 v25, vcc, 0, v5, vcc
	v_mad_u64_u32 v[2:3], s[4:5], s6, 24, v[0:1]
	v_add_co_u32_e32 v28, vcc, s34, v2
	v_addc_co_u32_e32 v27, vcc, v4, v3, vcc
	v_add_co_u32_e32 v30, vcc, s28, v2
	s_mul_i32 s8, s6, 3
	v_addc_co_u32_e32 v29, vcc, v5, v3, vcc
	v_add_co_u32_e32 v21, vcc, s8, v22
	v_addc_co_u32_e64 v39, s[4:5], 0, 0, vcc
	s_cselect_b32 s41, s39, 0
	s_cselect_b32 s40, s38, 0x10000
	s_lshl_b32 s4, s6, 4
	v_add_co_u32_e32 v0, vcc, s4, v0
	v_addc_co_u32_e64 v1, s[4:5], 0, 0, vcc
	v_add_co_u32_e32 v32, vcc, s34, v0
	v_addc_co_u32_e32 v31, vcc, v4, v1, vcc
	v_add_co_u32_e32 v34, vcc, s28, v0
	s_lshl_b32 s7, s6, 1
	v_addc_co_u32_e32 v33, vcc, v5, v1, vcc
	v_add_co_u32_e32 v46, vcc, s7, v22
	v_addc_co_u32_e64 v47, s[4:5], 0, 0, vcc
	v_add_co_u32_e32 v48, vcc, s6, v22
	v_lshlrev_b32_e32 v0, 3, v48
	v_addc_co_u32_e64 v49, s[4:5], 0, 0, vcc
	v_add_co_u32_e32 v36, vcc, s34, v0
	v_addc_co_u32_e32 v35, vcc, 0, v4, vcc
	v_add_co_u32_e32 v38, vcc, s28, v0
	s_mov_b32 s33, 0
	s_lshl_b32 s46, s6, 2
	s_lshl_b32 s47, s6, 5
	v_addc_co_u32_e32 v37, vcc, 0, v5, vcc
	s_mov_b64 s[42:43], 0
	s_branch .LBB109_9
.LBB109_8:                              ;   in Loop: Header=BB109_9 Depth=1
	s_or_b64 exec, exec, s[26:27]
	s_add_u32 s42, s42, s46
	s_addc_u32 s43, s43, 0
	v_pk_mov_b32 v[0:1], s[38:39], s[38:39] op_sel:[0,1]
	v_cmp_ge_i64_e32 vcc, s[42:43], v[0:1]
	v_mov_b32_e32 v0, 0xffff
	v_mov_b32_e32 v1, 0
	v_cmp_gt_u64_e64 s[4:5], s[42:43], v[0:1]
	s_or_b64 s[4:5], vcc, s[4:5]
	v_mov_b32_e32 v0, s33
	v_add_co_u32_e32 v24, vcc, s47, v24
	v_addc_co_u32_e32 v23, vcc, v23, v0, vcc
	v_add_co_u32_e32 v26, vcc, s47, v26
	v_addc_co_u32_e32 v25, vcc, v25, v0, vcc
	;; [unrolled: 2-line block ×8, first 2 shown]
	s_and_b64 vcc, exec, s[4:5]
	s_cbranch_vccnz .LBB109_25
.LBB109_9:                              ; =>This Inner Loop Header: Depth=1
	v_mov_b32_e32 v1, s43
	v_add_co_u32_e32 v0, vcc, s42, v22
	v_addc_co_u32_e32 v1, vcc, 0, v1, vcc
	v_cmp_gt_u64_e32 vcc, s[40:41], v[0:1]
	s_waitcnt vmcnt(0)
	v_mov_b32_e32 v2, 0
	v_mov_b32_e32 v3, 0
	s_and_saveexec_b64 s[6:7], vcc
	s_cbranch_execz .LBB109_11
; %bb.10:                               ;   in Loop: Header=BB109_9 Depth=1
	v_mov_b32_e32 v1, s37
	v_add_co_u32_e64 v0, s[4:5], s36, v24
	v_addc_co_u32_e64 v1, s[4:5], v23, v1, s[4:5]
	global_load_dwordx2 v[2:3], v[0:1], off
.LBB109_11:                             ;   in Loop: Header=BB109_9 Depth=1
	s_or_b64 exec, exec, s[6:7]
	v_mov_b32_e32 v1, s43
	v_add_co_u32_e64 v0, s[4:5], s42, v48
	v_addc_co_u32_e64 v1, s[4:5], v49, v1, s[4:5]
	v_cmp_gt_u64_e64 s[26:27], s[40:41], v[0:1]
	v_mov_b32_e32 v40, 0
	v_mov_b32_e32 v42, 0
	;; [unrolled: 1-line block ×3, first 2 shown]
	s_and_saveexec_b64 s[6:7], s[26:27]
	s_cbranch_execz .LBB109_13
; %bb.12:                               ;   in Loop: Header=BB109_9 Depth=1
	v_mov_b32_e32 v1, s37
	v_add_co_u32_e64 v0, s[4:5], s36, v36
	v_addc_co_u32_e64 v1, s[4:5], v35, v1, s[4:5]
	global_load_dwordx2 v[42:43], v[0:1], off
.LBB109_13:                             ;   in Loop: Header=BB109_9 Depth=1
	s_or_b64 exec, exec, s[6:7]
	v_mov_b32_e32 v1, s43
	v_add_co_u32_e64 v0, s[4:5], s42, v46
	v_addc_co_u32_e64 v1, s[4:5], v47, v1, s[4:5]
	v_cmp_gt_u64_e64 s[28:29], s[40:41], v[0:1]
	v_mov_b32_e32 v41, 0
	s_and_saveexec_b64 s[6:7], s[28:29]
	s_cbranch_execz .LBB109_15
; %bb.14:                               ;   in Loop: Header=BB109_9 Depth=1
	v_mov_b32_e32 v1, s37
	v_add_co_u32_e64 v0, s[4:5], s36, v32
	v_addc_co_u32_e64 v1, s[4:5], v31, v1, s[4:5]
	global_load_dwordx2 v[40:41], v[0:1], off
.LBB109_15:                             ;   in Loop: Header=BB109_9 Depth=1
	s_or_b64 exec, exec, s[6:7]
	v_mov_b32_e32 v1, s43
	v_add_co_u32_e64 v0, s[4:5], s42, v21
	v_addc_co_u32_e64 v1, s[4:5], v39, v1, s[4:5]
	v_cmp_gt_u64_e64 s[34:35], s[40:41], v[0:1]
	v_mov_b32_e32 v44, 0
	v_mov_b32_e32 v45, 0
	s_and_saveexec_b64 s[6:7], s[34:35]
	s_cbranch_execnz .LBB109_20
; %bb.16:                               ;   in Loop: Header=BB109_9 Depth=1
	s_or_b64 exec, exec, s[6:7]
	s_and_saveexec_b64 s[44:45], vcc
	s_cbranch_execnz .LBB109_21
.LBB109_17:                             ;   in Loop: Header=BB109_9 Depth=1
	s_or_b64 exec, exec, s[44:45]
	s_and_saveexec_b64 s[44:45], s[26:27]
	s_cbranch_execnz .LBB109_22
.LBB109_18:                             ;   in Loop: Header=BB109_9 Depth=1
	s_or_b64 exec, exec, s[44:45]
	s_and_saveexec_b64 s[26:27], s[28:29]
	s_cbranch_execnz .LBB109_23
.LBB109_19:                             ;   in Loop: Header=BB109_9 Depth=1
	s_or_b64 exec, exec, s[26:27]
	s_and_saveexec_b64 s[26:27], s[34:35]
	s_cbranch_execz .LBB109_8
	s_branch .LBB109_24
.LBB109_20:                             ;   in Loop: Header=BB109_9 Depth=1
	v_mov_b32_e32 v1, s37
	v_add_co_u32_e64 v0, s[4:5], s36, v28
	v_addc_co_u32_e64 v1, s[4:5], v27, v1, s[4:5]
	global_load_dwordx2 v[44:45], v[0:1], off
	s_or_b64 exec, exec, s[6:7]
	s_and_saveexec_b64 s[44:45], vcc
	s_cbranch_execz .LBB109_17
.LBB109_21:                             ;   in Loop: Header=BB109_9 Depth=1
	s_waitcnt vmcnt(0)
	v_xor_b32_e32 v0, 0x80000000, v3
	v_mov_b32_e32 v1, v2
	s_getpc_b64 s[4:5]
	s_add_u32 s4, s4, _ZN6thrust23THRUST_200600_302600_NS6detail7complex6csinhfERKNS0_7complexIfEE@rel32@lo+4
	s_addc_u32 s5, s5, _ZN6thrust23THRUST_200600_302600_NS6detail7complex6csinhfERKNS0_7complexIfEE@rel32@hi+12
	s_swappc_b64 s[30:31], s[4:5]
	v_mov_b32_e32 v2, v1
	v_xor_b32_e32 v3, 0x80000000, v0
	v_mov_b32_e32 v1, s37
	v_add_co_u32_e32 v0, vcc, s36, v26
	v_addc_co_u32_e32 v1, vcc, v25, v1, vcc
	global_store_dwordx2 v[0:1], v[2:3], off
	s_or_b64 exec, exec, s[44:45]
	s_and_saveexec_b64 s[44:45], s[26:27]
	s_cbranch_execz .LBB109_18
.LBB109_22:                             ;   in Loop: Header=BB109_9 Depth=1
	s_waitcnt vmcnt(0)
	v_xor_b32_e32 v0, 0x80000000, v43
	v_mov_b32_e32 v1, v42
	s_getpc_b64 s[4:5]
	s_add_u32 s4, s4, _ZN6thrust23THRUST_200600_302600_NS6detail7complex6csinhfERKNS0_7complexIfEE@rel32@lo+4
	s_addc_u32 s5, s5, _ZN6thrust23THRUST_200600_302600_NS6detail7complex6csinhfERKNS0_7complexIfEE@rel32@hi+12
	s_swappc_b64 s[30:31], s[4:5]
	v_mov_b32_e32 v2, v1
	v_xor_b32_e32 v3, 0x80000000, v0
	v_mov_b32_e32 v1, s37
	v_add_co_u32_e32 v0, vcc, s36, v38
	v_addc_co_u32_e32 v1, vcc, v37, v1, vcc
	global_store_dwordx2 v[0:1], v[2:3], off
	s_or_b64 exec, exec, s[44:45]
	s_and_saveexec_b64 s[26:27], s[28:29]
	s_cbranch_execz .LBB109_19
.LBB109_23:                             ;   in Loop: Header=BB109_9 Depth=1
	s_waitcnt vmcnt(0)
	v_xor_b32_e32 v0, 0x80000000, v41
	v_mov_b32_e32 v1, v40
	s_getpc_b64 s[4:5]
	s_add_u32 s4, s4, _ZN6thrust23THRUST_200600_302600_NS6detail7complex6csinhfERKNS0_7complexIfEE@rel32@lo+4
	s_addc_u32 s5, s5, _ZN6thrust23THRUST_200600_302600_NS6detail7complex6csinhfERKNS0_7complexIfEE@rel32@hi+12
	s_swappc_b64 s[30:31], s[4:5]
	v_mov_b32_e32 v2, v1
	v_xor_b32_e32 v3, 0x80000000, v0
	v_mov_b32_e32 v1, s37
	v_add_co_u32_e32 v0, vcc, s36, v34
	v_addc_co_u32_e32 v1, vcc, v33, v1, vcc
	global_store_dwordx2 v[0:1], v[2:3], off
	s_or_b64 exec, exec, s[26:27]
	s_and_saveexec_b64 s[26:27], s[34:35]
	s_cbranch_execz .LBB109_8
.LBB109_24:                             ;   in Loop: Header=BB109_9 Depth=1
	s_waitcnt vmcnt(0)
	v_xor_b32_e32 v0, 0x80000000, v45
	v_mov_b32_e32 v1, v44
	s_getpc_b64 s[4:5]
	s_add_u32 s4, s4, _ZN6thrust23THRUST_200600_302600_NS6detail7complex6csinhfERKNS0_7complexIfEE@rel32@lo+4
	s_addc_u32 s5, s5, _ZN6thrust23THRUST_200600_302600_NS6detail7complex6csinhfERKNS0_7complexIfEE@rel32@hi+12
	s_swappc_b64 s[30:31], s[4:5]
	v_mov_b32_e32 v2, v1
	v_xor_b32_e32 v3, 0x80000000, v0
	v_mov_b32_e32 v1, s37
	v_add_co_u32_e32 v0, vcc, s36, v30
	v_addc_co_u32_e32 v1, vcc, v29, v1, vcc
	global_store_dwordx2 v[0:1], v[2:3], off
	s_branch .LBB109_8
.LBB109_25:
	s_endpgm
	.section	.rodata,"a",@progbits
	.p2align	6, 0x0
	.amdhsa_kernel _ZN2at6native12_GLOBAL__N_125multi_tensor_apply_kernelINS1_18TensorListMetadataILi2EEENS1_14UnaryOpFunctorIN3c107complexIfEELi2ELi1ELi1EEEJNS0_3SinIS8_EEEEEvT_T0_DpT1_
		.amdhsa_group_segment_fixed_size 0
		.amdhsa_private_segment_fixed_size 0
		.amdhsa_kernarg_size 3408
		.amdhsa_user_sgpr_count 8
		.amdhsa_user_sgpr_private_segment_buffer 1
		.amdhsa_user_sgpr_dispatch_ptr 0
		.amdhsa_user_sgpr_queue_ptr 0
		.amdhsa_user_sgpr_kernarg_segment_ptr 1
		.amdhsa_user_sgpr_dispatch_id 0
		.amdhsa_user_sgpr_flat_scratch_init 1
		.amdhsa_user_sgpr_kernarg_preload_length 0
		.amdhsa_user_sgpr_kernarg_preload_offset 0
		.amdhsa_user_sgpr_private_segment_size 0
		.amdhsa_uses_dynamic_stack 0
		.amdhsa_system_sgpr_private_segment_wavefront_offset 0
		.amdhsa_system_sgpr_workgroup_id_x 1
		.amdhsa_system_sgpr_workgroup_id_y 0
		.amdhsa_system_sgpr_workgroup_id_z 0
		.amdhsa_system_sgpr_workgroup_info 0
		.amdhsa_system_vgpr_workitem_id 0
		.amdhsa_next_free_vgpr 50
		.amdhsa_next_free_sgpr 54
		.amdhsa_accum_offset 52
		.amdhsa_reserve_vcc 1
		.amdhsa_reserve_flat_scratch 1
		.amdhsa_float_round_mode_32 0
		.amdhsa_float_round_mode_16_64 0
		.amdhsa_float_denorm_mode_32 3
		.amdhsa_float_denorm_mode_16_64 3
		.amdhsa_dx10_clamp 1
		.amdhsa_ieee_mode 1
		.amdhsa_fp16_overflow 0
		.amdhsa_tg_split 0
		.amdhsa_exception_fp_ieee_invalid_op 0
		.amdhsa_exception_fp_denorm_src 0
		.amdhsa_exception_fp_ieee_div_zero 0
		.amdhsa_exception_fp_ieee_overflow 0
		.amdhsa_exception_fp_ieee_underflow 0
		.amdhsa_exception_fp_ieee_inexact 0
		.amdhsa_exception_int_div_zero 0
	.end_amdhsa_kernel
	.section	.text._ZN2at6native12_GLOBAL__N_125multi_tensor_apply_kernelINS1_18TensorListMetadataILi2EEENS1_14UnaryOpFunctorIN3c107complexIfEELi2ELi1ELi1EEEJNS0_3SinIS8_EEEEEvT_T0_DpT1_,"axG",@progbits,_ZN2at6native12_GLOBAL__N_125multi_tensor_apply_kernelINS1_18TensorListMetadataILi2EEENS1_14UnaryOpFunctorIN3c107complexIfEELi2ELi1ELi1EEEJNS0_3SinIS8_EEEEEvT_T0_DpT1_,comdat
.Lfunc_end109:
	.size	_ZN2at6native12_GLOBAL__N_125multi_tensor_apply_kernelINS1_18TensorListMetadataILi2EEENS1_14UnaryOpFunctorIN3c107complexIfEELi2ELi1ELi1EEEJNS0_3SinIS8_EEEEEvT_T0_DpT1_, .Lfunc_end109-_ZN2at6native12_GLOBAL__N_125multi_tensor_apply_kernelINS1_18TensorListMetadataILi2EEENS1_14UnaryOpFunctorIN3c107complexIfEELi2ELi1ELi1EEEJNS0_3SinIS8_EEEEEvT_T0_DpT1_
                                        ; -- End function
	.section	.AMDGPU.csdata,"",@progbits
; Kernel info:
; codeLenInByte = 1604
; NumSgprs: 60
; NumVgprs: 50
; NumAgprs: 0
; TotalNumVgprs: 50
; ScratchSize: 0
; MemoryBound: 0
; FloatMode: 240
; IeeeMode: 1
; LDSByteSize: 0 bytes/workgroup (compile time only)
; SGPRBlocks: 7
; VGPRBlocks: 6
; NumSGPRsForWavesPerEU: 60
; NumVGPRsForWavesPerEU: 50
; AccumOffset: 52
; Occupancy: 8
; WaveLimiterHint : 0
; COMPUTE_PGM_RSRC2:SCRATCH_EN: 0
; COMPUTE_PGM_RSRC2:USER_SGPR: 8
; COMPUTE_PGM_RSRC2:TRAP_HANDLER: 0
; COMPUTE_PGM_RSRC2:TGID_X_EN: 1
; COMPUTE_PGM_RSRC2:TGID_Y_EN: 0
; COMPUTE_PGM_RSRC2:TGID_Z_EN: 0
; COMPUTE_PGM_RSRC2:TIDIG_COMP_CNT: 0
; COMPUTE_PGM_RSRC3_GFX90A:ACCUM_OFFSET: 12
; COMPUTE_PGM_RSRC3_GFX90A:TG_SPLIT: 0
	.section	.text._ZN2at6native12_GLOBAL__N_125multi_tensor_apply_kernelINS1_18TensorListMetadataILi2EEENS1_14UnaryOpFunctorIN3c104HalfELi2ELi1ELi1EEEJNS0_3SinIfEEEEEvT_T0_DpT1_,"axG",@progbits,_ZN2at6native12_GLOBAL__N_125multi_tensor_apply_kernelINS1_18TensorListMetadataILi2EEENS1_14UnaryOpFunctorIN3c104HalfELi2ELi1ELi1EEEJNS0_3SinIfEEEEEvT_T0_DpT1_,comdat
	.globl	_ZN2at6native12_GLOBAL__N_125multi_tensor_apply_kernelINS1_18TensorListMetadataILi2EEENS1_14UnaryOpFunctorIN3c104HalfELi2ELi1ELi1EEEJNS0_3SinIfEEEEEvT_T0_DpT1_ ; -- Begin function _ZN2at6native12_GLOBAL__N_125multi_tensor_apply_kernelINS1_18TensorListMetadataILi2EEENS1_14UnaryOpFunctorIN3c104HalfELi2ELi1ELi1EEEJNS0_3SinIfEEEEEvT_T0_DpT1_
	.p2align	8
	.type	_ZN2at6native12_GLOBAL__N_125multi_tensor_apply_kernelINS1_18TensorListMetadataILi2EEENS1_14UnaryOpFunctorIN3c104HalfELi2ELi1ELi1EEEJNS0_3SinIfEEEEEvT_T0_DpT1_,@function
_ZN2at6native12_GLOBAL__N_125multi_tensor_apply_kernelINS1_18TensorListMetadataILi2EEENS1_14UnaryOpFunctorIN3c104HalfELi2ELi1ELi1EEEJNS0_3SinIfEEEEEvT_T0_DpT1_: ; @_ZN2at6native12_GLOBAL__N_125multi_tensor_apply_kernelINS1_18TensorListMetadataILi2EEENS1_14UnaryOpFunctorIN3c104HalfELi2ELi1ELi1EEEJNS0_3SinIfEEEEEvT_T0_DpT1_
; %bb.0:
	v_mov_b32_e32 v1, s6
	global_load_ubyte v1, v1, s[4:5] offset:1536
	s_add_u32 s0, s4, s6
	s_mul_hi_u32 s2, s6, 3
	s_mul_i32 s6, s6, 3
	s_addc_u32 s7, s5, 0
	s_add_u32 s6, s0, s6
	s_addc_u32 s7, s7, s2
	s_load_dword s6, s[6:7], 0x740
	s_mov_b32 s13, 0
	s_mov_b32 s3, s13
	;; [unrolled: 1-line block ×3, first 2 shown]
	s_waitcnt lgkmcnt(0)
	s_ashr_i32 s7, s6, 31
	s_lshl_b64 s[14:15], s[6:7], 17
	s_waitcnt vmcnt(0)
	v_readfirstlane_b32 s0, v1
	s_lshl_b32 s0, s0, 3
	s_load_dwordx2 s[10:11], s[4:5], s0 offset:0x0
	s_load_dwordx2 s[16:17], s[4:5], s0 offset:0x400
	;; [unrolled: 1-line block ×3, first 2 shown]
	s_waitcnt lgkmcnt(0)
	s_add_u32 s26, s10, s14
	s_addc_u32 s27, s11, s15
	s_and_b32 s12, s26, 7
	s_add_u32 s28, s8, s14
	s_addc_u32 s29, s9, s15
	s_and_b32 s2, s16, 3
	s_and_b32 s0, s28, 7
	s_or_b64 s[2:3], s[12:13], s[2:3]
	s_or_b64 s[0:1], s[0:1], s[2:3]
	s_lshl_b64 s[2:3], s[6:7], 16
	s_sub_u32 s16, s16, s2
	s_subb_u32 s17, s17, s3
	s_cmp_eq_u64 s[0:1], 0
	s_mov_b64 s[0:1], -1
	s_cbranch_scc0 .LBB110_21
; %bb.1:
	v_mov_b32_e32 v3, 0
	v_lshlrev_b32_e32 v2, 2, v0
	v_cmp_gt_i64_e32 vcc, s[16:17], v[2:3]
	s_and_saveexec_b64 s[18:19], vcc
	s_cbranch_execz .LBB110_20
; %bb.2:
	s_load_dword s0, s[4:5], 0xc5c
	v_lshlrev_b32_e32 v4, 3, v0
	s_mov_b64 s[20:21], 0
	s_brev_b32 s31, 18
	s_mov_b32 s33, 0xfe5163ab
	s_waitcnt lgkmcnt(0)
	s_and_b32 s0, s0, 0xffff
	v_add_lshl_u32 v2, v0, s0, 2
	s_lshl_b32 s12, s0, 2
	s_lshl_b32 s30, s0, 3
	s_mov_b32 s34, 0x3c439041
	s_mov_b32 s35, 0xdb629599
	;; [unrolled: 1-line block ×9, first 2 shown]
	v_mov_b32_e32 v1, 0xbe2aaa9d
	v_mov_b32_e32 v5, 0x3d2aabf7
	;; [unrolled: 1-line block ×3, first 2 shown]
	s_movk_i32 s43, 0x1f8
	s_mov_b64 s[22:23], 0xffff
	v_not_b32_e32 v11, 63
	v_not_b32_e32 v12, 31
	v_mov_b32_e32 v13, 0x7fc00000
	v_pk_mov_b32 v[6:7], v[2:3], v[2:3] op_sel:[0,1]
	s_branch .LBB110_4
.LBB110_3:                              ;   in Loop: Header=BB110_4 Depth=1
	s_or_b64 exec, exec, s[0:1]
	v_mul_f32_e32 v27, v25, v25
	v_mov_b32_e32 v28, 0x3c0881c4
	v_fmac_f32_e32 v28, 0xb94c1982, v27
	v_fma_f32 v28, v27, v28, v1
	v_mul_f32_e32 v28, v27, v28
	v_fmac_f32_e32 v25, v25, v28
	v_mov_b32_e32 v28, 0xbab64f3b
	v_fmac_f32_e32 v28, 0x37d75334, v27
	v_fma_f32 v28, v27, v28, v5
	v_fma_f32 v28, v27, v28, v10
	v_fma_f32 v27, v27, v28, 1.0
	v_and_b32_e32 v28, 1, v24
	v_lshlrev_b32_e32 v24, 30, v24
	v_cmp_eq_u32_e32 vcc, 0, v28
	v_and_b32_e32 v24, 0x80000000, v24
	v_xor_b32_e32 v22, v22, v21
	v_cndmask_b32_e32 v25, v27, v25, vcc
	v_xor_b32_e32 v22, v22, v24
	v_xor_b32_e32 v22, v22, v25
	v_cmp_class_f32_e64 vcc, v21, s43
	v_cndmask_b32_e32 v21, v13, v22, vcc
	v_mul_f32_e32 v22, v20, v20
	v_mov_b32_e32 v24, 0x3c0881c4
	v_fmac_f32_e32 v24, 0xb94c1982, v22
	v_fma_f32 v24, v22, v24, v1
	v_mul_f32_e32 v24, v22, v24
	v_fmac_f32_e32 v20, v20, v24
	v_mov_b32_e32 v24, 0xbab64f3b
	v_fmac_f32_e32 v24, 0x37d75334, v22
	v_fma_f32 v24, v22, v24, v5
	v_fma_f32 v24, v22, v24, v10
	v_fma_f32 v22, v22, v24, 1.0
	v_and_b32_e32 v24, 1, v19
	v_lshlrev_b32_e32 v19, 30, v19
	v_cmp_eq_u32_e32 vcc, 0, v24
	v_and_b32_e32 v19, 0x80000000, v19
	v_xor_b32_e32 v18, v18, v8
	v_cndmask_b32_e32 v20, v22, v20, vcc
	v_xor_b32_e32 v18, v18, v19
	v_xor_b32_e32 v18, v18, v20
	v_cmp_class_f32_e64 vcc, v8, s43
	v_cndmask_b32_e32 v8, v13, v18, vcc
	v_cvt_f16_f32_e32 v18, v8
	v_mul_f32_e32 v8, v17, v17
	v_mov_b32_e32 v19, 0x3c0881c4
	v_fmac_f32_e32 v19, 0xb94c1982, v8
	v_fma_f32 v19, v8, v19, v1
	v_mul_f32_e32 v19, v8, v19
	v_fmac_f32_e32 v17, v17, v19
	v_mov_b32_e32 v19, 0xbab64f3b
	v_fmac_f32_e32 v19, 0x37d75334, v8
	v_fma_f32 v19, v8, v19, v5
	v_fma_f32 v19, v8, v19, v10
	v_fma_f32 v8, v8, v19, 1.0
	v_and_b32_e32 v19, 1, v16
	v_lshlrev_b32_e32 v16, 30, v16
	v_cmp_eq_u32_e32 vcc, 0, v19
	v_and_b32_e32 v16, 0x80000000, v16
	v_xor_b32_e32 v15, v15, v14
	v_cndmask_b32_e32 v8, v8, v17, vcc
	v_xor_b32_e32 v15, v15, v16
	v_xor_b32_e32 v8, v15, v8
	v_cmp_class_f32_e64 vcc, v14, s43
	v_cndmask_b32_e32 v8, v13, v8, vcc
	v_cvt_f16_f32_e32 v14, v8
	v_mul_f32_e32 v8, v26, v26
	v_mov_b32_e32 v15, 0x3c0881c4
	v_fmac_f32_e32 v15, 0xb94c1982, v8
	v_fma_f32 v15, v8, v15, v1
	v_mul_f32_e32 v15, v8, v15
	v_fmac_f32_e32 v26, v26, v15
	v_mov_b32_e32 v15, 0xbab64f3b
	v_fmac_f32_e32 v15, 0x37d75334, v8
	v_fma_f32 v15, v8, v15, v5
	v_fma_f32 v15, v8, v15, v10
	v_fma_f32 v8, v8, v15, 1.0
	v_and_b32_e32 v15, 1, v2
	v_lshlrev_b32_e32 v2, 30, v2
	v_cmp_eq_u32_e32 vcc, 0, v15
	v_and_b32_e32 v2, 0x80000000, v2
	v_xor_b32_e32 v15, v23, v9
	v_cndmask_b32_e32 v8, v8, v26, vcc
	v_xor_b32_e32 v2, v15, v2
	v_xor_b32_e32 v2, v2, v8
	v_cmp_class_f32_e64 vcc, v9, s43
	v_cndmask_b32_e32 v2, v13, v2, vcc
	v_mov_b32_e32 v9, s29
	v_add_co_u32_e32 v8, vcc, s28, v4
	v_addc_co_u32_e32 v9, vcc, 0, v9, vcc
	v_cmp_le_i64_e32 vcc, s[16:17], v[6:7]
	v_cmp_lt_u64_e64 s[0:1], s[22:23], v[6:7]
	s_or_b64 s[0:1], vcc, s[0:1]
	v_cvt_f16_f32_e32 v21, v21
	v_cvt_f16_f32_e32 v2, v2
	s_add_u32 s26, s26, s30
	s_addc_u32 s27, s27, 0
	s_add_u32 s28, s28, s30
	s_addc_u32 s29, s29, 0
	v_pack_b32_f16 v15, v21, v2
	v_mov_b32_e32 v2, s13
	s_and_b64 s[0:1], exec, s[0:1]
	v_add_co_u32_e32 v6, vcc, s12, v6
	v_pack_b32_f16 v14, v14, v18
	s_or_b64 s[20:21], s[0:1], s[20:21]
	v_addc_co_u32_e32 v7, vcc, v7, v2, vcc
	global_store_dwordx2 v[8:9], v[14:15], off
	s_andn2_b64 exec, exec, s[20:21]
	s_cbranch_execz .LBB110_20
.LBB110_4:                              ; =>This Inner Loop Header: Depth=1
	v_mov_b32_e32 v2, s27
	v_add_co_u32_e32 v8, vcc, s26, v4
	v_addc_co_u32_e32 v9, vcc, 0, v2, vcc
	global_load_dwordx2 v[8:9], v[8:9], off
                                        ; implicit-def: $vgpr16
                                        ; implicit-def: $vgpr17
	s_waitcnt vmcnt(0)
	v_cvt_f32_f16_e32 v14, v8
	v_and_b32_e32 v15, 0x7fffffff, v14
	v_cmp_nlt_f32_e64 s[0:1], |v14|, s31
	s_and_saveexec_b64 s[2:3], s[0:1]
	s_xor_b64 s[24:25], exec, s[2:3]
	s_cbranch_execz .LBB110_6
; %bb.5:                                ;   in Loop: Header=BB110_4 Depth=1
	v_lshrrev_b32_e32 v2, 23, v15
	v_add_u32_e32 v2, 0xffffff88, v2
	v_cmp_lt_u32_e32 vcc, 63, v2
	v_cndmask_b32_e32 v16, 0, v11, vcc
	v_add_u32_e32 v2, v16, v2
	v_cmp_lt_u32_e64 s[0:1], 31, v2
	v_cndmask_b32_e64 v16, 0, v12, s[0:1]
	v_add_u32_e32 v2, v16, v2
	v_cmp_lt_u32_e64 s[2:3], 31, v2
	v_cndmask_b32_e64 v16, 0, v12, s[2:3]
	v_add_u32_e32 v30, v16, v2
	v_and_b32_e32 v2, 0x7fffff, v15
	v_or_b32_e32 v28, 0x800000, v2
	v_mad_u64_u32 v[16:17], s[6:7], v28, s33, 0
	v_mov_b32_e32 v2, v17
	v_mad_u64_u32 v[18:19], s[6:7], v28, s34, v[2:3]
	v_mov_b32_e32 v2, v19
	;; [unrolled: 2-line block ×6, first 2 shown]
	v_mad_u64_u32 v[28:29], s[6:7], v28, s39, v[2:3]
	v_cndmask_b32_e32 v17, v26, v22, vcc
	v_cndmask_b32_e32 v2, v28, v24, vcc
	;; [unrolled: 1-line block ×3, first 2 shown]
	v_cndmask_b32_e64 v19, v2, v17, s[0:1]
	v_cndmask_b32_e64 v2, v21, v2, s[0:1]
	v_cndmask_b32_e32 v21, v24, v20, vcc
	v_cndmask_b32_e64 v17, v17, v21, s[0:1]
	v_cndmask_b32_e32 v18, v22, v18, vcc
	v_cndmask_b32_e64 v2, v2, v19, s[2:3]
	v_cndmask_b32_e64 v19, v19, v17, s[2:3]
	v_sub_u32_e32 v23, 32, v30
	v_cndmask_b32_e64 v21, v21, v18, s[0:1]
	v_alignbit_b32 v24, v2, v19, v23
	v_cmp_eq_u32_e64 s[6:7], 0, v30
	v_cndmask_b32_e64 v17, v17, v21, s[2:3]
	v_cndmask_b32_e32 v16, v20, v16, vcc
	v_cndmask_b32_e64 v2, v24, v2, s[6:7]
	v_alignbit_b32 v22, v19, v17, v23
	v_cndmask_b32_e64 v16, v18, v16, s[0:1]
	v_cndmask_b32_e64 v19, v22, v19, s[6:7]
	v_bfe_u32 v25, v2, 29, 1
	v_cndmask_b32_e64 v16, v21, v16, s[2:3]
	v_alignbit_b32 v22, v2, v19, 30
	v_sub_u32_e32 v26, 0, v25
	v_alignbit_b32 v18, v17, v16, v23
	v_xor_b32_e32 v27, v22, v26
	v_cndmask_b32_e64 v17, v18, v17, s[6:7]
	v_alignbit_b32 v18, v19, v17, 30
	v_ffbh_u32_e32 v19, v27
	v_add_u32_e32 v19, 1, v19
	v_cmp_ne_u32_e32 vcc, v22, v26
	v_cndmask_b32_e32 v19, 33, v19, vcc
	v_alignbit_b32 v16, v17, v16, 30
	v_xor_b32_e32 v18, v18, v26
	v_sub_u32_e32 v20, 32, v19
	v_xor_b32_e32 v16, v16, v26
	v_alignbit_b32 v21, v27, v18, v20
	v_alignbit_b32 v16, v18, v16, v20
	;; [unrolled: 1-line block ×3, first 2 shown]
	v_ffbh_u32_e32 v18, v17
	v_min_u32_e32 v18, 32, v18
	v_lshrrev_b32_e32 v24, 29, v2
	v_sub_u32_e32 v20, 31, v18
	v_alignbit_b32 v16, v17, v16, v20
	v_lshlrev_b32_e32 v17, 31, v24
	v_or_b32_e32 v20, 0x33800000, v17
	v_add_lshl_u32 v18, v18, v19, 23
	v_lshrrev_b32_e32 v16, 9, v16
	v_sub_u32_e32 v18, v20, v18
	v_or_b32_e32 v16, v18, v16
	v_alignbit_b32 v18, v19, v21, 9
	v_or_b32_e32 v17, v18, v17
	v_xor_b32_e32 v17, 1.0, v17
	v_mul_f32_e32 v18, 0x3fc90fda, v17
	v_fma_f32 v19, v17, s40, -v18
	v_fmac_f32_e32 v19, 0x33a22168, v17
	v_fmac_f32_e32 v19, 0x3fc90fda, v16
	v_lshrrev_b32_e32 v2, 30, v2
	v_add_f32_e32 v17, v18, v19
	v_add_u32_e32 v16, v25, v2
.LBB110_6:                              ;   in Loop: Header=BB110_4 Depth=1
	s_andn2_saveexec_b64 s[0:1], s[24:25]
; %bb.7:                                ;   in Loop: Header=BB110_4 Depth=1
	v_mul_f32_e64 v2, |v14|, s41
	v_rndne_f32_e32 v2, v2
	v_cvt_i32_f32_e32 v16, v2
	v_fma_f32 v17, v2, s42, |v14|
	v_fmac_f32_e32 v17, 0xb3a22168, v2
	v_fmac_f32_e32 v17, 0xa7c234c4, v2
; %bb.8:                                ;   in Loop: Header=BB110_4 Depth=1
	s_or_b64 exec, exec, s[0:1]
	v_cvt_f32_f16_sdwa v8, v8 dst_sel:DWORD dst_unused:UNUSED_PAD src0_sel:WORD_1
                                        ; implicit-def: $vgpr19
                                        ; implicit-def: $vgpr20
	v_and_b32_e32 v18, 0x7fffffff, v8
	v_cmp_nlt_f32_e64 s[0:1], |v8|, s31
	s_and_saveexec_b64 s[2:3], s[0:1]
	s_xor_b64 s[24:25], exec, s[2:3]
	s_cbranch_execz .LBB110_10
; %bb.9:                                ;   in Loop: Header=BB110_4 Depth=1
	v_lshrrev_b32_e32 v2, 23, v18
	v_add_u32_e32 v2, 0xffffff88, v2
	v_cmp_lt_u32_e32 vcc, 63, v2
	v_cndmask_b32_e32 v19, 0, v11, vcc
	v_add_u32_e32 v2, v19, v2
	v_cmp_lt_u32_e64 s[0:1], 31, v2
	v_cndmask_b32_e64 v19, 0, v12, s[0:1]
	v_add_u32_e32 v2, v19, v2
	v_cmp_lt_u32_e64 s[2:3], 31, v2
	v_cndmask_b32_e64 v19, 0, v12, s[2:3]
	v_add_u32_e32 v19, v19, v2
	v_and_b32_e32 v2, 0x7fffff, v18
	v_or_b32_e32 v32, 0x800000, v2
	v_mad_u64_u32 v[20:21], s[6:7], v32, s33, 0
	v_mov_b32_e32 v2, v21
	v_mad_u64_u32 v[22:23], s[6:7], v32, s34, v[2:3]
	v_mov_b32_e32 v2, v23
	;; [unrolled: 2-line block ×6, first 2 shown]
	v_mad_u64_u32 v[32:33], s[6:7], v32, s39, v[2:3]
	v_cndmask_b32_e32 v21, v30, v26, vcc
	v_cndmask_b32_e32 v2, v32, v28, vcc
	;; [unrolled: 1-line block ×3, first 2 shown]
	v_cndmask_b32_e64 v23, v2, v21, s[0:1]
	v_cndmask_b32_e64 v2, v25, v2, s[0:1]
	v_cndmask_b32_e32 v25, v28, v24, vcc
	v_cndmask_b32_e64 v21, v21, v25, s[0:1]
	v_sub_u32_e32 v27, 32, v19
	v_cmp_eq_u32_e64 s[6:7], 0, v19
	v_cndmask_b32_e32 v19, v26, v22, vcc
	v_cndmask_b32_e64 v2, v2, v23, s[2:3]
	v_cndmask_b32_e64 v23, v23, v21, s[2:3]
	;; [unrolled: 1-line block ×3, first 2 shown]
	v_alignbit_b32 v28, v2, v23, v27
	v_cndmask_b32_e64 v21, v21, v22, s[2:3]
	v_cndmask_b32_e64 v2, v28, v2, s[6:7]
	v_alignbit_b32 v25, v23, v21, v27
	v_cndmask_b32_e64 v23, v25, v23, s[6:7]
	v_bfe_u32 v28, v2, 29, 1
	v_cndmask_b32_e32 v20, v24, v20, vcc
	v_alignbit_b32 v25, v2, v23, 30
	v_sub_u32_e32 v29, 0, v28
	v_cndmask_b32_e64 v19, v19, v20, s[0:1]
	v_xor_b32_e32 v30, v25, v29
	v_cndmask_b32_e64 v19, v22, v19, s[2:3]
	v_alignbit_b32 v20, v21, v19, v27
	v_ffbh_u32_e32 v22, v30
	v_cndmask_b32_e64 v20, v20, v21, s[6:7]
	v_add_u32_e32 v22, 1, v22
	v_cmp_ne_u32_e32 vcc, v25, v29
	v_alignbit_b32 v21, v23, v20, 30
	v_cndmask_b32_e32 v22, 33, v22, vcc
	v_alignbit_b32 v19, v20, v19, 30
	v_xor_b32_e32 v21, v21, v29
	v_sub_u32_e32 v23, 32, v22
	v_xor_b32_e32 v19, v19, v29
	v_alignbit_b32 v24, v30, v21, v23
	v_alignbit_b32 v19, v21, v19, v23
	v_alignbit_b32 v20, v24, v19, 9
	v_ffbh_u32_e32 v21, v20
	v_min_u32_e32 v21, 32, v21
	v_lshrrev_b32_e32 v26, 29, v2
	v_sub_u32_e32 v23, 31, v21
	v_alignbit_b32 v19, v20, v19, v23
	v_lshlrev_b32_e32 v20, 31, v26
	v_or_b32_e32 v23, 0x33800000, v20
	v_add_lshl_u32 v21, v21, v22, 23
	v_lshrrev_b32_e32 v19, 9, v19
	v_sub_u32_e32 v21, v23, v21
	v_or_b32_e32 v19, v21, v19
	v_alignbit_b32 v21, v22, v24, 9
	v_or_b32_e32 v20, v21, v20
	v_xor_b32_e32 v20, 1.0, v20
	v_mul_f32_e32 v21, 0x3fc90fda, v20
	v_fma_f32 v22, v20, s40, -v21
	v_fmac_f32_e32 v22, 0x33a22168, v20
	v_fmac_f32_e32 v22, 0x3fc90fda, v19
	v_lshrrev_b32_e32 v2, 30, v2
	v_add_f32_e32 v20, v21, v22
	v_add_u32_e32 v19, v28, v2
.LBB110_10:                             ;   in Loop: Header=BB110_4 Depth=1
	s_andn2_saveexec_b64 s[0:1], s[24:25]
; %bb.11:                               ;   in Loop: Header=BB110_4 Depth=1
	v_mul_f32_e64 v2, |v8|, s41
	v_rndne_f32_e32 v2, v2
	v_cvt_i32_f32_e32 v19, v2
	v_fma_f32 v20, v2, s42, |v8|
	v_fmac_f32_e32 v20, 0xb3a22168, v2
	v_fmac_f32_e32 v20, 0xa7c234c4, v2
; %bb.12:                               ;   in Loop: Header=BB110_4 Depth=1
	s_or_b64 exec, exec, s[0:1]
	v_cvt_f32_f16_e32 v21, v9
                                        ; implicit-def: $vgpr24
                                        ; implicit-def: $vgpr25
	v_and_b32_e32 v22, 0x7fffffff, v21
	v_cmp_nlt_f32_e64 s[0:1], |v21|, s31
	s_and_saveexec_b64 s[2:3], s[0:1]
	s_xor_b64 s[24:25], exec, s[2:3]
	s_cbranch_execz .LBB110_14
; %bb.13:                               ;   in Loop: Header=BB110_4 Depth=1
	v_lshrrev_b32_e32 v2, 23, v22
	v_add_u32_e32 v2, 0xffffff88, v2
	v_cmp_lt_u32_e32 vcc, 63, v2
	v_cndmask_b32_e32 v23, 0, v11, vcc
	v_add_u32_e32 v2, v23, v2
	v_cmp_lt_u32_e64 s[0:1], 31, v2
	v_cndmask_b32_e64 v23, 0, v12, s[0:1]
	v_add_u32_e32 v2, v23, v2
	v_cmp_lt_u32_e64 s[2:3], 31, v2
	v_cndmask_b32_e64 v23, 0, v12, s[2:3]
	v_add_u32_e32 v23, v23, v2
	v_and_b32_e32 v2, 0x7fffff, v22
	v_or_b32_e32 v36, 0x800000, v2
	v_mad_u64_u32 v[24:25], s[6:7], v36, s33, 0
	v_mov_b32_e32 v2, v25
	v_mad_u64_u32 v[26:27], s[6:7], v36, s34, v[2:3]
	v_mov_b32_e32 v2, v27
	;; [unrolled: 2-line block ×6, first 2 shown]
	v_mad_u64_u32 v[36:37], s[6:7], v36, s39, v[2:3]
	v_cndmask_b32_e32 v25, v34, v30, vcc
	v_cndmask_b32_e32 v2, v36, v32, vcc
	;; [unrolled: 1-line block ×3, first 2 shown]
	v_cndmask_b32_e64 v27, v2, v25, s[0:1]
	v_cndmask_b32_e64 v2, v29, v2, s[0:1]
	v_cndmask_b32_e32 v29, v32, v28, vcc
	v_cndmask_b32_e64 v25, v25, v29, s[0:1]
	v_sub_u32_e32 v31, 32, v23
	v_cmp_eq_u32_e64 s[6:7], 0, v23
	v_cndmask_b32_e32 v23, v30, v26, vcc
	v_cndmask_b32_e64 v2, v2, v27, s[2:3]
	v_cndmask_b32_e64 v27, v27, v25, s[2:3]
	;; [unrolled: 1-line block ×3, first 2 shown]
	v_alignbit_b32 v32, v2, v27, v31
	v_cndmask_b32_e64 v25, v25, v26, s[2:3]
	v_cndmask_b32_e64 v2, v32, v2, s[6:7]
	v_alignbit_b32 v29, v27, v25, v31
	v_cndmask_b32_e64 v27, v29, v27, s[6:7]
	v_bfe_u32 v32, v2, 29, 1
	v_cndmask_b32_e32 v24, v28, v24, vcc
	v_alignbit_b32 v29, v2, v27, 30
	v_sub_u32_e32 v33, 0, v32
	v_cndmask_b32_e64 v23, v23, v24, s[0:1]
	v_xor_b32_e32 v34, v29, v33
	v_cndmask_b32_e64 v23, v26, v23, s[2:3]
	v_alignbit_b32 v24, v25, v23, v31
	v_ffbh_u32_e32 v26, v34
	v_cndmask_b32_e64 v24, v24, v25, s[6:7]
	v_add_u32_e32 v26, 1, v26
	v_cmp_ne_u32_e32 vcc, v29, v33
	v_alignbit_b32 v25, v27, v24, 30
	v_cndmask_b32_e32 v26, 33, v26, vcc
	v_alignbit_b32 v23, v24, v23, 30
	v_xor_b32_e32 v25, v25, v33
	v_sub_u32_e32 v27, 32, v26
	v_xor_b32_e32 v23, v23, v33
	v_alignbit_b32 v28, v34, v25, v27
	v_alignbit_b32 v23, v25, v23, v27
	;; [unrolled: 1-line block ×3, first 2 shown]
	v_ffbh_u32_e32 v25, v24
	v_min_u32_e32 v25, 32, v25
	v_lshrrev_b32_e32 v30, 29, v2
	v_sub_u32_e32 v27, 31, v25
	v_alignbit_b32 v23, v24, v23, v27
	v_lshlrev_b32_e32 v24, 31, v30
	v_or_b32_e32 v27, 0x33800000, v24
	v_add_lshl_u32 v25, v25, v26, 23
	v_lshrrev_b32_e32 v23, 9, v23
	v_sub_u32_e32 v25, v27, v25
	v_or_b32_e32 v23, v25, v23
	v_alignbit_b32 v25, v26, v28, 9
	v_or_b32_e32 v24, v25, v24
	v_xor_b32_e32 v24, 1.0, v24
	v_mul_f32_e32 v25, 0x3fc90fda, v24
	v_fma_f32 v26, v24, s40, -v25
	v_fmac_f32_e32 v26, 0x33a22168, v24
	v_fmac_f32_e32 v26, 0x3fc90fda, v23
	v_lshrrev_b32_e32 v2, 30, v2
	v_add_f32_e32 v25, v25, v26
	v_add_u32_e32 v24, v32, v2
.LBB110_14:                             ;   in Loop: Header=BB110_4 Depth=1
	s_andn2_saveexec_b64 s[0:1], s[24:25]
; %bb.15:                               ;   in Loop: Header=BB110_4 Depth=1
	v_mul_f32_e64 v2, |v21|, s41
	v_rndne_f32_e32 v2, v2
	v_cvt_i32_f32_e32 v24, v2
	v_fma_f32 v25, v2, s42, |v21|
	v_fmac_f32_e32 v25, 0xb3a22168, v2
	v_fmac_f32_e32 v25, 0xa7c234c4, v2
; %bb.16:                               ;   in Loop: Header=BB110_4 Depth=1
	s_or_b64 exec, exec, s[0:1]
	v_cvt_f32_f16_sdwa v9, v9 dst_sel:DWORD dst_unused:UNUSED_PAD src0_sel:WORD_1
                                        ; implicit-def: $vgpr2
                                        ; implicit-def: $vgpr26
	v_and_b32_e32 v23, 0x7fffffff, v9
	v_cmp_nlt_f32_e64 s[0:1], |v9|, s31
	s_and_saveexec_b64 s[2:3], s[0:1]
	s_xor_b64 s[24:25], exec, s[2:3]
	s_cbranch_execz .LBB110_18
; %bb.17:                               ;   in Loop: Header=BB110_4 Depth=1
	v_lshrrev_b32_e32 v2, 23, v23
	v_add_u32_e32 v2, 0xffffff88, v2
	v_cmp_lt_u32_e32 vcc, 63, v2
	v_cndmask_b32_e32 v26, 0, v11, vcc
	v_add_u32_e32 v2, v26, v2
	v_cmp_lt_u32_e64 s[0:1], 31, v2
	v_cndmask_b32_e64 v26, 0, v12, s[0:1]
	v_add_u32_e32 v2, v26, v2
	v_cmp_lt_u32_e64 s[2:3], 31, v2
	v_cndmask_b32_e64 v26, 0, v12, s[2:3]
	v_add_u32_e32 v40, v26, v2
	v_and_b32_e32 v2, 0x7fffff, v23
	v_or_b32_e32 v38, 0x800000, v2
	v_mad_u64_u32 v[26:27], s[6:7], v38, s33, 0
	v_mov_b32_e32 v2, v27
	v_mad_u64_u32 v[28:29], s[6:7], v38, s34, v[2:3]
	v_mov_b32_e32 v2, v29
	;; [unrolled: 2-line block ×6, first 2 shown]
	v_mad_u64_u32 v[38:39], s[6:7], v38, s39, v[2:3]
	v_cndmask_b32_e32 v27, v36, v32, vcc
	v_cndmask_b32_e32 v2, v38, v34, vcc
	;; [unrolled: 1-line block ×3, first 2 shown]
	v_cndmask_b32_e64 v29, v2, v27, s[0:1]
	v_cndmask_b32_e64 v2, v31, v2, s[0:1]
	v_cndmask_b32_e32 v31, v34, v30, vcc
	v_cndmask_b32_e64 v27, v27, v31, s[0:1]
	v_cndmask_b32_e32 v28, v32, v28, vcc
	v_cndmask_b32_e64 v2, v2, v29, s[2:3]
	v_cndmask_b32_e64 v29, v29, v27, s[2:3]
	v_sub_u32_e32 v33, 32, v40
	v_cndmask_b32_e64 v31, v31, v28, s[0:1]
	v_alignbit_b32 v34, v2, v29, v33
	v_cmp_eq_u32_e64 s[6:7], 0, v40
	v_cndmask_b32_e64 v27, v27, v31, s[2:3]
	v_cndmask_b32_e32 v26, v30, v26, vcc
	v_cndmask_b32_e64 v2, v34, v2, s[6:7]
	v_alignbit_b32 v32, v29, v27, v33
	v_cndmask_b32_e64 v26, v28, v26, s[0:1]
	v_cndmask_b32_e64 v29, v32, v29, s[6:7]
	v_bfe_u32 v35, v2, 29, 1
	v_cndmask_b32_e64 v26, v31, v26, s[2:3]
	v_alignbit_b32 v32, v2, v29, 30
	v_sub_u32_e32 v36, 0, v35
	v_alignbit_b32 v28, v27, v26, v33
	v_xor_b32_e32 v37, v32, v36
	v_cndmask_b32_e64 v27, v28, v27, s[6:7]
	v_alignbit_b32 v28, v29, v27, 30
	v_ffbh_u32_e32 v29, v37
	v_add_u32_e32 v29, 1, v29
	v_cmp_ne_u32_e32 vcc, v32, v36
	v_cndmask_b32_e32 v29, 33, v29, vcc
	v_alignbit_b32 v26, v27, v26, 30
	v_xor_b32_e32 v28, v28, v36
	v_sub_u32_e32 v30, 32, v29
	v_xor_b32_e32 v26, v26, v36
	v_alignbit_b32 v31, v37, v28, v30
	v_alignbit_b32 v26, v28, v26, v30
	;; [unrolled: 1-line block ×3, first 2 shown]
	v_ffbh_u32_e32 v28, v27
	v_min_u32_e32 v28, 32, v28
	v_lshrrev_b32_e32 v34, 29, v2
	v_sub_u32_e32 v30, 31, v28
	v_alignbit_b32 v26, v27, v26, v30
	v_lshlrev_b32_e32 v27, 31, v34
	v_or_b32_e32 v30, 0x33800000, v27
	v_add_lshl_u32 v28, v28, v29, 23
	v_lshrrev_b32_e32 v26, 9, v26
	v_sub_u32_e32 v28, v30, v28
	v_or_b32_e32 v26, v28, v26
	v_alignbit_b32 v28, v29, v31, 9
	v_or_b32_e32 v27, v28, v27
	v_xor_b32_e32 v27, 1.0, v27
	v_mul_f32_e32 v28, 0x3fc90fda, v27
	v_fma_f32 v29, v27, s40, -v28
	v_fmac_f32_e32 v29, 0x33a22168, v27
	v_fmac_f32_e32 v29, 0x3fc90fda, v26
	v_lshrrev_b32_e32 v2, 30, v2
	v_add_f32_e32 v26, v28, v29
	v_add_u32_e32 v2, v35, v2
.LBB110_18:                             ;   in Loop: Header=BB110_4 Depth=1
	s_andn2_saveexec_b64 s[0:1], s[24:25]
	s_cbranch_execz .LBB110_3
; %bb.19:                               ;   in Loop: Header=BB110_4 Depth=1
	v_mul_f32_e64 v2, |v9|, s41
	v_rndne_f32_e32 v27, v2
	v_cvt_i32_f32_e32 v2, v27
	v_fma_f32 v26, v27, s42, |v9|
	v_fmac_f32_e32 v26, 0xb3a22168, v27
	v_fmac_f32_e32 v26, 0xa7c234c4, v27
	s_branch .LBB110_3
.LBB110_20:
	s_or_b64 exec, exec, s[18:19]
	s_mov_b64 s[0:1], 0
.LBB110_21:
	s_andn2_b64 vcc, exec, s[0:1]
	s_cbranch_vccnz .LBB110_57
; %bb.22:
	v_cmp_lt_i64_e64 s[0:1], s[16:17], 1
	s_and_b64 vcc, exec, s[0:1]
	s_cbranch_vccnz .LBB110_57
; %bb.23:
	s_load_dword s0, s[4:5], 0xc5c
	v_mov_b32_e32 v4, 0x10000
	v_mov_b32_e32 v5, 0
	v_cmp_lt_u64_e32 vcc, s[16:17], v[4:5]
	v_lshlrev_b32_e32 v2, 1, v0
	s_waitcnt lgkmcnt(0)
	s_and_b32 s2, s0, 0xffff
	s_and_b64 s[0:1], vcc, exec
	v_mov_b32_e32 v15, s11
	v_add_co_u32_e32 v4, vcc, s10, v2
	v_addc_co_u32_e32 v1, vcc, 0, v15, vcc
	v_mov_b32_e32 v3, 0
	v_mov_b32_e32 v17, s9
	v_add_co_u32_e32 v6, vcc, s8, v2
	v_addc_co_u32_e32 v5, vcc, 0, v17, vcc
	v_mad_u64_u32 v[10:11], s[0:1], s2, 6, v[2:3]
	v_add_co_u32_e32 v8, vcc, s10, v10
	v_addc_co_u32_e32 v7, vcc, v15, v11, vcc
	v_add_co_u32_e32 v10, vcc, s8, v10
	s_mul_i32 s4, s2, 3
	v_addc_co_u32_e32 v9, vcc, v17, v11, vcc
	s_cselect_b32 s19, s17, 0
	s_cselect_b32 s18, s16, 0x10000
	s_lshl_b32 s25, s2, 2
	v_add_co_u32_e32 v19, vcc, s4, v0
	v_addc_co_u32_e64 v20, s[0:1], 0, 0, vcc
	v_add_co_u32_e32 v2, vcc, s25, v2
	v_addc_co_u32_e64 v13, s[0:1], 0, 0, vcc
	v_add_co_u32_e32 v12, vcc, s10, v2
	v_addc_co_u32_e32 v11, vcc, v15, v13, vcc
	v_add_co_u32_e32 v14, vcc, s8, v2
	s_lshl_b32 s3, s2, 1
	v_addc_co_u32_e32 v13, vcc, v17, v13, vcc
	v_add_co_u32_e32 v21, vcc, s3, v0
	v_addc_co_u32_e64 v22, s[0:1], 0, 0, vcc
	v_add_co_u32_e32 v23, vcc, s2, v0
	v_lshlrev_b32_e32 v2, 1, v23
	v_addc_co_u32_e64 v24, s[0:1], 0, 0, vcc
	v_add_co_u32_e32 v16, vcc, s10, v2
	v_addc_co_u32_e32 v15, vcc, 0, v15, vcc
	v_add_co_u32_e32 v18, vcc, s8, v2
	s_mov_b32 s24, 0
	s_lshl_b32 s26, s2, 3
	v_addc_co_u32_e32 v17, vcc, 0, v17, vcc
	s_mov_b64 s[20:21], 0
	s_brev_b32 s27, 18
	s_mov_b32 s28, 0xfe5163ab
	s_mov_b32 s29, 0x3c439041
	s_mov_b32 s30, 0xdb629599
	s_mov_b32 s31, 0xf534ddc0
	s_mov_b32 s33, 0xfc2757d1
	s_mov_b32 s34, 0x4e441529
	s_mov_b32 s35, 0xa2f9836e
	s_mov_b32 s36, 0x3fc90fda
	s_mov_b32 s37, 0x3f22f983
	s_mov_b32 s38, 0xbfc90fda
	v_mov_b32_e32 v25, 0xbe2aaa9d
	v_mov_b32_e32 v26, 0x3d2aabf7
	;; [unrolled: 1-line block ×3, first 2 shown]
	s_movk_i32 s39, 0x1f8
	v_not_b32_e32 v28, 63
	v_not_b32_e32 v29, 31
	v_mov_b32_e32 v30, 0x7fc00000
	s_branch .LBB110_25
.LBB110_24:                             ;   in Loop: Header=BB110_25 Depth=1
	s_or_b64 exec, exec, s[0:1]
	s_add_u32 s20, s20, s25
	s_addc_u32 s21, s21, 0
	v_pk_mov_b32 v[32:33], s[16:17], s[16:17] op_sel:[0,1]
	v_cmp_ge_i64_e32 vcc, s[20:21], v[32:33]
	v_mov_b32_e32 v32, 0xffff
	v_mov_b32_e32 v33, 0
	v_cmp_gt_u64_e64 s[0:1], s[20:21], v[32:33]
	s_or_b64 s[0:1], vcc, s[0:1]
	v_mov_b32_e32 v2, s24
	v_add_co_u32_e32 v4, vcc, s26, v4
	v_addc_co_u32_e32 v1, vcc, v1, v2, vcc
	v_add_co_u32_e32 v6, vcc, s26, v6
	v_addc_co_u32_e32 v5, vcc, v5, v2, vcc
	;; [unrolled: 2-line block ×8, first 2 shown]
	s_and_b64 vcc, exec, s[0:1]
	s_cbranch_vccnz .LBB110_57
.LBB110_25:                             ; =>This Inner Loop Header: Depth=1
	v_mov_b32_e32 v2, s21
	v_add_co_u32_e32 v32, vcc, s20, v0
	v_addc_co_u32_e32 v33, vcc, 0, v2, vcc
	v_cmp_gt_u64_e64 s[4:5], s[18:19], v[32:33]
	v_mov_b32_e32 v2, 0
	s_and_saveexec_b64 s[0:1], s[4:5]
	s_cbranch_execz .LBB110_27
; %bb.26:                               ;   in Loop: Header=BB110_25 Depth=1
	v_mov_b32_e32 v2, s15
	v_add_co_u32_e32 v32, vcc, s14, v4
	v_addc_co_u32_e32 v33, vcc, v1, v2, vcc
	global_load_ushort v2, v[32:33], off
.LBB110_27:                             ;   in Loop: Header=BB110_25 Depth=1
	s_or_b64 exec, exec, s[0:1]
	v_mov_b32_e32 v31, s21
	v_add_co_u32_e32 v32, vcc, s20, v23
	v_addc_co_u32_e32 v33, vcc, v24, v31, vcc
	v_cmp_gt_u64_e64 s[2:3], s[18:19], v[32:33]
	v_mov_b32_e32 v33, 0
	s_and_saveexec_b64 s[0:1], s[2:3]
	s_cbranch_execz .LBB110_29
; %bb.28:                               ;   in Loop: Header=BB110_25 Depth=1
	v_mov_b32_e32 v31, s15
	v_add_co_u32_e32 v32, vcc, s14, v16
	v_addc_co_u32_e32 v33, vcc, v15, v31, vcc
	global_load_ushort v33, v[32:33], off
.LBB110_29:                             ;   in Loop: Header=BB110_25 Depth=1
	s_or_b64 exec, exec, s[0:1]
	v_mov_b32_e32 v31, s21
	v_add_co_u32_e32 v34, vcc, s20, v21
	v_addc_co_u32_e32 v35, vcc, v22, v31, vcc
	v_cmp_gt_u64_e64 s[0:1], s[18:19], v[34:35]
	v_mov_b32_e32 v37, 0
	v_mov_b32_e32 v38, 0
	s_and_saveexec_b64 s[6:7], s[0:1]
	s_cbranch_execz .LBB110_31
; %bb.30:                               ;   in Loop: Header=BB110_25 Depth=1
	v_mov_b32_e32 v31, s15
	v_add_co_u32_e32 v34, vcc, s14, v12
	v_addc_co_u32_e32 v35, vcc, v11, v31, vcc
	global_load_ushort v38, v[34:35], off
.LBB110_31:                             ;   in Loop: Header=BB110_25 Depth=1
	s_or_b64 exec, exec, s[6:7]
	v_mov_b32_e32 v31, s21
	v_add_co_u32_e32 v34, vcc, s20, v19
	v_addc_co_u32_e32 v35, vcc, v20, v31, vcc
	v_cmp_gt_u64_e32 vcc, s[18:19], v[34:35]
	s_and_saveexec_b64 s[8:9], vcc
	s_cbranch_execz .LBB110_33
; %bb.32:                               ;   in Loop: Header=BB110_25 Depth=1
	v_mov_b32_e32 v31, s15
	v_add_co_u32_e64 v34, s[6:7], s14, v8
	v_addc_co_u32_e64 v35, s[6:7], v7, v31, s[6:7]
	global_load_ushort v37, v[34:35], off
.LBB110_33:                             ;   in Loop: Header=BB110_25 Depth=1
	s_or_b64 exec, exec, s[8:9]
	s_waitcnt vmcnt(0)
	v_cvt_f32_f16_e32 v31, v2
                                        ; implicit-def: $vgpr34
                                        ; implicit-def: $vgpr35
	v_and_b32_e32 v32, 0x7fffffff, v31
	v_cmp_nlt_f32_e64 s[6:7], |v31|, s27
	s_and_saveexec_b64 s[8:9], s[6:7]
	s_xor_b64 s[22:23], exec, s[8:9]
	s_cbranch_execz .LBB110_35
; %bb.34:                               ;   in Loop: Header=BB110_25 Depth=1
	v_lshrrev_b32_e32 v2, 23, v32
	v_add_u32_e32 v2, 0xffffff88, v2
	v_cmp_lt_u32_e64 s[6:7], 63, v2
	v_cndmask_b32_e64 v34, 0, v28, s[6:7]
	v_add_u32_e32 v2, v34, v2
	v_cmp_lt_u32_e64 s[8:9], 31, v2
	v_cndmask_b32_e64 v34, 0, v29, s[8:9]
	;; [unrolled: 3-line block ×3, first 2 shown]
	v_add_u32_e32 v36, v34, v2
	v_and_b32_e32 v2, 0x7fffff, v32
	v_or_b32_e32 v39, 0x800000, v2
	v_mad_u64_u32 v[34:35], s[12:13], v39, s28, 0
	v_mov_b32_e32 v2, v35
	v_mad_u64_u32 v[40:41], s[12:13], v39, s29, v[2:3]
	v_mov_b32_e32 v2, v41
	;; [unrolled: 2-line block ×6, first 2 shown]
	v_mad_u64_u32 v[50:51], s[12:13], v39, s35, v[2:3]
	v_cndmask_b32_e64 v35, v48, v44, s[6:7]
	v_cndmask_b32_e64 v2, v50, v46, s[6:7]
	;; [unrolled: 1-line block ×7, first 2 shown]
	v_sub_u32_e32 v43, 32, v36
	v_cmp_eq_u32_e64 s[12:13], 0, v36
	v_cndmask_b32_e64 v36, v44, v40, s[6:7]
	v_cndmask_b32_e64 v2, v2, v39, s[10:11]
	;; [unrolled: 1-line block ×4, first 2 shown]
	v_alignbit_b32 v45, v2, v39, v43
	v_cndmask_b32_e64 v35, v35, v40, s[10:11]
	v_cndmask_b32_e64 v34, v42, v34, s[6:7]
	;; [unrolled: 1-line block ×3, first 2 shown]
	v_alignbit_b32 v41, v39, v35, v43
	v_cndmask_b32_e64 v34, v36, v34, s[8:9]
	v_cndmask_b32_e64 v39, v41, v39, s[12:13]
	v_bfe_u32 v45, v2, 29, 1
	v_cndmask_b32_e64 v34, v40, v34, s[10:11]
	v_alignbit_b32 v41, v2, v39, 30
	v_sub_u32_e32 v46, 0, v45
	v_alignbit_b32 v36, v35, v34, v43
	v_xor_b32_e32 v47, v41, v46
	v_cndmask_b32_e64 v35, v36, v35, s[12:13]
	v_alignbit_b32 v36, v39, v35, 30
	v_ffbh_u32_e32 v39, v47
	v_add_u32_e32 v39, 1, v39
	v_cmp_ne_u32_e64 s[6:7], v41, v46
	v_cndmask_b32_e64 v39, 33, v39, s[6:7]
	v_alignbit_b32 v34, v35, v34, 30
	v_xor_b32_e32 v36, v36, v46
	v_sub_u32_e32 v40, 32, v39
	v_xor_b32_e32 v34, v34, v46
	v_alignbit_b32 v41, v47, v36, v40
	v_alignbit_b32 v34, v36, v34, v40
	;; [unrolled: 1-line block ×3, first 2 shown]
	v_ffbh_u32_e32 v36, v35
	v_min_u32_e32 v36, 32, v36
	v_lshrrev_b32_e32 v44, 29, v2
	v_sub_u32_e32 v40, 31, v36
	v_alignbit_b32 v34, v35, v34, v40
	v_lshlrev_b32_e32 v35, 31, v44
	v_or_b32_e32 v40, 0x33800000, v35
	v_add_lshl_u32 v36, v36, v39, 23
	v_lshrrev_b32_e32 v34, 9, v34
	v_sub_u32_e32 v36, v40, v36
	v_or_b32_e32 v34, v36, v34
	v_alignbit_b32 v36, v39, v41, 9
	v_or_b32_e32 v35, v36, v35
	v_xor_b32_e32 v35, 1.0, v35
	v_mul_f32_e32 v36, 0x3fc90fda, v35
	v_fma_f32 v39, v35, s36, -v36
	v_fmac_f32_e32 v39, 0x33a22168, v35
	v_fmac_f32_e32 v39, 0x3fc90fda, v34
	v_lshrrev_b32_e32 v2, 30, v2
	v_add_f32_e32 v35, v36, v39
	v_add_u32_e32 v34, v45, v2
.LBB110_35:                             ;   in Loop: Header=BB110_25 Depth=1
	s_andn2_saveexec_b64 s[6:7], s[22:23]
; %bb.36:                               ;   in Loop: Header=BB110_25 Depth=1
	v_mul_f32_e64 v2, |v31|, s37
	v_rndne_f32_e32 v2, v2
	v_cvt_i32_f32_e32 v34, v2
	v_fma_f32 v35, v2, s38, |v31|
	v_fmac_f32_e32 v35, 0xb3a22168, v2
	v_fmac_f32_e32 v35, 0xa7c234c4, v2
; %bb.37:                               ;   in Loop: Header=BB110_25 Depth=1
	s_or_b64 exec, exec, s[6:7]
	v_cvt_f32_f16_e32 v33, v33
                                        ; implicit-def: $vgpr39
                                        ; implicit-def: $vgpr40
	v_and_b32_e32 v36, 0x7fffffff, v33
	v_cmp_nlt_f32_e64 s[6:7], |v33|, s27
	s_and_saveexec_b64 s[8:9], s[6:7]
	s_xor_b64 s[22:23], exec, s[8:9]
	s_cbranch_execz .LBB110_39
; %bb.38:                               ;   in Loop: Header=BB110_25 Depth=1
	v_lshrrev_b32_e32 v2, 23, v36
	v_add_u32_e32 v2, 0xffffff88, v2
	v_cmp_lt_u32_e64 s[6:7], 63, v2
	v_cndmask_b32_e64 v39, 0, v28, s[6:7]
	v_add_u32_e32 v2, v39, v2
	v_cmp_lt_u32_e64 s[8:9], 31, v2
	v_cndmask_b32_e64 v39, 0, v29, s[8:9]
	;; [unrolled: 3-line block ×3, first 2 shown]
	v_add_u32_e32 v39, v39, v2
	v_and_b32_e32 v2, 0x7fffff, v36
	v_or_b32_e32 v52, 0x800000, v2
	v_mad_u64_u32 v[40:41], s[12:13], v52, s28, 0
	v_mov_b32_e32 v2, v41
	v_mad_u64_u32 v[42:43], s[12:13], v52, s29, v[2:3]
	v_mov_b32_e32 v2, v43
	;; [unrolled: 2-line block ×6, first 2 shown]
	v_mad_u64_u32 v[52:53], s[12:13], v52, s35, v[2:3]
	v_cndmask_b32_e64 v41, v50, v46, s[6:7]
	v_cndmask_b32_e64 v2, v52, v48, s[6:7]
	;; [unrolled: 1-line block ×7, first 2 shown]
	v_sub_u32_e32 v47, 32, v39
	v_cmp_eq_u32_e64 s[12:13], 0, v39
	v_cndmask_b32_e64 v39, v46, v42, s[6:7]
	v_cndmask_b32_e64 v2, v2, v43, s[10:11]
	;; [unrolled: 1-line block ×4, first 2 shown]
	v_alignbit_b32 v48, v2, v43, v47
	v_cndmask_b32_e64 v41, v41, v42, s[10:11]
	v_cndmask_b32_e64 v2, v48, v2, s[12:13]
	v_alignbit_b32 v45, v43, v41, v47
	v_cndmask_b32_e64 v43, v45, v43, s[12:13]
	v_bfe_u32 v48, v2, 29, 1
	v_cndmask_b32_e64 v40, v44, v40, s[6:7]
	v_alignbit_b32 v45, v2, v43, 30
	v_sub_u32_e32 v49, 0, v48
	v_cndmask_b32_e64 v39, v39, v40, s[8:9]
	v_xor_b32_e32 v50, v45, v49
	v_cndmask_b32_e64 v39, v42, v39, s[10:11]
	v_alignbit_b32 v40, v41, v39, v47
	v_ffbh_u32_e32 v42, v50
	v_cndmask_b32_e64 v40, v40, v41, s[12:13]
	v_add_u32_e32 v42, 1, v42
	v_cmp_ne_u32_e64 s[6:7], v45, v49
	v_alignbit_b32 v41, v43, v40, 30
	v_cndmask_b32_e64 v42, 33, v42, s[6:7]
	v_alignbit_b32 v39, v40, v39, 30
	v_xor_b32_e32 v41, v41, v49
	v_sub_u32_e32 v43, 32, v42
	v_xor_b32_e32 v39, v39, v49
	v_alignbit_b32 v44, v50, v41, v43
	v_alignbit_b32 v39, v41, v39, v43
	;; [unrolled: 1-line block ×3, first 2 shown]
	v_ffbh_u32_e32 v41, v40
	v_min_u32_e32 v41, 32, v41
	v_lshrrev_b32_e32 v46, 29, v2
	v_sub_u32_e32 v43, 31, v41
	v_alignbit_b32 v39, v40, v39, v43
	v_lshlrev_b32_e32 v40, 31, v46
	v_or_b32_e32 v43, 0x33800000, v40
	v_add_lshl_u32 v41, v41, v42, 23
	v_lshrrev_b32_e32 v39, 9, v39
	v_sub_u32_e32 v41, v43, v41
	v_or_b32_e32 v39, v41, v39
	v_alignbit_b32 v41, v42, v44, 9
	v_or_b32_e32 v40, v41, v40
	v_xor_b32_e32 v40, 1.0, v40
	v_mul_f32_e32 v41, 0x3fc90fda, v40
	v_fma_f32 v42, v40, s36, -v41
	v_fmac_f32_e32 v42, 0x33a22168, v40
	v_fmac_f32_e32 v42, 0x3fc90fda, v39
	v_lshrrev_b32_e32 v2, 30, v2
	v_add_f32_e32 v40, v41, v42
	v_add_u32_e32 v39, v48, v2
.LBB110_39:                             ;   in Loop: Header=BB110_25 Depth=1
	s_andn2_saveexec_b64 s[6:7], s[22:23]
; %bb.40:                               ;   in Loop: Header=BB110_25 Depth=1
	v_mul_f32_e64 v2, |v33|, s37
	v_rndne_f32_e32 v2, v2
	v_cvt_i32_f32_e32 v39, v2
	v_fma_f32 v40, v2, s38, |v33|
	v_fmac_f32_e32 v40, 0xb3a22168, v2
	v_fmac_f32_e32 v40, 0xa7c234c4, v2
; %bb.41:                               ;   in Loop: Header=BB110_25 Depth=1
	s_or_b64 exec, exec, s[6:7]
	v_cvt_f32_f16_e32 v38, v38
                                        ; implicit-def: $vgpr42
                                        ; implicit-def: $vgpr43
	v_and_b32_e32 v41, 0x7fffffff, v38
	v_cmp_nlt_f32_e64 s[6:7], |v38|, s27
	s_and_saveexec_b64 s[8:9], s[6:7]
	s_xor_b64 s[22:23], exec, s[8:9]
	s_cbranch_execz .LBB110_43
; %bb.42:                               ;   in Loop: Header=BB110_25 Depth=1
	v_lshrrev_b32_e32 v2, 23, v41
	v_add_u32_e32 v2, 0xffffff88, v2
	v_cmp_lt_u32_e64 s[6:7], 63, v2
	v_cndmask_b32_e64 v42, 0, v28, s[6:7]
	v_add_u32_e32 v2, v42, v2
	v_cmp_lt_u32_e64 s[8:9], 31, v2
	v_cndmask_b32_e64 v42, 0, v29, s[8:9]
	;; [unrolled: 3-line block ×3, first 2 shown]
	v_add_u32_e32 v56, v42, v2
	v_and_b32_e32 v2, 0x7fffff, v41
	v_or_b32_e32 v54, 0x800000, v2
	v_mad_u64_u32 v[42:43], s[12:13], v54, s28, 0
	v_mov_b32_e32 v2, v43
	v_mad_u64_u32 v[44:45], s[12:13], v54, s29, v[2:3]
	v_mov_b32_e32 v2, v45
	;; [unrolled: 2-line block ×6, first 2 shown]
	v_mad_u64_u32 v[54:55], s[12:13], v54, s35, v[2:3]
	v_cndmask_b32_e64 v43, v52, v48, s[6:7]
	v_cndmask_b32_e64 v2, v54, v50, s[6:7]
	;; [unrolled: 1-line block ×10, first 2 shown]
	v_sub_u32_e32 v49, 32, v56
	v_cndmask_b32_e64 v47, v47, v44, s[8:9]
	v_alignbit_b32 v50, v2, v45, v49
	v_cmp_eq_u32_e64 s[12:13], 0, v56
	v_cndmask_b32_e64 v43, v43, v47, s[10:11]
	v_cndmask_b32_e64 v42, v46, v42, s[6:7]
	;; [unrolled: 1-line block ×3, first 2 shown]
	v_alignbit_b32 v48, v45, v43, v49
	v_cndmask_b32_e64 v42, v44, v42, s[8:9]
	v_cndmask_b32_e64 v45, v48, v45, s[12:13]
	v_bfe_u32 v51, v2, 29, 1
	v_cndmask_b32_e64 v42, v47, v42, s[10:11]
	v_alignbit_b32 v48, v2, v45, 30
	v_sub_u32_e32 v52, 0, v51
	v_alignbit_b32 v44, v43, v42, v49
	v_xor_b32_e32 v53, v48, v52
	v_cndmask_b32_e64 v43, v44, v43, s[12:13]
	v_alignbit_b32 v44, v45, v43, 30
	v_ffbh_u32_e32 v45, v53
	v_add_u32_e32 v45, 1, v45
	v_cmp_ne_u32_e64 s[6:7], v48, v52
	v_cndmask_b32_e64 v45, 33, v45, s[6:7]
	v_alignbit_b32 v42, v43, v42, 30
	v_xor_b32_e32 v44, v44, v52
	v_sub_u32_e32 v46, 32, v45
	v_xor_b32_e32 v42, v42, v52
	v_alignbit_b32 v47, v53, v44, v46
	v_alignbit_b32 v42, v44, v42, v46
	;; [unrolled: 1-line block ×3, first 2 shown]
	v_ffbh_u32_e32 v44, v43
	v_min_u32_e32 v44, 32, v44
	v_lshrrev_b32_e32 v50, 29, v2
	v_sub_u32_e32 v46, 31, v44
	v_alignbit_b32 v42, v43, v42, v46
	v_lshlrev_b32_e32 v43, 31, v50
	v_or_b32_e32 v46, 0x33800000, v43
	v_add_lshl_u32 v44, v44, v45, 23
	v_lshrrev_b32_e32 v42, 9, v42
	v_sub_u32_e32 v44, v46, v44
	v_or_b32_e32 v42, v44, v42
	v_alignbit_b32 v44, v45, v47, 9
	v_or_b32_e32 v43, v44, v43
	v_xor_b32_e32 v43, 1.0, v43
	v_mul_f32_e32 v44, 0x3fc90fda, v43
	v_fma_f32 v45, v43, s36, -v44
	v_fmac_f32_e32 v45, 0x33a22168, v43
	v_fmac_f32_e32 v45, 0x3fc90fda, v42
	v_lshrrev_b32_e32 v2, 30, v2
	v_add_f32_e32 v43, v44, v45
	v_add_u32_e32 v42, v51, v2
.LBB110_43:                             ;   in Loop: Header=BB110_25 Depth=1
	s_andn2_saveexec_b64 s[6:7], s[22:23]
; %bb.44:                               ;   in Loop: Header=BB110_25 Depth=1
	v_mul_f32_e64 v2, |v38|, s37
	v_rndne_f32_e32 v2, v2
	v_cvt_i32_f32_e32 v42, v2
	v_fma_f32 v43, v2, s38, |v38|
	v_fmac_f32_e32 v43, 0xb3a22168, v2
	v_fmac_f32_e32 v43, 0xa7c234c4, v2
; %bb.45:                               ;   in Loop: Header=BB110_25 Depth=1
	s_or_b64 exec, exec, s[6:7]
	v_cvt_f32_f16_e32 v37, v37
                                        ; implicit-def: $vgpr2
                                        ; implicit-def: $vgpr45
	v_and_b32_e32 v44, 0x7fffffff, v37
	v_cmp_nlt_f32_e64 s[6:7], |v37|, s27
	s_and_saveexec_b64 s[8:9], s[6:7]
	s_xor_b64 s[22:23], exec, s[8:9]
	s_cbranch_execnz .LBB110_51
; %bb.46:                               ;   in Loop: Header=BB110_25 Depth=1
	s_andn2_saveexec_b64 s[6:7], s[22:23]
	s_cbranch_execnz .LBB110_52
.LBB110_47:                             ;   in Loop: Header=BB110_25 Depth=1
	s_or_b64 exec, exec, s[6:7]
	s_and_saveexec_b64 s[6:7], s[4:5]
	s_xor_b64 s[6:7], exec, s[6:7]
	s_cbranch_execnz .LBB110_53
.LBB110_48:                             ;   in Loop: Header=BB110_25 Depth=1
	s_or_b64 exec, exec, s[6:7]
	s_and_saveexec_b64 s[4:5], s[2:3]
	s_cbranch_execnz .LBB110_54
.LBB110_49:                             ;   in Loop: Header=BB110_25 Depth=1
	s_or_b64 exec, exec, s[4:5]
	s_and_saveexec_b64 s[2:3], s[0:1]
	s_cbranch_execnz .LBB110_55
.LBB110_50:                             ;   in Loop: Header=BB110_25 Depth=1
	s_or_b64 exec, exec, s[2:3]
	s_and_saveexec_b64 s[0:1], vcc
	s_cbranch_execz .LBB110_24
	s_branch .LBB110_56
.LBB110_51:                             ;   in Loop: Header=BB110_25 Depth=1
	v_lshrrev_b32_e32 v2, 23, v44
	v_add_u32_e32 v2, 0xffffff88, v2
	v_cmp_lt_u32_e64 s[6:7], 63, v2
	v_cndmask_b32_e64 v45, 0, v28, s[6:7]
	v_add_u32_e32 v2, v45, v2
	v_cmp_lt_u32_e64 s[8:9], 31, v2
	v_cndmask_b32_e64 v45, 0, v29, s[8:9]
	;; [unrolled: 3-line block ×3, first 2 shown]
	v_add_u32_e32 v45, v45, v2
	v_and_b32_e32 v2, 0x7fffff, v44
	v_or_b32_e32 v58, 0x800000, v2
	v_mad_u64_u32 v[46:47], s[12:13], v58, s28, 0
	v_mov_b32_e32 v2, v47
	v_mad_u64_u32 v[48:49], s[12:13], v58, s29, v[2:3]
	v_mov_b32_e32 v2, v49
	;; [unrolled: 2-line block ×6, first 2 shown]
	v_mad_u64_u32 v[58:59], s[12:13], v58, s35, v[2:3]
	v_cndmask_b32_e64 v47, v56, v52, s[6:7]
	v_cndmask_b32_e64 v2, v58, v54, s[6:7]
	;; [unrolled: 1-line block ×7, first 2 shown]
	v_sub_u32_e32 v53, 32, v45
	v_cmp_eq_u32_e64 s[12:13], 0, v45
	v_cndmask_b32_e64 v45, v52, v48, s[6:7]
	v_cndmask_b32_e64 v2, v2, v49, s[10:11]
	v_cndmask_b32_e64 v49, v49, v47, s[10:11]
	v_cndmask_b32_e64 v48, v51, v45, s[8:9]
	v_alignbit_b32 v54, v2, v49, v53
	v_cndmask_b32_e64 v47, v47, v48, s[10:11]
	v_cndmask_b32_e64 v2, v54, v2, s[12:13]
	v_alignbit_b32 v51, v49, v47, v53
	v_cndmask_b32_e64 v49, v51, v49, s[12:13]
	v_bfe_u32 v54, v2, 29, 1
	v_cndmask_b32_e64 v46, v50, v46, s[6:7]
	v_alignbit_b32 v51, v2, v49, 30
	v_sub_u32_e32 v55, 0, v54
	v_cndmask_b32_e64 v45, v45, v46, s[8:9]
	v_xor_b32_e32 v56, v51, v55
	v_cndmask_b32_e64 v45, v48, v45, s[10:11]
	v_alignbit_b32 v46, v47, v45, v53
	v_ffbh_u32_e32 v48, v56
	v_cndmask_b32_e64 v46, v46, v47, s[12:13]
	v_add_u32_e32 v48, 1, v48
	v_cmp_ne_u32_e64 s[6:7], v51, v55
	v_alignbit_b32 v47, v49, v46, 30
	v_cndmask_b32_e64 v48, 33, v48, s[6:7]
	v_alignbit_b32 v45, v46, v45, 30
	v_xor_b32_e32 v47, v47, v55
	v_sub_u32_e32 v49, 32, v48
	v_xor_b32_e32 v45, v45, v55
	v_alignbit_b32 v50, v56, v47, v49
	v_alignbit_b32 v45, v47, v45, v49
	v_alignbit_b32 v46, v50, v45, 9
	v_ffbh_u32_e32 v47, v46
	v_min_u32_e32 v47, 32, v47
	v_lshrrev_b32_e32 v52, 29, v2
	v_sub_u32_e32 v49, 31, v47
	v_alignbit_b32 v45, v46, v45, v49
	v_lshlrev_b32_e32 v46, 31, v52
	v_or_b32_e32 v49, 0x33800000, v46
	v_add_lshl_u32 v47, v47, v48, 23
	v_lshrrev_b32_e32 v45, 9, v45
	v_sub_u32_e32 v47, v49, v47
	v_or_b32_e32 v45, v47, v45
	v_alignbit_b32 v47, v48, v50, 9
	v_or_b32_e32 v46, v47, v46
	v_xor_b32_e32 v46, 1.0, v46
	v_mul_f32_e32 v47, 0x3fc90fda, v46
	v_fma_f32 v48, v46, s36, -v47
	v_fmac_f32_e32 v48, 0x33a22168, v46
	v_fmac_f32_e32 v48, 0x3fc90fda, v45
	v_lshrrev_b32_e32 v2, 30, v2
	v_add_f32_e32 v45, v47, v48
	v_add_u32_e32 v2, v54, v2
	s_andn2_saveexec_b64 s[6:7], s[22:23]
	s_cbranch_execz .LBB110_47
.LBB110_52:                             ;   in Loop: Header=BB110_25 Depth=1
	v_mul_f32_e64 v2, |v37|, s37
	v_rndne_f32_e32 v46, v2
	v_cvt_i32_f32_e32 v2, v46
	v_fma_f32 v45, v46, s38, |v37|
	v_fmac_f32_e32 v45, 0xb3a22168, v46
	v_fmac_f32_e32 v45, 0xa7c234c4, v46
	s_or_b64 exec, exec, s[6:7]
	s_and_saveexec_b64 s[6:7], s[4:5]
	s_xor_b64 s[6:7], exec, s[6:7]
	s_cbranch_execz .LBB110_48
.LBB110_53:                             ;   in Loop: Header=BB110_25 Depth=1
	v_mul_f32_e32 v46, v35, v35
	v_mov_b32_e32 v47, 0x3c0881c4
	v_fmac_f32_e32 v47, 0xb94c1982, v46
	v_fma_f32 v47, v46, v47, v25
	v_mul_f32_e32 v47, v46, v47
	v_fmac_f32_e32 v35, v35, v47
	v_mov_b32_e32 v47, 0xbab64f3b
	v_fmac_f32_e32 v47, 0x37d75334, v46
	v_fma_f32 v47, v46, v47, v26
	v_fma_f32 v47, v46, v47, v27
	v_fma_f32 v46, v46, v47, 1.0
	v_and_b32_e32 v47, 1, v34
	v_lshlrev_b32_e32 v34, 30, v34
	v_cmp_eq_u32_e64 s[4:5], 0, v47
	v_and_b32_e32 v34, 0x80000000, v34
	v_xor_b32_e32 v32, v32, v31
	v_cndmask_b32_e64 v35, v46, v35, s[4:5]
	v_xor_b32_e32 v32, v32, v34
	v_xor_b32_e32 v32, v32, v35
	v_cmp_class_f32_e64 s[4:5], v31, s39
	v_cndmask_b32_e64 v31, v30, v32, s[4:5]
	v_cvt_f16_f32_e32 v31, v31
	v_mov_b32_e32 v32, s15
	v_add_co_u32_e64 v34, s[4:5], s14, v6
	v_addc_co_u32_e64 v35, s[4:5], v5, v32, s[4:5]
	global_store_short v[34:35], v31, off
	s_or_b64 exec, exec, s[6:7]
	s_and_saveexec_b64 s[4:5], s[2:3]
	s_cbranch_execz .LBB110_49
.LBB110_54:                             ;   in Loop: Header=BB110_25 Depth=1
	v_mul_f32_e32 v31, v40, v40
	v_mov_b32_e32 v32, 0x3c0881c4
	v_fmac_f32_e32 v32, 0xb94c1982, v31
	v_fma_f32 v32, v31, v32, v25
	v_mul_f32_e32 v32, v31, v32
	v_fmac_f32_e32 v40, v40, v32
	v_mov_b32_e32 v32, 0xbab64f3b
	v_fmac_f32_e32 v32, 0x37d75334, v31
	v_fma_f32 v32, v31, v32, v26
	v_fma_f32 v32, v31, v32, v27
	v_fma_f32 v31, v31, v32, 1.0
	v_and_b32_e32 v32, 1, v39
	v_cmp_eq_u32_e64 s[2:3], 0, v32
	v_lshlrev_b32_e32 v32, 30, v39
	v_and_b32_e32 v32, 0x80000000, v32
	v_xor_b32_e32 v34, v36, v33
	v_cndmask_b32_e64 v31, v31, v40, s[2:3]
	v_xor_b32_e32 v32, v34, v32
	v_xor_b32_e32 v31, v32, v31
	v_cmp_class_f32_e64 s[2:3], v33, s39
	v_cndmask_b32_e64 v31, v30, v31, s[2:3]
	v_cvt_f16_f32_e32 v31, v31
	v_mov_b32_e32 v33, s15
	v_add_co_u32_e64 v32, s[2:3], s14, v18
	v_addc_co_u32_e64 v33, s[2:3], v17, v33, s[2:3]
	global_store_short v[32:33], v31, off
	s_or_b64 exec, exec, s[4:5]
	s_and_saveexec_b64 s[2:3], s[0:1]
	s_cbranch_execz .LBB110_50
.LBB110_55:                             ;   in Loop: Header=BB110_25 Depth=1
	v_mul_f32_e32 v31, v43, v43
	v_mov_b32_e32 v32, 0x3c0881c4
	v_fmac_f32_e32 v32, 0xb94c1982, v31
	v_fma_f32 v32, v31, v32, v25
	v_mul_f32_e32 v32, v31, v32
	v_fmac_f32_e32 v43, v43, v32
	v_mov_b32_e32 v32, 0xbab64f3b
	v_fmac_f32_e32 v32, 0x37d75334, v31
	v_fma_f32 v32, v31, v32, v26
	v_fma_f32 v32, v31, v32, v27
	v_fma_f32 v31, v31, v32, 1.0
	v_and_b32_e32 v32, 1, v42
	v_cmp_eq_u32_e64 s[0:1], 0, v32
	v_lshlrev_b32_e32 v32, 30, v42
	v_and_b32_e32 v32, 0x80000000, v32
	v_xor_b32_e32 v33, v41, v38
	v_cndmask_b32_e64 v31, v31, v43, s[0:1]
	v_xor_b32_e32 v32, v33, v32
	v_xor_b32_e32 v31, v32, v31
	v_cmp_class_f32_e64 s[0:1], v38, s39
	v_cndmask_b32_e64 v31, v30, v31, s[0:1]
	v_cvt_f16_f32_e32 v31, v31
	v_mov_b32_e32 v33, s15
	v_add_co_u32_e64 v32, s[0:1], s14, v14
	v_addc_co_u32_e64 v33, s[0:1], v13, v33, s[0:1]
	global_store_short v[32:33], v31, off
	s_or_b64 exec, exec, s[2:3]
	s_and_saveexec_b64 s[0:1], vcc
	s_cbranch_execz .LBB110_24
.LBB110_56:                             ;   in Loop: Header=BB110_25 Depth=1
	v_mul_f32_e32 v31, v45, v45
	v_mov_b32_e32 v32, 0x3c0881c4
	v_fmac_f32_e32 v32, 0xb94c1982, v31
	v_fma_f32 v32, v31, v32, v25
	v_mul_f32_e32 v32, v31, v32
	v_fmac_f32_e32 v45, v45, v32
	v_mov_b32_e32 v32, 0xbab64f3b
	v_fmac_f32_e32 v32, 0x37d75334, v31
	v_fma_f32 v32, v31, v32, v26
	v_fma_f32 v32, v31, v32, v27
	v_fma_f32 v31, v31, v32, 1.0
	v_and_b32_e32 v32, 1, v2
	v_lshlrev_b32_e32 v2, 30, v2
	v_cmp_eq_u32_e32 vcc, 0, v32
	v_and_b32_e32 v2, 0x80000000, v2
	v_xor_b32_e32 v32, v44, v37
	v_cndmask_b32_e32 v31, v31, v45, vcc
	v_xor_b32_e32 v2, v32, v2
	v_xor_b32_e32 v2, v2, v31
	v_cmp_class_f32_e64 vcc, v37, s39
	v_cndmask_b32_e32 v2, v30, v2, vcc
	v_cvt_f16_f32_e32 v2, v2
	v_mov_b32_e32 v31, s15
	v_add_co_u32_e32 v32, vcc, s14, v10
	v_addc_co_u32_e32 v33, vcc, v9, v31, vcc
	global_store_short v[32:33], v2, off
	s_branch .LBB110_24
.LBB110_57:
	s_endpgm
	.section	.rodata,"a",@progbits
	.p2align	6, 0x0
	.amdhsa_kernel _ZN2at6native12_GLOBAL__N_125multi_tensor_apply_kernelINS1_18TensorListMetadataILi2EEENS1_14UnaryOpFunctorIN3c104HalfELi2ELi1ELi1EEEJNS0_3SinIfEEEEEvT_T0_DpT1_
		.amdhsa_group_segment_fixed_size 0
		.amdhsa_private_segment_fixed_size 0
		.amdhsa_kernarg_size 3408
		.amdhsa_user_sgpr_count 6
		.amdhsa_user_sgpr_private_segment_buffer 1
		.amdhsa_user_sgpr_dispatch_ptr 0
		.amdhsa_user_sgpr_queue_ptr 0
		.amdhsa_user_sgpr_kernarg_segment_ptr 1
		.amdhsa_user_sgpr_dispatch_id 0
		.amdhsa_user_sgpr_flat_scratch_init 0
		.amdhsa_user_sgpr_kernarg_preload_length 0
		.amdhsa_user_sgpr_kernarg_preload_offset 0
		.amdhsa_user_sgpr_private_segment_size 0
		.amdhsa_uses_dynamic_stack 0
		.amdhsa_system_sgpr_private_segment_wavefront_offset 0
		.amdhsa_system_sgpr_workgroup_id_x 1
		.amdhsa_system_sgpr_workgroup_id_y 0
		.amdhsa_system_sgpr_workgroup_id_z 0
		.amdhsa_system_sgpr_workgroup_info 0
		.amdhsa_system_vgpr_workitem_id 0
		.amdhsa_next_free_vgpr 60
		.amdhsa_next_free_sgpr 44
		.amdhsa_accum_offset 60
		.amdhsa_reserve_vcc 1
		.amdhsa_reserve_flat_scratch 0
		.amdhsa_float_round_mode_32 0
		.amdhsa_float_round_mode_16_64 0
		.amdhsa_float_denorm_mode_32 3
		.amdhsa_float_denorm_mode_16_64 3
		.amdhsa_dx10_clamp 1
		.amdhsa_ieee_mode 1
		.amdhsa_fp16_overflow 0
		.amdhsa_tg_split 0
		.amdhsa_exception_fp_ieee_invalid_op 0
		.amdhsa_exception_fp_denorm_src 0
		.amdhsa_exception_fp_ieee_div_zero 0
		.amdhsa_exception_fp_ieee_overflow 0
		.amdhsa_exception_fp_ieee_underflow 0
		.amdhsa_exception_fp_ieee_inexact 0
		.amdhsa_exception_int_div_zero 0
	.end_amdhsa_kernel
	.section	.text._ZN2at6native12_GLOBAL__N_125multi_tensor_apply_kernelINS1_18TensorListMetadataILi2EEENS1_14UnaryOpFunctorIN3c104HalfELi2ELi1ELi1EEEJNS0_3SinIfEEEEEvT_T0_DpT1_,"axG",@progbits,_ZN2at6native12_GLOBAL__N_125multi_tensor_apply_kernelINS1_18TensorListMetadataILi2EEENS1_14UnaryOpFunctorIN3c104HalfELi2ELi1ELi1EEEJNS0_3SinIfEEEEEvT_T0_DpT1_,comdat
.Lfunc_end110:
	.size	_ZN2at6native12_GLOBAL__N_125multi_tensor_apply_kernelINS1_18TensorListMetadataILi2EEENS1_14UnaryOpFunctorIN3c104HalfELi2ELi1ELi1EEEJNS0_3SinIfEEEEEvT_T0_DpT1_, .Lfunc_end110-_ZN2at6native12_GLOBAL__N_125multi_tensor_apply_kernelINS1_18TensorListMetadataILi2EEENS1_14UnaryOpFunctorIN3c104HalfELi2ELi1ELi1EEEJNS0_3SinIfEEEEEvT_T0_DpT1_
                                        ; -- End function
	.section	.AMDGPU.csdata,"",@progbits
; Kernel info:
; codeLenInByte = 7532
; NumSgprs: 48
; NumVgprs: 60
; NumAgprs: 0
; TotalNumVgprs: 60
; ScratchSize: 0
; MemoryBound: 0
; FloatMode: 240
; IeeeMode: 1
; LDSByteSize: 0 bytes/workgroup (compile time only)
; SGPRBlocks: 5
; VGPRBlocks: 7
; NumSGPRsForWavesPerEU: 48
; NumVGPRsForWavesPerEU: 60
; AccumOffset: 60
; Occupancy: 8
; WaveLimiterHint : 0
; COMPUTE_PGM_RSRC2:SCRATCH_EN: 0
; COMPUTE_PGM_RSRC2:USER_SGPR: 6
; COMPUTE_PGM_RSRC2:TRAP_HANDLER: 0
; COMPUTE_PGM_RSRC2:TGID_X_EN: 1
; COMPUTE_PGM_RSRC2:TGID_Y_EN: 0
; COMPUTE_PGM_RSRC2:TGID_Z_EN: 0
; COMPUTE_PGM_RSRC2:TIDIG_COMP_CNT: 0
; COMPUTE_PGM_RSRC3_GFX90A:ACCUM_OFFSET: 14
; COMPUTE_PGM_RSRC3_GFX90A:TG_SPLIT: 0
	.section	.text._ZN2at6native12_GLOBAL__N_125multi_tensor_apply_kernelINS1_18TensorListMetadataILi2EEENS1_14UnaryOpFunctorIN3c108BFloat16ELi2ELi1ELi1EEEJNS0_3SinIfEEEEEvT_T0_DpT1_,"axG",@progbits,_ZN2at6native12_GLOBAL__N_125multi_tensor_apply_kernelINS1_18TensorListMetadataILi2EEENS1_14UnaryOpFunctorIN3c108BFloat16ELi2ELi1ELi1EEEJNS0_3SinIfEEEEEvT_T0_DpT1_,comdat
	.globl	_ZN2at6native12_GLOBAL__N_125multi_tensor_apply_kernelINS1_18TensorListMetadataILi2EEENS1_14UnaryOpFunctorIN3c108BFloat16ELi2ELi1ELi1EEEJNS0_3SinIfEEEEEvT_T0_DpT1_ ; -- Begin function _ZN2at6native12_GLOBAL__N_125multi_tensor_apply_kernelINS1_18TensorListMetadataILi2EEENS1_14UnaryOpFunctorIN3c108BFloat16ELi2ELi1ELi1EEEJNS0_3SinIfEEEEEvT_T0_DpT1_
	.p2align	8
	.type	_ZN2at6native12_GLOBAL__N_125multi_tensor_apply_kernelINS1_18TensorListMetadataILi2EEENS1_14UnaryOpFunctorIN3c108BFloat16ELi2ELi1ELi1EEEJNS0_3SinIfEEEEEvT_T0_DpT1_,@function
_ZN2at6native12_GLOBAL__N_125multi_tensor_apply_kernelINS1_18TensorListMetadataILi2EEENS1_14UnaryOpFunctorIN3c108BFloat16ELi2ELi1ELi1EEEJNS0_3SinIfEEEEEvT_T0_DpT1_: ; @_ZN2at6native12_GLOBAL__N_125multi_tensor_apply_kernelINS1_18TensorListMetadataILi2EEENS1_14UnaryOpFunctorIN3c108BFloat16ELi2ELi1ELi1EEEJNS0_3SinIfEEEEEvT_T0_DpT1_
; %bb.0:
	v_mov_b32_e32 v1, s6
	global_load_ubyte v1, v1, s[4:5] offset:1536
	s_add_u32 s0, s4, s6
	s_mul_hi_u32 s3, s6, 3
	s_mul_i32 s6, s6, 3
	s_addc_u32 s7, s5, 0
	s_add_u32 s2, s0, s6
	s_addc_u32 s3, s7, s3
	s_mov_b32 s13, 0
	s_mov_b32 s1, s13
	s_waitcnt vmcnt(0)
	v_readfirstlane_b32 s0, v1
	s_lshl_b32 s0, s0, 3
	s_load_dword s6, s[2:3], 0x740
	s_load_dwordx2 s[10:11], s[4:5], s0 offset:0x0
	s_load_dwordx2 s[16:17], s[4:5], s0 offset:0x400
	s_load_dwordx2 s[8:9], s[4:5], s0 offset:0x200
	s_mov_b32 s3, s13
	s_waitcnt lgkmcnt(0)
	s_ashr_i32 s7, s6, 31
	s_and_b32 s12, s10, 7
	s_and_b32 s2, s16, 3
	;; [unrolled: 1-line block ×3, first 2 shown]
	s_or_b64 s[2:3], s[12:13], s[2:3]
	s_lshl_b64 s[14:15], s[6:7], 17
	s_or_b64 s[0:1], s[0:1], s[2:3]
	s_lshl_b64 s[2:3], s[6:7], 16
	s_sub_u32 s16, s16, s2
	s_subb_u32 s17, s17, s3
	s_cmp_eq_u64 s[0:1], 0
	s_mov_b64 s[0:1], -1
	s_cbranch_scc0 .LBB111_21
; %bb.1:
	v_mov_b32_e32 v3, 0
	v_lshlrev_b32_e32 v2, 2, v0
	v_cmp_gt_i64_e32 vcc, s[16:17], v[2:3]
	s_and_saveexec_b64 s[18:19], vcc
	s_cbranch_execz .LBB111_20
; %bb.2:
	s_load_dword s0, s[4:5], 0xc5c
	v_lshlrev_b32_e32 v1, 3, v0
	v_mov_b32_e32 v2, s15
	v_add_co_u32_e32 v4, vcc, s14, v1
	s_waitcnt lgkmcnt(0)
	s_and_b32 s0, s0, 0xffff
	v_addc_co_u32_e32 v1, vcc, 0, v2, vcc
	v_add_lshl_u32 v2, v0, s0, 2
	s_lshl_b32 s12, s0, 3
	s_lshl_b32 s26, s0, 2
	s_mov_b32 s27, s13
	s_mov_b64 s[20:21], 0
	v_mov_b32_e32 v5, s11
	s_brev_b32 s28, 18
	s_mov_b32 s29, 0xfe5163ab
	s_mov_b32 s30, 0x3c439041
	;; [unrolled: 1-line block ×10, first 2 shown]
	v_mov_b32_e32 v10, 0xbe2aaa9d
	v_mov_b32_e32 v11, 0x3d2aabf7
	;; [unrolled: 1-line block ×3, first 2 shown]
	s_movk_i32 s40, 0x1f8
	s_movk_i32 s41, 0x7fff
	s_mov_b64 s[22:23], 0xffff
	v_not_b32_e32 v13, 63
	v_not_b32_e32 v14, 31
	v_mov_b32_e32 v15, 0x7fc00000
	v_mov_b32_e32 v16, 0x7fc0
	v_pk_mov_b32 v[6:7], v[2:3], v[2:3] op_sel:[0,1]
	s_branch .LBB111_4
.LBB111_3:                              ;   in Loop: Header=BB111_4 Depth=1
	s_or_b64 exec, exec, s[0:1]
	v_mul_f32_e32 v30, v28, v28
	v_mov_b32_e32 v31, 0x3c0881c4
	v_fmac_f32_e32 v31, 0xb94c1982, v30
	v_fma_f32 v31, v30, v31, v10
	v_mul_f32_e32 v31, v30, v31
	v_fmac_f32_e32 v28, v28, v31
	v_mov_b32_e32 v31, 0xbab64f3b
	v_fmac_f32_e32 v31, 0x37d75334, v30
	v_fma_f32 v31, v30, v31, v11
	v_fma_f32 v31, v30, v31, v12
	v_fma_f32 v30, v30, v31, 1.0
	v_and_b32_e32 v31, 1, v27
	v_lshlrev_b32_e32 v27, 30, v27
	v_cmp_eq_u32_e32 vcc, 0, v31
	v_and_b32_e32 v27, 0x80000000, v27
	v_cndmask_b32_e32 v28, v30, v28, vcc
	v_xor_b32_e32 v25, v25, v27
	v_xor_b32_e32 v25, v25, v28
	;; [unrolled: 1-line block ×3, first 2 shown]
	v_cmp_class_f32_e64 vcc, v8, s40
	v_cndmask_b32_e32 v25, v15, v25, vcc
	v_bfe_u32 v8, v25, 16, 1
	v_add3_u32 v8, v25, v8, s41
	v_lshrrev_b32_e32 v27, 16, v8
	v_mul_f32_e32 v8, v24, v24
	v_mov_b32_e32 v28, 0x3c0881c4
	v_fmac_f32_e32 v28, 0xb94c1982, v8
	v_fma_f32 v28, v8, v28, v10
	v_mul_f32_e32 v28, v8, v28
	v_fmac_f32_e32 v24, v24, v28
	v_mov_b32_e32 v28, 0xbab64f3b
	v_fmac_f32_e32 v28, 0x37d75334, v8
	v_fma_f32 v28, v8, v28, v11
	v_fma_f32 v28, v8, v28, v12
	v_fma_f32 v8, v8, v28, 1.0
	v_and_b32_e32 v28, 1, v23
	v_lshlrev_b32_e32 v23, 30, v23
	v_cmp_eq_u32_e32 vcc, 0, v28
	v_and_b32_e32 v23, 0x80000000, v23
	v_cndmask_b32_e32 v8, v8, v24, vcc
	v_xor_b32_e32 v22, v22, v23
	v_xor_b32_e32 v8, v22, v8
	;; [unrolled: 1-line block ×3, first 2 shown]
	v_cmp_class_f32_e64 vcc, v21, s40
	v_cndmask_b32_e32 v21, v15, v8, vcc
	v_bfe_u32 v8, v21, 16, 1
	v_add3_u32 v8, v21, v8, s41
	v_and_b32_e32 v22, 0xffff0000, v8
	v_mul_f32_e32 v8, v20, v20
	v_mov_b32_e32 v23, 0x3c0881c4
	v_fmac_f32_e32 v23, 0xb94c1982, v8
	v_fma_f32 v23, v8, v23, v10
	v_mul_f32_e32 v23, v8, v23
	v_fmac_f32_e32 v20, v20, v23
	v_mov_b32_e32 v23, 0xbab64f3b
	v_fmac_f32_e32 v23, 0x37d75334, v8
	v_fma_f32 v23, v8, v23, v11
	v_fma_f32 v23, v8, v23, v12
	v_fma_f32 v8, v8, v23, 1.0
	v_and_b32_e32 v23, 1, v19
	v_lshlrev_b32_e32 v19, 30, v19
	v_cmp_eq_u32_e32 vcc, 0, v23
	v_and_b32_e32 v19, 0x80000000, v19
	v_cndmask_b32_e32 v8, v8, v20, vcc
	v_xor_b32_e32 v18, v18, v19
	v_xor_b32_e32 v8, v18, v8
	;; [unrolled: 1-line block ×3, first 2 shown]
	v_cmp_class_f32_e64 vcc, v17, s40
	v_cndmask_b32_e32 v17, v15, v8, vcc
	v_bfe_u32 v8, v17, 16, 1
	v_add3_u32 v8, v17, v8, s41
	v_lshrrev_b32_e32 v18, 16, v8
	v_mul_f32_e32 v8, v29, v29
	v_mov_b32_e32 v19, 0x3c0881c4
	v_fmac_f32_e32 v19, 0xb94c1982, v8
	v_fma_f32 v19, v8, v19, v10
	v_mul_f32_e32 v19, v8, v19
	v_fmac_f32_e32 v29, v29, v19
	v_mov_b32_e32 v19, 0xbab64f3b
	v_fmac_f32_e32 v19, 0x37d75334, v8
	v_fma_f32 v19, v8, v19, v11
	v_fma_f32 v19, v8, v19, v12
	v_fma_f32 v8, v8, v19, 1.0
	v_and_b32_e32 v19, 1, v2
	v_lshlrev_b32_e32 v2, 30, v2
	v_cmp_eq_u32_e32 vcc, 0, v19
	v_and_b32_e32 v2, 0x80000000, v2
	v_cndmask_b32_e32 v8, v8, v29, vcc
	v_xor_b32_e32 v2, v26, v2
	v_xor_b32_e32 v2, v2, v8
	v_xor_b32_e32 v2, v2, v9
	v_cmp_class_f32_e64 vcc, v9, s40
	v_cndmask_b32_e32 v2, v15, v2, vcc
	v_bfe_u32 v8, v2, 16, 1
	v_add3_u32 v19, v2, v8, s41
	v_mov_b32_e32 v9, s9
	v_add_co_u32_e32 v8, vcc, s8, v4
	v_addc_co_u32_e32 v9, vcc, v9, v1, vcc
	v_and_b32_e32 v19, 0xffff0000, v19
	v_cmp_o_f32_e32 vcc, v2, v2
	v_cndmask_b32_e32 v2, v15, v19, vcc
	v_cmp_o_f32_e32 vcc, v25, v25
	v_cndmask_b32_e32 v19, v16, v27, vcc
	;; [unrolled: 2-line block ×4, first 2 shown]
	v_cmp_le_i64_e32 vcc, s[16:17], v[6:7]
	v_cmp_lt_u64_e64 s[0:1], s[22:23], v[6:7]
	v_or3_b32 v19, 0, v19, v2
	s_or_b64 s[0:1], vcc, s[0:1]
	v_mov_b32_e32 v2, s13
	v_add_co_u32_e32 v4, vcc, s12, v4
	v_addc_co_u32_e32 v1, vcc, v1, v2, vcc
	v_or_b32_e32 v17, v20, v17
	v_mov_b32_e32 v2, s27
	s_and_b64 s[0:1], exec, s[0:1]
	v_add_co_u32_e32 v6, vcc, s26, v6
	v_or3_b32 v18, v17, 0, 0
	s_or_b64 s[20:21], s[0:1], s[20:21]
	v_addc_co_u32_e32 v7, vcc, v7, v2, vcc
	global_store_dwordx2 v[8:9], v[18:19], off
	s_andn2_b64 exec, exec, s[20:21]
	s_cbranch_execz .LBB111_20
.LBB111_4:                              ; =>This Inner Loop Header: Depth=1
	v_add_co_u32_e32 v8, vcc, s10, v4
	v_addc_co_u32_e32 v9, vcc, v5, v1, vcc
	global_load_dwordx2 v[8:9], v[8:9], off
                                        ; implicit-def: $vgpr19
                                        ; implicit-def: $vgpr20
	s_waitcnt vmcnt(0)
	v_lshlrev_b32_e32 v17, 16, v8
	v_and_b32_e32 v18, 0x7fffffff, v17
	v_cmp_nlt_f32_e64 s[0:1], |v17|, s28
	s_and_saveexec_b64 s[2:3], s[0:1]
	s_xor_b64 s[24:25], exec, s[2:3]
	s_cbranch_execz .LBB111_6
; %bb.5:                                ;   in Loop: Header=BB111_4 Depth=1
	v_lshrrev_b32_e32 v2, 23, v18
	v_add_u32_e32 v2, 0xffffff88, v2
	v_cmp_lt_u32_e32 vcc, 63, v2
	v_cndmask_b32_e32 v19, 0, v13, vcc
	v_add_u32_e32 v2, v19, v2
	v_cmp_lt_u32_e64 s[0:1], 31, v2
	v_cndmask_b32_e64 v19, 0, v14, s[0:1]
	v_add_u32_e32 v2, v19, v2
	v_cmp_lt_u32_e64 s[2:3], 31, v2
	v_cndmask_b32_e64 v19, 0, v14, s[2:3]
	v_add_u32_e32 v19, v19, v2
	v_and_b32_e32 v2, 0x7fffff, v18
	v_or_b32_e32 v32, 0x800000, v2
	v_mad_u64_u32 v[20:21], s[6:7], v32, s29, 0
	v_mov_b32_e32 v2, v21
	v_mad_u64_u32 v[22:23], s[6:7], v32, s30, v[2:3]
	v_mov_b32_e32 v2, v23
	;; [unrolled: 2-line block ×6, first 2 shown]
	v_mad_u64_u32 v[32:33], s[6:7], v32, s36, v[2:3]
	v_cndmask_b32_e32 v21, v30, v26, vcc
	v_cndmask_b32_e32 v2, v32, v28, vcc
	;; [unrolled: 1-line block ×3, first 2 shown]
	v_cndmask_b32_e64 v23, v2, v21, s[0:1]
	v_cndmask_b32_e64 v2, v25, v2, s[0:1]
	v_cndmask_b32_e32 v25, v28, v24, vcc
	v_cndmask_b32_e64 v21, v21, v25, s[0:1]
	v_sub_u32_e32 v27, 32, v19
	v_cmp_eq_u32_e64 s[6:7], 0, v19
	v_cndmask_b32_e32 v19, v26, v22, vcc
	v_cndmask_b32_e64 v2, v2, v23, s[2:3]
	v_cndmask_b32_e64 v23, v23, v21, s[2:3]
	;; [unrolled: 1-line block ×3, first 2 shown]
	v_alignbit_b32 v28, v2, v23, v27
	v_cndmask_b32_e64 v21, v21, v22, s[2:3]
	v_cndmask_b32_e64 v2, v28, v2, s[6:7]
	v_alignbit_b32 v25, v23, v21, v27
	v_cndmask_b32_e64 v23, v25, v23, s[6:7]
	v_bfe_u32 v28, v2, 29, 1
	v_cndmask_b32_e32 v20, v24, v20, vcc
	v_alignbit_b32 v25, v2, v23, 30
	v_sub_u32_e32 v29, 0, v28
	v_cndmask_b32_e64 v19, v19, v20, s[0:1]
	v_xor_b32_e32 v30, v25, v29
	v_cndmask_b32_e64 v19, v22, v19, s[2:3]
	v_alignbit_b32 v20, v21, v19, v27
	v_ffbh_u32_e32 v22, v30
	v_cndmask_b32_e64 v20, v20, v21, s[6:7]
	v_add_u32_e32 v22, 1, v22
	v_cmp_ne_u32_e32 vcc, v25, v29
	v_alignbit_b32 v21, v23, v20, 30
	v_cndmask_b32_e32 v22, 33, v22, vcc
	v_alignbit_b32 v19, v20, v19, 30
	v_xor_b32_e32 v21, v21, v29
	v_sub_u32_e32 v23, 32, v22
	v_xor_b32_e32 v19, v19, v29
	v_alignbit_b32 v24, v30, v21, v23
	v_alignbit_b32 v19, v21, v19, v23
	;; [unrolled: 1-line block ×3, first 2 shown]
	v_ffbh_u32_e32 v21, v20
	v_min_u32_e32 v21, 32, v21
	v_lshrrev_b32_e32 v26, 29, v2
	v_sub_u32_e32 v23, 31, v21
	v_alignbit_b32 v19, v20, v19, v23
	v_lshlrev_b32_e32 v20, 31, v26
	v_or_b32_e32 v23, 0x33800000, v20
	v_add_lshl_u32 v21, v21, v22, 23
	v_lshrrev_b32_e32 v19, 9, v19
	v_sub_u32_e32 v21, v23, v21
	v_or_b32_e32 v19, v21, v19
	v_alignbit_b32 v21, v22, v24, 9
	v_or_b32_e32 v20, v21, v20
	v_xor_b32_e32 v20, 1.0, v20
	v_mul_f32_e32 v21, 0x3fc90fda, v20
	v_fma_f32 v22, v20, s37, -v21
	v_fmac_f32_e32 v22, 0x33a22168, v20
	v_fmac_f32_e32 v22, 0x3fc90fda, v19
	v_lshrrev_b32_e32 v2, 30, v2
	v_add_f32_e32 v20, v21, v22
	v_add_u32_e32 v19, v28, v2
.LBB111_6:                              ;   in Loop: Header=BB111_4 Depth=1
	s_andn2_saveexec_b64 s[0:1], s[24:25]
; %bb.7:                                ;   in Loop: Header=BB111_4 Depth=1
	v_mul_f32_e64 v2, |v17|, s38
	v_rndne_f32_e32 v2, v2
	v_cvt_i32_f32_e32 v19, v2
	v_fma_f32 v20, v2, s39, |v17|
	v_fmac_f32_e32 v20, 0xb3a22168, v2
	v_fmac_f32_e32 v20, 0xa7c234c4, v2
; %bb.8:                                ;   in Loop: Header=BB111_4 Depth=1
	s_or_b64 exec, exec, s[0:1]
	v_and_b32_e32 v21, 0xffff0000, v8
	v_and_b32_e32 v22, 0x7fffffff, v21
	v_cmp_nlt_f32_e64 s[0:1], |v21|, s28
                                        ; implicit-def: $vgpr23
                                        ; implicit-def: $vgpr24
	s_and_saveexec_b64 s[2:3], s[0:1]
	s_xor_b64 s[24:25], exec, s[2:3]
	s_cbranch_execz .LBB111_10
; %bb.9:                                ;   in Loop: Header=BB111_4 Depth=1
	v_lshrrev_b32_e32 v2, 23, v22
	v_add_u32_e32 v2, 0xffffff88, v2
	v_cmp_lt_u32_e32 vcc, 63, v2
	v_cndmask_b32_e32 v23, 0, v13, vcc
	v_add_u32_e32 v2, v23, v2
	v_cmp_lt_u32_e64 s[0:1], 31, v2
	v_cndmask_b32_e64 v23, 0, v14, s[0:1]
	v_add_u32_e32 v2, v23, v2
	v_cmp_lt_u32_e64 s[2:3], 31, v2
	v_cndmask_b32_e64 v23, 0, v14, s[2:3]
	v_add_u32_e32 v23, v23, v2
	v_and_b32_e32 v2, 0x7fffff, v22
	v_or_b32_e32 v36, 0x800000, v2
	v_mad_u64_u32 v[24:25], s[6:7], v36, s29, 0
	v_mov_b32_e32 v2, v25
	v_mad_u64_u32 v[26:27], s[6:7], v36, s30, v[2:3]
	v_mov_b32_e32 v2, v27
	;; [unrolled: 2-line block ×6, first 2 shown]
	v_mad_u64_u32 v[36:37], s[6:7], v36, s36, v[2:3]
	v_cndmask_b32_e32 v25, v34, v30, vcc
	v_cndmask_b32_e32 v2, v36, v32, vcc
	;; [unrolled: 1-line block ×3, first 2 shown]
	v_cndmask_b32_e64 v27, v2, v25, s[0:1]
	v_cndmask_b32_e64 v2, v29, v2, s[0:1]
	v_cndmask_b32_e32 v29, v32, v28, vcc
	v_cndmask_b32_e64 v25, v25, v29, s[0:1]
	v_sub_u32_e32 v31, 32, v23
	v_cmp_eq_u32_e64 s[6:7], 0, v23
	v_cndmask_b32_e32 v23, v30, v26, vcc
	v_cndmask_b32_e64 v2, v2, v27, s[2:3]
	v_cndmask_b32_e64 v27, v27, v25, s[2:3]
	;; [unrolled: 1-line block ×3, first 2 shown]
	v_alignbit_b32 v32, v2, v27, v31
	v_cndmask_b32_e64 v25, v25, v26, s[2:3]
	v_cndmask_b32_e64 v2, v32, v2, s[6:7]
	v_alignbit_b32 v29, v27, v25, v31
	v_cndmask_b32_e64 v27, v29, v27, s[6:7]
	v_bfe_u32 v32, v2, 29, 1
	v_cndmask_b32_e32 v24, v28, v24, vcc
	v_alignbit_b32 v29, v2, v27, 30
	v_sub_u32_e32 v33, 0, v32
	v_cndmask_b32_e64 v23, v23, v24, s[0:1]
	v_xor_b32_e32 v34, v29, v33
	v_cndmask_b32_e64 v23, v26, v23, s[2:3]
	v_alignbit_b32 v24, v25, v23, v31
	v_ffbh_u32_e32 v26, v34
	v_cndmask_b32_e64 v24, v24, v25, s[6:7]
	v_add_u32_e32 v26, 1, v26
	v_cmp_ne_u32_e32 vcc, v29, v33
	v_alignbit_b32 v25, v27, v24, 30
	v_cndmask_b32_e32 v26, 33, v26, vcc
	v_alignbit_b32 v23, v24, v23, 30
	v_xor_b32_e32 v25, v25, v33
	v_sub_u32_e32 v27, 32, v26
	v_xor_b32_e32 v23, v23, v33
	v_alignbit_b32 v28, v34, v25, v27
	v_alignbit_b32 v23, v25, v23, v27
	;; [unrolled: 1-line block ×3, first 2 shown]
	v_ffbh_u32_e32 v25, v24
	v_min_u32_e32 v25, 32, v25
	v_lshrrev_b32_e32 v30, 29, v2
	v_sub_u32_e32 v27, 31, v25
	v_alignbit_b32 v23, v24, v23, v27
	v_lshlrev_b32_e32 v24, 31, v30
	v_or_b32_e32 v27, 0x33800000, v24
	v_add_lshl_u32 v25, v25, v26, 23
	v_lshrrev_b32_e32 v23, 9, v23
	v_sub_u32_e32 v25, v27, v25
	v_or_b32_e32 v23, v25, v23
	v_alignbit_b32 v25, v26, v28, 9
	v_or_b32_e32 v24, v25, v24
	v_xor_b32_e32 v24, 1.0, v24
	v_mul_f32_e32 v25, 0x3fc90fda, v24
	v_fma_f32 v26, v24, s37, -v25
	v_fmac_f32_e32 v26, 0x33a22168, v24
	v_fmac_f32_e32 v26, 0x3fc90fda, v23
	v_lshrrev_b32_e32 v2, 30, v2
	v_add_f32_e32 v24, v25, v26
	v_add_u32_e32 v23, v32, v2
.LBB111_10:                             ;   in Loop: Header=BB111_4 Depth=1
	s_andn2_saveexec_b64 s[0:1], s[24:25]
; %bb.11:                               ;   in Loop: Header=BB111_4 Depth=1
	v_mul_f32_e64 v2, |v21|, s38
	v_rndne_f32_e32 v2, v2
	v_cvt_i32_f32_e32 v23, v2
	v_fma_f32 v24, v2, s39, |v21|
	v_fmac_f32_e32 v24, 0xb3a22168, v2
	v_fmac_f32_e32 v24, 0xa7c234c4, v2
; %bb.12:                               ;   in Loop: Header=BB111_4 Depth=1
	s_or_b64 exec, exec, s[0:1]
	v_alignbit_b32 v2, v9, v8, 16
	v_and_b32_e32 v8, 0xffff0000, v2
	v_and_b32_e32 v25, 0x7fffffff, v8
	v_cmp_nlt_f32_e64 s[0:1], |v8|, s28
                                        ; implicit-def: $vgpr27
                                        ; implicit-def: $vgpr28
	s_and_saveexec_b64 s[2:3], s[0:1]
	s_xor_b64 s[24:25], exec, s[2:3]
	s_cbranch_execz .LBB111_14
; %bb.13:                               ;   in Loop: Header=BB111_4 Depth=1
	v_lshrrev_b32_e32 v2, 23, v25
	v_add_u32_e32 v2, 0xffffff88, v2
	v_cmp_lt_u32_e32 vcc, 63, v2
	v_cndmask_b32_e32 v26, 0, v13, vcc
	v_add_u32_e32 v2, v26, v2
	v_cmp_lt_u32_e64 s[0:1], 31, v2
	v_cndmask_b32_e64 v26, 0, v14, s[0:1]
	v_add_u32_e32 v2, v26, v2
	v_cmp_lt_u32_e64 s[2:3], 31, v2
	v_cndmask_b32_e64 v26, 0, v14, s[2:3]
	v_add_u32_e32 v40, v26, v2
	v_and_b32_e32 v2, 0x7fffff, v25
	v_or_b32_e32 v38, 0x800000, v2
	v_mad_u64_u32 v[26:27], s[6:7], v38, s29, 0
	v_mov_b32_e32 v2, v27
	v_mad_u64_u32 v[28:29], s[6:7], v38, s30, v[2:3]
	v_mov_b32_e32 v2, v29
	;; [unrolled: 2-line block ×6, first 2 shown]
	v_mad_u64_u32 v[38:39], s[6:7], v38, s36, v[2:3]
	v_cndmask_b32_e32 v27, v36, v32, vcc
	v_cndmask_b32_e32 v2, v38, v34, vcc
	;; [unrolled: 1-line block ×3, first 2 shown]
	v_cndmask_b32_e64 v29, v2, v27, s[0:1]
	v_cndmask_b32_e64 v2, v31, v2, s[0:1]
	v_cndmask_b32_e32 v31, v34, v30, vcc
	v_cndmask_b32_e64 v27, v27, v31, s[0:1]
	v_cndmask_b32_e32 v28, v32, v28, vcc
	v_cndmask_b32_e64 v2, v2, v29, s[2:3]
	v_cndmask_b32_e64 v29, v29, v27, s[2:3]
	v_sub_u32_e32 v33, 32, v40
	v_cndmask_b32_e64 v31, v31, v28, s[0:1]
	v_alignbit_b32 v34, v2, v29, v33
	v_cmp_eq_u32_e64 s[6:7], 0, v40
	v_cndmask_b32_e64 v27, v27, v31, s[2:3]
	v_cndmask_b32_e32 v26, v30, v26, vcc
	v_cndmask_b32_e64 v2, v34, v2, s[6:7]
	v_alignbit_b32 v32, v29, v27, v33
	v_cndmask_b32_e64 v26, v28, v26, s[0:1]
	v_cndmask_b32_e64 v29, v32, v29, s[6:7]
	v_bfe_u32 v35, v2, 29, 1
	v_cndmask_b32_e64 v26, v31, v26, s[2:3]
	v_alignbit_b32 v32, v2, v29, 30
	v_sub_u32_e32 v36, 0, v35
	v_alignbit_b32 v28, v27, v26, v33
	v_xor_b32_e32 v37, v32, v36
	v_cndmask_b32_e64 v27, v28, v27, s[6:7]
	v_alignbit_b32 v28, v29, v27, 30
	v_ffbh_u32_e32 v29, v37
	v_add_u32_e32 v29, 1, v29
	v_cmp_ne_u32_e32 vcc, v32, v36
	v_cndmask_b32_e32 v29, 33, v29, vcc
	v_alignbit_b32 v26, v27, v26, 30
	v_xor_b32_e32 v28, v28, v36
	v_sub_u32_e32 v30, 32, v29
	v_xor_b32_e32 v26, v26, v36
	v_alignbit_b32 v31, v37, v28, v30
	v_alignbit_b32 v26, v28, v26, v30
	;; [unrolled: 1-line block ×3, first 2 shown]
	v_ffbh_u32_e32 v28, v27
	v_min_u32_e32 v28, 32, v28
	v_lshrrev_b32_e32 v34, 29, v2
	v_sub_u32_e32 v30, 31, v28
	v_alignbit_b32 v26, v27, v26, v30
	v_lshlrev_b32_e32 v27, 31, v34
	v_or_b32_e32 v30, 0x33800000, v27
	v_add_lshl_u32 v28, v28, v29, 23
	v_lshrrev_b32_e32 v26, 9, v26
	v_sub_u32_e32 v28, v30, v28
	v_or_b32_e32 v26, v28, v26
	v_alignbit_b32 v28, v29, v31, 9
	v_or_b32_e32 v27, v28, v27
	v_xor_b32_e32 v27, 1.0, v27
	v_mul_f32_e32 v28, 0x3fc90fda, v27
	v_fma_f32 v29, v27, s37, -v28
	v_fmac_f32_e32 v29, 0x33a22168, v27
	v_fmac_f32_e32 v29, 0x3fc90fda, v26
	v_lshrrev_b32_e32 v2, 30, v2
	v_add_f32_e32 v28, v28, v29
	v_add_u32_e32 v27, v35, v2
.LBB111_14:                             ;   in Loop: Header=BB111_4 Depth=1
	s_andn2_saveexec_b64 s[0:1], s[24:25]
; %bb.15:                               ;   in Loop: Header=BB111_4 Depth=1
	v_mul_f32_e64 v2, |v8|, s38
	v_rndne_f32_e32 v2, v2
	v_cvt_i32_f32_e32 v27, v2
	v_fma_f32 v28, v2, s39, |v8|
	v_fmac_f32_e32 v28, 0xb3a22168, v2
	v_fmac_f32_e32 v28, 0xa7c234c4, v2
; %bb.16:                               ;   in Loop: Header=BB111_4 Depth=1
	s_or_b64 exec, exec, s[0:1]
	v_and_b32_e32 v9, 0xffff0000, v9
	v_and_b32_e32 v26, 0x7fffffff, v9
	v_cmp_nlt_f32_e64 s[0:1], |v9|, s28
                                        ; implicit-def: $vgpr2
                                        ; implicit-def: $vgpr29
	s_and_saveexec_b64 s[2:3], s[0:1]
	s_xor_b64 s[24:25], exec, s[2:3]
	s_cbranch_execz .LBB111_18
; %bb.17:                               ;   in Loop: Header=BB111_4 Depth=1
	v_lshrrev_b32_e32 v2, 23, v26
	v_add_u32_e32 v2, 0xffffff88, v2
	v_cmp_lt_u32_e32 vcc, 63, v2
	v_cndmask_b32_e32 v29, 0, v13, vcc
	v_add_u32_e32 v2, v29, v2
	v_cmp_lt_u32_e64 s[0:1], 31, v2
	v_cndmask_b32_e64 v29, 0, v14, s[0:1]
	v_add_u32_e32 v2, v29, v2
	v_cmp_lt_u32_e64 s[2:3], 31, v2
	v_cndmask_b32_e64 v29, 0, v14, s[2:3]
	v_add_u32_e32 v29, v29, v2
	v_and_b32_e32 v2, 0x7fffff, v26
	v_or_b32_e32 v42, 0x800000, v2
	v_mad_u64_u32 v[30:31], s[6:7], v42, s29, 0
	v_mov_b32_e32 v2, v31
	v_mad_u64_u32 v[32:33], s[6:7], v42, s30, v[2:3]
	v_mov_b32_e32 v2, v33
	;; [unrolled: 2-line block ×6, first 2 shown]
	v_mad_u64_u32 v[42:43], s[6:7], v42, s36, v[2:3]
	v_cndmask_b32_e32 v31, v40, v36, vcc
	v_cndmask_b32_e32 v2, v42, v38, vcc
	;; [unrolled: 1-line block ×3, first 2 shown]
	v_cndmask_b32_e64 v33, v2, v31, s[0:1]
	v_cndmask_b32_e64 v2, v35, v2, s[0:1]
	v_cndmask_b32_e32 v35, v38, v34, vcc
	v_cndmask_b32_e64 v31, v31, v35, s[0:1]
	v_sub_u32_e32 v37, 32, v29
	v_cmp_eq_u32_e64 s[6:7], 0, v29
	v_cndmask_b32_e32 v29, v36, v32, vcc
	v_cndmask_b32_e64 v2, v2, v33, s[2:3]
	v_cndmask_b32_e64 v33, v33, v31, s[2:3]
	;; [unrolled: 1-line block ×3, first 2 shown]
	v_alignbit_b32 v38, v2, v33, v37
	v_cndmask_b32_e64 v31, v31, v32, s[2:3]
	v_cndmask_b32_e64 v2, v38, v2, s[6:7]
	v_alignbit_b32 v35, v33, v31, v37
	v_cndmask_b32_e64 v33, v35, v33, s[6:7]
	v_bfe_u32 v38, v2, 29, 1
	v_cndmask_b32_e32 v30, v34, v30, vcc
	v_alignbit_b32 v35, v2, v33, 30
	v_sub_u32_e32 v39, 0, v38
	v_cndmask_b32_e64 v29, v29, v30, s[0:1]
	v_xor_b32_e32 v40, v35, v39
	v_cndmask_b32_e64 v29, v32, v29, s[2:3]
	v_alignbit_b32 v30, v31, v29, v37
	v_ffbh_u32_e32 v32, v40
	v_cndmask_b32_e64 v30, v30, v31, s[6:7]
	v_add_u32_e32 v32, 1, v32
	v_cmp_ne_u32_e32 vcc, v35, v39
	v_alignbit_b32 v31, v33, v30, 30
	v_cndmask_b32_e32 v32, 33, v32, vcc
	v_alignbit_b32 v29, v30, v29, 30
	v_xor_b32_e32 v31, v31, v39
	v_sub_u32_e32 v33, 32, v32
	v_xor_b32_e32 v29, v29, v39
	v_alignbit_b32 v34, v40, v31, v33
	v_alignbit_b32 v29, v31, v29, v33
	;; [unrolled: 1-line block ×3, first 2 shown]
	v_ffbh_u32_e32 v31, v30
	v_min_u32_e32 v31, 32, v31
	v_lshrrev_b32_e32 v36, 29, v2
	v_sub_u32_e32 v33, 31, v31
	v_alignbit_b32 v29, v30, v29, v33
	v_lshlrev_b32_e32 v30, 31, v36
	v_or_b32_e32 v33, 0x33800000, v30
	v_add_lshl_u32 v31, v31, v32, 23
	v_lshrrev_b32_e32 v29, 9, v29
	v_sub_u32_e32 v31, v33, v31
	v_or_b32_e32 v29, v31, v29
	v_alignbit_b32 v31, v32, v34, 9
	v_or_b32_e32 v30, v31, v30
	v_xor_b32_e32 v30, 1.0, v30
	v_mul_f32_e32 v31, 0x3fc90fda, v30
	v_fma_f32 v32, v30, s37, -v31
	v_fmac_f32_e32 v32, 0x33a22168, v30
	v_fmac_f32_e32 v32, 0x3fc90fda, v29
	v_lshrrev_b32_e32 v2, 30, v2
	v_add_f32_e32 v29, v31, v32
	v_add_u32_e32 v2, v38, v2
.LBB111_18:                             ;   in Loop: Header=BB111_4 Depth=1
	s_andn2_saveexec_b64 s[0:1], s[24:25]
	s_cbranch_execz .LBB111_3
; %bb.19:                               ;   in Loop: Header=BB111_4 Depth=1
	v_mul_f32_e64 v2, |v9|, s38
	v_rndne_f32_e32 v30, v2
	v_cvt_i32_f32_e32 v2, v30
	v_fma_f32 v29, v30, s39, |v9|
	v_fmac_f32_e32 v29, 0xb3a22168, v30
	v_fmac_f32_e32 v29, 0xa7c234c4, v30
	s_branch .LBB111_3
.LBB111_20:
	s_or_b64 exec, exec, s[18:19]
	s_mov_b64 s[0:1], 0
.LBB111_21:
	s_andn2_b64 vcc, exec, s[0:1]
	s_cbranch_vccnz .LBB111_57
; %bb.22:
	v_cmp_lt_i64_e64 s[0:1], s[16:17], 1
	s_and_b64 vcc, exec, s[0:1]
	s_cbranch_vccnz .LBB111_57
; %bb.23:
	s_load_dword s0, s[4:5], 0xc5c
	v_mov_b32_e32 v4, 0x10000
	v_mov_b32_e32 v5, 0
	v_cmp_lt_u64_e32 vcc, s[16:17], v[4:5]
	v_lshlrev_b32_e32 v2, 1, v0
	s_waitcnt lgkmcnt(0)
	s_and_b32 s2, s0, 0xffff
	s_and_b64 s[0:1], vcc, exec
	v_mov_b32_e32 v15, s11
	v_add_co_u32_e32 v4, vcc, s10, v2
	v_addc_co_u32_e32 v1, vcc, 0, v15, vcc
	v_mov_b32_e32 v3, 0
	v_mov_b32_e32 v17, s9
	v_add_co_u32_e32 v6, vcc, s8, v2
	v_addc_co_u32_e32 v5, vcc, 0, v17, vcc
	v_mad_u64_u32 v[10:11], s[0:1], s2, 6, v[2:3]
	v_add_co_u32_e32 v8, vcc, s10, v10
	v_addc_co_u32_e32 v7, vcc, v15, v11, vcc
	v_add_co_u32_e32 v10, vcc, s8, v10
	s_mul_i32 s4, s2, 3
	v_addc_co_u32_e32 v9, vcc, v17, v11, vcc
	s_cselect_b32 s19, s17, 0
	s_cselect_b32 s18, s16, 0x10000
	s_lshl_b32 s25, s2, 2
	v_add_co_u32_e32 v19, vcc, s4, v0
	v_addc_co_u32_e64 v20, s[0:1], 0, 0, vcc
	v_add_co_u32_e32 v2, vcc, s25, v2
	v_addc_co_u32_e64 v13, s[0:1], 0, 0, vcc
	v_add_co_u32_e32 v12, vcc, s10, v2
	v_addc_co_u32_e32 v11, vcc, v15, v13, vcc
	v_add_co_u32_e32 v14, vcc, s8, v2
	s_lshl_b32 s3, s2, 1
	v_addc_co_u32_e32 v13, vcc, v17, v13, vcc
	v_add_co_u32_e32 v21, vcc, s3, v0
	v_addc_co_u32_e64 v22, s[0:1], 0, 0, vcc
	v_add_co_u32_e32 v23, vcc, s2, v0
	v_lshlrev_b32_e32 v2, 1, v23
	v_addc_co_u32_e64 v24, s[0:1], 0, 0, vcc
	v_add_co_u32_e32 v16, vcc, s10, v2
	v_addc_co_u32_e32 v15, vcc, 0, v15, vcc
	v_add_co_u32_e32 v18, vcc, s8, v2
	s_mov_b32 s24, 0
	s_lshl_b32 s26, s2, 3
	v_addc_co_u32_e32 v17, vcc, 0, v17, vcc
	s_mov_b64 s[20:21], 0
	s_brev_b32 s27, 18
	s_mov_b32 s28, 0xfe5163ab
	s_mov_b32 s29, 0x3c439041
	s_mov_b32 s30, 0xdb629599
	s_mov_b32 s31, 0xf534ddc0
	s_mov_b32 s33, 0xfc2757d1
	s_mov_b32 s34, 0x4e441529
	s_mov_b32 s35, 0xa2f9836e
	s_mov_b32 s36, 0x3fc90fda
	s_mov_b32 s37, 0x3f22f983
	s_mov_b32 s38, 0xbfc90fda
	v_mov_b32_e32 v25, 0xbe2aaa9d
	v_mov_b32_e32 v26, 0x3d2aabf7
	;; [unrolled: 1-line block ×3, first 2 shown]
	s_movk_i32 s39, 0x1f8
	s_movk_i32 s40, 0x7fff
	v_not_b32_e32 v28, 63
	v_not_b32_e32 v29, 31
	v_mov_b32_e32 v30, 0x7fc00000
	v_mov_b32_e32 v31, 0x7fc0
	s_branch .LBB111_25
.LBB111_24:                             ;   in Loop: Header=BB111_25 Depth=1
	s_or_b64 exec, exec, s[0:1]
	s_add_u32 s20, s20, s25
	s_addc_u32 s21, s21, 0
	v_pk_mov_b32 v[32:33], s[16:17], s[16:17] op_sel:[0,1]
	v_cmp_ge_i64_e32 vcc, s[20:21], v[32:33]
	v_mov_b32_e32 v32, 0xffff
	v_mov_b32_e32 v33, 0
	v_cmp_gt_u64_e64 s[0:1], s[20:21], v[32:33]
	s_or_b64 s[0:1], vcc, s[0:1]
	v_mov_b32_e32 v2, s24
	v_add_co_u32_e32 v4, vcc, s26, v4
	v_addc_co_u32_e32 v1, vcc, v1, v2, vcc
	v_add_co_u32_e32 v6, vcc, s26, v6
	v_addc_co_u32_e32 v5, vcc, v5, v2, vcc
	;; [unrolled: 2-line block ×8, first 2 shown]
	s_and_b64 vcc, exec, s[0:1]
	s_cbranch_vccnz .LBB111_57
.LBB111_25:                             ; =>This Inner Loop Header: Depth=1
	v_mov_b32_e32 v2, s21
	v_add_co_u32_e32 v32, vcc, s20, v0
	v_addc_co_u32_e32 v33, vcc, 0, v2, vcc
	v_cmp_gt_u64_e64 s[4:5], s[18:19], v[32:33]
	v_mov_b32_e32 v2, 0
	s_and_saveexec_b64 s[0:1], s[4:5]
	s_cbranch_execz .LBB111_27
; %bb.26:                               ;   in Loop: Header=BB111_25 Depth=1
	v_mov_b32_e32 v2, s15
	v_add_co_u32_e32 v32, vcc, s14, v4
	v_addc_co_u32_e32 v33, vcc, v1, v2, vcc
	global_load_ushort v2, v[32:33], off
.LBB111_27:                             ;   in Loop: Header=BB111_25 Depth=1
	s_or_b64 exec, exec, s[0:1]
	v_mov_b32_e32 v33, s21
	v_add_co_u32_e32 v32, vcc, s20, v23
	v_addc_co_u32_e32 v33, vcc, v24, v33, vcc
	v_cmp_gt_u64_e64 s[2:3], s[18:19], v[32:33]
	v_mov_b32_e32 v34, 0
	s_and_saveexec_b64 s[0:1], s[2:3]
	s_cbranch_execz .LBB111_29
; %bb.28:                               ;   in Loop: Header=BB111_25 Depth=1
	v_mov_b32_e32 v33, s15
	v_add_co_u32_e32 v32, vcc, s14, v16
	v_addc_co_u32_e32 v33, vcc, v15, v33, vcc
	global_load_ushort v34, v[32:33], off
.LBB111_29:                             ;   in Loop: Header=BB111_25 Depth=1
	s_or_b64 exec, exec, s[0:1]
	v_mov_b32_e32 v33, s21
	v_add_co_u32_e32 v32, vcc, s20, v21
	v_addc_co_u32_e32 v33, vcc, v22, v33, vcc
	v_cmp_gt_u64_e64 s[0:1], s[18:19], v[32:33]
	v_mov_b32_e32 v38, 0
	v_mov_b32_e32 v39, 0
	s_and_saveexec_b64 s[6:7], s[0:1]
	s_cbranch_execz .LBB111_31
; %bb.30:                               ;   in Loop: Header=BB111_25 Depth=1
	v_mov_b32_e32 v33, s15
	v_add_co_u32_e32 v32, vcc, s14, v12
	v_addc_co_u32_e32 v33, vcc, v11, v33, vcc
	global_load_ushort v39, v[32:33], off
.LBB111_31:                             ;   in Loop: Header=BB111_25 Depth=1
	s_or_b64 exec, exec, s[6:7]
	v_mov_b32_e32 v33, s21
	v_add_co_u32_e32 v32, vcc, s20, v19
	v_addc_co_u32_e32 v33, vcc, v20, v33, vcc
	v_cmp_gt_u64_e32 vcc, s[18:19], v[32:33]
	s_and_saveexec_b64 s[8:9], vcc
	s_cbranch_execz .LBB111_33
; %bb.32:                               ;   in Loop: Header=BB111_25 Depth=1
	v_mov_b32_e32 v33, s15
	v_add_co_u32_e64 v32, s[6:7], s14, v8
	v_addc_co_u32_e64 v33, s[6:7], v7, v33, s[6:7]
	global_load_ushort v38, v[32:33], off
.LBB111_33:                             ;   in Loop: Header=BB111_25 Depth=1
	s_or_b64 exec, exec, s[8:9]
	s_waitcnt vmcnt(0)
	v_lshlrev_b32_e32 v32, 16, v2
	v_and_b32_e32 v33, 0x7fffffff, v32
	v_cmp_nlt_f32_e64 s[6:7], |v32|, s27
                                        ; implicit-def: $vgpr36
                                        ; implicit-def: $vgpr37
	s_and_saveexec_b64 s[8:9], s[6:7]
	s_xor_b64 s[22:23], exec, s[8:9]
	s_cbranch_execz .LBB111_35
; %bb.34:                               ;   in Loop: Header=BB111_25 Depth=1
	v_lshrrev_b32_e32 v2, 23, v33
	v_add_u32_e32 v2, 0xffffff88, v2
	v_cmp_lt_u32_e64 s[6:7], 63, v2
	v_cndmask_b32_e64 v35, 0, v28, s[6:7]
	v_add_u32_e32 v2, v35, v2
	v_cmp_lt_u32_e64 s[8:9], 31, v2
	v_cndmask_b32_e64 v35, 0, v29, s[8:9]
	;; [unrolled: 3-line block ×3, first 2 shown]
	v_add_u32_e32 v35, v35, v2
	v_and_b32_e32 v2, 0x7fffff, v33
	v_or_b32_e32 v50, 0x800000, v2
	v_mad_u64_u32 v[36:37], s[12:13], v50, s28, 0
	v_mov_b32_e32 v2, v37
	v_mad_u64_u32 v[40:41], s[12:13], v50, s29, v[2:3]
	v_mov_b32_e32 v2, v41
	;; [unrolled: 2-line block ×6, first 2 shown]
	v_mad_u64_u32 v[50:51], s[12:13], v50, s35, v[2:3]
	v_cndmask_b32_e64 v37, v48, v44, s[6:7]
	v_cndmask_b32_e64 v2, v50, v46, s[6:7]
	;; [unrolled: 1-line block ×7, first 2 shown]
	v_sub_u32_e32 v45, 32, v35
	v_cmp_eq_u32_e64 s[12:13], 0, v35
	v_cndmask_b32_e64 v35, v44, v40, s[6:7]
	v_cndmask_b32_e64 v2, v2, v41, s[10:11]
	;; [unrolled: 1-line block ×4, first 2 shown]
	v_alignbit_b32 v46, v2, v41, v45
	v_cndmask_b32_e64 v37, v37, v40, s[10:11]
	v_cndmask_b32_e64 v2, v46, v2, s[12:13]
	v_alignbit_b32 v43, v41, v37, v45
	v_cndmask_b32_e64 v41, v43, v41, s[12:13]
	v_bfe_u32 v46, v2, 29, 1
	v_cndmask_b32_e64 v36, v42, v36, s[6:7]
	v_alignbit_b32 v43, v2, v41, 30
	v_sub_u32_e32 v47, 0, v46
	v_cndmask_b32_e64 v35, v35, v36, s[8:9]
	v_xor_b32_e32 v48, v43, v47
	v_cndmask_b32_e64 v35, v40, v35, s[10:11]
	v_alignbit_b32 v36, v37, v35, v45
	v_ffbh_u32_e32 v40, v48
	v_cndmask_b32_e64 v36, v36, v37, s[12:13]
	v_add_u32_e32 v40, 1, v40
	v_cmp_ne_u32_e64 s[6:7], v43, v47
	v_alignbit_b32 v37, v41, v36, 30
	v_cndmask_b32_e64 v40, 33, v40, s[6:7]
	v_alignbit_b32 v35, v36, v35, 30
	v_xor_b32_e32 v37, v37, v47
	v_sub_u32_e32 v41, 32, v40
	v_xor_b32_e32 v35, v35, v47
	v_alignbit_b32 v42, v48, v37, v41
	v_alignbit_b32 v35, v37, v35, v41
	v_alignbit_b32 v36, v42, v35, 9
	v_ffbh_u32_e32 v37, v36
	v_min_u32_e32 v37, 32, v37
	v_lshrrev_b32_e32 v44, 29, v2
	v_sub_u32_e32 v41, 31, v37
	v_alignbit_b32 v35, v36, v35, v41
	v_lshlrev_b32_e32 v36, 31, v44
	v_or_b32_e32 v41, 0x33800000, v36
	v_add_lshl_u32 v37, v37, v40, 23
	v_lshrrev_b32_e32 v35, 9, v35
	v_sub_u32_e32 v37, v41, v37
	v_or_b32_e32 v35, v37, v35
	v_alignbit_b32 v37, v40, v42, 9
	v_or_b32_e32 v36, v37, v36
	v_xor_b32_e32 v36, 1.0, v36
	v_mul_f32_e32 v37, 0x3fc90fda, v36
	v_fma_f32 v40, v36, s36, -v37
	v_fmac_f32_e32 v40, 0x33a22168, v36
	v_fmac_f32_e32 v40, 0x3fc90fda, v35
	v_lshrrev_b32_e32 v2, 30, v2
	v_add_f32_e32 v37, v37, v40
	v_add_u32_e32 v36, v46, v2
.LBB111_35:                             ;   in Loop: Header=BB111_25 Depth=1
	s_andn2_saveexec_b64 s[6:7], s[22:23]
; %bb.36:                               ;   in Loop: Header=BB111_25 Depth=1
	v_mul_f32_e64 v2, |v32|, s37
	v_rndne_f32_e32 v2, v2
	v_cvt_i32_f32_e32 v36, v2
	v_fma_f32 v37, v2, s38, |v32|
	v_fmac_f32_e32 v37, 0xb3a22168, v2
	v_fmac_f32_e32 v37, 0xa7c234c4, v2
; %bb.37:                               ;   in Loop: Header=BB111_25 Depth=1
	s_or_b64 exec, exec, s[6:7]
	v_lshlrev_b32_e32 v34, 16, v34
	v_and_b32_e32 v35, 0x7fffffff, v34
	v_cmp_nlt_f32_e64 s[6:7], |v34|, s27
                                        ; implicit-def: $vgpr41
                                        ; implicit-def: $vgpr42
	s_and_saveexec_b64 s[8:9], s[6:7]
	s_xor_b64 s[22:23], exec, s[8:9]
	s_cbranch_execz .LBB111_39
; %bb.38:                               ;   in Loop: Header=BB111_25 Depth=1
	v_lshrrev_b32_e32 v2, 23, v35
	v_add_u32_e32 v2, 0xffffff88, v2
	v_cmp_lt_u32_e64 s[6:7], 63, v2
	v_cndmask_b32_e64 v40, 0, v28, s[6:7]
	v_add_u32_e32 v2, v40, v2
	v_cmp_lt_u32_e64 s[8:9], 31, v2
	v_cndmask_b32_e64 v40, 0, v29, s[8:9]
	;; [unrolled: 3-line block ×3, first 2 shown]
	v_add_u32_e32 v54, v40, v2
	v_and_b32_e32 v2, 0x7fffff, v35
	v_or_b32_e32 v52, 0x800000, v2
	v_mad_u64_u32 v[40:41], s[12:13], v52, s28, 0
	v_mov_b32_e32 v2, v41
	v_mad_u64_u32 v[42:43], s[12:13], v52, s29, v[2:3]
	v_mov_b32_e32 v2, v43
	;; [unrolled: 2-line block ×6, first 2 shown]
	v_mad_u64_u32 v[52:53], s[12:13], v52, s35, v[2:3]
	v_cndmask_b32_e64 v41, v50, v46, s[6:7]
	v_cndmask_b32_e64 v2, v52, v48, s[6:7]
	;; [unrolled: 1-line block ×10, first 2 shown]
	v_sub_u32_e32 v47, 32, v54
	v_cndmask_b32_e64 v45, v45, v42, s[8:9]
	v_alignbit_b32 v48, v2, v43, v47
	v_cmp_eq_u32_e64 s[12:13], 0, v54
	v_cndmask_b32_e64 v41, v41, v45, s[10:11]
	v_cndmask_b32_e64 v40, v44, v40, s[6:7]
	;; [unrolled: 1-line block ×3, first 2 shown]
	v_alignbit_b32 v46, v43, v41, v47
	v_cndmask_b32_e64 v40, v42, v40, s[8:9]
	v_cndmask_b32_e64 v43, v46, v43, s[12:13]
	v_bfe_u32 v49, v2, 29, 1
	v_cndmask_b32_e64 v40, v45, v40, s[10:11]
	v_alignbit_b32 v46, v2, v43, 30
	v_sub_u32_e32 v50, 0, v49
	v_alignbit_b32 v42, v41, v40, v47
	v_xor_b32_e32 v51, v46, v50
	v_cndmask_b32_e64 v41, v42, v41, s[12:13]
	v_alignbit_b32 v42, v43, v41, 30
	v_ffbh_u32_e32 v43, v51
	v_add_u32_e32 v43, 1, v43
	v_cmp_ne_u32_e64 s[6:7], v46, v50
	v_cndmask_b32_e64 v43, 33, v43, s[6:7]
	v_alignbit_b32 v40, v41, v40, 30
	v_xor_b32_e32 v42, v42, v50
	v_sub_u32_e32 v44, 32, v43
	v_xor_b32_e32 v40, v40, v50
	v_alignbit_b32 v45, v51, v42, v44
	v_alignbit_b32 v40, v42, v40, v44
	;; [unrolled: 1-line block ×3, first 2 shown]
	v_ffbh_u32_e32 v42, v41
	v_min_u32_e32 v42, 32, v42
	v_lshrrev_b32_e32 v48, 29, v2
	v_sub_u32_e32 v44, 31, v42
	v_alignbit_b32 v40, v41, v40, v44
	v_lshlrev_b32_e32 v41, 31, v48
	v_or_b32_e32 v44, 0x33800000, v41
	v_add_lshl_u32 v42, v42, v43, 23
	v_lshrrev_b32_e32 v40, 9, v40
	v_sub_u32_e32 v42, v44, v42
	v_or_b32_e32 v40, v42, v40
	v_alignbit_b32 v42, v43, v45, 9
	v_or_b32_e32 v41, v42, v41
	v_xor_b32_e32 v41, 1.0, v41
	v_mul_f32_e32 v42, 0x3fc90fda, v41
	v_fma_f32 v43, v41, s36, -v42
	v_fmac_f32_e32 v43, 0x33a22168, v41
	v_fmac_f32_e32 v43, 0x3fc90fda, v40
	v_lshrrev_b32_e32 v2, 30, v2
	v_add_f32_e32 v42, v42, v43
	v_add_u32_e32 v41, v49, v2
.LBB111_39:                             ;   in Loop: Header=BB111_25 Depth=1
	s_andn2_saveexec_b64 s[6:7], s[22:23]
; %bb.40:                               ;   in Loop: Header=BB111_25 Depth=1
	v_mul_f32_e64 v2, |v34|, s37
	v_rndne_f32_e32 v2, v2
	v_cvt_i32_f32_e32 v41, v2
	v_fma_f32 v42, v2, s38, |v34|
	v_fmac_f32_e32 v42, 0xb3a22168, v2
	v_fmac_f32_e32 v42, 0xa7c234c4, v2
; %bb.41:                               ;   in Loop: Header=BB111_25 Depth=1
	s_or_b64 exec, exec, s[6:7]
	v_lshlrev_b32_e32 v39, 16, v39
	v_and_b32_e32 v40, 0x7fffffff, v39
	v_cmp_nlt_f32_e64 s[6:7], |v39|, s27
                                        ; implicit-def: $vgpr44
                                        ; implicit-def: $vgpr45
	s_and_saveexec_b64 s[8:9], s[6:7]
	s_xor_b64 s[22:23], exec, s[8:9]
	s_cbranch_execz .LBB111_43
; %bb.42:                               ;   in Loop: Header=BB111_25 Depth=1
	v_lshrrev_b32_e32 v2, 23, v40
	v_add_u32_e32 v2, 0xffffff88, v2
	v_cmp_lt_u32_e64 s[6:7], 63, v2
	v_cndmask_b32_e64 v43, 0, v28, s[6:7]
	v_add_u32_e32 v2, v43, v2
	v_cmp_lt_u32_e64 s[8:9], 31, v2
	v_cndmask_b32_e64 v43, 0, v29, s[8:9]
	;; [unrolled: 3-line block ×3, first 2 shown]
	v_add_u32_e32 v43, v43, v2
	v_and_b32_e32 v2, 0x7fffff, v40
	v_or_b32_e32 v56, 0x800000, v2
	v_mad_u64_u32 v[44:45], s[12:13], v56, s28, 0
	v_mov_b32_e32 v2, v45
	v_mad_u64_u32 v[46:47], s[12:13], v56, s29, v[2:3]
	v_mov_b32_e32 v2, v47
	v_mad_u64_u32 v[48:49], s[12:13], v56, s30, v[2:3]
	v_mov_b32_e32 v2, v49
	v_mad_u64_u32 v[50:51], s[12:13], v56, s31, v[2:3]
	v_mov_b32_e32 v2, v51
	v_mad_u64_u32 v[52:53], s[12:13], v56, s33, v[2:3]
	v_mov_b32_e32 v2, v53
	v_mad_u64_u32 v[54:55], s[12:13], v56, s34, v[2:3]
	v_mov_b32_e32 v2, v55
	v_mad_u64_u32 v[56:57], s[12:13], v56, s35, v[2:3]
	v_cndmask_b32_e64 v45, v54, v50, s[6:7]
	v_cndmask_b32_e64 v2, v56, v52, s[6:7]
	;; [unrolled: 1-line block ×7, first 2 shown]
	v_sub_u32_e32 v51, 32, v43
	v_cmp_eq_u32_e64 s[12:13], 0, v43
	v_cndmask_b32_e64 v43, v50, v46, s[6:7]
	v_cndmask_b32_e64 v2, v2, v47, s[10:11]
	;; [unrolled: 1-line block ×4, first 2 shown]
	v_alignbit_b32 v52, v2, v47, v51
	v_cndmask_b32_e64 v45, v45, v46, s[10:11]
	v_cndmask_b32_e64 v2, v52, v2, s[12:13]
	v_alignbit_b32 v49, v47, v45, v51
	v_cndmask_b32_e64 v47, v49, v47, s[12:13]
	v_bfe_u32 v52, v2, 29, 1
	v_cndmask_b32_e64 v44, v48, v44, s[6:7]
	v_alignbit_b32 v49, v2, v47, 30
	v_sub_u32_e32 v53, 0, v52
	v_cndmask_b32_e64 v43, v43, v44, s[8:9]
	v_xor_b32_e32 v54, v49, v53
	v_cndmask_b32_e64 v43, v46, v43, s[10:11]
	v_alignbit_b32 v44, v45, v43, v51
	v_ffbh_u32_e32 v46, v54
	v_cndmask_b32_e64 v44, v44, v45, s[12:13]
	v_add_u32_e32 v46, 1, v46
	v_cmp_ne_u32_e64 s[6:7], v49, v53
	v_alignbit_b32 v45, v47, v44, 30
	v_cndmask_b32_e64 v46, 33, v46, s[6:7]
	v_alignbit_b32 v43, v44, v43, 30
	v_xor_b32_e32 v45, v45, v53
	v_sub_u32_e32 v47, 32, v46
	v_xor_b32_e32 v43, v43, v53
	v_alignbit_b32 v48, v54, v45, v47
	v_alignbit_b32 v43, v45, v43, v47
	;; [unrolled: 1-line block ×3, first 2 shown]
	v_ffbh_u32_e32 v45, v44
	v_min_u32_e32 v45, 32, v45
	v_lshrrev_b32_e32 v50, 29, v2
	v_sub_u32_e32 v47, 31, v45
	v_alignbit_b32 v43, v44, v43, v47
	v_lshlrev_b32_e32 v44, 31, v50
	v_or_b32_e32 v47, 0x33800000, v44
	v_add_lshl_u32 v45, v45, v46, 23
	v_lshrrev_b32_e32 v43, 9, v43
	v_sub_u32_e32 v45, v47, v45
	v_or_b32_e32 v43, v45, v43
	v_alignbit_b32 v45, v46, v48, 9
	v_or_b32_e32 v44, v45, v44
	v_xor_b32_e32 v44, 1.0, v44
	v_mul_f32_e32 v45, 0x3fc90fda, v44
	v_fma_f32 v46, v44, s36, -v45
	v_fmac_f32_e32 v46, 0x33a22168, v44
	v_fmac_f32_e32 v46, 0x3fc90fda, v43
	v_lshrrev_b32_e32 v2, 30, v2
	v_add_f32_e32 v45, v45, v46
	v_add_u32_e32 v44, v52, v2
.LBB111_43:                             ;   in Loop: Header=BB111_25 Depth=1
	s_andn2_saveexec_b64 s[6:7], s[22:23]
; %bb.44:                               ;   in Loop: Header=BB111_25 Depth=1
	v_mul_f32_e64 v2, |v39|, s37
	v_rndne_f32_e32 v2, v2
	v_cvt_i32_f32_e32 v44, v2
	v_fma_f32 v45, v2, s38, |v39|
	v_fmac_f32_e32 v45, 0xb3a22168, v2
	v_fmac_f32_e32 v45, 0xa7c234c4, v2
; %bb.45:                               ;   in Loop: Header=BB111_25 Depth=1
	s_or_b64 exec, exec, s[6:7]
	v_lshlrev_b32_e32 v38, 16, v38
	v_and_b32_e32 v43, 0x7fffffff, v38
	v_cmp_nlt_f32_e64 s[6:7], |v38|, s27
                                        ; implicit-def: $vgpr2
                                        ; implicit-def: $vgpr46
	s_and_saveexec_b64 s[8:9], s[6:7]
	s_xor_b64 s[22:23], exec, s[8:9]
	s_cbranch_execnz .LBB111_51
; %bb.46:                               ;   in Loop: Header=BB111_25 Depth=1
	s_andn2_saveexec_b64 s[6:7], s[22:23]
	s_cbranch_execnz .LBB111_52
.LBB111_47:                             ;   in Loop: Header=BB111_25 Depth=1
	s_or_b64 exec, exec, s[6:7]
	s_and_saveexec_b64 s[6:7], s[4:5]
	s_xor_b64 s[6:7], exec, s[6:7]
	s_cbranch_execnz .LBB111_53
.LBB111_48:                             ;   in Loop: Header=BB111_25 Depth=1
	s_or_b64 exec, exec, s[6:7]
	s_and_saveexec_b64 s[4:5], s[2:3]
	s_cbranch_execnz .LBB111_54
.LBB111_49:                             ;   in Loop: Header=BB111_25 Depth=1
	s_or_b64 exec, exec, s[4:5]
	s_and_saveexec_b64 s[2:3], s[0:1]
	s_cbranch_execnz .LBB111_55
.LBB111_50:                             ;   in Loop: Header=BB111_25 Depth=1
	s_or_b64 exec, exec, s[2:3]
	s_and_saveexec_b64 s[0:1], vcc
	s_cbranch_execz .LBB111_24
	s_branch .LBB111_56
.LBB111_51:                             ;   in Loop: Header=BB111_25 Depth=1
	v_lshrrev_b32_e32 v2, 23, v43
	v_add_u32_e32 v2, 0xffffff88, v2
	v_cmp_lt_u32_e64 s[6:7], 63, v2
	v_cndmask_b32_e64 v46, 0, v28, s[6:7]
	v_add_u32_e32 v2, v46, v2
	v_cmp_lt_u32_e64 s[8:9], 31, v2
	v_cndmask_b32_e64 v46, 0, v29, s[8:9]
	;; [unrolled: 3-line block ×3, first 2 shown]
	v_add_u32_e32 v60, v46, v2
	v_and_b32_e32 v2, 0x7fffff, v43
	v_or_b32_e32 v58, 0x800000, v2
	v_mad_u64_u32 v[46:47], s[12:13], v58, s28, 0
	v_mov_b32_e32 v2, v47
	v_mad_u64_u32 v[48:49], s[12:13], v58, s29, v[2:3]
	v_mov_b32_e32 v2, v49
	;; [unrolled: 2-line block ×6, first 2 shown]
	v_mad_u64_u32 v[58:59], s[12:13], v58, s35, v[2:3]
	v_cndmask_b32_e64 v47, v56, v52, s[6:7]
	v_cndmask_b32_e64 v2, v58, v54, s[6:7]
	;; [unrolled: 1-line block ×10, first 2 shown]
	v_sub_u32_e32 v53, 32, v60
	v_cndmask_b32_e64 v51, v51, v48, s[8:9]
	v_alignbit_b32 v54, v2, v49, v53
	v_cmp_eq_u32_e64 s[12:13], 0, v60
	v_cndmask_b32_e64 v47, v47, v51, s[10:11]
	v_cndmask_b32_e64 v46, v50, v46, s[6:7]
	v_cndmask_b32_e64 v2, v54, v2, s[12:13]
	v_alignbit_b32 v52, v49, v47, v53
	v_cndmask_b32_e64 v46, v48, v46, s[8:9]
	v_cndmask_b32_e64 v49, v52, v49, s[12:13]
	v_bfe_u32 v55, v2, 29, 1
	v_cndmask_b32_e64 v46, v51, v46, s[10:11]
	v_alignbit_b32 v52, v2, v49, 30
	v_sub_u32_e32 v56, 0, v55
	v_alignbit_b32 v48, v47, v46, v53
	v_xor_b32_e32 v57, v52, v56
	v_cndmask_b32_e64 v47, v48, v47, s[12:13]
	v_alignbit_b32 v48, v49, v47, 30
	v_ffbh_u32_e32 v49, v57
	v_add_u32_e32 v49, 1, v49
	v_cmp_ne_u32_e64 s[6:7], v52, v56
	v_cndmask_b32_e64 v49, 33, v49, s[6:7]
	v_alignbit_b32 v46, v47, v46, 30
	v_xor_b32_e32 v48, v48, v56
	v_sub_u32_e32 v50, 32, v49
	v_xor_b32_e32 v46, v46, v56
	v_alignbit_b32 v51, v57, v48, v50
	v_alignbit_b32 v46, v48, v46, v50
	;; [unrolled: 1-line block ×3, first 2 shown]
	v_ffbh_u32_e32 v48, v47
	v_min_u32_e32 v48, 32, v48
	v_lshrrev_b32_e32 v54, 29, v2
	v_sub_u32_e32 v50, 31, v48
	v_alignbit_b32 v46, v47, v46, v50
	v_lshlrev_b32_e32 v47, 31, v54
	v_or_b32_e32 v50, 0x33800000, v47
	v_add_lshl_u32 v48, v48, v49, 23
	v_lshrrev_b32_e32 v46, 9, v46
	v_sub_u32_e32 v48, v50, v48
	v_or_b32_e32 v46, v48, v46
	v_alignbit_b32 v48, v49, v51, 9
	v_or_b32_e32 v47, v48, v47
	v_xor_b32_e32 v47, 1.0, v47
	v_mul_f32_e32 v48, 0x3fc90fda, v47
	v_fma_f32 v49, v47, s36, -v48
	v_fmac_f32_e32 v49, 0x33a22168, v47
	v_fmac_f32_e32 v49, 0x3fc90fda, v46
	v_lshrrev_b32_e32 v2, 30, v2
	v_add_f32_e32 v46, v48, v49
	v_add_u32_e32 v2, v55, v2
	s_andn2_saveexec_b64 s[6:7], s[22:23]
	s_cbranch_execz .LBB111_47
.LBB111_52:                             ;   in Loop: Header=BB111_25 Depth=1
	v_mul_f32_e64 v2, |v38|, s37
	v_rndne_f32_e32 v47, v2
	v_cvt_i32_f32_e32 v2, v47
	v_fma_f32 v46, v47, s38, |v38|
	v_fmac_f32_e32 v46, 0xb3a22168, v47
	v_fmac_f32_e32 v46, 0xa7c234c4, v47
	s_or_b64 exec, exec, s[6:7]
	s_and_saveexec_b64 s[6:7], s[4:5]
	s_xor_b64 s[6:7], exec, s[6:7]
	s_cbranch_execz .LBB111_48
.LBB111_53:                             ;   in Loop: Header=BB111_25 Depth=1
	v_mul_f32_e32 v47, v37, v37
	v_mov_b32_e32 v48, 0x3c0881c4
	v_fmac_f32_e32 v48, 0xb94c1982, v47
	v_fma_f32 v48, v47, v48, v25
	v_mul_f32_e32 v48, v47, v48
	v_fmac_f32_e32 v37, v37, v48
	v_mov_b32_e32 v48, 0xbab64f3b
	v_fmac_f32_e32 v48, 0x37d75334, v47
	v_fma_f32 v48, v47, v48, v26
	v_fma_f32 v48, v47, v48, v27
	v_fma_f32 v47, v47, v48, 1.0
	v_and_b32_e32 v48, 1, v36
	v_lshlrev_b32_e32 v36, 30, v36
	v_cmp_eq_u32_e64 s[4:5], 0, v48
	v_and_b32_e32 v36, 0x80000000, v36
	v_cndmask_b32_e64 v37, v47, v37, s[4:5]
	v_xor_b32_e32 v33, v33, v36
	v_xor_b32_e32 v33, v33, v37
	;; [unrolled: 1-line block ×3, first 2 shown]
	v_cmp_class_f32_e64 s[4:5], v32, s39
	v_cndmask_b32_e64 v32, v30, v33, s[4:5]
	v_bfe_u32 v33, v32, 16, 1
	v_add3_u32 v33, v32, v33, s40
	v_lshrrev_b32_e32 v33, 16, v33
	v_cmp_o_f32_e64 s[4:5], v32, v32
	v_cndmask_b32_e64 v36, v31, v33, s[4:5]
	v_mov_b32_e32 v33, s15
	v_add_co_u32_e64 v32, s[4:5], s14, v6
	v_addc_co_u32_e64 v33, s[4:5], v5, v33, s[4:5]
	global_store_short v[32:33], v36, off
	s_or_b64 exec, exec, s[6:7]
	s_and_saveexec_b64 s[4:5], s[2:3]
	s_cbranch_execz .LBB111_49
.LBB111_54:                             ;   in Loop: Header=BB111_25 Depth=1
	v_mul_f32_e32 v32, v42, v42
	v_mov_b32_e32 v33, 0x3c0881c4
	v_fmac_f32_e32 v33, 0xb94c1982, v32
	v_fma_f32 v33, v32, v33, v25
	v_mul_f32_e32 v33, v32, v33
	v_fmac_f32_e32 v42, v42, v33
	v_mov_b32_e32 v33, 0xbab64f3b
	v_fmac_f32_e32 v33, 0x37d75334, v32
	v_fma_f32 v33, v32, v33, v26
	v_fma_f32 v33, v32, v33, v27
	v_fma_f32 v32, v32, v33, 1.0
	v_and_b32_e32 v33, 1, v41
	v_cmp_eq_u32_e64 s[2:3], 0, v33
	v_lshlrev_b32_e32 v33, 30, v41
	v_and_b32_e32 v33, 0x80000000, v33
	v_cndmask_b32_e64 v32, v32, v42, s[2:3]
	v_xor_b32_e32 v33, v35, v33
	v_xor_b32_e32 v32, v33, v32
	v_xor_b32_e32 v32, v32, v34
	v_cmp_class_f32_e64 s[2:3], v34, s39
	v_cndmask_b32_e64 v32, v30, v32, s[2:3]
	v_bfe_u32 v33, v32, 16, 1
	v_add3_u32 v33, v32, v33, s40
	v_lshrrev_b32_e32 v33, 16, v33
	v_cmp_o_f32_e64 s[2:3], v32, v32
	v_cndmask_b32_e64 v34, v31, v33, s[2:3]
	v_mov_b32_e32 v33, s15
	v_add_co_u32_e64 v32, s[2:3], s14, v18
	v_addc_co_u32_e64 v33, s[2:3], v17, v33, s[2:3]
	global_store_short v[32:33], v34, off
	s_or_b64 exec, exec, s[4:5]
	s_and_saveexec_b64 s[2:3], s[0:1]
	s_cbranch_execz .LBB111_50
.LBB111_55:                             ;   in Loop: Header=BB111_25 Depth=1
	v_mul_f32_e32 v32, v45, v45
	v_mov_b32_e32 v33, 0x3c0881c4
	v_fmac_f32_e32 v33, 0xb94c1982, v32
	v_fma_f32 v33, v32, v33, v25
	v_mul_f32_e32 v33, v32, v33
	v_fmac_f32_e32 v45, v45, v33
	v_mov_b32_e32 v33, 0xbab64f3b
	v_fmac_f32_e32 v33, 0x37d75334, v32
	v_fma_f32 v33, v32, v33, v26
	v_fma_f32 v33, v32, v33, v27
	v_fma_f32 v32, v32, v33, 1.0
	v_and_b32_e32 v33, 1, v44
	v_cmp_eq_u32_e64 s[0:1], 0, v33
	v_lshlrev_b32_e32 v33, 30, v44
	v_and_b32_e32 v33, 0x80000000, v33
	v_cndmask_b32_e64 v32, v32, v45, s[0:1]
	v_xor_b32_e32 v33, v40, v33
	v_xor_b32_e32 v32, v33, v32
	;; [unrolled: 1-line block ×3, first 2 shown]
	v_cmp_class_f32_e64 s[0:1], v39, s39
	v_cndmask_b32_e64 v32, v30, v32, s[0:1]
	v_bfe_u32 v33, v32, 16, 1
	v_add3_u32 v33, v32, v33, s40
	v_lshrrev_b32_e32 v33, 16, v33
	v_cmp_o_f32_e64 s[0:1], v32, v32
	v_cndmask_b32_e64 v34, v31, v33, s[0:1]
	v_mov_b32_e32 v33, s15
	v_add_co_u32_e64 v32, s[0:1], s14, v14
	v_addc_co_u32_e64 v33, s[0:1], v13, v33, s[0:1]
	global_store_short v[32:33], v34, off
	s_or_b64 exec, exec, s[2:3]
	s_and_saveexec_b64 s[0:1], vcc
	s_cbranch_execz .LBB111_24
.LBB111_56:                             ;   in Loop: Header=BB111_25 Depth=1
	v_mul_f32_e32 v32, v46, v46
	v_mov_b32_e32 v33, 0x3c0881c4
	v_fmac_f32_e32 v33, 0xb94c1982, v32
	v_fma_f32 v33, v32, v33, v25
	v_mul_f32_e32 v33, v32, v33
	v_fmac_f32_e32 v46, v46, v33
	v_mov_b32_e32 v33, 0xbab64f3b
	v_fmac_f32_e32 v33, 0x37d75334, v32
	v_fma_f32 v33, v32, v33, v26
	v_fma_f32 v33, v32, v33, v27
	v_fma_f32 v32, v32, v33, 1.0
	v_and_b32_e32 v33, 1, v2
	v_lshlrev_b32_e32 v2, 30, v2
	v_cmp_eq_u32_e32 vcc, 0, v33
	v_and_b32_e32 v2, 0x80000000, v2
	v_cndmask_b32_e32 v32, v32, v46, vcc
	v_xor_b32_e32 v2, v43, v2
	v_xor_b32_e32 v2, v2, v32
	;; [unrolled: 1-line block ×3, first 2 shown]
	v_cmp_class_f32_e64 vcc, v38, s39
	v_cndmask_b32_e32 v2, v30, v2, vcc
	v_bfe_u32 v32, v2, 16, 1
	v_add3_u32 v32, v2, v32, s40
	v_lshrrev_b32_e32 v32, 16, v32
	v_cmp_o_f32_e32 vcc, v2, v2
	v_cndmask_b32_e32 v2, v31, v32, vcc
	v_mov_b32_e32 v33, s15
	v_add_co_u32_e32 v32, vcc, s14, v10
	v_addc_co_u32_e32 v33, vcc, v9, v33, vcc
	global_store_short v[32:33], v2, off
	s_branch .LBB111_24
.LBB111_57:
	s_endpgm
	.section	.rodata,"a",@progbits
	.p2align	6, 0x0
	.amdhsa_kernel _ZN2at6native12_GLOBAL__N_125multi_tensor_apply_kernelINS1_18TensorListMetadataILi2EEENS1_14UnaryOpFunctorIN3c108BFloat16ELi2ELi1ELi1EEEJNS0_3SinIfEEEEEvT_T0_DpT1_
		.amdhsa_group_segment_fixed_size 0
		.amdhsa_private_segment_fixed_size 0
		.amdhsa_kernarg_size 3408
		.amdhsa_user_sgpr_count 6
		.amdhsa_user_sgpr_private_segment_buffer 1
		.amdhsa_user_sgpr_dispatch_ptr 0
		.amdhsa_user_sgpr_queue_ptr 0
		.amdhsa_user_sgpr_kernarg_segment_ptr 1
		.amdhsa_user_sgpr_dispatch_id 0
		.amdhsa_user_sgpr_flat_scratch_init 0
		.amdhsa_user_sgpr_kernarg_preload_length 0
		.amdhsa_user_sgpr_kernarg_preload_offset 0
		.amdhsa_user_sgpr_private_segment_size 0
		.amdhsa_uses_dynamic_stack 0
		.amdhsa_system_sgpr_private_segment_wavefront_offset 0
		.amdhsa_system_sgpr_workgroup_id_x 1
		.amdhsa_system_sgpr_workgroup_id_y 0
		.amdhsa_system_sgpr_workgroup_id_z 0
		.amdhsa_system_sgpr_workgroup_info 0
		.amdhsa_system_vgpr_workitem_id 0
		.amdhsa_next_free_vgpr 61
		.amdhsa_next_free_sgpr 42
		.amdhsa_accum_offset 64
		.amdhsa_reserve_vcc 1
		.amdhsa_reserve_flat_scratch 0
		.amdhsa_float_round_mode_32 0
		.amdhsa_float_round_mode_16_64 0
		.amdhsa_float_denorm_mode_32 3
		.amdhsa_float_denorm_mode_16_64 3
		.amdhsa_dx10_clamp 1
		.amdhsa_ieee_mode 1
		.amdhsa_fp16_overflow 0
		.amdhsa_tg_split 0
		.amdhsa_exception_fp_ieee_invalid_op 0
		.amdhsa_exception_fp_denorm_src 0
		.amdhsa_exception_fp_ieee_div_zero 0
		.amdhsa_exception_fp_ieee_overflow 0
		.amdhsa_exception_fp_ieee_underflow 0
		.amdhsa_exception_fp_ieee_inexact 0
		.amdhsa_exception_int_div_zero 0
	.end_amdhsa_kernel
	.section	.text._ZN2at6native12_GLOBAL__N_125multi_tensor_apply_kernelINS1_18TensorListMetadataILi2EEENS1_14UnaryOpFunctorIN3c108BFloat16ELi2ELi1ELi1EEEJNS0_3SinIfEEEEEvT_T0_DpT1_,"axG",@progbits,_ZN2at6native12_GLOBAL__N_125multi_tensor_apply_kernelINS1_18TensorListMetadataILi2EEENS1_14UnaryOpFunctorIN3c108BFloat16ELi2ELi1ELi1EEEJNS0_3SinIfEEEEEvT_T0_DpT1_,comdat
.Lfunc_end111:
	.size	_ZN2at6native12_GLOBAL__N_125multi_tensor_apply_kernelINS1_18TensorListMetadataILi2EEENS1_14UnaryOpFunctorIN3c108BFloat16ELi2ELi1ELi1EEEJNS0_3SinIfEEEEEvT_T0_DpT1_, .Lfunc_end111-_ZN2at6native12_GLOBAL__N_125multi_tensor_apply_kernelINS1_18TensorListMetadataILi2EEENS1_14UnaryOpFunctorIN3c108BFloat16ELi2ELi1ELi1EEEJNS0_3SinIfEEEEEvT_T0_DpT1_
                                        ; -- End function
	.section	.AMDGPU.csdata,"",@progbits
; Kernel info:
; codeLenInByte = 7788
; NumSgprs: 46
; NumVgprs: 61
; NumAgprs: 0
; TotalNumVgprs: 61
; ScratchSize: 0
; MemoryBound: 0
; FloatMode: 240
; IeeeMode: 1
; LDSByteSize: 0 bytes/workgroup (compile time only)
; SGPRBlocks: 5
; VGPRBlocks: 7
; NumSGPRsForWavesPerEU: 46
; NumVGPRsForWavesPerEU: 61
; AccumOffset: 64
; Occupancy: 8
; WaveLimiterHint : 0
; COMPUTE_PGM_RSRC2:SCRATCH_EN: 0
; COMPUTE_PGM_RSRC2:USER_SGPR: 6
; COMPUTE_PGM_RSRC2:TRAP_HANDLER: 0
; COMPUTE_PGM_RSRC2:TGID_X_EN: 1
; COMPUTE_PGM_RSRC2:TGID_Y_EN: 0
; COMPUTE_PGM_RSRC2:TGID_Z_EN: 0
; COMPUTE_PGM_RSRC2:TIDIG_COMP_CNT: 0
; COMPUTE_PGM_RSRC3_GFX90A:ACCUM_OFFSET: 15
; COMPUTE_PGM_RSRC3_GFX90A:TG_SPLIT: 0
	.section	.text._ZN2at6native12_GLOBAL__N_125multi_tensor_apply_kernelINS1_18TensorListMetadataILi1EEENS1_14UnaryOpFunctorIdLi1ELi1ELi0EEEJNS0_3SinIdEEEEEvT_T0_DpT1_,"axG",@progbits,_ZN2at6native12_GLOBAL__N_125multi_tensor_apply_kernelINS1_18TensorListMetadataILi1EEENS1_14UnaryOpFunctorIdLi1ELi1ELi0EEEJNS0_3SinIdEEEEEvT_T0_DpT1_,comdat
	.globl	_ZN2at6native12_GLOBAL__N_125multi_tensor_apply_kernelINS1_18TensorListMetadataILi1EEENS1_14UnaryOpFunctorIdLi1ELi1ELi0EEEJNS0_3SinIdEEEEEvT_T0_DpT1_ ; -- Begin function _ZN2at6native12_GLOBAL__N_125multi_tensor_apply_kernelINS1_18TensorListMetadataILi1EEENS1_14UnaryOpFunctorIdLi1ELi1ELi0EEEJNS0_3SinIdEEEEEvT_T0_DpT1_
	.p2align	8
	.type	_ZN2at6native12_GLOBAL__N_125multi_tensor_apply_kernelINS1_18TensorListMetadataILi1EEENS1_14UnaryOpFunctorIdLi1ELi1ELi0EEEJNS0_3SinIdEEEEEvT_T0_DpT1_,@function
_ZN2at6native12_GLOBAL__N_125multi_tensor_apply_kernelINS1_18TensorListMetadataILi1EEENS1_14UnaryOpFunctorIdLi1ELi1ELi0EEEJNS0_3SinIdEEEEEvT_T0_DpT1_: ; @_ZN2at6native12_GLOBAL__N_125multi_tensor_apply_kernelINS1_18TensorListMetadataILi1EEENS1_14UnaryOpFunctorIdLi1ELi1ELi0EEEJNS0_3SinIdEEEEEvT_T0_DpT1_
; %bb.0:
	v_mov_b32_e32 v1, s6
	global_load_ubyte v1, v1, s[4:5] offset:1760
	s_add_u32 s0, s4, s6
	s_mul_hi_u32 s1, s6, 3
	s_mul_i32 s6, s6, 3
	s_addc_u32 s2, s5, 0
	s_add_u32 s0, s0, s6
	s_addc_u32 s1, s2, s1
	s_load_dword s0, s[0:1], 0x820
	s_mov_b32 s7, 0
	s_waitcnt vmcnt(0)
	v_readfirstlane_b32 s2, v1
	s_lshl_b32 s1, s2, 3
	s_load_dwordx2 s[2:3], s[4:5], s1 offset:0x370
	s_load_dwordx2 s[14:15], s[4:5], s1 offset:0x0
	s_waitcnt lgkmcnt(0)
	s_ashr_i32 s1, s0, 31
	s_lshl_b64 s[16:17], s[0:1], 19
	s_lshl_b64 s[0:1], s[0:1], 16
	s_and_b32 s6, s14, 31
	s_sub_u32 s12, s2, s0
	s_subb_u32 s13, s3, s1
	s_and_b32 s0, s2, 3
	s_mov_b32 s1, s7
	s_or_b64 s[0:1], s[6:7], s[0:1]
	s_cmp_eq_u64 s[0:1], 0
	s_cbranch_scc1 .LBB112_37
; %bb.1:
	v_cmp_lt_i64_e64 s[0:1], s[12:13], 1
	s_and_b64 vcc, exec, s[0:1]
	s_cbranch_vccnz .LBB112_36
; %bb.2:
	s_load_dword s0, s[4:5], 0xd3c
	v_mov_b32_e32 v4, 0x10000
	v_mov_b32_e32 v5, 0
	v_cmp_lt_u64_e32 vcc, s[12:13], v[4:5]
	v_lshlrev_b32_e32 v1, 3, v0
	s_waitcnt lgkmcnt(0)
	s_and_b32 s2, s0, 0xffff
	s_and_b64 s[0:1], vcc, exec
	s_cselect_b32 s19, s13, 0
	s_cselect_b32 s18, s12, 0x10000
	s_lshl_b32 s3, s2, 1
	s_lshl_b32 s52, s2, 2
	s_add_u32 s6, s14, s16
	s_addc_u32 s7, s15, s17
	v_mov_b32_e32 v3, s7
	v_add_co_u32_e32 v4, vcc, s6, v1
	s_mul_i32 s0, s2, 3
	v_addc_co_u32_e32 v5, vcc, 0, v3, vcc
	v_add_co_u32_e32 v1, vcc, s0, v0
	v_addc_co_u32_e64 v50, s[0:1], 0, 0, vcc
	v_add_co_u32_e32 v51, vcc, s3, v0
	v_addc_co_u32_e64 v52, s[0:1], 0, 0, vcc
	v_add_co_u32_e32 v53, vcc, s2, v0
	v_lshlrev_b32_e32 v3, 3, v53
	s_mov_b32 s33, 0
	v_addc_co_u32_e64 v54, s[0:1], 0, 0, vcc
	v_mov_b32_e32 v7, s7
	v_add_co_u32_e32 v6, vcc, s6, v3
	s_mov_b32 s22, 0
	s_mov_b32 s24, 0
	;; [unrolled: 1-line block ×10, first 2 shown]
	v_mov_b32_e32 v2, 0
	s_lshl_b32 s53, s2, 5
	s_mul_i32 s54, s2, 24
	s_mov_b32 s55, s33
	s_lshl_b32 s56, s2, 4
	s_mov_b32 s57, s33
	v_addc_co_u32_e32 v7, vcc, 0, v7, vcc
	s_mov_b64 s[20:21], 0
	s_mov_b32 s23, 0x41d00000
	s_mov_b32 s25, 0x7b000000
	s_movk_i32 s58, 0xff80
	s_mov_b32 s27, 0x7ff00000
	s_mov_b32 s29, 0x3ff921fb
	;; [unrolled: 1-line block ×11, first 2 shown]
	s_movk_i32 s59, 0x1f8
	v_mov_b32_e32 v55, 0x40100000
	v_mov_b32_e32 v56, 0x3ff00000
	;; [unrolled: 1-line block ×21, first 2 shown]
	s_branch .LBB112_4
.LBB112_3:                              ;   in Loop: Header=BB112_4 Depth=1
	s_or_b64 exec, exec, s[0:1]
	s_add_u32 s20, s20, s52
	s_addc_u32 s21, s21, 0
	v_pk_mov_b32 v[26:27], s[12:13], s[12:13] op_sel:[0,1]
	v_cmp_ge_i64_e32 vcc, s[20:21], v[26:27]
	v_mov_b32_e32 v26, 0xffff
	v_mov_b32_e32 v27, 0
	v_cmp_gt_u64_e64 s[0:1], s[20:21], v[26:27]
	s_or_b64 s[0:1], vcc, s[0:1]
	v_mov_b32_e32 v3, s33
	v_add_co_u32_e32 v4, vcc, s53, v4
	v_addc_co_u32_e32 v5, vcc, v5, v3, vcc
	v_add_co_u32_e32 v6, vcc, s53, v6
	v_addc_co_u32_e32 v7, vcc, v7, v3, vcc
	s_and_b64 vcc, exec, s[0:1]
	s_cbranch_vccnz .LBB112_36
.LBB112_4:                              ; =>This Inner Loop Header: Depth=1
	v_mov_b32_e32 v3, s21
	v_add_co_u32_e32 v26, vcc, s20, v0
	v_addc_co_u32_e32 v27, vcc, 0, v3, vcc
	v_cmp_gt_u64_e64 s[6:7], s[18:19], v[26:27]
	v_mov_b32_e32 v32, 0
	v_mov_b32_e32 v33, 0
	s_and_saveexec_b64 s[0:1], s[6:7]
	s_cbranch_execz .LBB112_6
; %bb.5:                                ;   in Loop: Header=BB112_4 Depth=1
	global_load_dwordx2 v[32:33], v[4:5], off
.LBB112_6:                              ;   in Loop: Header=BB112_4 Depth=1
	s_or_b64 exec, exec, s[0:1]
	v_mov_b32_e32 v3, s21
	v_add_co_u32_e32 v26, vcc, s20, v53
	v_addc_co_u32_e32 v27, vcc, v54, v3, vcc
	v_cmp_gt_u64_e64 s[2:3], s[18:19], v[26:27]
	v_mov_b32_e32 v28, 0
	v_mov_b32_e32 v30, 0
	;; [unrolled: 1-line block ×3, first 2 shown]
	s_and_saveexec_b64 s[0:1], s[2:3]
	s_cbranch_execz .LBB112_8
; %bb.7:                                ;   in Loop: Header=BB112_4 Depth=1
	global_load_dwordx2 v[30:31], v[6:7], off
.LBB112_8:                              ;   in Loop: Header=BB112_4 Depth=1
	s_or_b64 exec, exec, s[0:1]
	v_mov_b32_e32 v3, s21
	v_add_co_u32_e32 v26, vcc, s20, v51
	v_addc_co_u32_e32 v27, vcc, v52, v3, vcc
	v_cmp_gt_u64_e64 s[0:1], s[18:19], v[26:27]
	v_mov_b32_e32 v29, 0
	s_and_saveexec_b64 s[8:9], s[0:1]
	s_cbranch_execz .LBB112_10
; %bb.9:                                ;   in Loop: Header=BB112_4 Depth=1
	v_mov_b32_e32 v3, s57
	v_add_co_u32_e32 v26, vcc, s56, v4
	v_addc_co_u32_e32 v27, vcc, v5, v3, vcc
	global_load_dwordx2 v[28:29], v[26:27], off
.LBB112_10:                             ;   in Loop: Header=BB112_4 Depth=1
	s_or_b64 exec, exec, s[8:9]
	v_mov_b32_e32 v3, s21
	v_add_co_u32_e32 v26, vcc, s20, v1
	v_addc_co_u32_e32 v27, vcc, v50, v3, vcc
	v_cmp_gt_u64_e32 vcc, s[18:19], v[26:27]
	v_pk_mov_b32 v[26:27], 0, 0
	s_and_saveexec_b64 s[10:11], vcc
	s_cbranch_execz .LBB112_12
; %bb.11:                               ;   in Loop: Header=BB112_4 Depth=1
	v_mov_b32_e32 v3, s55
	v_add_co_u32_e64 v26, s[8:9], s54, v4
	v_addc_co_u32_e64 v27, s[8:9], v5, v3, s[8:9]
	global_load_dwordx2 v[26:27], v[26:27], off
.LBB112_12:                             ;   in Loop: Header=BB112_4 Depth=1
	s_or_b64 exec, exec, s[10:11]
	s_waitcnt vmcnt(0)
	v_cmp_nlt_f64_e64 s[8:9], |v[32:33]|, s[22:23]
                                        ; implicit-def: $vgpr58
                                        ; implicit-def: $vgpr34_vgpr35
                                        ; implicit-def: $vgpr36_vgpr37
	s_and_saveexec_b64 s[10:11], s[8:9]
	s_xor_b64 s[50:51], exec, s[10:11]
	s_cbranch_execz .LBB112_14
; %bb.13:                               ;   in Loop: Header=BB112_4 Depth=1
	v_and_b32_e32 v3, 0x7fffffff, v33
	v_ldexp_f64 v[38:39], |v[32:33]|, s58
	v_cmp_ge_f64_e64 s[8:9], |v[32:33]|, s[24:25]
	v_trig_preop_f64 v[34:35], |v[32:33]|, 0
	v_cndmask_b32_e64 v39, v3, v39, s[8:9]
	v_cndmask_b32_e64 v38, v32, v38, s[8:9]
	v_trig_preop_f64 v[36:37], |v[32:33]|, 1
	v_mul_f64 v[42:43], v[34:35], v[38:39]
	v_mul_f64 v[40:41], v[36:37], v[38:39]
	v_fma_f64 v[34:35], v[34:35], v[38:39], -v[42:43]
	v_add_f64 v[44:45], v[40:41], v[34:35]
	v_add_f64 v[46:47], v[42:43], v[44:45]
	v_ldexp_f64 v[48:49], v[46:47], -2
	v_fract_f64_e32 v[58:59], v[48:49]
	v_cmp_neq_f64_e64 s[8:9], |v[48:49]|, s[26:27]
	v_cndmask_b32_e64 v49, 0, v59, s[8:9]
	v_cndmask_b32_e64 v48, 0, v58, s[8:9]
	v_add_f64 v[58:59], v[44:45], -v[40:41]
	v_add_f64 v[34:35], v[34:35], -v[58:59]
	;; [unrolled: 1-line block ×4, first 2 shown]
	v_fma_f64 v[36:37], v[36:37], v[38:39], -v[40:41]
	v_trig_preop_f64 v[40:41], |v[32:33]|, 2
	v_add_f64 v[34:35], v[34:35], v[58:59]
	v_mul_f64 v[58:59], v[40:41], v[38:39]
	v_add_f64 v[60:61], v[58:59], v[36:37]
	v_add_f64 v[62:63], v[60:61], v[34:35]
	v_add_f64 v[42:43], v[46:47], -v[42:43]
	v_add_f64 v[46:47], v[62:63], -v[60:61]
	;; [unrolled: 1-line block ×5, first 2 shown]
	v_add_f64 v[34:35], v[34:35], v[46:47]
	v_add_f64 v[46:47], v[60:61], -v[58:59]
	v_add_f64 v[36:37], v[36:37], -v[46:47]
	v_add_f64 v[46:47], v[60:61], -v[46:47]
	v_add_f64 v[46:47], v[58:59], -v[46:47]
	v_add_f64 v[36:37], v[36:37], v[46:47]
	v_add_f64 v[42:43], v[44:45], -v[42:43]
	v_add_f64 v[34:35], v[36:37], v[34:35]
	v_fma_f64 v[36:37], v[40:41], v[38:39], -v[58:59]
	v_add_f64 v[44:45], v[42:43], v[62:63]
	v_add_f64 v[34:35], v[36:37], v[34:35]
	v_ldexp_f64 v[36:37], v[48:49], 2
	v_add_f64 v[38:39], v[44:45], v[36:37]
	v_cmp_gt_f64_e64 s[8:9], 0, v[38:39]
	v_cndmask_b32_e64 v3, 0, v55, s[8:9]
	v_add_f64 v[36:37], v[36:37], v[2:3]
	v_add_f64 v[38:39], v[44:45], v[36:37]
	v_cvt_i32_f64_e32 v3, v[38:39]
	v_cvt_f64_i32_e32 v[38:39], v3
	v_add_f64 v[36:37], v[36:37], -v[38:39]
	v_add_f64 v[42:43], v[44:45], -v[42:43]
	v_add_f64 v[38:39], v[44:45], v[36:37]
	v_add_f64 v[42:43], v[62:63], -v[42:43]
	v_add_f64 v[36:37], v[38:39], -v[36:37]
	v_cmp_le_f64_e64 s[8:9], 0.5, v[38:39]
	v_add_f64 v[34:35], v[42:43], v[34:35]
	v_add_f64 v[36:37], v[44:45], -v[36:37]
	v_addc_co_u32_e64 v58, s[10:11], 0, v3, s[8:9]
	v_cndmask_b32_e64 v3, 0, v56, s[8:9]
	v_add_f64 v[34:35], v[34:35], v[36:37]
	v_add_f64 v[36:37], v[38:39], -v[2:3]
	v_add_f64 v[38:39], v[36:37], v[34:35]
	v_add_f64 v[36:37], v[38:39], -v[36:37]
	s_mov_b32 s28, s30
	v_add_f64 v[34:35], v[34:35], -v[36:37]
	v_mul_f64 v[36:37], v[38:39], s[28:29]
	v_fma_f64 v[40:41], v[38:39], s[28:29], -v[36:37]
	s_mov_b32 s37, s35
	v_fmac_f64_e32 v[40:41], s[36:37], v[38:39]
	v_fmac_f64_e32 v[40:41], s[28:29], v[34:35]
	v_add_f64 v[34:35], v[36:37], v[40:41]
	v_add_f64 v[36:37], v[34:35], -v[36:37]
	v_add_f64 v[36:37], v[40:41], -v[36:37]
.LBB112_14:                             ;   in Loop: Header=BB112_4 Depth=1
	s_andn2_saveexec_b64 s[8:9], s[50:51]
	s_cbranch_execz .LBB112_16
; %bb.15:                               ;   in Loop: Header=BB112_4 Depth=1
	v_mul_f64 v[34:35], |v[32:33]|, s[38:39]
	v_rndne_f64_e32 v[38:39], v[34:35]
	v_fma_f64 v[34:35], v[38:39], s[30:31], |v[32:33]|
	v_mul_f64 v[40:41], v[38:39], s[40:41]
	v_add_f64 v[44:45], v[34:35], v[40:41]
	v_fma_f64 v[36:37], s[40:41], v[38:39], v[34:35]
	s_mov_b32 s34, s40
	v_add_f64 v[34:35], v[34:35], -v[44:45]
	v_fma_f64 v[42:43], s[34:35], v[38:39], v[40:41]
	v_add_f64 v[34:35], v[34:35], v[40:41]
	v_add_f64 v[40:41], v[44:45], -v[36:37]
	v_add_f64 v[34:35], v[40:41], v[34:35]
	v_add_f64 v[40:41], v[34:35], -v[42:43]
	v_fmac_f64_e32 v[40:41], s[42:43], v[38:39]
	v_add_f64 v[34:35], v[36:37], v[40:41]
	v_add_f64 v[36:37], v[34:35], -v[36:37]
	v_add_f64 v[36:37], v[40:41], -v[36:37]
	v_cvt_i32_f64_e32 v58, v[38:39]
.LBB112_16:                             ;   in Loop: Header=BB112_4 Depth=1
	s_or_b64 exec, exec, s[8:9]
	v_cmp_nlt_f64_e64 s[8:9], |v[30:31]|, s[22:23]
                                        ; implicit-def: $vgpr59
                                        ; implicit-def: $vgpr38_vgpr39
                                        ; implicit-def: $vgpr40_vgpr41
	s_and_saveexec_b64 s[10:11], s[8:9]
	s_xor_b64 s[50:51], exec, s[10:11]
	s_cbranch_execz .LBB112_18
; %bb.17:                               ;   in Loop: Header=BB112_4 Depth=1
	v_and_b32_e32 v3, 0x7fffffff, v31
	v_ldexp_f64 v[42:43], |v[30:31]|, s58
	v_cmp_ge_f64_e64 s[8:9], |v[30:31]|, s[24:25]
	v_trig_preop_f64 v[38:39], |v[30:31]|, 0
	v_cndmask_b32_e64 v43, v3, v43, s[8:9]
	v_cndmask_b32_e64 v42, v30, v42, s[8:9]
	v_trig_preop_f64 v[40:41], |v[30:31]|, 1
	v_mul_f64 v[46:47], v[38:39], v[42:43]
	v_mul_f64 v[44:45], v[40:41], v[42:43]
	v_fma_f64 v[38:39], v[38:39], v[42:43], -v[46:47]
	v_add_f64 v[48:49], v[44:45], v[38:39]
	v_add_f64 v[60:61], v[46:47], v[48:49]
	v_ldexp_f64 v[62:63], v[60:61], -2
	v_fract_f64_e32 v[64:65], v[62:63]
	v_cmp_neq_f64_e64 s[8:9], |v[62:63]|, s[26:27]
	v_cndmask_b32_e64 v63, 0, v65, s[8:9]
	v_cndmask_b32_e64 v62, 0, v64, s[8:9]
	v_add_f64 v[64:65], v[48:49], -v[44:45]
	v_add_f64 v[38:39], v[38:39], -v[64:65]
	;; [unrolled: 1-line block ×4, first 2 shown]
	v_fma_f64 v[40:41], v[40:41], v[42:43], -v[44:45]
	v_trig_preop_f64 v[44:45], |v[30:31]|, 2
	v_add_f64 v[38:39], v[38:39], v[64:65]
	v_mul_f64 v[64:65], v[44:45], v[42:43]
	v_add_f64 v[66:67], v[64:65], v[40:41]
	v_add_f64 v[68:69], v[66:67], v[38:39]
	v_add_f64 v[46:47], v[60:61], -v[46:47]
	v_add_f64 v[60:61], v[68:69], -v[66:67]
	;; [unrolled: 1-line block ×5, first 2 shown]
	v_add_f64 v[38:39], v[38:39], v[60:61]
	v_add_f64 v[60:61], v[66:67], -v[64:65]
	v_add_f64 v[40:41], v[40:41], -v[60:61]
	;; [unrolled: 1-line block ×4, first 2 shown]
	v_add_f64 v[40:41], v[40:41], v[60:61]
	v_add_f64 v[46:47], v[48:49], -v[46:47]
	v_add_f64 v[38:39], v[40:41], v[38:39]
	v_fma_f64 v[40:41], v[44:45], v[42:43], -v[64:65]
	v_add_f64 v[48:49], v[46:47], v[68:69]
	v_add_f64 v[38:39], v[40:41], v[38:39]
	v_ldexp_f64 v[40:41], v[62:63], 2
	v_add_f64 v[42:43], v[48:49], v[40:41]
	v_cmp_gt_f64_e64 s[8:9], 0, v[42:43]
	v_cndmask_b32_e64 v3, 0, v55, s[8:9]
	v_add_f64 v[40:41], v[40:41], v[2:3]
	v_add_f64 v[42:43], v[48:49], v[40:41]
	v_cvt_i32_f64_e32 v3, v[42:43]
	v_cvt_f64_i32_e32 v[42:43], v3
	v_add_f64 v[40:41], v[40:41], -v[42:43]
	v_add_f64 v[46:47], v[48:49], -v[46:47]
	v_add_f64 v[42:43], v[48:49], v[40:41]
	v_add_f64 v[46:47], v[68:69], -v[46:47]
	v_add_f64 v[40:41], v[42:43], -v[40:41]
	v_cmp_le_f64_e64 s[8:9], 0.5, v[42:43]
	v_add_f64 v[38:39], v[46:47], v[38:39]
	v_add_f64 v[40:41], v[48:49], -v[40:41]
	v_addc_co_u32_e64 v59, s[10:11], 0, v3, s[8:9]
	v_cndmask_b32_e64 v3, 0, v56, s[8:9]
	v_add_f64 v[38:39], v[38:39], v[40:41]
	v_add_f64 v[40:41], v[42:43], -v[2:3]
	v_add_f64 v[42:43], v[40:41], v[38:39]
	v_add_f64 v[40:41], v[42:43], -v[40:41]
	s_mov_b32 s28, s30
	v_add_f64 v[38:39], v[38:39], -v[40:41]
	v_mul_f64 v[40:41], v[42:43], s[28:29]
	v_fma_f64 v[44:45], v[42:43], s[28:29], -v[40:41]
	s_mov_b32 s37, s35
	v_fmac_f64_e32 v[44:45], s[36:37], v[42:43]
	v_fmac_f64_e32 v[44:45], s[28:29], v[38:39]
	v_add_f64 v[38:39], v[40:41], v[44:45]
	v_add_f64 v[40:41], v[38:39], -v[40:41]
	v_add_f64 v[40:41], v[44:45], -v[40:41]
.LBB112_18:                             ;   in Loop: Header=BB112_4 Depth=1
	s_andn2_saveexec_b64 s[8:9], s[50:51]
	s_cbranch_execz .LBB112_20
; %bb.19:                               ;   in Loop: Header=BB112_4 Depth=1
	v_mul_f64 v[38:39], |v[30:31]|, s[38:39]
	v_rndne_f64_e32 v[42:43], v[38:39]
	v_fma_f64 v[38:39], v[42:43], s[30:31], |v[30:31]|
	v_mul_f64 v[44:45], v[42:43], s[40:41]
	v_add_f64 v[48:49], v[38:39], v[44:45]
	v_fma_f64 v[40:41], s[40:41], v[42:43], v[38:39]
	s_mov_b32 s34, s40
	v_add_f64 v[38:39], v[38:39], -v[48:49]
	v_fma_f64 v[46:47], s[34:35], v[42:43], v[44:45]
	v_add_f64 v[38:39], v[38:39], v[44:45]
	v_add_f64 v[44:45], v[48:49], -v[40:41]
	v_add_f64 v[38:39], v[44:45], v[38:39]
	v_add_f64 v[44:45], v[38:39], -v[46:47]
	v_fmac_f64_e32 v[44:45], s[42:43], v[42:43]
	v_add_f64 v[38:39], v[40:41], v[44:45]
	v_add_f64 v[40:41], v[38:39], -v[40:41]
	v_add_f64 v[40:41], v[44:45], -v[40:41]
	v_cvt_i32_f64_e32 v59, v[42:43]
.LBB112_20:                             ;   in Loop: Header=BB112_4 Depth=1
	s_or_b64 exec, exec, s[8:9]
	v_cmp_nlt_f64_e64 s[8:9], |v[28:29]|, s[22:23]
                                        ; implicit-def: $vgpr60
                                        ; implicit-def: $vgpr42_vgpr43
                                        ; implicit-def: $vgpr44_vgpr45
	s_and_saveexec_b64 s[10:11], s[8:9]
	s_xor_b64 s[50:51], exec, s[10:11]
	s_cbranch_execz .LBB112_22
; %bb.21:                               ;   in Loop: Header=BB112_4 Depth=1
	v_and_b32_e32 v3, 0x7fffffff, v29
	v_ldexp_f64 v[46:47], |v[28:29]|, s58
	v_cmp_ge_f64_e64 s[8:9], |v[28:29]|, s[24:25]
	v_trig_preop_f64 v[42:43], |v[28:29]|, 0
	v_cndmask_b32_e64 v47, v3, v47, s[8:9]
	v_cndmask_b32_e64 v46, v28, v46, s[8:9]
	v_trig_preop_f64 v[44:45], |v[28:29]|, 1
	v_mul_f64 v[60:61], v[42:43], v[46:47]
	v_mul_f64 v[48:49], v[44:45], v[46:47]
	v_fma_f64 v[42:43], v[42:43], v[46:47], -v[60:61]
	v_add_f64 v[62:63], v[48:49], v[42:43]
	v_add_f64 v[64:65], v[60:61], v[62:63]
	v_ldexp_f64 v[66:67], v[64:65], -2
	v_fract_f64_e32 v[68:69], v[66:67]
	v_cmp_neq_f64_e64 s[8:9], |v[66:67]|, s[26:27]
	v_cndmask_b32_e64 v67, 0, v69, s[8:9]
	v_cndmask_b32_e64 v66, 0, v68, s[8:9]
	v_add_f64 v[68:69], v[62:63], -v[48:49]
	v_add_f64 v[42:43], v[42:43], -v[68:69]
	;; [unrolled: 1-line block ×4, first 2 shown]
	v_fma_f64 v[44:45], v[44:45], v[46:47], -v[48:49]
	v_trig_preop_f64 v[48:49], |v[28:29]|, 2
	v_add_f64 v[42:43], v[42:43], v[68:69]
	v_mul_f64 v[68:69], v[48:49], v[46:47]
	v_add_f64 v[70:71], v[68:69], v[44:45]
	v_add_f64 v[72:73], v[70:71], v[42:43]
	v_add_f64 v[60:61], v[64:65], -v[60:61]
	v_add_f64 v[64:65], v[72:73], -v[70:71]
	;; [unrolled: 1-line block ×5, first 2 shown]
	v_add_f64 v[42:43], v[42:43], v[64:65]
	v_add_f64 v[64:65], v[70:71], -v[68:69]
	v_add_f64 v[44:45], v[44:45], -v[64:65]
	;; [unrolled: 1-line block ×4, first 2 shown]
	v_add_f64 v[44:45], v[44:45], v[64:65]
	v_add_f64 v[60:61], v[62:63], -v[60:61]
	v_add_f64 v[42:43], v[44:45], v[42:43]
	v_fma_f64 v[44:45], v[48:49], v[46:47], -v[68:69]
	v_add_f64 v[62:63], v[60:61], v[72:73]
	v_add_f64 v[42:43], v[44:45], v[42:43]
	v_ldexp_f64 v[44:45], v[66:67], 2
	v_add_f64 v[46:47], v[62:63], v[44:45]
	v_cmp_gt_f64_e64 s[8:9], 0, v[46:47]
	v_cndmask_b32_e64 v3, 0, v55, s[8:9]
	v_add_f64 v[44:45], v[44:45], v[2:3]
	v_add_f64 v[46:47], v[62:63], v[44:45]
	v_cvt_i32_f64_e32 v3, v[46:47]
	v_cvt_f64_i32_e32 v[46:47], v3
	v_add_f64 v[44:45], v[44:45], -v[46:47]
	v_add_f64 v[60:61], v[62:63], -v[60:61]
	v_add_f64 v[46:47], v[62:63], v[44:45]
	v_add_f64 v[60:61], v[72:73], -v[60:61]
	v_add_f64 v[44:45], v[46:47], -v[44:45]
	v_cmp_le_f64_e64 s[8:9], 0.5, v[46:47]
	v_add_f64 v[42:43], v[60:61], v[42:43]
	v_add_f64 v[44:45], v[62:63], -v[44:45]
	v_addc_co_u32_e64 v60, s[10:11], 0, v3, s[8:9]
	v_cndmask_b32_e64 v3, 0, v56, s[8:9]
	v_add_f64 v[42:43], v[42:43], v[44:45]
	v_add_f64 v[44:45], v[46:47], -v[2:3]
	v_add_f64 v[46:47], v[44:45], v[42:43]
	v_add_f64 v[44:45], v[46:47], -v[44:45]
	s_mov_b32 s28, s30
	v_add_f64 v[42:43], v[42:43], -v[44:45]
	v_mul_f64 v[44:45], v[46:47], s[28:29]
	v_fma_f64 v[48:49], v[46:47], s[28:29], -v[44:45]
	s_mov_b32 s37, s35
	v_fmac_f64_e32 v[48:49], s[36:37], v[46:47]
	v_fmac_f64_e32 v[48:49], s[28:29], v[42:43]
	v_add_f64 v[42:43], v[44:45], v[48:49]
	v_add_f64 v[44:45], v[42:43], -v[44:45]
	v_add_f64 v[44:45], v[48:49], -v[44:45]
.LBB112_22:                             ;   in Loop: Header=BB112_4 Depth=1
	s_andn2_saveexec_b64 s[8:9], s[50:51]
	s_cbranch_execz .LBB112_24
; %bb.23:                               ;   in Loop: Header=BB112_4 Depth=1
	v_mul_f64 v[42:43], |v[28:29]|, s[38:39]
	v_rndne_f64_e32 v[46:47], v[42:43]
	v_fma_f64 v[42:43], v[46:47], s[30:31], |v[28:29]|
	v_mul_f64 v[48:49], v[46:47], s[40:41]
	v_add_f64 v[62:63], v[42:43], v[48:49]
	v_fma_f64 v[44:45], s[40:41], v[46:47], v[42:43]
	s_mov_b32 s34, s40
	v_add_f64 v[42:43], v[42:43], -v[62:63]
	v_fma_f64 v[60:61], s[34:35], v[46:47], v[48:49]
	v_add_f64 v[42:43], v[42:43], v[48:49]
	v_add_f64 v[48:49], v[62:63], -v[44:45]
	v_add_f64 v[42:43], v[48:49], v[42:43]
	v_add_f64 v[48:49], v[42:43], -v[60:61]
	v_fmac_f64_e32 v[48:49], s[42:43], v[46:47]
	v_add_f64 v[42:43], v[44:45], v[48:49]
	v_add_f64 v[44:45], v[42:43], -v[44:45]
	v_add_f64 v[44:45], v[48:49], -v[44:45]
	v_cvt_i32_f64_e32 v60, v[46:47]
.LBB112_24:                             ;   in Loop: Header=BB112_4 Depth=1
	s_or_b64 exec, exec, s[8:9]
	v_cmp_nlt_f64_e64 s[8:9], |v[26:27]|, s[22:23]
                                        ; implicit-def: $vgpr61
                                        ; implicit-def: $vgpr46_vgpr47
                                        ; implicit-def: $vgpr48_vgpr49
	s_and_saveexec_b64 s[10:11], s[8:9]
	s_xor_b64 s[50:51], exec, s[10:11]
	s_cbranch_execnz .LBB112_30
; %bb.25:                               ;   in Loop: Header=BB112_4 Depth=1
	s_andn2_saveexec_b64 s[8:9], s[50:51]
	s_cbranch_execnz .LBB112_31
.LBB112_26:                             ;   in Loop: Header=BB112_4 Depth=1
	s_or_b64 exec, exec, s[8:9]
	s_and_saveexec_b64 s[8:9], s[6:7]
	s_xor_b64 s[8:9], exec, s[8:9]
	s_cbranch_execnz .LBB112_32
.LBB112_27:                             ;   in Loop: Header=BB112_4 Depth=1
	s_or_b64 exec, exec, s[8:9]
	s_and_saveexec_b64 s[6:7], s[2:3]
	s_cbranch_execnz .LBB112_33
.LBB112_28:                             ;   in Loop: Header=BB112_4 Depth=1
	s_or_b64 exec, exec, s[6:7]
	s_and_saveexec_b64 s[2:3], s[0:1]
	s_cbranch_execnz .LBB112_34
.LBB112_29:                             ;   in Loop: Header=BB112_4 Depth=1
	s_or_b64 exec, exec, s[2:3]
	s_and_saveexec_b64 s[0:1], vcc
	s_cbranch_execz .LBB112_3
	s_branch .LBB112_35
.LBB112_30:                             ;   in Loop: Header=BB112_4 Depth=1
	v_and_b32_e32 v3, 0x7fffffff, v27
	v_ldexp_f64 v[62:63], |v[26:27]|, s58
	v_cmp_ge_f64_e64 s[8:9], |v[26:27]|, s[24:25]
	v_trig_preop_f64 v[46:47], |v[26:27]|, 0
	v_cndmask_b32_e64 v63, v3, v63, s[8:9]
	v_cndmask_b32_e64 v62, v26, v62, s[8:9]
	v_trig_preop_f64 v[48:49], |v[26:27]|, 1
	v_mul_f64 v[66:67], v[46:47], v[62:63]
	v_mul_f64 v[64:65], v[48:49], v[62:63]
	v_fma_f64 v[46:47], v[46:47], v[62:63], -v[66:67]
	v_add_f64 v[68:69], v[64:65], v[46:47]
	v_add_f64 v[70:71], v[66:67], v[68:69]
	v_ldexp_f64 v[72:73], v[70:71], -2
	v_fract_f64_e32 v[74:75], v[72:73]
	v_cmp_neq_f64_e64 s[8:9], |v[72:73]|, s[26:27]
	v_cndmask_b32_e64 v73, 0, v75, s[8:9]
	v_cndmask_b32_e64 v72, 0, v74, s[8:9]
	v_add_f64 v[74:75], v[68:69], -v[64:65]
	v_add_f64 v[46:47], v[46:47], -v[74:75]
	;; [unrolled: 1-line block ×4, first 2 shown]
	v_fma_f64 v[48:49], v[48:49], v[62:63], -v[64:65]
	v_trig_preop_f64 v[64:65], |v[26:27]|, 2
	v_add_f64 v[46:47], v[46:47], v[74:75]
	v_mul_f64 v[74:75], v[64:65], v[62:63]
	v_add_f64 v[76:77], v[74:75], v[48:49]
	v_add_f64 v[78:79], v[76:77], v[46:47]
	v_add_f64 v[66:67], v[70:71], -v[66:67]
	v_add_f64 v[70:71], v[78:79], -v[76:77]
	;; [unrolled: 1-line block ×5, first 2 shown]
	v_add_f64 v[46:47], v[46:47], v[70:71]
	v_add_f64 v[70:71], v[76:77], -v[74:75]
	v_add_f64 v[48:49], v[48:49], -v[70:71]
	;; [unrolled: 1-line block ×4, first 2 shown]
	v_add_f64 v[48:49], v[48:49], v[70:71]
	v_add_f64 v[66:67], v[68:69], -v[66:67]
	v_add_f64 v[46:47], v[48:49], v[46:47]
	v_fma_f64 v[48:49], v[64:65], v[62:63], -v[74:75]
	v_add_f64 v[68:69], v[66:67], v[78:79]
	v_add_f64 v[46:47], v[48:49], v[46:47]
	v_ldexp_f64 v[48:49], v[72:73], 2
	v_add_f64 v[62:63], v[68:69], v[48:49]
	v_cmp_gt_f64_e64 s[8:9], 0, v[62:63]
	v_cndmask_b32_e64 v3, 0, v55, s[8:9]
	v_add_f64 v[48:49], v[48:49], v[2:3]
	v_add_f64 v[62:63], v[68:69], v[48:49]
	v_cvt_i32_f64_e32 v3, v[62:63]
	v_cvt_f64_i32_e32 v[62:63], v3
	v_add_f64 v[48:49], v[48:49], -v[62:63]
	v_add_f64 v[66:67], v[68:69], -v[66:67]
	v_add_f64 v[62:63], v[68:69], v[48:49]
	v_add_f64 v[66:67], v[78:79], -v[66:67]
	v_add_f64 v[48:49], v[62:63], -v[48:49]
	v_cmp_le_f64_e64 s[8:9], 0.5, v[62:63]
	v_add_f64 v[46:47], v[66:67], v[46:47]
	v_add_f64 v[48:49], v[68:69], -v[48:49]
	v_addc_co_u32_e64 v61, s[10:11], 0, v3, s[8:9]
	v_cndmask_b32_e64 v3, 0, v56, s[8:9]
	v_add_f64 v[46:47], v[46:47], v[48:49]
	v_add_f64 v[48:49], v[62:63], -v[2:3]
	v_add_f64 v[62:63], v[48:49], v[46:47]
	v_add_f64 v[48:49], v[62:63], -v[48:49]
	s_mov_b32 s28, s30
	v_add_f64 v[46:47], v[46:47], -v[48:49]
	v_mul_f64 v[48:49], v[62:63], s[28:29]
	v_fma_f64 v[64:65], v[62:63], s[28:29], -v[48:49]
	s_mov_b32 s37, s35
	v_fmac_f64_e32 v[64:65], s[36:37], v[62:63]
	v_fmac_f64_e32 v[64:65], s[28:29], v[46:47]
	v_add_f64 v[46:47], v[48:49], v[64:65]
	v_add_f64 v[48:49], v[46:47], -v[48:49]
	v_add_f64 v[48:49], v[64:65], -v[48:49]
	s_andn2_saveexec_b64 s[8:9], s[50:51]
	s_cbranch_execz .LBB112_26
.LBB112_31:                             ;   in Loop: Header=BB112_4 Depth=1
	v_mul_f64 v[46:47], |v[26:27]|, s[38:39]
	v_rndne_f64_e32 v[62:63], v[46:47]
	v_fma_f64 v[46:47], v[62:63], s[30:31], |v[26:27]|
	v_mul_f64 v[64:65], v[62:63], s[40:41]
	v_add_f64 v[68:69], v[46:47], v[64:65]
	v_fma_f64 v[48:49], s[40:41], v[62:63], v[46:47]
	s_mov_b32 s34, s40
	v_add_f64 v[46:47], v[46:47], -v[68:69]
	v_fma_f64 v[66:67], s[34:35], v[62:63], v[64:65]
	v_add_f64 v[46:47], v[46:47], v[64:65]
	v_add_f64 v[64:65], v[68:69], -v[48:49]
	v_add_f64 v[46:47], v[64:65], v[46:47]
	v_add_f64 v[64:65], v[46:47], -v[66:67]
	v_fmac_f64_e32 v[64:65], s[42:43], v[62:63]
	v_add_f64 v[46:47], v[48:49], v[64:65]
	v_add_f64 v[48:49], v[46:47], -v[48:49]
	v_add_f64 v[48:49], v[64:65], -v[48:49]
	v_cvt_i32_f64_e32 v61, v[62:63]
	s_or_b64 exec, exec, s[8:9]
	s_and_saveexec_b64 s[8:9], s[6:7]
	s_xor_b64 s[8:9], exec, s[8:9]
	s_cbranch_execz .LBB112_27
.LBB112_32:                             ;   in Loop: Header=BB112_4 Depth=1
	v_mul_f64 v[62:63], v[34:35], v[34:35]
	v_pk_mov_b32 v[70:71], v[8:9], v[8:9] op_sel:[0,1]
	v_mul_f64 v[64:65], v[62:63], 0.5
	v_fmac_f64_e32 v[70:71], s[44:45], v[62:63]
	v_pk_mov_b32 v[72:73], v[10:11], v[10:11] op_sel:[0,1]
	v_add_f64 v[66:67], -v[64:65], 1.0
	v_fmac_f64_e32 v[72:73], v[62:63], v[70:71]
	v_pk_mov_b32 v[70:71], v[12:13], v[12:13] op_sel:[0,1]
	v_add_f64 v[68:69], -v[66:67], 1.0
	v_fmac_f64_e32 v[70:71], v[62:63], v[72:73]
	v_pk_mov_b32 v[72:73], v[14:15], v[14:15] op_sel:[0,1]
	v_add_f64 v[64:65], v[68:69], -v[64:65]
	v_fmac_f64_e32 v[72:73], v[62:63], v[70:71]
	v_pk_mov_b32 v[70:71], v[16:17], v[16:17] op_sel:[0,1]
	v_mul_f64 v[68:69], v[62:63], v[62:63]
	v_fmac_f64_e32 v[70:71], v[62:63], v[72:73]
	v_fma_f64 v[64:65], v[34:35], -v[36:37], v[64:65]
	v_fmac_f64_e32 v[64:65], v[68:69], v[70:71]
	v_add_f64 v[64:65], v[66:67], v[64:65]
	v_pk_mov_b32 v[66:67], v[18:19], v[18:19] op_sel:[0,1]
	v_fmac_f64_e32 v[66:67], s[48:49], v[62:63]
	v_pk_mov_b32 v[68:69], v[20:21], v[20:21] op_sel:[0,1]
	v_fmac_f64_e32 v[68:69], v[62:63], v[66:67]
	;; [unrolled: 2-line block ×4, first 2 shown]
	v_mul_f64 v[66:67], v[34:35], -v[62:63]
	v_mul_f64 v[70:71], v[36:37], 0.5
	v_fmac_f64_e32 v[70:71], v[66:67], v[68:69]
	v_fma_f64 v[36:37], v[62:63], v[70:71], -v[36:37]
	v_fmac_f64_e32 v[36:37], s[46:47], v[66:67]
	v_and_b32_e32 v3, 1, v58
	v_add_f64 v[34:35], v[34:35], -v[36:37]
	v_cmp_eq_u32_e64 s[6:7], 0, v3
	v_cndmask_b32_e64 v3, v64, v34, s[6:7]
	v_cndmask_b32_e64 v34, v65, v35, s[6:7]
	v_lshlrev_b32_e32 v35, 30, v58
	v_xor_b32_e32 v35, v35, v33
	v_and_b32_e32 v35, 0x80000000, v35
	v_xor_b32_e32 v34, v34, v35
	v_cmp_class_f64_e64 s[6:7], v[32:33], s59
	v_cndmask_b32_e64 v32, 0, v3, s[6:7]
	v_cndmask_b32_e64 v33, v57, v34, s[6:7]
	global_store_dwordx2 v[4:5], v[32:33], off
	s_or_b64 exec, exec, s[8:9]
	s_and_saveexec_b64 s[6:7], s[2:3]
	s_cbranch_execz .LBB112_28
.LBB112_33:                             ;   in Loop: Header=BB112_4 Depth=1
	v_mul_f64 v[32:33], v[38:39], v[38:39]
	v_pk_mov_b32 v[64:65], v[8:9], v[8:9] op_sel:[0,1]
	v_mul_f64 v[34:35], v[32:33], 0.5
	v_fmac_f64_e32 v[64:65], s[44:45], v[32:33]
	v_pk_mov_b32 v[66:67], v[10:11], v[10:11] op_sel:[0,1]
	v_add_f64 v[36:37], -v[34:35], 1.0
	v_fmac_f64_e32 v[66:67], v[32:33], v[64:65]
	v_pk_mov_b32 v[64:65], v[12:13], v[12:13] op_sel:[0,1]
	v_add_f64 v[62:63], -v[36:37], 1.0
	v_fmac_f64_e32 v[64:65], v[32:33], v[66:67]
	v_pk_mov_b32 v[66:67], v[14:15], v[14:15] op_sel:[0,1]
	v_add_f64 v[34:35], v[62:63], -v[34:35]
	v_fmac_f64_e32 v[66:67], v[32:33], v[64:65]
	v_pk_mov_b32 v[64:65], v[16:17], v[16:17] op_sel:[0,1]
	v_mul_f64 v[62:63], v[32:33], v[32:33]
	v_fmac_f64_e32 v[64:65], v[32:33], v[66:67]
	v_fma_f64 v[34:35], v[38:39], -v[40:41], v[34:35]
	v_fmac_f64_e32 v[34:35], v[62:63], v[64:65]
	v_add_f64 v[34:35], v[36:37], v[34:35]
	v_pk_mov_b32 v[36:37], v[18:19], v[18:19] op_sel:[0,1]
	v_fmac_f64_e32 v[36:37], s[48:49], v[32:33]
	v_pk_mov_b32 v[62:63], v[20:21], v[20:21] op_sel:[0,1]
	v_fmac_f64_e32 v[62:63], v[32:33], v[36:37]
	;; [unrolled: 2-line block ×4, first 2 shown]
	v_mul_f64 v[36:37], v[38:39], -v[32:33]
	v_mul_f64 v[64:65], v[40:41], 0.5
	v_fmac_f64_e32 v[64:65], v[36:37], v[62:63]
	v_fma_f64 v[32:33], v[32:33], v[64:65], -v[40:41]
	v_fmac_f64_e32 v[32:33], s[46:47], v[36:37]
	v_and_b32_e32 v3, 1, v59
	v_add_f64 v[32:33], v[38:39], -v[32:33]
	v_cmp_eq_u32_e64 s[2:3], 0, v3
	v_cndmask_b32_e64 v3, v34, v32, s[2:3]
	v_cndmask_b32_e64 v32, v35, v33, s[2:3]
	v_lshlrev_b32_e32 v33, 30, v59
	v_xor_b32_e32 v33, v33, v31
	v_and_b32_e32 v33, 0x80000000, v33
	v_xor_b32_e32 v32, v32, v33
	v_cmp_class_f64_e64 s[2:3], v[30:31], s59
	v_cndmask_b32_e64 v30, 0, v3, s[2:3]
	v_cndmask_b32_e64 v31, v57, v32, s[2:3]
	global_store_dwordx2 v[6:7], v[30:31], off
	s_or_b64 exec, exec, s[6:7]
	s_and_saveexec_b64 s[2:3], s[0:1]
	s_cbranch_execz .LBB112_29
.LBB112_34:                             ;   in Loop: Header=BB112_4 Depth=1
	v_mul_f64 v[30:31], v[42:43], v[42:43]
	v_pk_mov_b32 v[38:39], v[8:9], v[8:9] op_sel:[0,1]
	v_mul_f64 v[32:33], v[30:31], 0.5
	v_fmac_f64_e32 v[38:39], s[44:45], v[30:31]
	v_pk_mov_b32 v[40:41], v[10:11], v[10:11] op_sel:[0,1]
	v_add_f64 v[34:35], -v[32:33], 1.0
	v_fmac_f64_e32 v[40:41], v[30:31], v[38:39]
	v_pk_mov_b32 v[38:39], v[12:13], v[12:13] op_sel:[0,1]
	v_add_f64 v[36:37], -v[34:35], 1.0
	v_fmac_f64_e32 v[38:39], v[30:31], v[40:41]
	v_pk_mov_b32 v[40:41], v[14:15], v[14:15] op_sel:[0,1]
	v_add_f64 v[32:33], v[36:37], -v[32:33]
	v_fmac_f64_e32 v[40:41], v[30:31], v[38:39]
	v_pk_mov_b32 v[38:39], v[16:17], v[16:17] op_sel:[0,1]
	v_mul_f64 v[36:37], v[30:31], v[30:31]
	v_fmac_f64_e32 v[38:39], v[30:31], v[40:41]
	v_fma_f64 v[32:33], v[42:43], -v[44:45], v[32:33]
	v_fmac_f64_e32 v[32:33], v[36:37], v[38:39]
	v_add_f64 v[32:33], v[34:35], v[32:33]
	v_pk_mov_b32 v[34:35], v[18:19], v[18:19] op_sel:[0,1]
	v_fmac_f64_e32 v[34:35], s[48:49], v[30:31]
	v_pk_mov_b32 v[36:37], v[20:21], v[20:21] op_sel:[0,1]
	v_fmac_f64_e32 v[36:37], v[30:31], v[34:35]
	v_pk_mov_b32 v[34:35], v[22:23], v[22:23] op_sel:[0,1]
	v_fmac_f64_e32 v[34:35], v[30:31], v[36:37]
	v_pk_mov_b32 v[36:37], v[24:25], v[24:25] op_sel:[0,1]
	v_fmac_f64_e32 v[36:37], v[30:31], v[34:35]
	v_mul_f64 v[34:35], v[42:43], -v[30:31]
	v_mul_f64 v[38:39], v[44:45], 0.5
	v_fmac_f64_e32 v[38:39], v[34:35], v[36:37]
	v_fma_f64 v[30:31], v[30:31], v[38:39], -v[44:45]
	v_fmac_f64_e32 v[30:31], s[46:47], v[34:35]
	v_and_b32_e32 v3, 1, v60
	v_add_f64 v[30:31], v[42:43], -v[30:31]
	v_cmp_eq_u32_e64 s[0:1], 0, v3
	v_cndmask_b32_e64 v3, v32, v30, s[0:1]
	v_cndmask_b32_e64 v30, v33, v31, s[0:1]
	v_lshlrev_b32_e32 v31, 30, v60
	v_xor_b32_e32 v31, v31, v29
	v_and_b32_e32 v31, 0x80000000, v31
	v_xor_b32_e32 v30, v30, v31
	v_cmp_class_f64_e64 s[0:1], v[28:29], s59
	v_cndmask_b32_e64 v28, 0, v3, s[0:1]
	v_cndmask_b32_e64 v29, v57, v30, s[0:1]
	v_mov_b32_e32 v3, s57
	v_add_co_u32_e64 v30, s[0:1], s56, v4
	v_addc_co_u32_e64 v31, s[0:1], v5, v3, s[0:1]
	global_store_dwordx2 v[30:31], v[28:29], off
	s_or_b64 exec, exec, s[2:3]
	s_and_saveexec_b64 s[0:1], vcc
	s_cbranch_execz .LBB112_3
.LBB112_35:                             ;   in Loop: Header=BB112_4 Depth=1
	v_mul_f64 v[28:29], v[46:47], v[46:47]
	v_pk_mov_b32 v[36:37], v[8:9], v[8:9] op_sel:[0,1]
	v_mul_f64 v[30:31], v[28:29], 0.5
	v_fmac_f64_e32 v[36:37], s[44:45], v[28:29]
	v_pk_mov_b32 v[38:39], v[10:11], v[10:11] op_sel:[0,1]
	v_add_f64 v[32:33], -v[30:31], 1.0
	v_fmac_f64_e32 v[38:39], v[28:29], v[36:37]
	v_pk_mov_b32 v[36:37], v[12:13], v[12:13] op_sel:[0,1]
	v_add_f64 v[34:35], -v[32:33], 1.0
	v_fmac_f64_e32 v[36:37], v[28:29], v[38:39]
	v_pk_mov_b32 v[38:39], v[14:15], v[14:15] op_sel:[0,1]
	v_add_f64 v[30:31], v[34:35], -v[30:31]
	v_fmac_f64_e32 v[38:39], v[28:29], v[36:37]
	v_pk_mov_b32 v[36:37], v[16:17], v[16:17] op_sel:[0,1]
	v_mul_f64 v[34:35], v[28:29], v[28:29]
	v_fmac_f64_e32 v[36:37], v[28:29], v[38:39]
	v_fma_f64 v[30:31], v[46:47], -v[48:49], v[30:31]
	v_fmac_f64_e32 v[30:31], v[34:35], v[36:37]
	v_add_f64 v[30:31], v[32:33], v[30:31]
	v_pk_mov_b32 v[32:33], v[18:19], v[18:19] op_sel:[0,1]
	v_fmac_f64_e32 v[32:33], s[48:49], v[28:29]
	v_pk_mov_b32 v[34:35], v[20:21], v[20:21] op_sel:[0,1]
	v_fmac_f64_e32 v[34:35], v[28:29], v[32:33]
	;; [unrolled: 2-line block ×4, first 2 shown]
	v_mul_f64 v[32:33], v[46:47], -v[28:29]
	v_mul_f64 v[36:37], v[48:49], 0.5
	v_fmac_f64_e32 v[36:37], v[32:33], v[34:35]
	v_fma_f64 v[28:29], v[28:29], v[36:37], -v[48:49]
	v_fmac_f64_e32 v[28:29], s[46:47], v[32:33]
	v_and_b32_e32 v3, 1, v61
	v_add_f64 v[28:29], v[46:47], -v[28:29]
	v_cmp_eq_u32_e32 vcc, 0, v3
	v_cndmask_b32_e32 v3, v30, v28, vcc
	v_cndmask_b32_e32 v28, v31, v29, vcc
	v_lshlrev_b32_e32 v29, 30, v61
	v_xor_b32_e32 v29, v29, v27
	v_and_b32_e32 v29, 0x80000000, v29
	v_xor_b32_e32 v28, v28, v29
	v_cmp_class_f64_e64 vcc, v[26:27], s59
	v_cndmask_b32_e32 v26, 0, v3, vcc
	v_cndmask_b32_e32 v27, v57, v28, vcc
	v_mov_b32_e32 v3, s55
	v_add_co_u32_e32 v28, vcc, s54, v4
	v_addc_co_u32_e32 v29, vcc, v5, v3, vcc
	global_store_dwordx2 v[28:29], v[26:27], off
	s_branch .LBB112_3
.LBB112_36:
	s_cbranch_execz .LBB112_38
	s_branch .LBB112_57
.LBB112_37:
.LBB112_38:
	v_mov_b32_e32 v8, 0
	v_lshlrev_b32_e32 v2, 2, v0
	v_mov_b32_e32 v3, v8
	s_mov_b32 s33, 0
	v_cmp_gt_i64_e32 vcc, s[12:13], v[2:3]
	s_and_saveexec_b64 s[0:1], vcc
	s_cbranch_execz .LBB112_57
; %bb.39:
	s_load_dword s0, s[4:5], 0xd3c
	v_lshlrev_b32_e32 v1, 5, v0
	s_mov_b32 s4, 0
	s_mov_b32 s6, 0
	;; [unrolled: 1-line block ×3, first 2 shown]
	s_waitcnt lgkmcnt(0)
	s_and_b32 s0, s0, 0xffff
	s_lshl_b32 s56, s0, 2
	s_add_u32 s1, s14, s16
	s_addc_u32 s2, s15, s17
	v_add_lshl_u32 v10, v0, s0, 2
	v_mov_b32_e32 v0, s2
	v_add_co_u32_e32 v1, vcc, s1, v1
	v_addc_co_u32_e32 v0, vcc, 0, v0, vcc
	v_add_co_u32_e32 v12, vcc, 16, v1
	s_mov_b32 s14, 0x54442d18
	s_mov_b32 s20, 0x6dc9c883
	;; [unrolled: 1-line block ×16, first 2 shown]
	v_mov_b32_e32 v11, v8
	v_addc_co_u32_e32 v13, vcc, 0, v0, vcc
	s_lshl_b32 s57, s0, 5
	s_mov_b32 s58, s33
	s_mov_b64 s[2:3], 0
	s_mov_b32 s5, 0x41d00000
	s_mov_b32 s7, 0x7b000000
	s_movk_i32 s59, 0xff80
	s_mov_b32 s9, 0x7ff00000
	s_mov_b32 s11, 0x3ff921fb
	;; [unrolled: 1-line block ×20, first 2 shown]
	s_movk_i32 s60, 0x1f8
	s_mov_b64 s[52:53], 0xffff
	v_mov_b32_e32 v30, 0x40100000
	v_mov_b32_e32 v31, 0x3ff00000
	;; [unrolled: 1-line block ×3, first 2 shown]
	s_branch .LBB112_41
.LBB112_40:                             ;   in Loop: Header=BB112_41 Depth=1
	s_or_b64 exec, exec, s[0:1]
	v_mul_f64 v[38:39], v[22:23], v[22:23]
	v_pk_mov_b32 v[46:47], s[26:27], s[26:27] op_sel:[0,1]
	v_mul_f64 v[40:41], v[38:39], 0.5
	v_fma_f64 v[48:49], s[28:29], v[38:39], v[46:47]
	v_add_f64 v[42:43], -v[40:41], 1.0
	v_fma_f64 v[48:49], v[38:39], v[48:49], s[30:31]
	v_add_f64 v[44:45], -v[42:43], 1.0
	v_fma_f64 v[48:49], v[38:39], v[48:49], s[34:35]
	v_add_f64 v[40:41], v[44:45], -v[40:41]
	v_fma_f64 v[48:49], v[38:39], v[48:49], s[36:37]
	v_mul_f64 v[44:45], v[38:39], v[38:39]
	v_fma_f64 v[48:49], v[38:39], v[48:49], s[38:39]
	v_fma_f64 v[40:41], v[22:23], -v[24:25], v[40:41]
	v_fmac_f64_e32 v[40:41], v[44:45], v[48:49]
	v_add_f64 v[40:41], v[42:43], v[40:41]
	v_pk_mov_b32 v[42:43], s[42:43], s[42:43] op_sel:[0,1]
	v_fma_f64 v[44:45], s[44:45], v[38:39], v[42:43]
	v_fma_f64 v[44:45], v[38:39], v[44:45], s[46:47]
	;; [unrolled: 1-line block ×4, first 2 shown]
	v_mul_f64 v[48:49], v[22:23], -v[38:39]
	v_mul_f64 v[50:51], v[24:25], 0.5
	v_fmac_f64_e32 v[50:51], v[48:49], v[44:45]
	v_fma_f64 v[24:25], v[38:39], v[50:51], -v[24:25]
	v_fmac_f64_e32 v[24:25], s[40:41], v[48:49]
	v_and_b32_e32 v9, 1, v35
	v_add_f64 v[22:23], v[22:23], -v[24:25]
	v_cmp_eq_u32_e32 vcc, 0, v9
	v_cndmask_b32_e32 v9, v40, v22, vcc
	v_cndmask_b32_e32 v22, v41, v23, vcc
	v_lshlrev_b32_e32 v23, 30, v35
	v_xor_b32_e32 v23, v23, v1
	v_and_b32_e32 v23, 0x80000000, v23
	v_xor_b32_e32 v22, v22, v23
	v_cmp_class_f64_e64 vcc, v[0:1], s60
	v_cndmask_b32_e32 v1, v32, v22, vcc
	v_mul_f64 v[22:23], v[18:19], v[18:19]
	v_mul_f64 v[24:25], v[22:23], 0.5
	v_fma_f64 v[44:45], s[28:29], v[22:23], v[46:47]
	v_add_f64 v[38:39], -v[24:25], 1.0
	v_fma_f64 v[44:45], v[22:23], v[44:45], s[30:31]
	v_add_f64 v[40:41], -v[38:39], 1.0
	v_fma_f64 v[44:45], v[22:23], v[44:45], s[34:35]
	v_add_f64 v[24:25], v[40:41], -v[24:25]
	v_fma_f64 v[44:45], v[22:23], v[44:45], s[36:37]
	v_mul_f64 v[40:41], v[22:23], v[22:23]
	v_fma_f64 v[44:45], v[22:23], v[44:45], s[38:39]
	v_fma_f64 v[24:25], v[18:19], -v[20:21], v[24:25]
	v_fmac_f64_e32 v[24:25], v[40:41], v[44:45]
	v_add_f64 v[24:25], v[38:39], v[24:25]
	v_fma_f64 v[38:39], s[44:45], v[22:23], v[42:43]
	v_fma_f64 v[38:39], v[22:23], v[38:39], s[46:47]
	v_fma_f64 v[38:39], v[22:23], v[38:39], s[48:49]
	v_fma_f64 v[38:39], v[22:23], v[38:39], s[50:51]
	v_mul_f64 v[40:41], v[18:19], -v[22:23]
	v_mul_f64 v[44:45], v[20:21], 0.5
	v_fmac_f64_e32 v[44:45], v[40:41], v[38:39]
	v_fma_f64 v[20:21], v[22:23], v[44:45], -v[20:21]
	v_cndmask_b32_e32 v0, 0, v9, vcc
	v_fmac_f64_e32 v[20:21], s[40:41], v[40:41]
	v_and_b32_e32 v9, 1, v34
	v_add_f64 v[18:19], v[18:19], -v[20:21]
	v_cmp_eq_u32_e32 vcc, 0, v9
	v_cndmask_b32_e32 v9, v24, v18, vcc
	v_cndmask_b32_e32 v18, v25, v19, vcc
	v_lshlrev_b32_e32 v19, 30, v34
	v_xor_b32_e32 v19, v19, v7
	v_and_b32_e32 v19, 0x80000000, v19
	v_xor_b32_e32 v18, v18, v19
	v_cmp_class_f64_e64 vcc, v[6:7], s60
	v_cndmask_b32_e32 v7, v32, v18, vcc
	v_mul_f64 v[18:19], v[14:15], v[14:15]
	v_mul_f64 v[20:21], v[18:19], 0.5
	v_fma_f64 v[34:35], s[28:29], v[18:19], v[46:47]
	v_add_f64 v[22:23], -v[20:21], 1.0
	v_fma_f64 v[34:35], v[18:19], v[34:35], s[30:31]
	v_add_f64 v[24:25], -v[22:23], 1.0
	v_fma_f64 v[34:35], v[18:19], v[34:35], s[34:35]
	v_add_f64 v[20:21], v[24:25], -v[20:21]
	v_fma_f64 v[34:35], v[18:19], v[34:35], s[36:37]
	v_mul_f64 v[24:25], v[18:19], v[18:19]
	v_fma_f64 v[34:35], v[18:19], v[34:35], s[38:39]
	v_fma_f64 v[20:21], v[14:15], -v[16:17], v[20:21]
	v_fmac_f64_e32 v[20:21], v[24:25], v[34:35]
	v_add_f64 v[20:21], v[22:23], v[20:21]
	v_fma_f64 v[22:23], s[44:45], v[18:19], v[42:43]
	v_fma_f64 v[22:23], v[18:19], v[22:23], s[46:47]
	v_fma_f64 v[22:23], v[18:19], v[22:23], s[48:49]
	v_fma_f64 v[22:23], v[18:19], v[22:23], s[50:51]
	v_mul_f64 v[24:25], v[14:15], -v[18:19]
	v_mul_f64 v[34:35], v[16:17], 0.5
	v_fmac_f64_e32 v[34:35], v[24:25], v[22:23]
	v_fma_f64 v[16:17], v[18:19], v[34:35], -v[16:17]
	v_cndmask_b32_e32 v6, 0, v9, vcc
	;; [unrolled: 35-line block ×3, first 2 shown]
	v_fmac_f64_e32 v[14:15], s[40:41], v[20:21]
	v_and_b32_e32 v9, 1, v36
	v_add_f64 v[14:15], v[26:27], -v[14:15]
	v_cmp_eq_u32_e32 vcc, 0, v9
	v_cndmask_b32_e32 v9, v16, v14, vcc
	v_cndmask_b32_e32 v14, v17, v15, vcc
	v_lshlrev_b32_e32 v15, 30, v36
	v_xor_b32_e32 v15, v15, v3
	v_and_b32_e32 v15, 0x80000000, v15
	v_xor_b32_e32 v14, v14, v15
	v_cmp_class_f64_e64 vcc, v[2:3], s60
	v_cndmask_b32_e32 v2, 0, v9, vcc
	v_cndmask_b32_e32 v3, v32, v14, vcc
	v_cmp_le_i64_e32 vcc, s[12:13], v[10:11]
	v_cmp_lt_u64_e64 s[0:1], s[52:53], v[10:11]
	global_store_dwordx4 v[12:13], v[4:7], off offset:-16
	global_store_dwordx4 v[12:13], v[0:3], off
	s_or_b64 s[0:1], vcc, s[0:1]
	v_mov_b32_e32 v0, s33
	v_add_co_u32_e32 v10, vcc, s56, v10
	v_addc_co_u32_e32 v11, vcc, v11, v0, vcc
	v_mov_b32_e32 v0, s58
	s_and_b64 s[0:1], exec, s[0:1]
	v_add_co_u32_e32 v12, vcc, s57, v12
	s_or_b64 s[2:3], s[0:1], s[2:3]
	v_addc_co_u32_e32 v13, vcc, v13, v0, vcc
	s_andn2_b64 exec, exec, s[2:3]
	s_cbranch_execz .LBB112_57
.LBB112_41:                             ; =>This Inner Loop Header: Depth=1
	global_load_dwordx4 v[4:7], v[12:13], off offset:-16
	global_load_dwordx4 v[0:3], v[12:13], off
                                        ; implicit-def: $vgpr33
                                        ; implicit-def: $vgpr14_vgpr15
                                        ; implicit-def: $vgpr16_vgpr17
	s_waitcnt vmcnt(1)
	v_cmp_nlt_f64_e64 s[0:1], |v[4:5]|, s[4:5]
	s_and_saveexec_b64 s[54:55], s[0:1]
	s_xor_b64 s[54:55], exec, s[54:55]
	s_cbranch_execz .LBB112_43
; %bb.42:                               ;   in Loop: Header=BB112_41 Depth=1
	v_and_b32_e32 v9, 0x7fffffff, v5
	v_ldexp_f64 v[18:19], |v[4:5]|, s59
	v_cmp_ge_f64_e64 vcc, |v[4:5]|, s[6:7]
	v_trig_preop_f64 v[14:15], |v[4:5]|, 0
	v_cndmask_b32_e32 v19, v9, v19, vcc
	v_cndmask_b32_e32 v18, v4, v18, vcc
	v_trig_preop_f64 v[16:17], |v[4:5]|, 1
	v_mul_f64 v[22:23], v[14:15], v[18:19]
	v_mul_f64 v[20:21], v[16:17], v[18:19]
	v_fma_f64 v[14:15], v[14:15], v[18:19], -v[22:23]
	v_add_f64 v[24:25], v[20:21], v[14:15]
	v_add_f64 v[26:27], v[22:23], v[24:25]
	v_ldexp_f64 v[28:29], v[26:27], -2
	v_fract_f64_e32 v[34:35], v[28:29]
	v_cmp_neq_f64_e64 vcc, |v[28:29]|, s[8:9]
	v_cndmask_b32_e32 v29, 0, v35, vcc
	v_cndmask_b32_e32 v28, 0, v34, vcc
	v_add_f64 v[34:35], v[24:25], -v[20:21]
	v_add_f64 v[14:15], v[14:15], -v[34:35]
	;; [unrolled: 1-line block ×4, first 2 shown]
	v_fma_f64 v[16:17], v[16:17], v[18:19], -v[20:21]
	v_trig_preop_f64 v[20:21], |v[4:5]|, 2
	v_add_f64 v[14:15], v[14:15], v[34:35]
	v_mul_f64 v[34:35], v[20:21], v[18:19]
	v_add_f64 v[36:37], v[34:35], v[16:17]
	v_add_f64 v[38:39], v[36:37], v[14:15]
	v_add_f64 v[22:23], v[26:27], -v[22:23]
	v_add_f64 v[26:27], v[38:39], -v[36:37]
	;; [unrolled: 1-line block ×5, first 2 shown]
	v_add_f64 v[14:15], v[14:15], v[26:27]
	v_add_f64 v[26:27], v[36:37], -v[34:35]
	v_add_f64 v[16:17], v[16:17], -v[26:27]
	;; [unrolled: 1-line block ×4, first 2 shown]
	v_add_f64 v[16:17], v[16:17], v[26:27]
	v_add_f64 v[22:23], v[24:25], -v[22:23]
	v_add_f64 v[14:15], v[16:17], v[14:15]
	v_fma_f64 v[16:17], v[20:21], v[18:19], -v[34:35]
	v_add_f64 v[24:25], v[22:23], v[38:39]
	v_add_f64 v[14:15], v[16:17], v[14:15]
	v_ldexp_f64 v[16:17], v[28:29], 2
	v_add_f64 v[18:19], v[24:25], v[16:17]
	v_cmp_gt_f64_e32 vcc, 0, v[18:19]
	v_cndmask_b32_e32 v9, 0, v30, vcc
	v_add_f64 v[16:17], v[16:17], v[8:9]
	v_add_f64 v[18:19], v[24:25], v[16:17]
	v_cvt_i32_f64_e32 v9, v[18:19]
	v_cvt_f64_i32_e32 v[18:19], v9
	v_add_f64 v[16:17], v[16:17], -v[18:19]
	v_add_f64 v[22:23], v[24:25], -v[22:23]
	v_add_f64 v[18:19], v[24:25], v[16:17]
	v_add_f64 v[22:23], v[38:39], -v[22:23]
	v_add_f64 v[16:17], v[18:19], -v[16:17]
	v_cmp_le_f64_e32 vcc, 0.5, v[18:19]
	v_add_f64 v[14:15], v[22:23], v[14:15]
	v_add_f64 v[16:17], v[24:25], -v[16:17]
	v_addc_co_u32_e64 v33, s[0:1], 0, v9, vcc
	v_cndmask_b32_e32 v9, 0, v31, vcc
	v_add_f64 v[14:15], v[14:15], v[16:17]
	v_add_f64 v[16:17], v[18:19], -v[8:9]
	v_add_f64 v[18:19], v[16:17], v[14:15]
	v_add_f64 v[16:17], v[18:19], -v[16:17]
	s_mov_b32 s10, s14
	v_add_f64 v[14:15], v[14:15], -v[16:17]
	v_mul_f64 v[16:17], v[18:19], s[10:11]
	v_fma_f64 v[20:21], v[18:19], s[10:11], -v[16:17]
	s_mov_b32 s19, s17
	v_fmac_f64_e32 v[20:21], s[18:19], v[18:19]
	v_fmac_f64_e32 v[20:21], s[10:11], v[14:15]
	v_add_f64 v[14:15], v[16:17], v[20:21]
	v_add_f64 v[16:17], v[14:15], -v[16:17]
	v_add_f64 v[16:17], v[20:21], -v[16:17]
.LBB112_43:                             ;   in Loop: Header=BB112_41 Depth=1
	s_andn2_saveexec_b64 s[0:1], s[54:55]
	s_cbranch_execz .LBB112_45
; %bb.44:                               ;   in Loop: Header=BB112_41 Depth=1
	v_mul_f64 v[14:15], |v[4:5]|, s[20:21]
	v_rndne_f64_e32 v[18:19], v[14:15]
	v_fma_f64 v[14:15], v[18:19], s[14:15], |v[4:5]|
	v_mul_f64 v[20:21], v[18:19], s[22:23]
	v_add_f64 v[24:25], v[14:15], v[20:21]
	v_fma_f64 v[16:17], s[22:23], v[18:19], v[14:15]
	s_mov_b32 s16, s22
	v_add_f64 v[14:15], v[14:15], -v[24:25]
	v_fma_f64 v[22:23], s[16:17], v[18:19], v[20:21]
	v_add_f64 v[14:15], v[14:15], v[20:21]
	v_add_f64 v[20:21], v[24:25], -v[16:17]
	v_add_f64 v[14:15], v[20:21], v[14:15]
	v_add_f64 v[20:21], v[14:15], -v[22:23]
	v_fmac_f64_e32 v[20:21], s[24:25], v[18:19]
	v_add_f64 v[14:15], v[16:17], v[20:21]
	v_add_f64 v[16:17], v[14:15], -v[16:17]
	v_add_f64 v[16:17], v[20:21], -v[16:17]
	v_cvt_i32_f64_e32 v33, v[18:19]
.LBB112_45:                             ;   in Loop: Header=BB112_41 Depth=1
	s_or_b64 exec, exec, s[0:1]
	v_cmp_nlt_f64_e64 s[0:1], |v[6:7]|, s[4:5]
                                        ; implicit-def: $vgpr34
                                        ; implicit-def: $vgpr18_vgpr19
                                        ; implicit-def: $vgpr20_vgpr21
	s_and_saveexec_b64 s[54:55], s[0:1]
	s_xor_b64 s[54:55], exec, s[54:55]
	s_cbranch_execz .LBB112_47
; %bb.46:                               ;   in Loop: Header=BB112_41 Depth=1
	v_and_b32_e32 v9, 0x7fffffff, v7
	v_ldexp_f64 v[22:23], |v[6:7]|, s59
	v_cmp_ge_f64_e64 vcc, |v[6:7]|, s[6:7]
	v_trig_preop_f64 v[18:19], |v[6:7]|, 0
	v_cndmask_b32_e32 v23, v9, v23, vcc
	v_cndmask_b32_e32 v22, v6, v22, vcc
	v_trig_preop_f64 v[20:21], |v[6:7]|, 1
	v_mul_f64 v[26:27], v[18:19], v[22:23]
	v_mul_f64 v[24:25], v[20:21], v[22:23]
	v_fma_f64 v[18:19], v[18:19], v[22:23], -v[26:27]
	v_add_f64 v[28:29], v[24:25], v[18:19]
	v_add_f64 v[34:35], v[26:27], v[28:29]
	v_ldexp_f64 v[36:37], v[34:35], -2
	v_fract_f64_e32 v[38:39], v[36:37]
	v_cmp_neq_f64_e64 vcc, |v[36:37]|, s[8:9]
	v_cndmask_b32_e32 v37, 0, v39, vcc
	v_cndmask_b32_e32 v36, 0, v38, vcc
	v_add_f64 v[38:39], v[28:29], -v[24:25]
	v_add_f64 v[18:19], v[18:19], -v[38:39]
	;; [unrolled: 1-line block ×4, first 2 shown]
	v_fma_f64 v[20:21], v[20:21], v[22:23], -v[24:25]
	v_trig_preop_f64 v[24:25], |v[6:7]|, 2
	v_add_f64 v[18:19], v[18:19], v[38:39]
	v_mul_f64 v[38:39], v[24:25], v[22:23]
	v_add_f64 v[40:41], v[38:39], v[20:21]
	v_add_f64 v[42:43], v[40:41], v[18:19]
	v_add_f64 v[26:27], v[34:35], -v[26:27]
	v_add_f64 v[34:35], v[42:43], -v[40:41]
	;; [unrolled: 1-line block ×5, first 2 shown]
	v_add_f64 v[18:19], v[18:19], v[34:35]
	v_add_f64 v[34:35], v[40:41], -v[38:39]
	v_add_f64 v[20:21], v[20:21], -v[34:35]
	;; [unrolled: 1-line block ×4, first 2 shown]
	v_add_f64 v[20:21], v[20:21], v[34:35]
	v_add_f64 v[26:27], v[28:29], -v[26:27]
	v_add_f64 v[18:19], v[20:21], v[18:19]
	v_fma_f64 v[20:21], v[24:25], v[22:23], -v[38:39]
	v_add_f64 v[28:29], v[26:27], v[42:43]
	v_add_f64 v[18:19], v[20:21], v[18:19]
	v_ldexp_f64 v[20:21], v[36:37], 2
	v_add_f64 v[22:23], v[28:29], v[20:21]
	v_cmp_gt_f64_e32 vcc, 0, v[22:23]
	v_cndmask_b32_e32 v9, 0, v30, vcc
	v_add_f64 v[20:21], v[20:21], v[8:9]
	v_add_f64 v[22:23], v[28:29], v[20:21]
	v_cvt_i32_f64_e32 v9, v[22:23]
	v_cvt_f64_i32_e32 v[22:23], v9
	v_add_f64 v[20:21], v[20:21], -v[22:23]
	v_add_f64 v[26:27], v[28:29], -v[26:27]
	v_add_f64 v[22:23], v[28:29], v[20:21]
	v_add_f64 v[26:27], v[42:43], -v[26:27]
	v_add_f64 v[20:21], v[22:23], -v[20:21]
	v_cmp_le_f64_e32 vcc, 0.5, v[22:23]
	v_add_f64 v[18:19], v[26:27], v[18:19]
	v_add_f64 v[20:21], v[28:29], -v[20:21]
	v_addc_co_u32_e64 v34, s[0:1], 0, v9, vcc
	v_cndmask_b32_e32 v9, 0, v31, vcc
	v_add_f64 v[18:19], v[18:19], v[20:21]
	v_add_f64 v[20:21], v[22:23], -v[8:9]
	v_add_f64 v[22:23], v[20:21], v[18:19]
	v_add_f64 v[20:21], v[22:23], -v[20:21]
	s_mov_b32 s10, s14
	v_add_f64 v[18:19], v[18:19], -v[20:21]
	v_mul_f64 v[20:21], v[22:23], s[10:11]
	v_fma_f64 v[24:25], v[22:23], s[10:11], -v[20:21]
	s_mov_b32 s19, s17
	v_fmac_f64_e32 v[24:25], s[18:19], v[22:23]
	v_fmac_f64_e32 v[24:25], s[10:11], v[18:19]
	v_add_f64 v[18:19], v[20:21], v[24:25]
	v_add_f64 v[20:21], v[18:19], -v[20:21]
	v_add_f64 v[20:21], v[24:25], -v[20:21]
.LBB112_47:                             ;   in Loop: Header=BB112_41 Depth=1
	s_andn2_saveexec_b64 s[0:1], s[54:55]
	s_cbranch_execz .LBB112_49
; %bb.48:                               ;   in Loop: Header=BB112_41 Depth=1
	v_mul_f64 v[18:19], |v[6:7]|, s[20:21]
	v_rndne_f64_e32 v[22:23], v[18:19]
	v_fma_f64 v[18:19], v[22:23], s[14:15], |v[6:7]|
	v_mul_f64 v[24:25], v[22:23], s[22:23]
	v_add_f64 v[28:29], v[18:19], v[24:25]
	v_fma_f64 v[20:21], s[22:23], v[22:23], v[18:19]
	s_mov_b32 s16, s22
	v_add_f64 v[18:19], v[18:19], -v[28:29]
	v_fma_f64 v[26:27], s[16:17], v[22:23], v[24:25]
	v_add_f64 v[18:19], v[18:19], v[24:25]
	v_add_f64 v[24:25], v[28:29], -v[20:21]
	v_add_f64 v[18:19], v[24:25], v[18:19]
	v_add_f64 v[24:25], v[18:19], -v[26:27]
	v_fmac_f64_e32 v[24:25], s[24:25], v[22:23]
	v_add_f64 v[18:19], v[20:21], v[24:25]
	v_add_f64 v[20:21], v[18:19], -v[20:21]
	v_add_f64 v[20:21], v[24:25], -v[20:21]
	v_cvt_i32_f64_e32 v34, v[22:23]
.LBB112_49:                             ;   in Loop: Header=BB112_41 Depth=1
	s_or_b64 exec, exec, s[0:1]
	s_waitcnt vmcnt(0)
	v_cmp_nlt_f64_e64 s[0:1], |v[0:1]|, s[4:5]
                                        ; implicit-def: $vgpr35
                                        ; implicit-def: $vgpr22_vgpr23
                                        ; implicit-def: $vgpr24_vgpr25
	s_and_saveexec_b64 s[54:55], s[0:1]
	s_xor_b64 s[54:55], exec, s[54:55]
	s_cbranch_execz .LBB112_51
; %bb.50:                               ;   in Loop: Header=BB112_41 Depth=1
	v_and_b32_e32 v9, 0x7fffffff, v1
	v_ldexp_f64 v[26:27], |v[0:1]|, s59
	v_cmp_ge_f64_e64 vcc, |v[0:1]|, s[6:7]
	v_trig_preop_f64 v[22:23], |v[0:1]|, 0
	v_cndmask_b32_e32 v27, v9, v27, vcc
	v_cndmask_b32_e32 v26, v0, v26, vcc
	v_trig_preop_f64 v[24:25], |v[0:1]|, 1
	v_mul_f64 v[36:37], v[22:23], v[26:27]
	v_mul_f64 v[28:29], v[24:25], v[26:27]
	v_fma_f64 v[22:23], v[22:23], v[26:27], -v[36:37]
	v_add_f64 v[38:39], v[28:29], v[22:23]
	v_add_f64 v[40:41], v[36:37], v[38:39]
	v_ldexp_f64 v[42:43], v[40:41], -2
	v_fract_f64_e32 v[44:45], v[42:43]
	v_cmp_neq_f64_e64 vcc, |v[42:43]|, s[8:9]
	v_cndmask_b32_e32 v43, 0, v45, vcc
	v_cndmask_b32_e32 v42, 0, v44, vcc
	v_add_f64 v[44:45], v[38:39], -v[28:29]
	v_add_f64 v[22:23], v[22:23], -v[44:45]
	;; [unrolled: 1-line block ×4, first 2 shown]
	v_fma_f64 v[24:25], v[24:25], v[26:27], -v[28:29]
	v_trig_preop_f64 v[28:29], |v[0:1]|, 2
	v_add_f64 v[22:23], v[22:23], v[44:45]
	v_mul_f64 v[44:45], v[28:29], v[26:27]
	v_add_f64 v[46:47], v[44:45], v[24:25]
	v_add_f64 v[48:49], v[46:47], v[22:23]
	v_add_f64 v[36:37], v[40:41], -v[36:37]
	v_add_f64 v[40:41], v[48:49], -v[46:47]
	;; [unrolled: 1-line block ×5, first 2 shown]
	v_add_f64 v[22:23], v[22:23], v[40:41]
	v_add_f64 v[40:41], v[46:47], -v[44:45]
	v_add_f64 v[24:25], v[24:25], -v[40:41]
	;; [unrolled: 1-line block ×4, first 2 shown]
	v_add_f64 v[24:25], v[24:25], v[40:41]
	v_add_f64 v[36:37], v[38:39], -v[36:37]
	v_add_f64 v[22:23], v[24:25], v[22:23]
	v_fma_f64 v[24:25], v[28:29], v[26:27], -v[44:45]
	v_add_f64 v[38:39], v[36:37], v[48:49]
	v_add_f64 v[22:23], v[24:25], v[22:23]
	v_ldexp_f64 v[24:25], v[42:43], 2
	v_add_f64 v[26:27], v[38:39], v[24:25]
	v_cmp_gt_f64_e32 vcc, 0, v[26:27]
	v_cndmask_b32_e32 v9, 0, v30, vcc
	v_add_f64 v[24:25], v[24:25], v[8:9]
	v_add_f64 v[26:27], v[38:39], v[24:25]
	v_cvt_i32_f64_e32 v9, v[26:27]
	v_cvt_f64_i32_e32 v[26:27], v9
	v_add_f64 v[24:25], v[24:25], -v[26:27]
	v_add_f64 v[36:37], v[38:39], -v[36:37]
	v_add_f64 v[26:27], v[38:39], v[24:25]
	v_add_f64 v[36:37], v[48:49], -v[36:37]
	v_add_f64 v[24:25], v[26:27], -v[24:25]
	v_cmp_le_f64_e32 vcc, 0.5, v[26:27]
	v_add_f64 v[22:23], v[36:37], v[22:23]
	v_add_f64 v[24:25], v[38:39], -v[24:25]
	v_addc_co_u32_e64 v35, s[0:1], 0, v9, vcc
	v_cndmask_b32_e32 v9, 0, v31, vcc
	v_add_f64 v[22:23], v[22:23], v[24:25]
	v_add_f64 v[24:25], v[26:27], -v[8:9]
	v_add_f64 v[26:27], v[24:25], v[22:23]
	v_add_f64 v[24:25], v[26:27], -v[24:25]
	s_mov_b32 s10, s14
	v_add_f64 v[22:23], v[22:23], -v[24:25]
	v_mul_f64 v[24:25], v[26:27], s[10:11]
	v_fma_f64 v[28:29], v[26:27], s[10:11], -v[24:25]
	s_mov_b32 s19, s17
	v_fmac_f64_e32 v[28:29], s[18:19], v[26:27]
	v_fmac_f64_e32 v[28:29], s[10:11], v[22:23]
	v_add_f64 v[22:23], v[24:25], v[28:29]
	v_add_f64 v[24:25], v[22:23], -v[24:25]
	v_add_f64 v[24:25], v[28:29], -v[24:25]
.LBB112_51:                             ;   in Loop: Header=BB112_41 Depth=1
	s_andn2_saveexec_b64 s[0:1], s[54:55]
	s_cbranch_execz .LBB112_53
; %bb.52:                               ;   in Loop: Header=BB112_41 Depth=1
	v_mul_f64 v[22:23], |v[0:1]|, s[20:21]
	v_rndne_f64_e32 v[26:27], v[22:23]
	v_fma_f64 v[22:23], v[26:27], s[14:15], |v[0:1]|
	v_mul_f64 v[28:29], v[26:27], s[22:23]
	v_add_f64 v[38:39], v[22:23], v[28:29]
	v_fma_f64 v[24:25], s[22:23], v[26:27], v[22:23]
	s_mov_b32 s16, s22
	v_add_f64 v[22:23], v[22:23], -v[38:39]
	v_fma_f64 v[36:37], s[16:17], v[26:27], v[28:29]
	v_add_f64 v[22:23], v[22:23], v[28:29]
	v_add_f64 v[28:29], v[38:39], -v[24:25]
	v_add_f64 v[22:23], v[28:29], v[22:23]
	v_add_f64 v[28:29], v[22:23], -v[36:37]
	v_fmac_f64_e32 v[28:29], s[24:25], v[26:27]
	v_add_f64 v[22:23], v[24:25], v[28:29]
	v_add_f64 v[24:25], v[22:23], -v[24:25]
	v_add_f64 v[24:25], v[28:29], -v[24:25]
	v_cvt_i32_f64_e32 v35, v[26:27]
.LBB112_53:                             ;   in Loop: Header=BB112_41 Depth=1
	s_or_b64 exec, exec, s[0:1]
	v_cmp_nlt_f64_e64 s[0:1], |v[2:3]|, s[4:5]
                                        ; implicit-def: $vgpr36
                                        ; implicit-def: $vgpr26_vgpr27
                                        ; implicit-def: $vgpr28_vgpr29
	s_and_saveexec_b64 s[54:55], s[0:1]
	s_xor_b64 s[54:55], exec, s[54:55]
	s_cbranch_execz .LBB112_55
; %bb.54:                               ;   in Loop: Header=BB112_41 Depth=1
	v_and_b32_e32 v9, 0x7fffffff, v3
	v_ldexp_f64 v[36:37], |v[2:3]|, s59
	v_cmp_ge_f64_e64 vcc, |v[2:3]|, s[6:7]
	v_trig_preop_f64 v[26:27], |v[2:3]|, 0
	v_cndmask_b32_e32 v37, v9, v37, vcc
	v_cndmask_b32_e32 v36, v2, v36, vcc
	v_trig_preop_f64 v[28:29], |v[2:3]|, 1
	v_mul_f64 v[40:41], v[26:27], v[36:37]
	v_mul_f64 v[38:39], v[28:29], v[36:37]
	v_fma_f64 v[26:27], v[26:27], v[36:37], -v[40:41]
	v_add_f64 v[42:43], v[38:39], v[26:27]
	v_add_f64 v[44:45], v[40:41], v[42:43]
	v_ldexp_f64 v[46:47], v[44:45], -2
	v_fract_f64_e32 v[48:49], v[46:47]
	v_cmp_neq_f64_e64 vcc, |v[46:47]|, s[8:9]
	v_cndmask_b32_e32 v47, 0, v49, vcc
	v_cndmask_b32_e32 v46, 0, v48, vcc
	v_add_f64 v[48:49], v[42:43], -v[38:39]
	v_add_f64 v[26:27], v[26:27], -v[48:49]
	;; [unrolled: 1-line block ×4, first 2 shown]
	v_fma_f64 v[28:29], v[28:29], v[36:37], -v[38:39]
	v_trig_preop_f64 v[38:39], |v[2:3]|, 2
	v_add_f64 v[26:27], v[26:27], v[48:49]
	v_mul_f64 v[48:49], v[38:39], v[36:37]
	v_add_f64 v[50:51], v[48:49], v[28:29]
	v_add_f64 v[52:53], v[50:51], v[26:27]
	v_add_f64 v[40:41], v[44:45], -v[40:41]
	v_add_f64 v[44:45], v[52:53], -v[50:51]
	;; [unrolled: 1-line block ×5, first 2 shown]
	v_add_f64 v[26:27], v[26:27], v[44:45]
	v_add_f64 v[44:45], v[50:51], -v[48:49]
	v_add_f64 v[28:29], v[28:29], -v[44:45]
	;; [unrolled: 1-line block ×4, first 2 shown]
	v_add_f64 v[28:29], v[28:29], v[44:45]
	v_add_f64 v[40:41], v[42:43], -v[40:41]
	v_add_f64 v[26:27], v[28:29], v[26:27]
	v_fma_f64 v[28:29], v[38:39], v[36:37], -v[48:49]
	v_add_f64 v[42:43], v[40:41], v[52:53]
	v_add_f64 v[26:27], v[28:29], v[26:27]
	v_ldexp_f64 v[28:29], v[46:47], 2
	v_add_f64 v[36:37], v[42:43], v[28:29]
	v_cmp_gt_f64_e32 vcc, 0, v[36:37]
	v_cndmask_b32_e32 v9, 0, v30, vcc
	v_add_f64 v[28:29], v[28:29], v[8:9]
	v_add_f64 v[36:37], v[42:43], v[28:29]
	v_cvt_i32_f64_e32 v9, v[36:37]
	v_cvt_f64_i32_e32 v[36:37], v9
	v_add_f64 v[28:29], v[28:29], -v[36:37]
	v_add_f64 v[40:41], v[42:43], -v[40:41]
	v_add_f64 v[38:39], v[42:43], v[28:29]
	v_add_f64 v[40:41], v[52:53], -v[40:41]
	v_add_f64 v[28:29], v[38:39], -v[28:29]
	v_cmp_le_f64_e32 vcc, 0.5, v[38:39]
	v_add_f64 v[26:27], v[40:41], v[26:27]
	v_add_f64 v[28:29], v[42:43], -v[28:29]
	v_addc_co_u32_e64 v36, s[0:1], 0, v9, vcc
	v_cndmask_b32_e32 v9, 0, v31, vcc
	v_add_f64 v[26:27], v[26:27], v[28:29]
	v_add_f64 v[28:29], v[38:39], -v[8:9]
	v_add_f64 v[38:39], v[28:29], v[26:27]
	v_add_f64 v[28:29], v[38:39], -v[28:29]
	s_mov_b32 s10, s14
	v_add_f64 v[26:27], v[26:27], -v[28:29]
	v_mul_f64 v[28:29], v[38:39], s[10:11]
	v_fma_f64 v[40:41], v[38:39], s[10:11], -v[28:29]
	s_mov_b32 s19, s17
	v_fmac_f64_e32 v[40:41], s[18:19], v[38:39]
	v_fmac_f64_e32 v[40:41], s[10:11], v[26:27]
	v_add_f64 v[26:27], v[28:29], v[40:41]
	v_add_f64 v[28:29], v[26:27], -v[28:29]
	v_add_f64 v[28:29], v[40:41], -v[28:29]
.LBB112_55:                             ;   in Loop: Header=BB112_41 Depth=1
	s_andn2_saveexec_b64 s[0:1], s[54:55]
	s_cbranch_execz .LBB112_40
; %bb.56:                               ;   in Loop: Header=BB112_41 Depth=1
	v_mul_f64 v[26:27], |v[2:3]|, s[20:21]
	v_rndne_f64_e32 v[36:37], v[26:27]
	v_fma_f64 v[26:27], v[36:37], s[14:15], |v[2:3]|
	v_mul_f64 v[38:39], v[36:37], s[22:23]
	v_add_f64 v[42:43], v[26:27], v[38:39]
	v_fma_f64 v[28:29], s[22:23], v[36:37], v[26:27]
	s_mov_b32 s16, s22
	v_add_f64 v[26:27], v[26:27], -v[42:43]
	v_fma_f64 v[40:41], s[16:17], v[36:37], v[38:39]
	v_add_f64 v[26:27], v[26:27], v[38:39]
	v_add_f64 v[38:39], v[42:43], -v[28:29]
	v_add_f64 v[26:27], v[38:39], v[26:27]
	v_add_f64 v[38:39], v[26:27], -v[40:41]
	v_fmac_f64_e32 v[38:39], s[24:25], v[36:37]
	v_add_f64 v[26:27], v[28:29], v[38:39]
	v_add_f64 v[28:29], v[26:27], -v[28:29]
	v_add_f64 v[28:29], v[38:39], -v[28:29]
	v_cvt_i32_f64_e32 v36, v[36:37]
	s_branch .LBB112_40
.LBB112_57:
	s_endpgm
	.section	.rodata,"a",@progbits
	.p2align	6, 0x0
	.amdhsa_kernel _ZN2at6native12_GLOBAL__N_125multi_tensor_apply_kernelINS1_18TensorListMetadataILi1EEENS1_14UnaryOpFunctorIdLi1ELi1ELi0EEEJNS0_3SinIdEEEEEvT_T0_DpT1_
		.amdhsa_group_segment_fixed_size 0
		.amdhsa_private_segment_fixed_size 0
		.amdhsa_kernarg_size 3632
		.amdhsa_user_sgpr_count 6
		.amdhsa_user_sgpr_private_segment_buffer 1
		.amdhsa_user_sgpr_dispatch_ptr 0
		.amdhsa_user_sgpr_queue_ptr 0
		.amdhsa_user_sgpr_kernarg_segment_ptr 1
		.amdhsa_user_sgpr_dispatch_id 0
		.amdhsa_user_sgpr_flat_scratch_init 0
		.amdhsa_user_sgpr_kernarg_preload_length 0
		.amdhsa_user_sgpr_kernarg_preload_offset 0
		.amdhsa_user_sgpr_private_segment_size 0
		.amdhsa_uses_dynamic_stack 0
		.amdhsa_system_sgpr_private_segment_wavefront_offset 0
		.amdhsa_system_sgpr_workgroup_id_x 1
		.amdhsa_system_sgpr_workgroup_id_y 0
		.amdhsa_system_sgpr_workgroup_id_z 0
		.amdhsa_system_sgpr_workgroup_info 0
		.amdhsa_system_vgpr_workitem_id 0
		.amdhsa_next_free_vgpr 80
		.amdhsa_next_free_sgpr 61
		.amdhsa_accum_offset 80
		.amdhsa_reserve_vcc 1
		.amdhsa_reserve_flat_scratch 0
		.amdhsa_float_round_mode_32 0
		.amdhsa_float_round_mode_16_64 0
		.amdhsa_float_denorm_mode_32 3
		.amdhsa_float_denorm_mode_16_64 3
		.amdhsa_dx10_clamp 1
		.amdhsa_ieee_mode 1
		.amdhsa_fp16_overflow 0
		.amdhsa_tg_split 0
		.amdhsa_exception_fp_ieee_invalid_op 0
		.amdhsa_exception_fp_denorm_src 0
		.amdhsa_exception_fp_ieee_div_zero 0
		.amdhsa_exception_fp_ieee_overflow 0
		.amdhsa_exception_fp_ieee_underflow 0
		.amdhsa_exception_fp_ieee_inexact 0
		.amdhsa_exception_int_div_zero 0
	.end_amdhsa_kernel
	.section	.text._ZN2at6native12_GLOBAL__N_125multi_tensor_apply_kernelINS1_18TensorListMetadataILi1EEENS1_14UnaryOpFunctorIdLi1ELi1ELi0EEEJNS0_3SinIdEEEEEvT_T0_DpT1_,"axG",@progbits,_ZN2at6native12_GLOBAL__N_125multi_tensor_apply_kernelINS1_18TensorListMetadataILi1EEENS1_14UnaryOpFunctorIdLi1ELi1ELi0EEEJNS0_3SinIdEEEEEvT_T0_DpT1_,comdat
.Lfunc_end112:
	.size	_ZN2at6native12_GLOBAL__N_125multi_tensor_apply_kernelINS1_18TensorListMetadataILi1EEENS1_14UnaryOpFunctorIdLi1ELi1ELi0EEEJNS0_3SinIdEEEEEvT_T0_DpT1_, .Lfunc_end112-_ZN2at6native12_GLOBAL__N_125multi_tensor_apply_kernelINS1_18TensorListMetadataILi1EEENS1_14UnaryOpFunctorIdLi1ELi1ELi0EEEJNS0_3SinIdEEEEEvT_T0_DpT1_
                                        ; -- End function
	.section	.AMDGPU.csdata,"",@progbits
; Kernel info:
; codeLenInByte = 9528
; NumSgprs: 65
; NumVgprs: 80
; NumAgprs: 0
; TotalNumVgprs: 80
; ScratchSize: 0
; MemoryBound: 0
; FloatMode: 240
; IeeeMode: 1
; LDSByteSize: 0 bytes/workgroup (compile time only)
; SGPRBlocks: 8
; VGPRBlocks: 9
; NumSGPRsForWavesPerEU: 65
; NumVGPRsForWavesPerEU: 80
; AccumOffset: 80
; Occupancy: 6
; WaveLimiterHint : 0
; COMPUTE_PGM_RSRC2:SCRATCH_EN: 0
; COMPUTE_PGM_RSRC2:USER_SGPR: 6
; COMPUTE_PGM_RSRC2:TRAP_HANDLER: 0
; COMPUTE_PGM_RSRC2:TGID_X_EN: 1
; COMPUTE_PGM_RSRC2:TGID_Y_EN: 0
; COMPUTE_PGM_RSRC2:TGID_Z_EN: 0
; COMPUTE_PGM_RSRC2:TIDIG_COMP_CNT: 0
; COMPUTE_PGM_RSRC3_GFX90A:ACCUM_OFFSET: 19
; COMPUTE_PGM_RSRC3_GFX90A:TG_SPLIT: 0
	.section	.text._ZN2at6native12_GLOBAL__N_125multi_tensor_apply_kernelINS1_18TensorListMetadataILi1EEENS1_14UnaryOpFunctorIfLi1ELi1ELi0EEEJNS0_3SinIfEEEEEvT_T0_DpT1_,"axG",@progbits,_ZN2at6native12_GLOBAL__N_125multi_tensor_apply_kernelINS1_18TensorListMetadataILi1EEENS1_14UnaryOpFunctorIfLi1ELi1ELi0EEEJNS0_3SinIfEEEEEvT_T0_DpT1_,comdat
	.globl	_ZN2at6native12_GLOBAL__N_125multi_tensor_apply_kernelINS1_18TensorListMetadataILi1EEENS1_14UnaryOpFunctorIfLi1ELi1ELi0EEEJNS0_3SinIfEEEEEvT_T0_DpT1_ ; -- Begin function _ZN2at6native12_GLOBAL__N_125multi_tensor_apply_kernelINS1_18TensorListMetadataILi1EEENS1_14UnaryOpFunctorIfLi1ELi1ELi0EEEJNS0_3SinIfEEEEEvT_T0_DpT1_
	.p2align	8
	.type	_ZN2at6native12_GLOBAL__N_125multi_tensor_apply_kernelINS1_18TensorListMetadataILi1EEENS1_14UnaryOpFunctorIfLi1ELi1ELi0EEEJNS0_3SinIfEEEEEvT_T0_DpT1_,@function
_ZN2at6native12_GLOBAL__N_125multi_tensor_apply_kernelINS1_18TensorListMetadataILi1EEENS1_14UnaryOpFunctorIfLi1ELi1ELi0EEEJNS0_3SinIfEEEEEvT_T0_DpT1_: ; @_ZN2at6native12_GLOBAL__N_125multi_tensor_apply_kernelINS1_18TensorListMetadataILi1EEENS1_14UnaryOpFunctorIfLi1ELi1ELi0EEEJNS0_3SinIfEEEEEvT_T0_DpT1_
; %bb.0:
	v_mov_b32_e32 v1, s6
	global_load_ubyte v1, v1, s[4:5] offset:1760
	s_add_u32 s0, s4, s6
	s_mul_hi_u32 s1, s6, 3
	s_mul_i32 s6, s6, 3
	s_addc_u32 s2, s5, 0
	s_add_u32 s0, s0, s6
	s_addc_u32 s1, s2, s1
	s_load_dword s0, s[0:1], 0x820
	s_mov_b32 s7, 0
	s_waitcnt vmcnt(0)
	v_readfirstlane_b32 s2, v1
	s_lshl_b32 s1, s2, 3
	s_load_dwordx2 s[2:3], s[4:5], s1 offset:0x370
	s_load_dwordx2 s[18:19], s[4:5], s1 offset:0x0
	s_waitcnt lgkmcnt(0)
	s_ashr_i32 s1, s0, 31
	s_lshl_b64 s[20:21], s[0:1], 18
	s_lshl_b64 s[0:1], s[0:1], 16
	s_and_b32 s6, s18, 15
	s_sub_u32 s16, s2, s0
	s_subb_u32 s17, s3, s1
	s_and_b32 s0, s2, 3
	s_mov_b32 s1, s7
	s_or_b64 s[0:1], s[6:7], s[0:1]
	s_cmp_eq_u64 s[0:1], 0
	s_cbranch_scc1 .LBB113_37
; %bb.1:
	v_cmp_lt_i64_e64 s[0:1], s[16:17], 1
	s_and_b64 vcc, exec, s[0:1]
	s_cbranch_vccnz .LBB113_36
; %bb.2:
	s_load_dword s0, s[4:5], 0xd3c
	v_mov_b32_e32 v4, 0x10000
	v_mov_b32_e32 v5, 0
	v_cmp_lt_u64_e32 vcc, s[16:17], v[4:5]
	v_lshlrev_b32_e32 v1, 2, v0
	s_waitcnt lgkmcnt(0)
	s_and_b32 s2, s0, 0xffff
	s_and_b64 s[0:1], vcc, exec
	s_cselect_b32 s23, s17, 0
	s_cselect_b32 s22, s16, 0x10000
	s_lshl_b32 s3, s2, 1
	s_lshl_b32 s29, s2, 2
	s_add_u32 s6, s18, s20
	s_addc_u32 s7, s19, s21
	v_mov_b32_e32 v2, s7
	v_add_co_u32_e32 v4, vcc, s6, v1
	s_mul_i32 s0, s2, 3
	v_addc_co_u32_e32 v5, vcc, 0, v2, vcc
	v_add_co_u32_e32 v1, vcc, s0, v0
	v_addc_co_u32_e64 v8, s[0:1], 0, 0, vcc
	v_add_co_u32_e32 v9, vcc, s3, v0
	v_addc_co_u32_e64 v10, s[0:1], 0, 0, vcc
	v_add_co_u32_e32 v11, vcc, s2, v0
	v_lshlrev_b32_e32 v2, 2, v11
	s_mov_b32 s28, 0
	v_addc_co_u32_e64 v12, s[0:1], 0, 0, vcc
	v_mov_b32_e32 v7, s7
	v_add_co_u32_e32 v6, vcc, s6, v2
	v_mov_b32_e32 v3, 0
	s_lshl_b32 s30, s2, 4
	s_mul_i32 s31, s2, 12
	s_mov_b32 s33, s28
	s_lshl_b32 s34, s2, 3
	s_mov_b32 s35, s28
	v_addc_co_u32_e32 v7, vcc, 0, v7, vcc
	s_mov_b64 s[24:25], 0
	s_brev_b32 s36, 18
	s_mov_b32 s37, 0xfe5163ab
	s_mov_b32 s38, 0x3c439041
	;; [unrolled: 1-line block ×10, first 2 shown]
	v_mov_b32_e32 v13, 0xbe2aaa9d
	v_mov_b32_e32 v14, 0x3d2aabf7
	;; [unrolled: 1-line block ×3, first 2 shown]
	s_movk_i32 s47, 0x1f8
	v_not_b32_e32 v16, 63
	v_not_b32_e32 v17, 31
	v_mov_b32_e32 v18, 0x7fc00000
	s_branch .LBB113_4
.LBB113_3:                              ;   in Loop: Header=BB113_4 Depth=1
	s_or_b64 exec, exec, s[0:1]
	s_add_u32 s24, s24, s29
	s_addc_u32 s25, s25, 0
	v_pk_mov_b32 v[20:21], s[16:17], s[16:17] op_sel:[0,1]
	v_cmp_ge_i64_e32 vcc, s[24:25], v[20:21]
	v_mov_b32_e32 v20, 0xffff
	v_mov_b32_e32 v21, 0
	v_cmp_gt_u64_e64 s[0:1], s[24:25], v[20:21]
	s_or_b64 s[0:1], vcc, s[0:1]
	v_mov_b32_e32 v2, s28
	v_add_co_u32_e32 v4, vcc, s30, v4
	v_addc_co_u32_e32 v5, vcc, v5, v2, vcc
	v_add_co_u32_e32 v6, vcc, s30, v6
	v_addc_co_u32_e32 v7, vcc, v7, v2, vcc
	s_and_b64 vcc, exec, s[0:1]
	s_cbranch_vccnz .LBB113_36
.LBB113_4:                              ; =>This Inner Loop Header: Depth=1
	v_mov_b32_e32 v2, s25
	v_add_co_u32_e32 v20, vcc, s24, v0
	v_addc_co_u32_e32 v21, vcc, 0, v2, vcc
	v_cmp_gt_u64_e64 s[6:7], s[22:23], v[20:21]
	v_mov_b32_e32 v22, 0
	s_and_saveexec_b64 s[0:1], s[6:7]
	s_cbranch_execz .LBB113_6
; %bb.5:                                ;   in Loop: Header=BB113_4 Depth=1
	global_load_dword v22, v[4:5], off
.LBB113_6:                              ;   in Loop: Header=BB113_4 Depth=1
	s_or_b64 exec, exec, s[0:1]
	v_mov_b32_e32 v2, s25
	v_add_co_u32_e32 v20, vcc, s24, v11
	v_addc_co_u32_e32 v21, vcc, v12, v2, vcc
	v_cmp_gt_u64_e64 s[2:3], s[22:23], v[20:21]
	v_mov_b32_e32 v21, 0
	s_and_saveexec_b64 s[0:1], s[2:3]
	s_cbranch_execz .LBB113_8
; %bb.7:                                ;   in Loop: Header=BB113_4 Depth=1
	global_load_dword v21, v[6:7], off
.LBB113_8:                              ;   in Loop: Header=BB113_4 Depth=1
	s_or_b64 exec, exec, s[0:1]
	v_mov_b32_e32 v2, s25
	v_add_co_u32_e32 v24, vcc, s24, v9
	v_addc_co_u32_e32 v25, vcc, v10, v2, vcc
	v_cmp_gt_u64_e64 s[0:1], s[22:23], v[24:25]
	v_mov_b32_e32 v19, 0
	v_mov_b32_e32 v20, 0
	s_and_saveexec_b64 s[8:9], s[0:1]
	s_cbranch_execz .LBB113_10
; %bb.9:                                ;   in Loop: Header=BB113_4 Depth=1
	v_mov_b32_e32 v2, s35
	v_add_co_u32_e32 v24, vcc, s34, v4
	v_addc_co_u32_e32 v25, vcc, v5, v2, vcc
	global_load_dword v20, v[24:25], off
.LBB113_10:                             ;   in Loop: Header=BB113_4 Depth=1
	s_or_b64 exec, exec, s[8:9]
	v_mov_b32_e32 v2, s25
	v_add_co_u32_e32 v24, vcc, s24, v1
	v_addc_co_u32_e32 v25, vcc, v8, v2, vcc
	v_cmp_gt_u64_e32 vcc, s[22:23], v[24:25]
	s_and_saveexec_b64 s[10:11], vcc
	s_cbranch_execz .LBB113_12
; %bb.11:                               ;   in Loop: Header=BB113_4 Depth=1
	v_mov_b32_e32 v2, s33
	v_add_co_u32_e64 v24, s[8:9], s31, v4
	v_addc_co_u32_e64 v25, s[8:9], v5, v2, s[8:9]
	global_load_dword v19, v[24:25], off
.LBB113_12:                             ;   in Loop: Header=BB113_4 Depth=1
	s_or_b64 exec, exec, s[10:11]
	s_waitcnt vmcnt(0)
	v_and_b32_e32 v23, 0x7fffffff, v22
	v_cmp_nlt_f32_e64 s[8:9], |v22|, s36
                                        ; implicit-def: $vgpr24
                                        ; implicit-def: $vgpr25
	s_and_saveexec_b64 s[10:11], s[8:9]
	s_xor_b64 s[26:27], exec, s[10:11]
	s_cbranch_execz .LBB113_14
; %bb.13:                               ;   in Loop: Header=BB113_4 Depth=1
	v_lshrrev_b32_e32 v2, 23, v23
	v_add_u32_e32 v2, 0xffffff88, v2
	v_cmp_lt_u32_e64 s[8:9], 63, v2
	v_cndmask_b32_e64 v24, 0, v16, s[8:9]
	v_add_u32_e32 v2, v24, v2
	v_cmp_lt_u32_e64 s[10:11], 31, v2
	v_cndmask_b32_e64 v24, 0, v17, s[10:11]
	;; [unrolled: 3-line block ×3, first 2 shown]
	v_add_u32_e32 v38, v24, v2
	v_and_b32_e32 v2, 0x7fffff, v23
	v_or_b32_e32 v36, 0x800000, v2
	v_mad_u64_u32 v[24:25], s[14:15], v36, s37, 0
	v_mov_b32_e32 v2, v25
	v_mad_u64_u32 v[26:27], s[14:15], v36, s38, v[2:3]
	v_mov_b32_e32 v2, v27
	;; [unrolled: 2-line block ×6, first 2 shown]
	v_mad_u64_u32 v[36:37], s[14:15], v36, s43, v[2:3]
	v_cndmask_b32_e64 v25, v34, v30, s[8:9]
	v_cndmask_b32_e64 v2, v36, v32, s[8:9]
	;; [unrolled: 1-line block ×10, first 2 shown]
	v_sub_u32_e32 v31, 32, v38
	v_cndmask_b32_e64 v29, v29, v26, s[10:11]
	v_alignbit_b32 v32, v2, v27, v31
	v_cmp_eq_u32_e64 s[14:15], 0, v38
	v_cndmask_b32_e64 v25, v25, v29, s[12:13]
	v_cndmask_b32_e64 v24, v28, v24, s[8:9]
	;; [unrolled: 1-line block ×3, first 2 shown]
	v_alignbit_b32 v30, v27, v25, v31
	v_cndmask_b32_e64 v24, v26, v24, s[10:11]
	v_cndmask_b32_e64 v27, v30, v27, s[14:15]
	v_bfe_u32 v33, v2, 29, 1
	v_cndmask_b32_e64 v24, v29, v24, s[12:13]
	v_alignbit_b32 v30, v2, v27, 30
	v_sub_u32_e32 v34, 0, v33
	v_alignbit_b32 v26, v25, v24, v31
	v_xor_b32_e32 v35, v30, v34
	v_cndmask_b32_e64 v25, v26, v25, s[14:15]
	v_alignbit_b32 v26, v27, v25, 30
	v_ffbh_u32_e32 v27, v35
	v_add_u32_e32 v27, 1, v27
	v_cmp_ne_u32_e64 s[8:9], v30, v34
	v_cndmask_b32_e64 v27, 33, v27, s[8:9]
	v_alignbit_b32 v24, v25, v24, 30
	v_xor_b32_e32 v26, v26, v34
	v_sub_u32_e32 v28, 32, v27
	v_xor_b32_e32 v24, v24, v34
	v_alignbit_b32 v29, v35, v26, v28
	v_alignbit_b32 v24, v26, v24, v28
	;; [unrolled: 1-line block ×3, first 2 shown]
	v_ffbh_u32_e32 v26, v25
	v_min_u32_e32 v26, 32, v26
	v_lshrrev_b32_e32 v32, 29, v2
	v_sub_u32_e32 v28, 31, v26
	v_alignbit_b32 v24, v25, v24, v28
	v_lshlrev_b32_e32 v25, 31, v32
	v_or_b32_e32 v28, 0x33800000, v25
	v_add_lshl_u32 v26, v26, v27, 23
	v_lshrrev_b32_e32 v24, 9, v24
	v_sub_u32_e32 v26, v28, v26
	v_or_b32_e32 v24, v26, v24
	v_alignbit_b32 v26, v27, v29, 9
	v_or_b32_e32 v25, v26, v25
	v_xor_b32_e32 v25, 1.0, v25
	v_mul_f32_e32 v26, 0x3fc90fda, v25
	v_fma_f32 v27, v25, s44, -v26
	v_fmac_f32_e32 v27, 0x33a22168, v25
	v_fmac_f32_e32 v27, 0x3fc90fda, v24
	v_lshrrev_b32_e32 v2, 30, v2
	v_add_f32_e32 v25, v26, v27
	v_add_u32_e32 v24, v33, v2
.LBB113_14:                             ;   in Loop: Header=BB113_4 Depth=1
	s_andn2_saveexec_b64 s[8:9], s[26:27]
; %bb.15:                               ;   in Loop: Header=BB113_4 Depth=1
	v_mul_f32_e64 v2, |v22|, s45
	v_rndne_f32_e32 v2, v2
	v_cvt_i32_f32_e32 v24, v2
	v_fma_f32 v25, v2, s46, |v22|
	v_fmac_f32_e32 v25, 0xb3a22168, v2
	v_fmac_f32_e32 v25, 0xa7c234c4, v2
; %bb.16:                               ;   in Loop: Header=BB113_4 Depth=1
	s_or_b64 exec, exec, s[8:9]
	v_and_b32_e32 v26, 0x7fffffff, v21
	v_cmp_nlt_f32_e64 s[8:9], |v21|, s36
                                        ; implicit-def: $vgpr27
                                        ; implicit-def: $vgpr28
	s_and_saveexec_b64 s[10:11], s[8:9]
	s_xor_b64 s[26:27], exec, s[10:11]
	s_cbranch_execz .LBB113_18
; %bb.17:                               ;   in Loop: Header=BB113_4 Depth=1
	v_lshrrev_b32_e32 v2, 23, v26
	v_add_u32_e32 v2, 0xffffff88, v2
	v_cmp_lt_u32_e64 s[8:9], 63, v2
	v_cndmask_b32_e64 v27, 0, v16, s[8:9]
	v_add_u32_e32 v2, v27, v2
	v_cmp_lt_u32_e64 s[10:11], 31, v2
	v_cndmask_b32_e64 v27, 0, v17, s[10:11]
	;; [unrolled: 3-line block ×3, first 2 shown]
	v_add_u32_e32 v27, v27, v2
	v_and_b32_e32 v2, 0x7fffff, v26
	v_or_b32_e32 v40, 0x800000, v2
	v_mad_u64_u32 v[28:29], s[14:15], v40, s37, 0
	v_mov_b32_e32 v2, v29
	v_mad_u64_u32 v[30:31], s[14:15], v40, s38, v[2:3]
	v_mov_b32_e32 v2, v31
	;; [unrolled: 2-line block ×6, first 2 shown]
	v_mad_u64_u32 v[40:41], s[14:15], v40, s43, v[2:3]
	v_cndmask_b32_e64 v29, v38, v34, s[8:9]
	v_cndmask_b32_e64 v2, v40, v36, s[8:9]
	;; [unrolled: 1-line block ×7, first 2 shown]
	v_sub_u32_e32 v35, 32, v27
	v_cmp_eq_u32_e64 s[14:15], 0, v27
	v_cndmask_b32_e64 v27, v34, v30, s[8:9]
	v_cndmask_b32_e64 v2, v2, v31, s[12:13]
	;; [unrolled: 1-line block ×4, first 2 shown]
	v_alignbit_b32 v36, v2, v31, v35
	v_cndmask_b32_e64 v29, v29, v30, s[12:13]
	v_cndmask_b32_e64 v2, v36, v2, s[14:15]
	v_alignbit_b32 v33, v31, v29, v35
	v_cndmask_b32_e64 v31, v33, v31, s[14:15]
	v_bfe_u32 v36, v2, 29, 1
	v_cndmask_b32_e64 v28, v32, v28, s[8:9]
	v_alignbit_b32 v33, v2, v31, 30
	v_sub_u32_e32 v37, 0, v36
	v_cndmask_b32_e64 v27, v27, v28, s[10:11]
	v_xor_b32_e32 v38, v33, v37
	v_cndmask_b32_e64 v27, v30, v27, s[12:13]
	v_alignbit_b32 v28, v29, v27, v35
	v_ffbh_u32_e32 v30, v38
	v_cndmask_b32_e64 v28, v28, v29, s[14:15]
	v_add_u32_e32 v30, 1, v30
	v_cmp_ne_u32_e64 s[8:9], v33, v37
	v_alignbit_b32 v29, v31, v28, 30
	v_cndmask_b32_e64 v30, 33, v30, s[8:9]
	v_alignbit_b32 v27, v28, v27, 30
	v_xor_b32_e32 v29, v29, v37
	v_sub_u32_e32 v31, 32, v30
	v_xor_b32_e32 v27, v27, v37
	v_alignbit_b32 v32, v38, v29, v31
	v_alignbit_b32 v27, v29, v27, v31
	;; [unrolled: 1-line block ×3, first 2 shown]
	v_ffbh_u32_e32 v29, v28
	v_min_u32_e32 v29, 32, v29
	v_lshrrev_b32_e32 v34, 29, v2
	v_sub_u32_e32 v31, 31, v29
	v_alignbit_b32 v27, v28, v27, v31
	v_lshlrev_b32_e32 v28, 31, v34
	v_or_b32_e32 v31, 0x33800000, v28
	v_add_lshl_u32 v29, v29, v30, 23
	v_lshrrev_b32_e32 v27, 9, v27
	v_sub_u32_e32 v29, v31, v29
	v_or_b32_e32 v27, v29, v27
	v_alignbit_b32 v29, v30, v32, 9
	v_or_b32_e32 v28, v29, v28
	v_xor_b32_e32 v28, 1.0, v28
	v_mul_f32_e32 v29, 0x3fc90fda, v28
	v_fma_f32 v30, v28, s44, -v29
	v_fmac_f32_e32 v30, 0x33a22168, v28
	v_fmac_f32_e32 v30, 0x3fc90fda, v27
	v_lshrrev_b32_e32 v2, 30, v2
	v_add_f32_e32 v28, v29, v30
	v_add_u32_e32 v27, v36, v2
.LBB113_18:                             ;   in Loop: Header=BB113_4 Depth=1
	s_andn2_saveexec_b64 s[8:9], s[26:27]
; %bb.19:                               ;   in Loop: Header=BB113_4 Depth=1
	v_mul_f32_e64 v2, |v21|, s45
	v_rndne_f32_e32 v2, v2
	v_cvt_i32_f32_e32 v27, v2
	v_fma_f32 v28, v2, s46, |v21|
	v_fmac_f32_e32 v28, 0xb3a22168, v2
	v_fmac_f32_e32 v28, 0xa7c234c4, v2
; %bb.20:                               ;   in Loop: Header=BB113_4 Depth=1
	s_or_b64 exec, exec, s[8:9]
	v_and_b32_e32 v29, 0x7fffffff, v20
	v_cmp_nlt_f32_e64 s[8:9], |v20|, s36
                                        ; implicit-def: $vgpr30
                                        ; implicit-def: $vgpr31
	s_and_saveexec_b64 s[10:11], s[8:9]
	s_xor_b64 s[26:27], exec, s[10:11]
	s_cbranch_execz .LBB113_22
; %bb.21:                               ;   in Loop: Header=BB113_4 Depth=1
	v_lshrrev_b32_e32 v2, 23, v29
	v_add_u32_e32 v2, 0xffffff88, v2
	v_cmp_lt_u32_e64 s[8:9], 63, v2
	v_cndmask_b32_e64 v30, 0, v16, s[8:9]
	v_add_u32_e32 v2, v30, v2
	v_cmp_lt_u32_e64 s[10:11], 31, v2
	v_cndmask_b32_e64 v30, 0, v17, s[10:11]
	;; [unrolled: 3-line block ×3, first 2 shown]
	v_add_u32_e32 v44, v30, v2
	v_and_b32_e32 v2, 0x7fffff, v29
	v_or_b32_e32 v42, 0x800000, v2
	v_mad_u64_u32 v[30:31], s[14:15], v42, s37, 0
	v_mov_b32_e32 v2, v31
	v_mad_u64_u32 v[32:33], s[14:15], v42, s38, v[2:3]
	v_mov_b32_e32 v2, v33
	;; [unrolled: 2-line block ×6, first 2 shown]
	v_mad_u64_u32 v[42:43], s[14:15], v42, s43, v[2:3]
	v_cndmask_b32_e64 v31, v40, v36, s[8:9]
	v_cndmask_b32_e64 v2, v42, v38, s[8:9]
	;; [unrolled: 1-line block ×10, first 2 shown]
	v_sub_u32_e32 v37, 32, v44
	v_cndmask_b32_e64 v35, v35, v32, s[10:11]
	v_alignbit_b32 v38, v2, v33, v37
	v_cmp_eq_u32_e64 s[14:15], 0, v44
	v_cndmask_b32_e64 v31, v31, v35, s[12:13]
	v_cndmask_b32_e64 v30, v34, v30, s[8:9]
	;; [unrolled: 1-line block ×3, first 2 shown]
	v_alignbit_b32 v36, v33, v31, v37
	v_cndmask_b32_e64 v30, v32, v30, s[10:11]
	v_cndmask_b32_e64 v33, v36, v33, s[14:15]
	v_bfe_u32 v39, v2, 29, 1
	v_cndmask_b32_e64 v30, v35, v30, s[12:13]
	v_alignbit_b32 v36, v2, v33, 30
	v_sub_u32_e32 v40, 0, v39
	v_alignbit_b32 v32, v31, v30, v37
	v_xor_b32_e32 v41, v36, v40
	v_cndmask_b32_e64 v31, v32, v31, s[14:15]
	v_alignbit_b32 v32, v33, v31, 30
	v_ffbh_u32_e32 v33, v41
	v_add_u32_e32 v33, 1, v33
	v_cmp_ne_u32_e64 s[8:9], v36, v40
	v_cndmask_b32_e64 v33, 33, v33, s[8:9]
	v_alignbit_b32 v30, v31, v30, 30
	v_xor_b32_e32 v32, v32, v40
	v_sub_u32_e32 v34, 32, v33
	v_xor_b32_e32 v30, v30, v40
	v_alignbit_b32 v35, v41, v32, v34
	v_alignbit_b32 v30, v32, v30, v34
	;; [unrolled: 1-line block ×3, first 2 shown]
	v_ffbh_u32_e32 v32, v31
	v_min_u32_e32 v32, 32, v32
	v_lshrrev_b32_e32 v38, 29, v2
	v_sub_u32_e32 v34, 31, v32
	v_alignbit_b32 v30, v31, v30, v34
	v_lshlrev_b32_e32 v31, 31, v38
	v_or_b32_e32 v34, 0x33800000, v31
	v_add_lshl_u32 v32, v32, v33, 23
	v_lshrrev_b32_e32 v30, 9, v30
	v_sub_u32_e32 v32, v34, v32
	v_or_b32_e32 v30, v32, v30
	v_alignbit_b32 v32, v33, v35, 9
	v_or_b32_e32 v31, v32, v31
	v_xor_b32_e32 v31, 1.0, v31
	v_mul_f32_e32 v32, 0x3fc90fda, v31
	v_fma_f32 v33, v31, s44, -v32
	v_fmac_f32_e32 v33, 0x33a22168, v31
	v_fmac_f32_e32 v33, 0x3fc90fda, v30
	v_lshrrev_b32_e32 v2, 30, v2
	v_add_f32_e32 v31, v32, v33
	v_add_u32_e32 v30, v39, v2
.LBB113_22:                             ;   in Loop: Header=BB113_4 Depth=1
	s_andn2_saveexec_b64 s[8:9], s[26:27]
; %bb.23:                               ;   in Loop: Header=BB113_4 Depth=1
	v_mul_f32_e64 v2, |v20|, s45
	v_rndne_f32_e32 v2, v2
	v_cvt_i32_f32_e32 v30, v2
	v_fma_f32 v31, v2, s46, |v20|
	v_fmac_f32_e32 v31, 0xb3a22168, v2
	v_fmac_f32_e32 v31, 0xa7c234c4, v2
; %bb.24:                               ;   in Loop: Header=BB113_4 Depth=1
	s_or_b64 exec, exec, s[8:9]
	v_and_b32_e32 v32, 0x7fffffff, v19
	v_cmp_nlt_f32_e64 s[8:9], |v19|, s36
                                        ; implicit-def: $vgpr2
                                        ; implicit-def: $vgpr33
	s_and_saveexec_b64 s[10:11], s[8:9]
	s_xor_b64 s[26:27], exec, s[10:11]
	s_cbranch_execnz .LBB113_30
; %bb.25:                               ;   in Loop: Header=BB113_4 Depth=1
	s_andn2_saveexec_b64 s[8:9], s[26:27]
	s_cbranch_execnz .LBB113_31
.LBB113_26:                             ;   in Loop: Header=BB113_4 Depth=1
	s_or_b64 exec, exec, s[8:9]
	s_and_saveexec_b64 s[8:9], s[6:7]
	s_xor_b64 s[8:9], exec, s[8:9]
	s_cbranch_execnz .LBB113_32
.LBB113_27:                             ;   in Loop: Header=BB113_4 Depth=1
	s_or_b64 exec, exec, s[8:9]
	s_and_saveexec_b64 s[6:7], s[2:3]
	s_cbranch_execnz .LBB113_33
.LBB113_28:                             ;   in Loop: Header=BB113_4 Depth=1
	s_or_b64 exec, exec, s[6:7]
	s_and_saveexec_b64 s[2:3], s[0:1]
	s_cbranch_execnz .LBB113_34
.LBB113_29:                             ;   in Loop: Header=BB113_4 Depth=1
	s_or_b64 exec, exec, s[2:3]
	s_and_saveexec_b64 s[0:1], vcc
	s_cbranch_execz .LBB113_3
	s_branch .LBB113_35
.LBB113_30:                             ;   in Loop: Header=BB113_4 Depth=1
	v_lshrrev_b32_e32 v2, 23, v32
	v_add_u32_e32 v2, 0xffffff88, v2
	v_cmp_lt_u32_e64 s[8:9], 63, v2
	v_cndmask_b32_e64 v33, 0, v16, s[8:9]
	v_add_u32_e32 v2, v33, v2
	v_cmp_lt_u32_e64 s[10:11], 31, v2
	v_cndmask_b32_e64 v33, 0, v17, s[10:11]
	;; [unrolled: 3-line block ×3, first 2 shown]
	v_add_u32_e32 v33, v33, v2
	v_and_b32_e32 v2, 0x7fffff, v32
	v_or_b32_e32 v46, 0x800000, v2
	v_mad_u64_u32 v[34:35], s[14:15], v46, s37, 0
	v_mov_b32_e32 v2, v35
	v_mad_u64_u32 v[36:37], s[14:15], v46, s38, v[2:3]
	v_mov_b32_e32 v2, v37
	;; [unrolled: 2-line block ×6, first 2 shown]
	v_mad_u64_u32 v[46:47], s[14:15], v46, s43, v[2:3]
	v_cndmask_b32_e64 v35, v44, v40, s[8:9]
	v_cndmask_b32_e64 v2, v46, v42, s[8:9]
	;; [unrolled: 1-line block ×7, first 2 shown]
	v_sub_u32_e32 v41, 32, v33
	v_cmp_eq_u32_e64 s[14:15], 0, v33
	v_cndmask_b32_e64 v33, v40, v36, s[8:9]
	v_cndmask_b32_e64 v2, v2, v37, s[12:13]
	;; [unrolled: 1-line block ×4, first 2 shown]
	v_alignbit_b32 v42, v2, v37, v41
	v_cndmask_b32_e64 v35, v35, v36, s[12:13]
	v_cndmask_b32_e64 v2, v42, v2, s[14:15]
	v_alignbit_b32 v39, v37, v35, v41
	v_cndmask_b32_e64 v37, v39, v37, s[14:15]
	v_bfe_u32 v42, v2, 29, 1
	v_cndmask_b32_e64 v34, v38, v34, s[8:9]
	v_alignbit_b32 v39, v2, v37, 30
	v_sub_u32_e32 v43, 0, v42
	v_cndmask_b32_e64 v33, v33, v34, s[10:11]
	v_xor_b32_e32 v44, v39, v43
	v_cndmask_b32_e64 v33, v36, v33, s[12:13]
	v_alignbit_b32 v34, v35, v33, v41
	v_ffbh_u32_e32 v36, v44
	v_cndmask_b32_e64 v34, v34, v35, s[14:15]
	v_add_u32_e32 v36, 1, v36
	v_cmp_ne_u32_e64 s[8:9], v39, v43
	v_alignbit_b32 v35, v37, v34, 30
	v_cndmask_b32_e64 v36, 33, v36, s[8:9]
	v_alignbit_b32 v33, v34, v33, 30
	v_xor_b32_e32 v35, v35, v43
	v_sub_u32_e32 v37, 32, v36
	v_xor_b32_e32 v33, v33, v43
	v_alignbit_b32 v38, v44, v35, v37
	v_alignbit_b32 v33, v35, v33, v37
	;; [unrolled: 1-line block ×3, first 2 shown]
	v_ffbh_u32_e32 v35, v34
	v_min_u32_e32 v35, 32, v35
	v_lshrrev_b32_e32 v40, 29, v2
	v_sub_u32_e32 v37, 31, v35
	v_alignbit_b32 v33, v34, v33, v37
	v_lshlrev_b32_e32 v34, 31, v40
	v_or_b32_e32 v37, 0x33800000, v34
	v_add_lshl_u32 v35, v35, v36, 23
	v_lshrrev_b32_e32 v33, 9, v33
	v_sub_u32_e32 v35, v37, v35
	v_or_b32_e32 v33, v35, v33
	v_alignbit_b32 v35, v36, v38, 9
	v_or_b32_e32 v34, v35, v34
	v_xor_b32_e32 v34, 1.0, v34
	v_mul_f32_e32 v35, 0x3fc90fda, v34
	v_fma_f32 v36, v34, s44, -v35
	v_fmac_f32_e32 v36, 0x33a22168, v34
	v_fmac_f32_e32 v36, 0x3fc90fda, v33
	v_lshrrev_b32_e32 v2, 30, v2
	v_add_f32_e32 v33, v35, v36
	v_add_u32_e32 v2, v42, v2
	s_andn2_saveexec_b64 s[8:9], s[26:27]
	s_cbranch_execz .LBB113_26
.LBB113_31:                             ;   in Loop: Header=BB113_4 Depth=1
	v_mul_f32_e64 v2, |v19|, s45
	v_rndne_f32_e32 v34, v2
	v_cvt_i32_f32_e32 v2, v34
	v_fma_f32 v33, v34, s46, |v19|
	v_fmac_f32_e32 v33, 0xb3a22168, v34
	v_fmac_f32_e32 v33, 0xa7c234c4, v34
	s_or_b64 exec, exec, s[8:9]
	s_and_saveexec_b64 s[8:9], s[6:7]
	s_xor_b64 s[8:9], exec, s[8:9]
	s_cbranch_execz .LBB113_27
.LBB113_32:                             ;   in Loop: Header=BB113_4 Depth=1
	v_mul_f32_e32 v34, v25, v25
	v_mov_b32_e32 v35, 0x3c0881c4
	v_fmac_f32_e32 v35, 0xb94c1982, v34
	v_fma_f32 v35, v34, v35, v13
	v_mul_f32_e32 v35, v34, v35
	v_fmac_f32_e32 v25, v25, v35
	v_mov_b32_e32 v35, 0xbab64f3b
	v_fmac_f32_e32 v35, 0x37d75334, v34
	v_fma_f32 v35, v34, v35, v14
	v_fma_f32 v35, v34, v35, v15
	v_fma_f32 v34, v34, v35, 1.0
	v_and_b32_e32 v35, 1, v24
	v_lshlrev_b32_e32 v24, 30, v24
	v_cmp_eq_u32_e64 s[6:7], 0, v35
	v_and_b32_e32 v24, 0x80000000, v24
	v_xor_b32_e32 v23, v23, v22
	v_cndmask_b32_e64 v25, v34, v25, s[6:7]
	v_xor_b32_e32 v23, v23, v24
	v_xor_b32_e32 v23, v23, v25
	v_cmp_class_f32_e64 s[6:7], v22, s47
	v_cndmask_b32_e64 v22, v18, v23, s[6:7]
	global_store_dword v[4:5], v22, off
	s_or_b64 exec, exec, s[8:9]
	s_and_saveexec_b64 s[6:7], s[2:3]
	s_cbranch_execz .LBB113_28
.LBB113_33:                             ;   in Loop: Header=BB113_4 Depth=1
	v_mul_f32_e32 v22, v28, v28
	v_mov_b32_e32 v23, 0x3c0881c4
	v_fmac_f32_e32 v23, 0xb94c1982, v22
	v_fma_f32 v23, v22, v23, v13
	v_mul_f32_e32 v23, v22, v23
	v_fmac_f32_e32 v28, v28, v23
	v_mov_b32_e32 v23, 0xbab64f3b
	v_fmac_f32_e32 v23, 0x37d75334, v22
	v_fma_f32 v23, v22, v23, v14
	v_fma_f32 v23, v22, v23, v15
	v_fma_f32 v22, v22, v23, 1.0
	v_and_b32_e32 v23, 1, v27
	v_cmp_eq_u32_e64 s[2:3], 0, v23
	v_lshlrev_b32_e32 v23, 30, v27
	v_and_b32_e32 v23, 0x80000000, v23
	v_xor_b32_e32 v24, v26, v21
	v_cndmask_b32_e64 v22, v22, v28, s[2:3]
	v_xor_b32_e32 v23, v24, v23
	v_xor_b32_e32 v22, v23, v22
	v_cmp_class_f32_e64 s[2:3], v21, s47
	v_cndmask_b32_e64 v21, v18, v22, s[2:3]
	global_store_dword v[6:7], v21, off
	s_or_b64 exec, exec, s[6:7]
	s_and_saveexec_b64 s[2:3], s[0:1]
	s_cbranch_execz .LBB113_29
.LBB113_34:                             ;   in Loop: Header=BB113_4 Depth=1
	v_mul_f32_e32 v21, v31, v31
	v_mov_b32_e32 v22, 0x3c0881c4
	v_fmac_f32_e32 v22, 0xb94c1982, v21
	v_fma_f32 v22, v21, v22, v13
	v_mul_f32_e32 v22, v21, v22
	v_fmac_f32_e32 v31, v31, v22
	v_mov_b32_e32 v22, 0xbab64f3b
	v_fmac_f32_e32 v22, 0x37d75334, v21
	v_fma_f32 v22, v21, v22, v14
	v_fma_f32 v22, v21, v22, v15
	v_fma_f32 v21, v21, v22, 1.0
	v_and_b32_e32 v22, 1, v30
	v_cmp_eq_u32_e64 s[0:1], 0, v22
	v_lshlrev_b32_e32 v22, 30, v30
	v_and_b32_e32 v22, 0x80000000, v22
	v_xor_b32_e32 v23, v29, v20
	v_cndmask_b32_e64 v21, v21, v31, s[0:1]
	v_xor_b32_e32 v22, v23, v22
	v_xor_b32_e32 v21, v22, v21
	v_cmp_class_f32_e64 s[0:1], v20, s47
	v_cndmask_b32_e64 v22, v18, v21, s[0:1]
	v_mov_b32_e32 v21, s35
	v_add_co_u32_e64 v20, s[0:1], s34, v4
	v_addc_co_u32_e64 v21, s[0:1], v5, v21, s[0:1]
	global_store_dword v[20:21], v22, off
	s_or_b64 exec, exec, s[2:3]
	s_and_saveexec_b64 s[0:1], vcc
	s_cbranch_execz .LBB113_3
.LBB113_35:                             ;   in Loop: Header=BB113_4 Depth=1
	v_mul_f32_e32 v20, v33, v33
	v_mov_b32_e32 v21, 0x3c0881c4
	v_fmac_f32_e32 v21, 0xb94c1982, v20
	v_fma_f32 v21, v20, v21, v13
	v_mul_f32_e32 v21, v20, v21
	v_fmac_f32_e32 v33, v33, v21
	v_mov_b32_e32 v21, 0xbab64f3b
	v_fmac_f32_e32 v21, 0x37d75334, v20
	v_fma_f32 v21, v20, v21, v14
	v_fma_f32 v21, v20, v21, v15
	v_fma_f32 v20, v20, v21, 1.0
	v_and_b32_e32 v21, 1, v2
	v_lshlrev_b32_e32 v2, 30, v2
	v_cmp_eq_u32_e32 vcc, 0, v21
	v_and_b32_e32 v2, 0x80000000, v2
	v_xor_b32_e32 v21, v32, v19
	v_cndmask_b32_e32 v20, v20, v33, vcc
	v_xor_b32_e32 v2, v21, v2
	v_xor_b32_e32 v2, v2, v20
	v_cmp_class_f32_e64 vcc, v19, s47
	v_cndmask_b32_e32 v2, v18, v2, vcc
	v_mov_b32_e32 v19, s33
	v_add_co_u32_e32 v20, vcc, s31, v4
	v_addc_co_u32_e32 v21, vcc, v5, v19, vcc
	global_store_dword v[20:21], v2, off
	s_branch .LBB113_3
.LBB113_36:
	s_cbranch_execz .LBB113_38
	s_branch .LBB113_57
.LBB113_37:
.LBB113_38:
	v_mov_b32_e32 v5, 0
	v_lshlrev_b32_e32 v4, 2, v0
	s_mov_b32 s12, 0
	v_cmp_gt_i64_e32 vcc, s[16:17], v[4:5]
	s_and_saveexec_b64 s[0:1], vcc
	s_cbranch_execz .LBB113_57
; %bb.39:
	s_load_dword s0, s[4:5], 0xd3c
	v_lshlrev_b32_e32 v1, 4, v0
	s_mov_b32 s15, s12
	s_mov_b64 s[6:7], 0
	s_mov_b32 s22, 0xf534ddc0
	s_waitcnt lgkmcnt(0)
	s_and_b32 s0, s0, 0xffff
	s_lshl_b32 s13, s0, 2
	s_add_u32 s1, s18, s20
	s_addc_u32 s2, s19, s21
	v_add_lshl_u32 v4, v0, s0, 2
	v_mov_b32_e32 v0, s2
	v_add_co_u32_e32 v1, vcc, s1, v1
	v_addc_co_u32_e32 v0, vcc, 0, v0, vcc
	v_add_co_u32_e32 v6, vcc, 8, v1
	v_addc_co_u32_e32 v7, vcc, 0, v0, vcc
	s_lshl_b32 s14, s0, 4
	s_brev_b32 s18, 18
	s_mov_b32 s19, 0xfe5163ab
	s_mov_b32 s20, 0x3c439041
	;; [unrolled: 1-line block ×9, first 2 shown]
	v_mov_b32_e32 v10, 0xbe2aaa9d
	v_mov_b32_e32 v11, 0x3d2aabf7
	;; [unrolled: 1-line block ×3, first 2 shown]
	s_movk_i32 s29, 0x1f8
	s_mov_b64 s[8:9], 0xffff
	v_not_b32_e32 v13, 63
	v_not_b32_e32 v14, 31
	v_mov_b32_e32 v15, 0x7fc00000
	v_pk_mov_b32 v[8:9], v[4:5], v[4:5] op_sel:[0,1]
	s_branch .LBB113_41
.LBB113_40:                             ;   in Loop: Header=BB113_41 Depth=1
	s_or_b64 exec, exec, s[0:1]
	v_mul_f32_e32 v27, v25, v25
	v_mov_b32_e32 v28, 0x3c0881c4
	v_fmac_f32_e32 v28, 0xb94c1982, v27
	v_fma_f32 v28, v27, v28, v10
	v_mul_f32_e32 v28, v27, v28
	v_fmac_f32_e32 v25, v25, v28
	v_mov_b32_e32 v28, 0xbab64f3b
	v_fmac_f32_e32 v28, 0x37d75334, v27
	v_fma_f32 v28, v27, v28, v11
	v_fma_f32 v28, v27, v28, v12
	v_fma_f32 v27, v27, v28, 1.0
	v_and_b32_e32 v28, 1, v24
	v_lshlrev_b32_e32 v24, 30, v24
	v_cmp_eq_u32_e32 vcc, 0, v28
	v_and_b32_e32 v24, 0x80000000, v24
	v_xor_b32_e32 v22, v22, v2
	v_cndmask_b32_e32 v25, v27, v25, vcc
	v_xor_b32_e32 v22, v22, v24
	v_xor_b32_e32 v22, v22, v25
	v_cmp_class_f32_e64 vcc, v2, s29
	v_cndmask_b32_e32 v2, v15, v22, vcc
	v_mul_f32_e32 v22, v21, v21
	v_mov_b32_e32 v24, 0x3c0881c4
	v_fmac_f32_e32 v24, 0xb94c1982, v22
	v_fma_f32 v24, v22, v24, v10
	v_mul_f32_e32 v24, v22, v24
	v_fmac_f32_e32 v21, v21, v24
	v_mov_b32_e32 v24, 0xbab64f3b
	v_fmac_f32_e32 v24, 0x37d75334, v22
	v_fma_f32 v24, v22, v24, v11
	v_fma_f32 v24, v22, v24, v12
	v_fma_f32 v22, v22, v24, 1.0
	v_and_b32_e32 v24, 1, v20
	v_lshlrev_b32_e32 v20, 30, v20
	v_cmp_eq_u32_e32 vcc, 0, v24
	v_and_b32_e32 v20, 0x80000000, v20
	v_xor_b32_e32 v19, v19, v1
	v_cndmask_b32_e32 v21, v22, v21, vcc
	v_xor_b32_e32 v19, v19, v20
	v_xor_b32_e32 v19, v19, v21
	v_cmp_class_f32_e64 vcc, v1, s29
	v_cndmask_b32_e32 v1, v15, v19, vcc
	;; [unrolled: 21-line block ×4, first 2 shown]
	v_cmp_le_i64_e32 vcc, s[16:17], v[8:9]
	v_cmp_lt_u64_e64 s[0:1], s[8:9], v[8:9]
	global_store_dwordx4 v[6:7], v[0:3], off offset:-8
	s_or_b64 s[0:1], vcc, s[0:1]
	v_mov_b32_e32 v0, s12
	v_add_co_u32_e32 v8, vcc, s13, v8
	v_addc_co_u32_e32 v9, vcc, v9, v0, vcc
	v_mov_b32_e32 v0, s15
	s_and_b64 s[0:1], exec, s[0:1]
	v_add_co_u32_e32 v6, vcc, s14, v6
	s_or_b64 s[6:7], s[0:1], s[6:7]
	v_addc_co_u32_e32 v7, vcc, v7, v0, vcc
	s_andn2_b64 exec, exec, s[6:7]
	s_cbranch_execz .LBB113_57
.LBB113_41:                             ; =>This Inner Loop Header: Depth=1
	global_load_dwordx4 v[0:3], v[6:7], off offset:-8
                                        ; implicit-def: $vgpr17
                                        ; implicit-def: $vgpr18
	s_waitcnt vmcnt(0)
	v_and_b32_e32 v16, 0x7fffffff, v0
	v_cmp_nlt_f32_e64 s[0:1], |v0|, s18
	s_and_saveexec_b64 s[2:3], s[0:1]
	s_xor_b64 s[10:11], exec, s[2:3]
	s_cbranch_execz .LBB113_43
; %bb.42:                               ;   in Loop: Header=BB113_41 Depth=1
	v_lshrrev_b32_e32 v4, 23, v16
	v_add_u32_e32 v4, 0xffffff88, v4
	v_cmp_lt_u32_e32 vcc, 63, v4
	v_cndmask_b32_e32 v17, 0, v13, vcc
	v_add_u32_e32 v4, v17, v4
	v_cmp_lt_u32_e64 s[0:1], 31, v4
	v_cndmask_b32_e64 v17, 0, v14, s[0:1]
	v_add_u32_e32 v4, v17, v4
	v_cmp_lt_u32_e64 s[2:3], 31, v4
	v_cndmask_b32_e64 v17, 0, v14, s[2:3]
	v_add_u32_e32 v17, v17, v4
	v_and_b32_e32 v4, 0x7fffff, v16
	v_or_b32_e32 v30, 0x800000, v4
	v_mad_u64_u32 v[18:19], s[4:5], v30, s19, 0
	v_mov_b32_e32 v4, v19
	v_mad_u64_u32 v[20:21], s[4:5], v30, s20, v[4:5]
	v_mov_b32_e32 v4, v21
	;; [unrolled: 2-line block ×6, first 2 shown]
	v_mad_u64_u32 v[30:31], s[4:5], v30, s25, v[4:5]
	v_cndmask_b32_e32 v19, v28, v24, vcc
	v_cndmask_b32_e32 v4, v30, v26, vcc
	;; [unrolled: 1-line block ×3, first 2 shown]
	v_cndmask_b32_e64 v21, v4, v19, s[0:1]
	v_cndmask_b32_e64 v4, v23, v4, s[0:1]
	v_cndmask_b32_e32 v23, v26, v22, vcc
	v_cndmask_b32_e64 v19, v19, v23, s[0:1]
	v_sub_u32_e32 v25, 32, v17
	v_cmp_eq_u32_e64 s[4:5], 0, v17
	v_cndmask_b32_e32 v17, v24, v20, vcc
	v_cndmask_b32_e64 v4, v4, v21, s[2:3]
	v_cndmask_b32_e64 v21, v21, v19, s[2:3]
	;; [unrolled: 1-line block ×3, first 2 shown]
	v_alignbit_b32 v26, v4, v21, v25
	v_cndmask_b32_e64 v19, v19, v20, s[2:3]
	v_cndmask_b32_e64 v4, v26, v4, s[4:5]
	v_alignbit_b32 v23, v21, v19, v25
	v_cndmask_b32_e64 v21, v23, v21, s[4:5]
	v_bfe_u32 v26, v4, 29, 1
	v_cndmask_b32_e32 v18, v22, v18, vcc
	v_alignbit_b32 v23, v4, v21, 30
	v_sub_u32_e32 v27, 0, v26
	v_cndmask_b32_e64 v17, v17, v18, s[0:1]
	v_xor_b32_e32 v28, v23, v27
	v_cndmask_b32_e64 v17, v20, v17, s[2:3]
	v_alignbit_b32 v18, v19, v17, v25
	v_ffbh_u32_e32 v20, v28
	v_cndmask_b32_e64 v18, v18, v19, s[4:5]
	v_add_u32_e32 v20, 1, v20
	v_cmp_ne_u32_e32 vcc, v23, v27
	v_alignbit_b32 v19, v21, v18, 30
	v_cndmask_b32_e32 v20, 33, v20, vcc
	v_alignbit_b32 v17, v18, v17, 30
	v_xor_b32_e32 v19, v19, v27
	v_sub_u32_e32 v21, 32, v20
	v_xor_b32_e32 v17, v17, v27
	v_alignbit_b32 v22, v28, v19, v21
	v_alignbit_b32 v17, v19, v17, v21
	;; [unrolled: 1-line block ×3, first 2 shown]
	v_ffbh_u32_e32 v19, v18
	v_min_u32_e32 v19, 32, v19
	v_lshrrev_b32_e32 v24, 29, v4
	v_sub_u32_e32 v21, 31, v19
	v_alignbit_b32 v17, v18, v17, v21
	v_lshlrev_b32_e32 v18, 31, v24
	v_or_b32_e32 v21, 0x33800000, v18
	v_add_lshl_u32 v19, v19, v20, 23
	v_lshrrev_b32_e32 v17, 9, v17
	v_sub_u32_e32 v19, v21, v19
	v_or_b32_e32 v17, v19, v17
	v_alignbit_b32 v19, v20, v22, 9
	v_or_b32_e32 v18, v19, v18
	v_xor_b32_e32 v18, 1.0, v18
	v_mul_f32_e32 v19, 0x3fc90fda, v18
	v_fma_f32 v20, v18, s26, -v19
	v_fmac_f32_e32 v20, 0x33a22168, v18
	v_fmac_f32_e32 v20, 0x3fc90fda, v17
	v_lshrrev_b32_e32 v4, 30, v4
	v_add_f32_e32 v18, v19, v20
	v_add_u32_e32 v17, v26, v4
.LBB113_43:                             ;   in Loop: Header=BB113_41 Depth=1
	s_andn2_saveexec_b64 s[0:1], s[10:11]
; %bb.44:                               ;   in Loop: Header=BB113_41 Depth=1
	v_mul_f32_e64 v4, |v0|, s27
	v_rndne_f32_e32 v4, v4
	v_cvt_i32_f32_e32 v17, v4
	v_fma_f32 v18, v4, s28, |v0|
	v_fmac_f32_e32 v18, 0xb3a22168, v4
	v_fmac_f32_e32 v18, 0xa7c234c4, v4
; %bb.45:                               ;   in Loop: Header=BB113_41 Depth=1
	s_or_b64 exec, exec, s[0:1]
	v_and_b32_e32 v19, 0x7fffffff, v1
	v_cmp_nlt_f32_e64 s[0:1], |v1|, s18
                                        ; implicit-def: $vgpr20
                                        ; implicit-def: $vgpr21
	s_and_saveexec_b64 s[2:3], s[0:1]
	s_xor_b64 s[10:11], exec, s[2:3]
	s_cbranch_execz .LBB113_47
; %bb.46:                               ;   in Loop: Header=BB113_41 Depth=1
	v_lshrrev_b32_e32 v4, 23, v19
	v_add_u32_e32 v4, 0xffffff88, v4
	v_cmp_lt_u32_e32 vcc, 63, v4
	v_cndmask_b32_e32 v20, 0, v13, vcc
	v_add_u32_e32 v4, v20, v4
	v_cmp_lt_u32_e64 s[0:1], 31, v4
	v_cndmask_b32_e64 v20, 0, v14, s[0:1]
	v_add_u32_e32 v4, v20, v4
	v_cmp_lt_u32_e64 s[2:3], 31, v4
	v_cndmask_b32_e64 v20, 0, v14, s[2:3]
	v_add_u32_e32 v34, v20, v4
	v_and_b32_e32 v4, 0x7fffff, v19
	v_or_b32_e32 v32, 0x800000, v4
	v_mad_u64_u32 v[20:21], s[4:5], v32, s19, 0
	v_mov_b32_e32 v4, v21
	v_mad_u64_u32 v[22:23], s[4:5], v32, s20, v[4:5]
	v_mov_b32_e32 v4, v23
	;; [unrolled: 2-line block ×6, first 2 shown]
	v_mad_u64_u32 v[32:33], s[4:5], v32, s25, v[4:5]
	v_cndmask_b32_e32 v21, v30, v26, vcc
	v_cndmask_b32_e32 v4, v32, v28, vcc
	;; [unrolled: 1-line block ×3, first 2 shown]
	v_cndmask_b32_e64 v23, v4, v21, s[0:1]
	v_cndmask_b32_e64 v4, v25, v4, s[0:1]
	v_cndmask_b32_e32 v25, v28, v24, vcc
	v_cndmask_b32_e64 v21, v21, v25, s[0:1]
	v_cndmask_b32_e32 v22, v26, v22, vcc
	v_cndmask_b32_e64 v4, v4, v23, s[2:3]
	v_cndmask_b32_e64 v23, v23, v21, s[2:3]
	v_sub_u32_e32 v27, 32, v34
	v_cndmask_b32_e64 v25, v25, v22, s[0:1]
	v_alignbit_b32 v28, v4, v23, v27
	v_cmp_eq_u32_e64 s[4:5], 0, v34
	v_cndmask_b32_e64 v21, v21, v25, s[2:3]
	v_cndmask_b32_e32 v20, v24, v20, vcc
	v_cndmask_b32_e64 v4, v28, v4, s[4:5]
	v_alignbit_b32 v26, v23, v21, v27
	v_cndmask_b32_e64 v20, v22, v20, s[0:1]
	v_cndmask_b32_e64 v23, v26, v23, s[4:5]
	v_bfe_u32 v29, v4, 29, 1
	v_cndmask_b32_e64 v20, v25, v20, s[2:3]
	v_alignbit_b32 v26, v4, v23, 30
	v_sub_u32_e32 v30, 0, v29
	v_alignbit_b32 v22, v21, v20, v27
	v_xor_b32_e32 v31, v26, v30
	v_cndmask_b32_e64 v21, v22, v21, s[4:5]
	v_alignbit_b32 v22, v23, v21, 30
	v_ffbh_u32_e32 v23, v31
	v_add_u32_e32 v23, 1, v23
	v_cmp_ne_u32_e32 vcc, v26, v30
	v_cndmask_b32_e32 v23, 33, v23, vcc
	v_alignbit_b32 v20, v21, v20, 30
	v_xor_b32_e32 v22, v22, v30
	v_sub_u32_e32 v24, 32, v23
	v_xor_b32_e32 v20, v20, v30
	v_alignbit_b32 v25, v31, v22, v24
	v_alignbit_b32 v20, v22, v20, v24
	;; [unrolled: 1-line block ×3, first 2 shown]
	v_ffbh_u32_e32 v22, v21
	v_min_u32_e32 v22, 32, v22
	v_lshrrev_b32_e32 v28, 29, v4
	v_sub_u32_e32 v24, 31, v22
	v_alignbit_b32 v20, v21, v20, v24
	v_lshlrev_b32_e32 v21, 31, v28
	v_or_b32_e32 v24, 0x33800000, v21
	v_add_lshl_u32 v22, v22, v23, 23
	v_lshrrev_b32_e32 v20, 9, v20
	v_sub_u32_e32 v22, v24, v22
	v_or_b32_e32 v20, v22, v20
	v_alignbit_b32 v22, v23, v25, 9
	v_or_b32_e32 v21, v22, v21
	v_xor_b32_e32 v21, 1.0, v21
	v_mul_f32_e32 v22, 0x3fc90fda, v21
	v_fma_f32 v23, v21, s26, -v22
	v_fmac_f32_e32 v23, 0x33a22168, v21
	v_fmac_f32_e32 v23, 0x3fc90fda, v20
	v_lshrrev_b32_e32 v4, 30, v4
	v_add_f32_e32 v21, v22, v23
	v_add_u32_e32 v20, v29, v4
.LBB113_47:                             ;   in Loop: Header=BB113_41 Depth=1
	s_andn2_saveexec_b64 s[0:1], s[10:11]
; %bb.48:                               ;   in Loop: Header=BB113_41 Depth=1
	v_mul_f32_e64 v4, |v1|, s27
	v_rndne_f32_e32 v4, v4
	v_cvt_i32_f32_e32 v20, v4
	v_fma_f32 v21, v4, s28, |v1|
	v_fmac_f32_e32 v21, 0xb3a22168, v4
	v_fmac_f32_e32 v21, 0xa7c234c4, v4
; %bb.49:                               ;   in Loop: Header=BB113_41 Depth=1
	s_or_b64 exec, exec, s[0:1]
	v_and_b32_e32 v22, 0x7fffffff, v2
	v_cmp_nlt_f32_e64 s[0:1], |v2|, s18
                                        ; implicit-def: $vgpr24
                                        ; implicit-def: $vgpr25
	s_and_saveexec_b64 s[2:3], s[0:1]
	s_xor_b64 s[10:11], exec, s[2:3]
	s_cbranch_execz .LBB113_51
; %bb.50:                               ;   in Loop: Header=BB113_41 Depth=1
	v_lshrrev_b32_e32 v4, 23, v22
	v_add_u32_e32 v4, 0xffffff88, v4
	v_cmp_lt_u32_e32 vcc, 63, v4
	v_cndmask_b32_e32 v23, 0, v13, vcc
	v_add_u32_e32 v4, v23, v4
	v_cmp_lt_u32_e64 s[0:1], 31, v4
	v_cndmask_b32_e64 v23, 0, v14, s[0:1]
	v_add_u32_e32 v4, v23, v4
	v_cmp_lt_u32_e64 s[2:3], 31, v4
	v_cndmask_b32_e64 v23, 0, v14, s[2:3]
	v_add_u32_e32 v23, v23, v4
	v_and_b32_e32 v4, 0x7fffff, v22
	v_or_b32_e32 v36, 0x800000, v4
	v_mad_u64_u32 v[24:25], s[4:5], v36, s19, 0
	v_mov_b32_e32 v4, v25
	v_mad_u64_u32 v[26:27], s[4:5], v36, s20, v[4:5]
	v_mov_b32_e32 v4, v27
	v_mad_u64_u32 v[28:29], s[4:5], v36, s21, v[4:5]
	v_mov_b32_e32 v4, v29
	v_mad_u64_u32 v[30:31], s[4:5], v36, s22, v[4:5]
	v_mov_b32_e32 v4, v31
	v_mad_u64_u32 v[32:33], s[4:5], v36, s23, v[4:5]
	v_mov_b32_e32 v4, v33
	v_mad_u64_u32 v[34:35], s[4:5], v36, s24, v[4:5]
	v_mov_b32_e32 v4, v35
	v_mad_u64_u32 v[36:37], s[4:5], v36, s25, v[4:5]
	v_cndmask_b32_e32 v25, v34, v30, vcc
	v_cndmask_b32_e32 v4, v36, v32, vcc
	v_cndmask_b32_e32 v29, v37, v34, vcc
	v_cndmask_b32_e64 v27, v4, v25, s[0:1]
	v_cndmask_b32_e64 v4, v29, v4, s[0:1]
	v_cndmask_b32_e32 v29, v32, v28, vcc
	v_cndmask_b32_e64 v25, v25, v29, s[0:1]
	v_sub_u32_e32 v31, 32, v23
	v_cmp_eq_u32_e64 s[4:5], 0, v23
	v_cndmask_b32_e32 v23, v30, v26, vcc
	v_cndmask_b32_e64 v4, v4, v27, s[2:3]
	v_cndmask_b32_e64 v27, v27, v25, s[2:3]
	;; [unrolled: 1-line block ×3, first 2 shown]
	v_alignbit_b32 v32, v4, v27, v31
	v_cndmask_b32_e64 v25, v25, v26, s[2:3]
	v_cndmask_b32_e64 v4, v32, v4, s[4:5]
	v_alignbit_b32 v29, v27, v25, v31
	v_cndmask_b32_e64 v27, v29, v27, s[4:5]
	v_bfe_u32 v32, v4, 29, 1
	v_cndmask_b32_e32 v24, v28, v24, vcc
	v_alignbit_b32 v29, v4, v27, 30
	v_sub_u32_e32 v33, 0, v32
	v_cndmask_b32_e64 v23, v23, v24, s[0:1]
	v_xor_b32_e32 v34, v29, v33
	v_cndmask_b32_e64 v23, v26, v23, s[2:3]
	v_alignbit_b32 v24, v25, v23, v31
	v_ffbh_u32_e32 v26, v34
	v_cndmask_b32_e64 v24, v24, v25, s[4:5]
	v_add_u32_e32 v26, 1, v26
	v_cmp_ne_u32_e32 vcc, v29, v33
	v_alignbit_b32 v25, v27, v24, 30
	v_cndmask_b32_e32 v26, 33, v26, vcc
	v_alignbit_b32 v23, v24, v23, 30
	v_xor_b32_e32 v25, v25, v33
	v_sub_u32_e32 v27, 32, v26
	v_xor_b32_e32 v23, v23, v33
	v_alignbit_b32 v28, v34, v25, v27
	v_alignbit_b32 v23, v25, v23, v27
	;; [unrolled: 1-line block ×3, first 2 shown]
	v_ffbh_u32_e32 v25, v24
	v_min_u32_e32 v25, 32, v25
	v_lshrrev_b32_e32 v30, 29, v4
	v_sub_u32_e32 v27, 31, v25
	v_alignbit_b32 v23, v24, v23, v27
	v_lshlrev_b32_e32 v24, 31, v30
	v_or_b32_e32 v27, 0x33800000, v24
	v_add_lshl_u32 v25, v25, v26, 23
	v_lshrrev_b32_e32 v23, 9, v23
	v_sub_u32_e32 v25, v27, v25
	v_or_b32_e32 v23, v25, v23
	v_alignbit_b32 v25, v26, v28, 9
	v_or_b32_e32 v24, v25, v24
	v_xor_b32_e32 v24, 1.0, v24
	v_mul_f32_e32 v25, 0x3fc90fda, v24
	v_fma_f32 v26, v24, s26, -v25
	v_fmac_f32_e32 v26, 0x33a22168, v24
	v_fmac_f32_e32 v26, 0x3fc90fda, v23
	v_lshrrev_b32_e32 v4, 30, v4
	v_add_f32_e32 v25, v25, v26
	v_add_u32_e32 v24, v32, v4
.LBB113_51:                             ;   in Loop: Header=BB113_41 Depth=1
	s_andn2_saveexec_b64 s[0:1], s[10:11]
; %bb.52:                               ;   in Loop: Header=BB113_41 Depth=1
	v_mul_f32_e64 v4, |v2|, s27
	v_rndne_f32_e32 v4, v4
	v_cvt_i32_f32_e32 v24, v4
	v_fma_f32 v25, v4, s28, |v2|
	v_fmac_f32_e32 v25, 0xb3a22168, v4
	v_fmac_f32_e32 v25, 0xa7c234c4, v4
; %bb.53:                               ;   in Loop: Header=BB113_41 Depth=1
	s_or_b64 exec, exec, s[0:1]
	v_and_b32_e32 v23, 0x7fffffff, v3
	v_cmp_nlt_f32_e64 s[0:1], |v3|, s18
                                        ; implicit-def: $vgpr4
                                        ; implicit-def: $vgpr26
	s_and_saveexec_b64 s[2:3], s[0:1]
	s_xor_b64 s[10:11], exec, s[2:3]
	s_cbranch_execz .LBB113_55
; %bb.54:                               ;   in Loop: Header=BB113_41 Depth=1
	v_lshrrev_b32_e32 v4, 23, v23
	v_add_u32_e32 v4, 0xffffff88, v4
	v_cmp_lt_u32_e32 vcc, 63, v4
	v_cndmask_b32_e32 v26, 0, v13, vcc
	v_add_u32_e32 v4, v26, v4
	v_cmp_lt_u32_e64 s[0:1], 31, v4
	v_cndmask_b32_e64 v26, 0, v14, s[0:1]
	v_add_u32_e32 v4, v26, v4
	v_cmp_lt_u32_e64 s[2:3], 31, v4
	v_cndmask_b32_e64 v26, 0, v14, s[2:3]
	v_add_u32_e32 v40, v26, v4
	v_and_b32_e32 v4, 0x7fffff, v23
	v_or_b32_e32 v38, 0x800000, v4
	v_mad_u64_u32 v[26:27], s[4:5], v38, s19, 0
	v_mov_b32_e32 v4, v27
	v_mad_u64_u32 v[28:29], s[4:5], v38, s20, v[4:5]
	v_mov_b32_e32 v4, v29
	;; [unrolled: 2-line block ×6, first 2 shown]
	v_mad_u64_u32 v[38:39], s[4:5], v38, s25, v[4:5]
	v_cndmask_b32_e32 v27, v36, v32, vcc
	v_cndmask_b32_e32 v4, v38, v34, vcc
	;; [unrolled: 1-line block ×3, first 2 shown]
	v_cndmask_b32_e64 v29, v4, v27, s[0:1]
	v_cndmask_b32_e64 v4, v31, v4, s[0:1]
	v_cndmask_b32_e32 v31, v34, v30, vcc
	v_cndmask_b32_e64 v27, v27, v31, s[0:1]
	v_cndmask_b32_e32 v28, v32, v28, vcc
	v_cndmask_b32_e64 v4, v4, v29, s[2:3]
	v_cndmask_b32_e64 v29, v29, v27, s[2:3]
	v_sub_u32_e32 v33, 32, v40
	v_cndmask_b32_e64 v31, v31, v28, s[0:1]
	v_alignbit_b32 v34, v4, v29, v33
	v_cmp_eq_u32_e64 s[4:5], 0, v40
	v_cndmask_b32_e64 v27, v27, v31, s[2:3]
	v_cndmask_b32_e32 v26, v30, v26, vcc
	v_cndmask_b32_e64 v4, v34, v4, s[4:5]
	v_alignbit_b32 v32, v29, v27, v33
	v_cndmask_b32_e64 v26, v28, v26, s[0:1]
	v_cndmask_b32_e64 v29, v32, v29, s[4:5]
	v_bfe_u32 v35, v4, 29, 1
	v_cndmask_b32_e64 v26, v31, v26, s[2:3]
	v_alignbit_b32 v32, v4, v29, 30
	v_sub_u32_e32 v36, 0, v35
	v_alignbit_b32 v28, v27, v26, v33
	v_xor_b32_e32 v37, v32, v36
	v_cndmask_b32_e64 v27, v28, v27, s[4:5]
	v_alignbit_b32 v28, v29, v27, 30
	v_ffbh_u32_e32 v29, v37
	v_add_u32_e32 v29, 1, v29
	v_cmp_ne_u32_e32 vcc, v32, v36
	v_cndmask_b32_e32 v29, 33, v29, vcc
	v_alignbit_b32 v26, v27, v26, 30
	v_xor_b32_e32 v28, v28, v36
	v_sub_u32_e32 v30, 32, v29
	v_xor_b32_e32 v26, v26, v36
	v_alignbit_b32 v31, v37, v28, v30
	v_alignbit_b32 v26, v28, v26, v30
	;; [unrolled: 1-line block ×3, first 2 shown]
	v_ffbh_u32_e32 v28, v27
	v_min_u32_e32 v28, 32, v28
	v_lshrrev_b32_e32 v34, 29, v4
	v_sub_u32_e32 v30, 31, v28
	v_alignbit_b32 v26, v27, v26, v30
	v_lshlrev_b32_e32 v27, 31, v34
	v_or_b32_e32 v30, 0x33800000, v27
	v_add_lshl_u32 v28, v28, v29, 23
	v_lshrrev_b32_e32 v26, 9, v26
	v_sub_u32_e32 v28, v30, v28
	v_or_b32_e32 v26, v28, v26
	v_alignbit_b32 v28, v29, v31, 9
	v_or_b32_e32 v27, v28, v27
	v_xor_b32_e32 v27, 1.0, v27
	v_mul_f32_e32 v28, 0x3fc90fda, v27
	v_fma_f32 v29, v27, s26, -v28
	v_fmac_f32_e32 v29, 0x33a22168, v27
	v_fmac_f32_e32 v29, 0x3fc90fda, v26
	v_lshrrev_b32_e32 v4, 30, v4
	v_add_f32_e32 v26, v28, v29
	v_add_u32_e32 v4, v35, v4
.LBB113_55:                             ;   in Loop: Header=BB113_41 Depth=1
	s_andn2_saveexec_b64 s[0:1], s[10:11]
	s_cbranch_execz .LBB113_40
; %bb.56:                               ;   in Loop: Header=BB113_41 Depth=1
	v_mul_f32_e64 v4, |v3|, s27
	v_rndne_f32_e32 v27, v4
	v_cvt_i32_f32_e32 v4, v27
	v_fma_f32 v26, v27, s28, |v3|
	v_fmac_f32_e32 v26, 0xb3a22168, v27
	v_fmac_f32_e32 v26, 0xa7c234c4, v27
	s_branch .LBB113_40
.LBB113_57:
	s_endpgm
	.section	.rodata,"a",@progbits
	.p2align	6, 0x0
	.amdhsa_kernel _ZN2at6native12_GLOBAL__N_125multi_tensor_apply_kernelINS1_18TensorListMetadataILi1EEENS1_14UnaryOpFunctorIfLi1ELi1ELi0EEEJNS0_3SinIfEEEEEvT_T0_DpT1_
		.amdhsa_group_segment_fixed_size 0
		.amdhsa_private_segment_fixed_size 0
		.amdhsa_kernarg_size 3632
		.amdhsa_user_sgpr_count 6
		.amdhsa_user_sgpr_private_segment_buffer 1
		.amdhsa_user_sgpr_dispatch_ptr 0
		.amdhsa_user_sgpr_queue_ptr 0
		.amdhsa_user_sgpr_kernarg_segment_ptr 1
		.amdhsa_user_sgpr_dispatch_id 0
		.amdhsa_user_sgpr_flat_scratch_init 0
		.amdhsa_user_sgpr_kernarg_preload_length 0
		.amdhsa_user_sgpr_kernarg_preload_offset 0
		.amdhsa_user_sgpr_private_segment_size 0
		.amdhsa_uses_dynamic_stack 0
		.amdhsa_system_sgpr_private_segment_wavefront_offset 0
		.amdhsa_system_sgpr_workgroup_id_x 1
		.amdhsa_system_sgpr_workgroup_id_y 0
		.amdhsa_system_sgpr_workgroup_id_z 0
		.amdhsa_system_sgpr_workgroup_info 0
		.amdhsa_system_vgpr_workitem_id 0
		.amdhsa_next_free_vgpr 48
		.amdhsa_next_free_sgpr 48
		.amdhsa_accum_offset 48
		.amdhsa_reserve_vcc 1
		.amdhsa_reserve_flat_scratch 0
		.amdhsa_float_round_mode_32 0
		.amdhsa_float_round_mode_16_64 0
		.amdhsa_float_denorm_mode_32 3
		.amdhsa_float_denorm_mode_16_64 3
		.amdhsa_dx10_clamp 1
		.amdhsa_ieee_mode 1
		.amdhsa_fp16_overflow 0
		.amdhsa_tg_split 0
		.amdhsa_exception_fp_ieee_invalid_op 0
		.amdhsa_exception_fp_denorm_src 0
		.amdhsa_exception_fp_ieee_div_zero 0
		.amdhsa_exception_fp_ieee_overflow 0
		.amdhsa_exception_fp_ieee_underflow 0
		.amdhsa_exception_fp_ieee_inexact 0
		.amdhsa_exception_int_div_zero 0
	.end_amdhsa_kernel
	.section	.text._ZN2at6native12_GLOBAL__N_125multi_tensor_apply_kernelINS1_18TensorListMetadataILi1EEENS1_14UnaryOpFunctorIfLi1ELi1ELi0EEEJNS0_3SinIfEEEEEvT_T0_DpT1_,"axG",@progbits,_ZN2at6native12_GLOBAL__N_125multi_tensor_apply_kernelINS1_18TensorListMetadataILi1EEENS1_14UnaryOpFunctorIfLi1ELi1ELi0EEEJNS0_3SinIfEEEEEvT_T0_DpT1_,comdat
.Lfunc_end113:
	.size	_ZN2at6native12_GLOBAL__N_125multi_tensor_apply_kernelINS1_18TensorListMetadataILi1EEENS1_14UnaryOpFunctorIfLi1ELi1ELi0EEEJNS0_3SinIfEEEEEvT_T0_DpT1_, .Lfunc_end113-_ZN2at6native12_GLOBAL__N_125multi_tensor_apply_kernelINS1_18TensorListMetadataILi1EEENS1_14UnaryOpFunctorIfLi1ELi1ELi0EEEJNS0_3SinIfEEEEEvT_T0_DpT1_
                                        ; -- End function
	.section	.AMDGPU.csdata,"",@progbits
; Kernel info:
; codeLenInByte = 7244
; NumSgprs: 52
; NumVgprs: 48
; NumAgprs: 0
; TotalNumVgprs: 48
; ScratchSize: 0
; MemoryBound: 0
; FloatMode: 240
; IeeeMode: 1
; LDSByteSize: 0 bytes/workgroup (compile time only)
; SGPRBlocks: 6
; VGPRBlocks: 5
; NumSGPRsForWavesPerEU: 52
; NumVGPRsForWavesPerEU: 48
; AccumOffset: 48
; Occupancy: 8
; WaveLimiterHint : 0
; COMPUTE_PGM_RSRC2:SCRATCH_EN: 0
; COMPUTE_PGM_RSRC2:USER_SGPR: 6
; COMPUTE_PGM_RSRC2:TRAP_HANDLER: 0
; COMPUTE_PGM_RSRC2:TGID_X_EN: 1
; COMPUTE_PGM_RSRC2:TGID_Y_EN: 0
; COMPUTE_PGM_RSRC2:TGID_Z_EN: 0
; COMPUTE_PGM_RSRC2:TIDIG_COMP_CNT: 0
; COMPUTE_PGM_RSRC3_GFX90A:ACCUM_OFFSET: 11
; COMPUTE_PGM_RSRC3_GFX90A:TG_SPLIT: 0
	.section	.text._ZN2at6native12_GLOBAL__N_125multi_tensor_apply_kernelINS1_18TensorListMetadataILi1EEENS1_14UnaryOpFunctorIN3c107complexIdEELi1ELi1ELi0EEEJNS0_3SinIS8_EEEEEvT_T0_DpT1_,"axG",@progbits,_ZN2at6native12_GLOBAL__N_125multi_tensor_apply_kernelINS1_18TensorListMetadataILi1EEENS1_14UnaryOpFunctorIN3c107complexIdEELi1ELi1ELi0EEEJNS0_3SinIS8_EEEEEvT_T0_DpT1_,comdat
	.globl	_ZN2at6native12_GLOBAL__N_125multi_tensor_apply_kernelINS1_18TensorListMetadataILi1EEENS1_14UnaryOpFunctorIN3c107complexIdEELi1ELi1ELi0EEEJNS0_3SinIS8_EEEEEvT_T0_DpT1_ ; -- Begin function _ZN2at6native12_GLOBAL__N_125multi_tensor_apply_kernelINS1_18TensorListMetadataILi1EEENS1_14UnaryOpFunctorIN3c107complexIdEELi1ELi1ELi0EEEJNS0_3SinIS8_EEEEEvT_T0_DpT1_
	.p2align	8
	.type	_ZN2at6native12_GLOBAL__N_125multi_tensor_apply_kernelINS1_18TensorListMetadataILi1EEENS1_14UnaryOpFunctorIN3c107complexIdEELi1ELi1ELi0EEEJNS0_3SinIS8_EEEEEvT_T0_DpT1_,@function
_ZN2at6native12_GLOBAL__N_125multi_tensor_apply_kernelINS1_18TensorListMetadataILi1EEENS1_14UnaryOpFunctorIN3c107complexIdEELi1ELi1ELi0EEEJNS0_3SinIS8_EEEEEvT_T0_DpT1_: ; @_ZN2at6native12_GLOBAL__N_125multi_tensor_apply_kernelINS1_18TensorListMetadataILi1EEENS1_14UnaryOpFunctorIN3c107complexIdEELi1ELi1ELi0EEEJNS0_3SinIS8_EEEEEvT_T0_DpT1_
; %bb.0:
	v_mov_b32_e32 v50, v0
	v_mov_b32_e32 v0, s8
	global_load_ubyte v0, v0, s[4:5] offset:1760
	s_add_u32 flat_scratch_lo, s6, s9
	s_addc_u32 flat_scratch_hi, s7, 0
	s_add_u32 s0, s0, s9
	s_addc_u32 s1, s1, 0
	s_mov_b64 s[40:41], s[4:5]
	s_add_u32 s4, s40, s8
	s_mul_hi_u32 s5, s8, 3
	s_mul_i32 s8, s8, 3
	s_addc_u32 s6, s41, 0
	s_add_u32 s4, s4, s8
	s_addc_u32 s5, s6, s5
	s_load_dword s4, s[4:5], 0x820
	s_mov_b32 s9, 0
	s_mov_b32 s32, 0
	s_waitcnt vmcnt(0)
	v_readfirstlane_b32 s5, v0
	s_lshl_b32 s5, s5, 3
	s_load_dwordx2 s[50:51], s[40:41], s5 offset:0x0
	s_load_dwordx2 s[6:7], s[40:41], s5 offset:0x370
	s_waitcnt lgkmcnt(0)
	s_ashr_i32 s5, s4, 31
	s_lshl_b64 s[52:53], s[4:5], 20
	s_add_u32 s33, s50, s52
	s_addc_u32 s60, s51, s53
	s_lshl_b64 s[4:5], s[4:5], 16
	s_and_b32 s8, s33, 63
	s_sub_u32 s48, s6, s4
	s_subb_u32 s49, s7, s5
	s_and_b32 s4, s6, 3
	s_mov_b32 s5, s9
	s_or_b64 s[4:5], s[8:9], s[4:5]
	s_cmp_eq_u64 s[4:5], 0
	s_cbranch_scc1 .LBB114_21
; %bb.1:
	v_cmp_lt_i64_e64 s[4:5], s[48:49], 1
	s_and_b64 vcc, exec, s[4:5]
	s_cbranch_vccnz .LBB114_20
; %bb.2:
	s_load_dword s4, s[40:41], 0xd3c
	v_mov_b32_e32 v0, 0x10000
	v_mov_b32_e32 v1, 0
	v_cmp_lt_u64_e32 vcc, s[48:49], v[0:1]
	v_mov_b32_e32 v53, 0
	s_waitcnt lgkmcnt(0)
	s_and_b32 s6, s4, 0xffff
	s_and_b64 s[4:5], vcc, exec
	s_mul_i32 s8, s6, 3
	v_lshlrev_b32_e32 v52, 4, v50
	v_add_co_u32_e32 v57, vcc, s6, v50
	v_addc_co_u32_e64 v59, s[4:5], 0, 0, vcc
	v_mad_u64_u32 v[54:55], s[4:5], s6, 48, v[52:53]
	v_add_co_u32_e32 v53, vcc, s8, v50
	v_addc_co_u32_e64 v60, s[4:5], 0, 0, vcc
	s_cselect_b32 s55, s49, 0
	s_cselect_b32 s54, s48, 0x10000
	s_lshl_b32 s4, s6, 5
	s_lshl_b32 s7, s6, 1
	v_add_co_u32_e32 v0, vcc, s4, v52
	v_addc_co_u32_e64 v51, s[4:5], 0, 0, vcc
	v_add_co_u32_e32 v61, vcc, s7, v50
	s_lshl_b32 s61, s6, 2
	s_lshl_b32 s62, s6, 6
	v_or_b32_e32 v54, 8, v54
	v_lshlrev_b32_e32 v56, 4, v57
	v_or_b32_e32 v58, 8, v0
	v_addc_co_u32_e64 v62, s[4:5], 0, 0, vcc
	s_mov_b64 s[56:57], 0
	s_branch .LBB114_4
.LBB114_3:                              ;   in Loop: Header=BB114_4 Depth=1
	s_or_b64 exec, exec, s[44:45]
	s_add_u32 s56, s56, s61
	s_addc_u32 s57, s57, 0
	v_pk_mov_b32 v[0:1], s[48:49], s[48:49] op_sel:[0,1]
	v_cmp_lt_i64_e32 vcc, s[56:57], v[0:1]
	v_mov_b32_e32 v0, 0x10000
	v_mov_b32_e32 v1, 0
	v_cmp_lt_u64_e64 s[4:5], s[56:57], v[0:1]
	s_and_b64 s[4:5], vcc, s[4:5]
	s_add_u32 s33, s33, s62
	s_addc_u32 s60, s60, 0
	s_and_b64 vcc, exec, s[4:5]
	s_cbranch_vccz .LBB114_20
.LBB114_4:                              ; =>This Inner Loop Header: Depth=1
	v_mov_b32_e32 v1, s57
	v_add_co_u32_e32 v0, vcc, s56, v50
	v_addc_co_u32_e32 v1, vcc, 0, v1, vcc
	s_waitcnt vmcnt(0)
	v_pk_mov_b32 v[44:45], 0, 0
	v_cmp_gt_u64_e32 vcc, s[54:55], v[0:1]
	v_pk_mov_b32 v[4:5], v[44:45], v[44:45] op_sel:[0,1]
	v_pk_mov_b32 v[2:3], v[44:45], v[44:45] op_sel:[0,1]
	s_and_saveexec_b64 s[6:7], vcc
	s_cbranch_execz .LBB114_6
; %bb.5:                                ;   in Loop: Header=BB114_4 Depth=1
	v_mov_b32_e32 v1, s60
	v_add_co_u32_e64 v0, s[4:5], s33, v52
	v_addc_co_u32_e64 v1, s[4:5], 0, v1, s[4:5]
	global_load_dwordx4 v[2:5], v[0:1], off
.LBB114_6:                              ;   in Loop: Header=BB114_4 Depth=1
	s_or_b64 exec, exec, s[6:7]
	v_mov_b32_e32 v1, s57
	v_add_co_u32_e64 v0, s[4:5], s56, v57
	v_addc_co_u32_e64 v1, s[4:5], v59, v1, s[4:5]
	v_cmp_gt_u64_e64 s[46:47], s[54:55], v[0:1]
	v_pk_mov_b32 v[42:43], v[44:45], v[44:45] op_sel:[0,1]
	s_and_saveexec_b64 s[6:7], s[46:47]
	s_cbranch_execz .LBB114_8
; %bb.7:                                ;   in Loop: Header=BB114_4 Depth=1
	v_mov_b32_e32 v1, s60
	v_add_co_u32_e64 v0, s[4:5], s33, v56
	v_addc_co_u32_e64 v1, s[4:5], 0, v1, s[4:5]
	global_load_dwordx4 v[42:45], v[0:1], off
.LBB114_8:                              ;   in Loop: Header=BB114_4 Depth=1
	s_or_b64 exec, exec, s[6:7]
	v_mov_b32_e32 v1, s57
	v_add_co_u32_e64 v0, s[4:5], s56, v61
	v_addc_co_u32_e64 v1, s[4:5], v62, v1, s[4:5]
	v_pk_mov_b32 v[40:41], 0, 0
	v_cmp_gt_u64_e64 s[44:45], s[54:55], v[0:1]
	v_pk_mov_b32 v[48:49], v[40:41], v[40:41] op_sel:[0,1]
	v_pk_mov_b32 v[46:47], v[40:41], v[40:41] op_sel:[0,1]
	s_and_saveexec_b64 s[6:7], s[44:45]
	s_cbranch_execz .LBB114_10
; %bb.9:                                ;   in Loop: Header=BB114_4 Depth=1
	v_mov_b32_e32 v1, s60
	v_add_co_u32_e64 v0, s[4:5], s33, v58
	v_addc_co_u32_e64 v1, s[4:5], v1, v51, s[4:5]
	global_load_dwordx4 v[46:49], v[0:1], off offset:-8
.LBB114_10:                             ;   in Loop: Header=BB114_4 Depth=1
	s_or_b64 exec, exec, s[6:7]
	v_mov_b32_e32 v1, s57
	v_add_co_u32_e64 v0, s[4:5], s56, v53
	v_addc_co_u32_e64 v1, s[4:5], v60, v1, s[4:5]
	v_cmp_gt_u64_e64 s[42:43], s[54:55], v[0:1]
	v_pk_mov_b32 v[38:39], v[40:41], v[40:41] op_sel:[0,1]
	s_and_saveexec_b64 s[6:7], s[42:43]
	s_cbranch_execnz .LBB114_15
; %bb.11:                               ;   in Loop: Header=BB114_4 Depth=1
	s_or_b64 exec, exec, s[6:7]
	s_and_saveexec_b64 s[58:59], vcc
	s_cbranch_execnz .LBB114_16
.LBB114_12:                             ;   in Loop: Header=BB114_4 Depth=1
	s_or_b64 exec, exec, s[58:59]
	s_and_saveexec_b64 s[58:59], s[46:47]
	s_cbranch_execnz .LBB114_17
.LBB114_13:                             ;   in Loop: Header=BB114_4 Depth=1
	s_or_b64 exec, exec, s[58:59]
	s_and_saveexec_b64 s[46:47], s[44:45]
	s_cbranch_execnz .LBB114_18
.LBB114_14:                             ;   in Loop: Header=BB114_4 Depth=1
	s_or_b64 exec, exec, s[46:47]
	s_and_saveexec_b64 s[44:45], s[42:43]
	s_cbranch_execz .LBB114_3
	s_branch .LBB114_19
.LBB114_15:                             ;   in Loop: Header=BB114_4 Depth=1
	v_mov_b32_e32 v1, s60
	v_add_co_u32_e64 v0, s[4:5], s33, v54
	v_addc_co_u32_e64 v1, s[4:5], v1, v55, s[4:5]
	global_load_dwordx4 v[38:41], v[0:1], off offset:-8
	s_or_b64 exec, exec, s[6:7]
	s_and_saveexec_b64 s[58:59], vcc
	s_cbranch_execz .LBB114_12
.LBB114_16:                             ;   in Loop: Header=BB114_4 Depth=1
	s_waitcnt vmcnt(0)
	v_xor_b32_e32 v1, 0x80000000, v5
	v_mov_b32_e32 v0, v4
	s_getpc_b64 s[4:5]
	s_add_u32 s4, s4, _ZN6thrust23THRUST_200600_302600_NS6detail7complex5csinhERKNS0_7complexIdEE@rel32@lo+4
	s_addc_u32 s5, s5, _ZN6thrust23THRUST_200600_302600_NS6detail7complex5csinhERKNS0_7complexIdEE@rel32@hi+12
	s_swappc_b64 s[30:31], s[4:5]
	v_mov_b32_e32 v4, v0
	v_xor_b32_e32 v5, 0x80000000, v1
	v_mov_b32_e32 v1, s60
	v_add_co_u32_e32 v0, vcc, s33, v52
	v_addc_co_u32_e32 v1, vcc, 0, v1, vcc
	global_store_dwordx4 v[0:1], v[2:5], off
	s_or_b64 exec, exec, s[58:59]
	s_and_saveexec_b64 s[58:59], s[46:47]
	s_cbranch_execz .LBB114_13
.LBB114_17:                             ;   in Loop: Header=BB114_4 Depth=1
	s_waitcnt vmcnt(0)
	v_xor_b32_e32 v1, 0x80000000, v45
	v_mov_b32_e32 v0, v44
	v_mov_b32_e32 v2, v42
	v_mov_b32_e32 v3, v43
	s_getpc_b64 s[4:5]
	s_add_u32 s4, s4, _ZN6thrust23THRUST_200600_302600_NS6detail7complex5csinhERKNS0_7complexIdEE@rel32@lo+4
	s_addc_u32 s5, s5, _ZN6thrust23THRUST_200600_302600_NS6detail7complex5csinhERKNS0_7complexIdEE@rel32@hi+12
	s_swappc_b64 s[30:31], s[4:5]
	v_mov_b32_e32 v4, v0
	v_xor_b32_e32 v5, 0x80000000, v1
	v_mov_b32_e32 v1, s60
	v_add_co_u32_e32 v0, vcc, s33, v56
	v_addc_co_u32_e32 v1, vcc, 0, v1, vcc
	global_store_dwordx4 v[0:1], v[2:5], off
	s_or_b64 exec, exec, s[58:59]
	s_and_saveexec_b64 s[46:47], s[44:45]
	s_cbranch_execz .LBB114_14
.LBB114_18:                             ;   in Loop: Header=BB114_4 Depth=1
	s_waitcnt vmcnt(0)
	v_xor_b32_e32 v1, 0x80000000, v49
	v_mov_b32_e32 v0, v48
	v_mov_b32_e32 v2, v46
	;; [unrolled: 1-line block ×3, first 2 shown]
	s_getpc_b64 s[4:5]
	s_add_u32 s4, s4, _ZN6thrust23THRUST_200600_302600_NS6detail7complex5csinhERKNS0_7complexIdEE@rel32@lo+4
	s_addc_u32 s5, s5, _ZN6thrust23THRUST_200600_302600_NS6detail7complex5csinhERKNS0_7complexIdEE@rel32@hi+12
	s_swappc_b64 s[30:31], s[4:5]
	v_mov_b32_e32 v4, v0
	v_xor_b32_e32 v5, 0x80000000, v1
	v_mov_b32_e32 v1, s60
	v_add_co_u32_e32 v0, vcc, s33, v58
	v_addc_co_u32_e32 v1, vcc, v1, v51, vcc
	global_store_dwordx4 v[0:1], v[2:5], off offset:-8
	s_or_b64 exec, exec, s[46:47]
	s_and_saveexec_b64 s[44:45], s[42:43]
	s_cbranch_execz .LBB114_3
.LBB114_19:                             ;   in Loop: Header=BB114_4 Depth=1
	s_waitcnt vmcnt(0)
	v_xor_b32_e32 v1, 0x80000000, v41
	v_mov_b32_e32 v0, v40
	v_mov_b32_e32 v2, v38
	;; [unrolled: 1-line block ×3, first 2 shown]
	s_getpc_b64 s[4:5]
	s_add_u32 s4, s4, _ZN6thrust23THRUST_200600_302600_NS6detail7complex5csinhERKNS0_7complexIdEE@rel32@lo+4
	s_addc_u32 s5, s5, _ZN6thrust23THRUST_200600_302600_NS6detail7complex5csinhERKNS0_7complexIdEE@rel32@hi+12
	s_swappc_b64 s[30:31], s[4:5]
	v_mov_b32_e32 v4, v0
	v_xor_b32_e32 v5, 0x80000000, v1
	v_mov_b32_e32 v1, s60
	v_add_co_u32_e32 v0, vcc, s33, v54
	v_addc_co_u32_e32 v1, vcc, v1, v55, vcc
	global_store_dwordx4 v[0:1], v[2:5], off offset:-8
	s_branch .LBB114_3
.LBB114_20:
	s_cbranch_execz .LBB114_22
	s_branch .LBB114_25
.LBB114_21:
.LBB114_22:
	v_mov_b32_e32 v55, 0
	v_lshlrev_b32_e32 v54, 2, v50
	s_mov_b32 s4, 0
	v_cmp_gt_i64_e32 vcc, s[48:49], v[54:55]
	s_and_saveexec_b64 s[6:7], vcc
	s_cbranch_execz .LBB114_25
; %bb.23:
	s_load_dword s5, s[40:41], 0xd3c
	v_lshlrev_b32_e32 v0, 6, v50
	s_mov_b64 s[40:41], 0
	s_mov_b64 s[42:43], 0xffff
	v_mov_b32_e32 v58, s4
	s_waitcnt lgkmcnt(0)
	s_and_b32 s5, s5, 0xffff
	s_lshl_b32 s33, s5, 2
	s_add_u32 s6, s50, s52
	s_addc_u32 s7, s51, s53
	v_mov_b32_e32 v1, s7
	v_add_co_u32_e32 v56, vcc, s6, v0
	v_add_lshl_u32 v54, v50, s5, 2
	v_addc_co_u32_e32 v57, vcc, 0, v1, vcc
	s_lshl_b32 s44, s5, 6
	v_mov_b32_e32 v59, s4
.LBB114_24:                             ; =>This Inner Loop Header: Depth=1
	global_load_dwordx4 v[2:5], v[56:57], off
	global_load_dwordx4 v[38:41], v[56:57], off offset:16
	global_load_dwordx4 v[42:45], v[56:57], off offset:48
	;; [unrolled: 1-line block ×3, first 2 shown]
	s_getpc_b64 s[46:47]
	s_add_u32 s46, s46, _ZN6thrust23THRUST_200600_302600_NS6detail7complex5csinhERKNS0_7complexIdEE@rel32@lo+4
	s_addc_u32 s47, s47, _ZN6thrust23THRUST_200600_302600_NS6detail7complex5csinhERKNS0_7complexIdEE@rel32@hi+12
	s_waitcnt vmcnt(3)
	v_xor_b32_e32 v1, 0x80000000, v5
	v_mov_b32_e32 v0, v4
	s_swappc_b64 s[30:31], s[46:47]
	v_mov_b32_e32 v52, v0
	v_mov_b32_e32 v50, v2
	v_mov_b32_e32 v51, v3
	v_xor_b32_e32 v53, 0x80000000, v1
	v_xor_b32_e32 v1, 0x80000000, v41
	v_mov_b32_e32 v0, v40
	v_mov_b32_e32 v2, v38
	v_mov_b32_e32 v3, v39
	s_swappc_b64 s[30:31], s[46:47]
	v_mov_b32_e32 v40, v0
	v_mov_b32_e32 v38, v2
	v_mov_b32_e32 v39, v3
	v_xor_b32_e32 v41, 0x80000000, v1
	v_xor_b32_e32 v1, 0x80000000, v49
	v_mov_b32_e32 v0, v48
	v_mov_b32_e32 v2, v46
	;; [unrolled: 9-line block ×3, first 2 shown]
	v_mov_b32_e32 v3, v43
	s_swappc_b64 s[30:31], s[46:47]
	v_cmp_le_i64_e32 vcc, s[48:49], v[54:55]
	v_cmp_lt_u64_e64 s[4:5], s[42:43], v[54:55]
	v_mov_b32_e32 v4, v0
	v_xor_b32_e32 v5, 0x80000000, v1
	s_or_b64 s[4:5], vcc, s[4:5]
	global_store_dwordx4 v[56:57], v[50:53], off
	global_store_dwordx4 v[56:57], v[38:41], off offset:16
	global_store_dwordx4 v[56:57], v[46:49], off offset:32
	v_add_co_u32_e64 v54, s[6:7], s33, v54
	global_store_dwordx4 v[56:57], v[2:5], off offset:48
	s_and_b64 s[4:5], exec, s[4:5]
	v_add_co_u32_e32 v56, vcc, s44, v56
	v_addc_co_u32_e64 v55, s[6:7], v55, v58, s[6:7]
	s_or_b64 s[40:41], s[4:5], s[40:41]
	v_addc_co_u32_e32 v57, vcc, v57, v59, vcc
	s_andn2_b64 exec, exec, s[40:41]
	s_cbranch_execnz .LBB114_24
.LBB114_25:
	s_endpgm
	.section	.rodata,"a",@progbits
	.p2align	6, 0x0
	.amdhsa_kernel _ZN2at6native12_GLOBAL__N_125multi_tensor_apply_kernelINS1_18TensorListMetadataILi1EEENS1_14UnaryOpFunctorIN3c107complexIdEELi1ELi1ELi0EEEJNS0_3SinIS8_EEEEEvT_T0_DpT1_
		.amdhsa_group_segment_fixed_size 0
		.amdhsa_private_segment_fixed_size 8
		.amdhsa_kernarg_size 3632
		.amdhsa_user_sgpr_count 8
		.amdhsa_user_sgpr_private_segment_buffer 1
		.amdhsa_user_sgpr_dispatch_ptr 0
		.amdhsa_user_sgpr_queue_ptr 0
		.amdhsa_user_sgpr_kernarg_segment_ptr 1
		.amdhsa_user_sgpr_dispatch_id 0
		.amdhsa_user_sgpr_flat_scratch_init 1
		.amdhsa_user_sgpr_kernarg_preload_length 0
		.amdhsa_user_sgpr_kernarg_preload_offset 0
		.amdhsa_user_sgpr_private_segment_size 0
		.amdhsa_uses_dynamic_stack 0
		.amdhsa_system_sgpr_private_segment_wavefront_offset 1
		.amdhsa_system_sgpr_workgroup_id_x 1
		.amdhsa_system_sgpr_workgroup_id_y 0
		.amdhsa_system_sgpr_workgroup_id_z 0
		.amdhsa_system_sgpr_workgroup_info 0
		.amdhsa_system_vgpr_workitem_id 0
		.amdhsa_next_free_vgpr 63
		.amdhsa_next_free_sgpr 63
		.amdhsa_accum_offset 64
		.amdhsa_reserve_vcc 1
		.amdhsa_reserve_flat_scratch 1
		.amdhsa_float_round_mode_32 0
		.amdhsa_float_round_mode_16_64 0
		.amdhsa_float_denorm_mode_32 3
		.amdhsa_float_denorm_mode_16_64 3
		.amdhsa_dx10_clamp 1
		.amdhsa_ieee_mode 1
		.amdhsa_fp16_overflow 0
		.amdhsa_tg_split 0
		.amdhsa_exception_fp_ieee_invalid_op 0
		.amdhsa_exception_fp_denorm_src 0
		.amdhsa_exception_fp_ieee_div_zero 0
		.amdhsa_exception_fp_ieee_overflow 0
		.amdhsa_exception_fp_ieee_underflow 0
		.amdhsa_exception_fp_ieee_inexact 0
		.amdhsa_exception_int_div_zero 0
	.end_amdhsa_kernel
	.section	.text._ZN2at6native12_GLOBAL__N_125multi_tensor_apply_kernelINS1_18TensorListMetadataILi1EEENS1_14UnaryOpFunctorIN3c107complexIdEELi1ELi1ELi0EEEJNS0_3SinIS8_EEEEEvT_T0_DpT1_,"axG",@progbits,_ZN2at6native12_GLOBAL__N_125multi_tensor_apply_kernelINS1_18TensorListMetadataILi1EEENS1_14UnaryOpFunctorIN3c107complexIdEELi1ELi1ELi0EEEJNS0_3SinIS8_EEEEEvT_T0_DpT1_,comdat
.Lfunc_end114:
	.size	_ZN2at6native12_GLOBAL__N_125multi_tensor_apply_kernelINS1_18TensorListMetadataILi1EEENS1_14UnaryOpFunctorIN3c107complexIdEELi1ELi1ELi0EEEJNS0_3SinIS8_EEEEEvT_T0_DpT1_, .Lfunc_end114-_ZN2at6native12_GLOBAL__N_125multi_tensor_apply_kernelINS1_18TensorListMetadataILi1EEENS1_14UnaryOpFunctorIN3c107complexIdEELi1ELi1ELi0EEEJNS0_3SinIS8_EEEEEvT_T0_DpT1_
                                        ; -- End function
	.section	.AMDGPU.csdata,"",@progbits
; Kernel info:
; codeLenInByte = 1556
; NumSgprs: 69
; NumVgprs: 63
; NumAgprs: 0
; TotalNumVgprs: 63
; ScratchSize: 8
; MemoryBound: 1
; FloatMode: 240
; IeeeMode: 1
; LDSByteSize: 0 bytes/workgroup (compile time only)
; SGPRBlocks: 8
; VGPRBlocks: 7
; NumSGPRsForWavesPerEU: 69
; NumVGPRsForWavesPerEU: 63
; AccumOffset: 64
; Occupancy: 8
; WaveLimiterHint : 0
; COMPUTE_PGM_RSRC2:SCRATCH_EN: 1
; COMPUTE_PGM_RSRC2:USER_SGPR: 8
; COMPUTE_PGM_RSRC2:TRAP_HANDLER: 0
; COMPUTE_PGM_RSRC2:TGID_X_EN: 1
; COMPUTE_PGM_RSRC2:TGID_Y_EN: 0
; COMPUTE_PGM_RSRC2:TGID_Z_EN: 0
; COMPUTE_PGM_RSRC2:TIDIG_COMP_CNT: 0
; COMPUTE_PGM_RSRC3_GFX90A:ACCUM_OFFSET: 15
; COMPUTE_PGM_RSRC3_GFX90A:TG_SPLIT: 0
	.section	.text._ZN2at6native12_GLOBAL__N_125multi_tensor_apply_kernelINS1_18TensorListMetadataILi1EEENS1_14UnaryOpFunctorIN3c107complexIfEELi1ELi1ELi0EEEJNS0_3SinIS8_EEEEEvT_T0_DpT1_,"axG",@progbits,_ZN2at6native12_GLOBAL__N_125multi_tensor_apply_kernelINS1_18TensorListMetadataILi1EEENS1_14UnaryOpFunctorIN3c107complexIfEELi1ELi1ELi0EEEJNS0_3SinIS8_EEEEEvT_T0_DpT1_,comdat
	.globl	_ZN2at6native12_GLOBAL__N_125multi_tensor_apply_kernelINS1_18TensorListMetadataILi1EEENS1_14UnaryOpFunctorIN3c107complexIfEELi1ELi1ELi0EEEJNS0_3SinIS8_EEEEEvT_T0_DpT1_ ; -- Begin function _ZN2at6native12_GLOBAL__N_125multi_tensor_apply_kernelINS1_18TensorListMetadataILi1EEENS1_14UnaryOpFunctorIN3c107complexIfEELi1ELi1ELi0EEEJNS0_3SinIS8_EEEEEvT_T0_DpT1_
	.p2align	8
	.type	_ZN2at6native12_GLOBAL__N_125multi_tensor_apply_kernelINS1_18TensorListMetadataILi1EEENS1_14UnaryOpFunctorIN3c107complexIfEELi1ELi1ELi0EEEJNS0_3SinIS8_EEEEEvT_T0_DpT1_,@function
_ZN2at6native12_GLOBAL__N_125multi_tensor_apply_kernelINS1_18TensorListMetadataILi1EEENS1_14UnaryOpFunctorIN3c107complexIfEELi1ELi1ELi0EEEJNS0_3SinIS8_EEEEEvT_T0_DpT1_: ; @_ZN2at6native12_GLOBAL__N_125multi_tensor_apply_kernelINS1_18TensorListMetadataILi1EEENS1_14UnaryOpFunctorIN3c107complexIfEELi1ELi1ELi0EEEJNS0_3SinIS8_EEEEEvT_T0_DpT1_
; %bb.0:
	v_mov_b32_e32 v22, v0
	v_mov_b32_e32 v0, s8
	global_load_ubyte v0, v0, s[4:5] offset:1760
	s_add_u32 flat_scratch_lo, s6, s9
	s_addc_u32 flat_scratch_hi, s7, 0
	s_add_u32 s0, s0, s9
	s_addc_u32 s1, s1, 0
	s_mov_b64 s[26:27], s[4:5]
	s_add_u32 s4, s26, s8
	s_mul_hi_u32 s5, s8, 3
	s_mul_i32 s8, s8, 3
	s_addc_u32 s6, s27, 0
	s_add_u32 s4, s4, s8
	s_addc_u32 s5, s6, s5
	s_load_dword s4, s[4:5], 0x820
	s_mov_b32 s9, 0
	s_mov_b32 s32, 0
	s_waitcnt vmcnt(0)
	v_readfirstlane_b32 s5, v0
	s_lshl_b32 s5, s5, 3
	s_load_dwordx2 s[40:41], s[26:27], s5 offset:0x0
	s_load_dwordx2 s[6:7], s[26:27], s5 offset:0x370
	s_waitcnt lgkmcnt(0)
	s_ashr_i32 s5, s4, 31
	s_lshl_b64 s[42:43], s[4:5], 19
	s_add_u32 s33, s40, s42
	s_addc_u32 s50, s41, s43
	s_lshl_b64 s[4:5], s[4:5], 16
	s_and_b32 s8, s33, 31
	s_sub_u32 s38, s6, s4
	s_subb_u32 s39, s7, s5
	s_and_b32 s4, s6, 3
	s_mov_b32 s5, s9
	s_or_b64 s[4:5], s[8:9], s[4:5]
	s_cmp_eq_u64 s[4:5], 0
	s_cbranch_scc1 .LBB115_21
; %bb.1:
	v_cmp_lt_i64_e64 s[4:5], s[38:39], 1
	s_and_b64 vcc, exec, s[4:5]
	s_cbranch_vccnz .LBB115_20
; %bb.2:
	s_load_dword s4, s[26:27], 0xd3c
	v_mov_b32_e32 v0, 0x10000
	v_mov_b32_e32 v1, 0
	v_cmp_lt_u64_e32 vcc, s[38:39], v[0:1]
	v_mov_b32_e32 v25, 0
	s_waitcnt lgkmcnt(0)
	s_and_b32 s6, s4, 0xffff
	s_mul_i32 s8, s6, 3
	s_and_b64 s[4:5], vcc, exec
	v_lshlrev_b32_e32 v24, 3, v22
	v_add_co_u32_e32 v21, vcc, s8, v22
	v_mad_u64_u32 v[26:27], s[4:5], s6, 24, v[24:25]
	v_addc_co_u32_e64 v23, s[4:5], 0, 0, vcc
	s_cselect_b32 s45, s39, 0
	s_cselect_b32 s44, s38, 0x10000
	s_lshl_b32 s4, s6, 4
	s_lshl_b32 s7, s6, 1
	v_add_co_u32_e32 v25, vcc, s4, v24
	v_addc_co_u32_e64 v29, s[4:5], 0, 0, vcc
	v_add_co_u32_e32 v38, vcc, s7, v22
	v_addc_co_u32_e64 v39, s[4:5], 0, 0, vcc
	v_add_co_u32_e32 v40, vcc, s6, v22
	s_lshl_b32 s51, s6, 2
	s_lshl_b32 s52, s6, 5
	v_addc_co_u32_e64 v41, s[4:5], 0, 0, vcc
	v_lshlrev_b32_e32 v28, 3, v40
	s_mov_b64 s[46:47], 0
	v_pk_mov_b32 v[30:31], s[38:39], s[38:39] op_sel:[0,1]
	s_branch .LBB115_4
.LBB115_3:                              ;   in Loop: Header=BB115_4 Depth=1
	s_or_b64 exec, exec, s[28:29]
	s_add_u32 s46, s46, s51
	v_mov_b32_e32 v0, 0x10000
	s_addc_u32 s47, s47, 0
	v_mov_b32_e32 v1, 0
	v_cmp_lt_i64_e32 vcc, s[46:47], v[30:31]
	v_cmp_lt_u64_e64 s[4:5], s[46:47], v[0:1]
	s_and_b64 s[4:5], vcc, s[4:5]
	s_add_u32 s33, s33, s52
	s_addc_u32 s50, s50, 0
	s_and_b64 vcc, exec, s[4:5]
	s_cbranch_vccz .LBB115_20
.LBB115_4:                              ; =>This Inner Loop Header: Depth=1
	v_mov_b32_e32 v1, s47
	v_add_co_u32_e32 v0, vcc, s46, v22
	v_addc_co_u32_e32 v1, vcc, 0, v1, vcc
	v_cmp_gt_u64_e32 vcc, s[44:45], v[0:1]
	s_waitcnt vmcnt(0)
	v_mov_b32_e32 v2, 0
	v_mov_b32_e32 v3, 0
	s_and_saveexec_b64 s[6:7], vcc
	s_cbranch_execz .LBB115_6
; %bb.5:                                ;   in Loop: Header=BB115_4 Depth=1
	v_mov_b32_e32 v1, s50
	v_add_co_u32_e64 v0, s[4:5], s33, v24
	v_addc_co_u32_e64 v1, s[4:5], 0, v1, s[4:5]
	global_load_dwordx2 v[2:3], v[0:1], off
.LBB115_6:                              ;   in Loop: Header=BB115_4 Depth=1
	s_or_b64 exec, exec, s[6:7]
	v_mov_b32_e32 v1, s47
	v_add_co_u32_e64 v0, s[4:5], s46, v40
	v_addc_co_u32_e64 v1, s[4:5], v41, v1, s[4:5]
	v_cmp_gt_u64_e64 s[28:29], s[44:45], v[0:1]
	v_mov_b32_e32 v32, 0
	v_mov_b32_e32 v34, 0
	;; [unrolled: 1-line block ×3, first 2 shown]
	s_and_saveexec_b64 s[6:7], s[28:29]
	s_cbranch_execz .LBB115_8
; %bb.7:                                ;   in Loop: Header=BB115_4 Depth=1
	v_mov_b32_e32 v1, s50
	v_add_co_u32_e64 v0, s[4:5], s33, v28
	v_addc_co_u32_e64 v1, s[4:5], 0, v1, s[4:5]
	global_load_dwordx2 v[34:35], v[0:1], off
.LBB115_8:                              ;   in Loop: Header=BB115_4 Depth=1
	s_or_b64 exec, exec, s[6:7]
	v_mov_b32_e32 v1, s47
	v_add_co_u32_e64 v0, s[4:5], s46, v38
	v_addc_co_u32_e64 v1, s[4:5], v39, v1, s[4:5]
	v_cmp_gt_u64_e64 s[34:35], s[44:45], v[0:1]
	v_mov_b32_e32 v33, 0
	s_and_saveexec_b64 s[6:7], s[34:35]
	s_cbranch_execz .LBB115_10
; %bb.9:                                ;   in Loop: Header=BB115_4 Depth=1
	v_mov_b32_e32 v1, s50
	v_add_co_u32_e64 v0, s[4:5], s33, v25
	v_addc_co_u32_e64 v1, s[4:5], v1, v29, s[4:5]
	global_load_dwordx2 v[32:33], v[0:1], off
.LBB115_10:                             ;   in Loop: Header=BB115_4 Depth=1
	s_or_b64 exec, exec, s[6:7]
	v_mov_b32_e32 v1, s47
	v_add_co_u32_e64 v0, s[4:5], s46, v21
	v_addc_co_u32_e64 v1, s[4:5], v23, v1, s[4:5]
	v_cmp_gt_u64_e64 s[36:37], s[44:45], v[0:1]
	v_mov_b32_e32 v36, 0
	v_mov_b32_e32 v37, 0
	s_and_saveexec_b64 s[6:7], s[36:37]
	s_cbranch_execnz .LBB115_15
; %bb.11:                               ;   in Loop: Header=BB115_4 Depth=1
	s_or_b64 exec, exec, s[6:7]
	s_and_saveexec_b64 s[48:49], vcc
	s_cbranch_execnz .LBB115_16
.LBB115_12:                             ;   in Loop: Header=BB115_4 Depth=1
	s_or_b64 exec, exec, s[48:49]
	s_and_saveexec_b64 s[48:49], s[28:29]
	s_cbranch_execnz .LBB115_17
.LBB115_13:                             ;   in Loop: Header=BB115_4 Depth=1
	s_or_b64 exec, exec, s[48:49]
	s_and_saveexec_b64 s[28:29], s[34:35]
	s_cbranch_execnz .LBB115_18
.LBB115_14:                             ;   in Loop: Header=BB115_4 Depth=1
	s_or_b64 exec, exec, s[28:29]
	s_and_saveexec_b64 s[28:29], s[36:37]
	s_cbranch_execz .LBB115_3
	s_branch .LBB115_19
.LBB115_15:                             ;   in Loop: Header=BB115_4 Depth=1
	v_mov_b32_e32 v1, s50
	v_add_co_u32_e64 v0, s[4:5], s33, v26
	v_addc_co_u32_e64 v1, s[4:5], v1, v27, s[4:5]
	global_load_dwordx2 v[36:37], v[0:1], off
	s_or_b64 exec, exec, s[6:7]
	s_and_saveexec_b64 s[48:49], vcc
	s_cbranch_execz .LBB115_12
.LBB115_16:                             ;   in Loop: Header=BB115_4 Depth=1
	s_waitcnt vmcnt(0)
	v_xor_b32_e32 v0, 0x80000000, v3
	v_mov_b32_e32 v1, v2
	s_getpc_b64 s[4:5]
	s_add_u32 s4, s4, _ZN6thrust23THRUST_200600_302600_NS6detail7complex6csinhfERKNS0_7complexIfEE@rel32@lo+4
	s_addc_u32 s5, s5, _ZN6thrust23THRUST_200600_302600_NS6detail7complex6csinhfERKNS0_7complexIfEE@rel32@hi+12
	s_swappc_b64 s[30:31], s[4:5]
	v_mov_b32_e32 v2, v1
	v_xor_b32_e32 v3, 0x80000000, v0
	v_mov_b32_e32 v1, s50
	v_add_co_u32_e32 v0, vcc, s33, v24
	v_addc_co_u32_e32 v1, vcc, 0, v1, vcc
	global_store_dwordx2 v[0:1], v[2:3], off
	s_or_b64 exec, exec, s[48:49]
	s_and_saveexec_b64 s[48:49], s[28:29]
	s_cbranch_execz .LBB115_13
.LBB115_17:                             ;   in Loop: Header=BB115_4 Depth=1
	s_waitcnt vmcnt(0)
	v_xor_b32_e32 v0, 0x80000000, v35
	v_mov_b32_e32 v1, v34
	s_getpc_b64 s[4:5]
	s_add_u32 s4, s4, _ZN6thrust23THRUST_200600_302600_NS6detail7complex6csinhfERKNS0_7complexIfEE@rel32@lo+4
	s_addc_u32 s5, s5, _ZN6thrust23THRUST_200600_302600_NS6detail7complex6csinhfERKNS0_7complexIfEE@rel32@hi+12
	s_swappc_b64 s[30:31], s[4:5]
	v_mov_b32_e32 v2, v1
	v_xor_b32_e32 v3, 0x80000000, v0
	v_mov_b32_e32 v1, s50
	v_add_co_u32_e32 v0, vcc, s33, v28
	v_addc_co_u32_e32 v1, vcc, 0, v1, vcc
	global_store_dwordx2 v[0:1], v[2:3], off
	s_or_b64 exec, exec, s[48:49]
	s_and_saveexec_b64 s[28:29], s[34:35]
	s_cbranch_execz .LBB115_14
.LBB115_18:                             ;   in Loop: Header=BB115_4 Depth=1
	s_waitcnt vmcnt(0)
	v_xor_b32_e32 v0, 0x80000000, v33
	v_mov_b32_e32 v1, v32
	s_getpc_b64 s[4:5]
	s_add_u32 s4, s4, _ZN6thrust23THRUST_200600_302600_NS6detail7complex6csinhfERKNS0_7complexIfEE@rel32@lo+4
	s_addc_u32 s5, s5, _ZN6thrust23THRUST_200600_302600_NS6detail7complex6csinhfERKNS0_7complexIfEE@rel32@hi+12
	s_swappc_b64 s[30:31], s[4:5]
	v_mov_b32_e32 v2, v1
	v_xor_b32_e32 v3, 0x80000000, v0
	v_mov_b32_e32 v1, s50
	v_add_co_u32_e32 v0, vcc, s33, v25
	v_addc_co_u32_e32 v1, vcc, v1, v29, vcc
	global_store_dwordx2 v[0:1], v[2:3], off
	s_or_b64 exec, exec, s[28:29]
	s_and_saveexec_b64 s[28:29], s[36:37]
	s_cbranch_execz .LBB115_3
.LBB115_19:                             ;   in Loop: Header=BB115_4 Depth=1
	s_waitcnt vmcnt(0)
	v_xor_b32_e32 v0, 0x80000000, v37
	v_mov_b32_e32 v1, v36
	s_getpc_b64 s[4:5]
	s_add_u32 s4, s4, _ZN6thrust23THRUST_200600_302600_NS6detail7complex6csinhfERKNS0_7complexIfEE@rel32@lo+4
	s_addc_u32 s5, s5, _ZN6thrust23THRUST_200600_302600_NS6detail7complex6csinhfERKNS0_7complexIfEE@rel32@hi+12
	s_swappc_b64 s[30:31], s[4:5]
	v_mov_b32_e32 v2, v1
	v_xor_b32_e32 v3, 0x80000000, v0
	v_mov_b32_e32 v1, s50
	v_add_co_u32_e32 v0, vcc, s33, v26
	v_addc_co_u32_e32 v1, vcc, v1, v27, vcc
	global_store_dwordx2 v[0:1], v[2:3], off
	s_branch .LBB115_3
.LBB115_20:
	s_cbranch_execz .LBB115_22
	s_branch .LBB115_25
.LBB115_21:
.LBB115_22:
	v_mov_b32_e32 v25, 0
	v_lshlrev_b32_e32 v24, 2, v22
	s_mov_b32 s4, 0
	v_cmp_gt_i64_e32 vcc, s[38:39], v[24:25]
	s_and_saveexec_b64 s[6:7], vcc
	s_cbranch_execz .LBB115_25
; %bb.23:
	s_load_dword s5, s[26:27], 0xd3c
	v_lshlrev_b32_e32 v0, 5, v22
	s_mov_b64 s[26:27], 0
	s_mov_b64 s[28:29], 0xffff
	v_mov_b32_e32 v21, s4
	s_waitcnt lgkmcnt(0)
	s_and_b32 s5, s5, 0xffff
	s_lshl_b32 s33, s5, 2
	s_add_u32 s6, s40, s42
	s_addc_u32 s7, s41, s43
	v_add_lshl_u32 v24, v22, s5, 2
	v_mov_b32_e32 v1, s7
	v_add_co_u32_e32 v22, vcc, s6, v0
	v_addc_co_u32_e32 v23, vcc, 0, v1, vcc
	s_lshl_b32 s34, s5, 5
	v_mov_b32_e32 v26, s4
.LBB115_24:                             ; =>This Inner Loop Header: Depth=1
	global_load_dwordx4 v[28:31], v[22:23], off
	global_load_dwordx4 v[32:35], v[22:23], off offset:16
	s_getpc_b64 s[36:37]
	s_add_u32 s36, s36, _ZN6thrust23THRUST_200600_302600_NS6detail7complex6csinhfERKNS0_7complexIfEE@rel32@lo+4
	s_addc_u32 s37, s37, _ZN6thrust23THRUST_200600_302600_NS6detail7complex6csinhfERKNS0_7complexIfEE@rel32@hi+12
	s_waitcnt vmcnt(1)
	v_xor_b32_e32 v0, 0x80000000, v29
	v_mov_b32_e32 v1, v28
	s_swappc_b64 s[30:31], s[36:37]
	v_mov_b32_e32 v28, v1
	v_xor_b32_e32 v29, 0x80000000, v0
	v_xor_b32_e32 v0, 0x80000000, v31
	v_mov_b32_e32 v1, v30
	s_swappc_b64 s[30:31], s[36:37]
	v_mov_b32_e32 v30, v1
	v_xor_b32_e32 v31, 0x80000000, v0
	;; [unrolled: 5-line block ×3, first 2 shown]
	v_xor_b32_e32 v0, 0x80000000, v35
	v_mov_b32_e32 v1, v34
	s_swappc_b64 s[30:31], s[36:37]
	v_cmp_le_i64_e32 vcc, s[38:39], v[24:25]
	v_cmp_lt_u64_e64 s[4:5], s[28:29], v[24:25]
	v_mov_b32_e32 v34, v1
	v_xor_b32_e32 v35, 0x80000000, v0
	s_or_b64 s[4:5], vcc, s[4:5]
	global_store_dwordx4 v[22:23], v[28:31], off
	v_add_co_u32_e64 v24, s[6:7], s33, v24
	global_store_dwordx4 v[22:23], v[32:35], off offset:16
	s_and_b64 s[4:5], exec, s[4:5]
	v_add_co_u32_e32 v22, vcc, s34, v22
	v_addc_co_u32_e64 v25, s[6:7], v25, v21, s[6:7]
	s_or_b64 s[26:27], s[4:5], s[26:27]
	v_addc_co_u32_e32 v23, vcc, v23, v26, vcc
	s_andn2_b64 exec, exec, s[26:27]
	s_cbranch_execnz .LBB115_24
.LBB115_25:
	s_endpgm
	.section	.rodata,"a",@progbits
	.p2align	6, 0x0
	.amdhsa_kernel _ZN2at6native12_GLOBAL__N_125multi_tensor_apply_kernelINS1_18TensorListMetadataILi1EEENS1_14UnaryOpFunctorIN3c107complexIfEELi1ELi1ELi0EEEJNS0_3SinIS8_EEEEEvT_T0_DpT1_
		.amdhsa_group_segment_fixed_size 0
		.amdhsa_private_segment_fixed_size 0
		.amdhsa_kernarg_size 3632
		.amdhsa_user_sgpr_count 8
		.amdhsa_user_sgpr_private_segment_buffer 1
		.amdhsa_user_sgpr_dispatch_ptr 0
		.amdhsa_user_sgpr_queue_ptr 0
		.amdhsa_user_sgpr_kernarg_segment_ptr 1
		.amdhsa_user_sgpr_dispatch_id 0
		.amdhsa_user_sgpr_flat_scratch_init 1
		.amdhsa_user_sgpr_kernarg_preload_length 0
		.amdhsa_user_sgpr_kernarg_preload_offset 0
		.amdhsa_user_sgpr_private_segment_size 0
		.amdhsa_uses_dynamic_stack 0
		.amdhsa_system_sgpr_private_segment_wavefront_offset 0
		.amdhsa_system_sgpr_workgroup_id_x 1
		.amdhsa_system_sgpr_workgroup_id_y 0
		.amdhsa_system_sgpr_workgroup_id_z 0
		.amdhsa_system_sgpr_workgroup_info 0
		.amdhsa_system_vgpr_workitem_id 0
		.amdhsa_next_free_vgpr 42
		.amdhsa_next_free_sgpr 53
		.amdhsa_accum_offset 44
		.amdhsa_reserve_vcc 1
		.amdhsa_reserve_flat_scratch 1
		.amdhsa_float_round_mode_32 0
		.amdhsa_float_round_mode_16_64 0
		.amdhsa_float_denorm_mode_32 3
		.amdhsa_float_denorm_mode_16_64 3
		.amdhsa_dx10_clamp 1
		.amdhsa_ieee_mode 1
		.amdhsa_fp16_overflow 0
		.amdhsa_tg_split 0
		.amdhsa_exception_fp_ieee_invalid_op 0
		.amdhsa_exception_fp_denorm_src 0
		.amdhsa_exception_fp_ieee_div_zero 0
		.amdhsa_exception_fp_ieee_overflow 0
		.amdhsa_exception_fp_ieee_underflow 0
		.amdhsa_exception_fp_ieee_inexact 0
		.amdhsa_exception_int_div_zero 0
	.end_amdhsa_kernel
	.section	.text._ZN2at6native12_GLOBAL__N_125multi_tensor_apply_kernelINS1_18TensorListMetadataILi1EEENS1_14UnaryOpFunctorIN3c107complexIfEELi1ELi1ELi0EEEJNS0_3SinIS8_EEEEEvT_T0_DpT1_,"axG",@progbits,_ZN2at6native12_GLOBAL__N_125multi_tensor_apply_kernelINS1_18TensorListMetadataILi1EEENS1_14UnaryOpFunctorIN3c107complexIfEELi1ELi1ELi0EEEJNS0_3SinIS8_EEEEEvT_T0_DpT1_,comdat
.Lfunc_end115:
	.size	_ZN2at6native12_GLOBAL__N_125multi_tensor_apply_kernelINS1_18TensorListMetadataILi1EEENS1_14UnaryOpFunctorIN3c107complexIfEELi1ELi1ELi0EEEJNS0_3SinIS8_EEEEEvT_T0_DpT1_, .Lfunc_end115-_ZN2at6native12_GLOBAL__N_125multi_tensor_apply_kernelINS1_18TensorListMetadataILi1EEENS1_14UnaryOpFunctorIN3c107complexIfEELi1ELi1ELi0EEEJNS0_3SinIS8_EEEEEvT_T0_DpT1_
                                        ; -- End function
	.section	.AMDGPU.csdata,"",@progbits
; Kernel info:
; codeLenInByte = 1412
; NumSgprs: 59
; NumVgprs: 42
; NumAgprs: 0
; TotalNumVgprs: 42
; ScratchSize: 0
; MemoryBound: 0
; FloatMode: 240
; IeeeMode: 1
; LDSByteSize: 0 bytes/workgroup (compile time only)
; SGPRBlocks: 7
; VGPRBlocks: 5
; NumSGPRsForWavesPerEU: 59
; NumVGPRsForWavesPerEU: 42
; AccumOffset: 44
; Occupancy: 8
; WaveLimiterHint : 0
; COMPUTE_PGM_RSRC2:SCRATCH_EN: 0
; COMPUTE_PGM_RSRC2:USER_SGPR: 8
; COMPUTE_PGM_RSRC2:TRAP_HANDLER: 0
; COMPUTE_PGM_RSRC2:TGID_X_EN: 1
; COMPUTE_PGM_RSRC2:TGID_Y_EN: 0
; COMPUTE_PGM_RSRC2:TGID_Z_EN: 0
; COMPUTE_PGM_RSRC2:TIDIG_COMP_CNT: 0
; COMPUTE_PGM_RSRC3_GFX90A:ACCUM_OFFSET: 10
; COMPUTE_PGM_RSRC3_GFX90A:TG_SPLIT: 0
	.section	.text._ZN2at6native12_GLOBAL__N_125multi_tensor_apply_kernelINS1_18TensorListMetadataILi1EEENS1_14UnaryOpFunctorIN3c104HalfELi1ELi1ELi0EEEJNS0_3SinIfEEEEEvT_T0_DpT1_,"axG",@progbits,_ZN2at6native12_GLOBAL__N_125multi_tensor_apply_kernelINS1_18TensorListMetadataILi1EEENS1_14UnaryOpFunctorIN3c104HalfELi1ELi1ELi0EEEJNS0_3SinIfEEEEEvT_T0_DpT1_,comdat
	.globl	_ZN2at6native12_GLOBAL__N_125multi_tensor_apply_kernelINS1_18TensorListMetadataILi1EEENS1_14UnaryOpFunctorIN3c104HalfELi1ELi1ELi0EEEJNS0_3SinIfEEEEEvT_T0_DpT1_ ; -- Begin function _ZN2at6native12_GLOBAL__N_125multi_tensor_apply_kernelINS1_18TensorListMetadataILi1EEENS1_14UnaryOpFunctorIN3c104HalfELi1ELi1ELi0EEEJNS0_3SinIfEEEEEvT_T0_DpT1_
	.p2align	8
	.type	_ZN2at6native12_GLOBAL__N_125multi_tensor_apply_kernelINS1_18TensorListMetadataILi1EEENS1_14UnaryOpFunctorIN3c104HalfELi1ELi1ELi0EEEJNS0_3SinIfEEEEEvT_T0_DpT1_,@function
_ZN2at6native12_GLOBAL__N_125multi_tensor_apply_kernelINS1_18TensorListMetadataILi1EEENS1_14UnaryOpFunctorIN3c104HalfELi1ELi1ELi0EEEJNS0_3SinIfEEEEEvT_T0_DpT1_: ; @_ZN2at6native12_GLOBAL__N_125multi_tensor_apply_kernelINS1_18TensorListMetadataILi1EEENS1_14UnaryOpFunctorIN3c104HalfELi1ELi1ELi0EEEJNS0_3SinIfEEEEEvT_T0_DpT1_
; %bb.0:
	v_mov_b32_e32 v1, s6
	global_load_ubyte v1, v1, s[4:5] offset:1760
	s_add_u32 s0, s4, s6
	s_mul_hi_u32 s1, s6, 3
	s_mul_i32 s6, s6, 3
	s_addc_u32 s2, s5, 0
	s_add_u32 s0, s0, s6
	s_addc_u32 s1, s2, s1
	s_load_dword s0, s[0:1], 0x820
	s_mov_b32 s7, 0
	s_waitcnt vmcnt(0)
	v_readfirstlane_b32 s2, v1
	s_lshl_b32 s1, s2, 3
	s_load_dwordx2 s[2:3], s[4:5], s1 offset:0x370
	s_load_dwordx2 s[18:19], s[4:5], s1 offset:0x0
	s_waitcnt lgkmcnt(0)
	s_ashr_i32 s1, s0, 31
	s_lshl_b64 s[20:21], s[0:1], 17
	s_lshl_b64 s[0:1], s[0:1], 16
	s_and_b32 s6, s18, 7
	s_sub_u32 s16, s2, s0
	s_subb_u32 s17, s3, s1
	s_and_b32 s0, s2, 3
	s_mov_b32 s1, s7
	s_or_b64 s[0:1], s[6:7], s[0:1]
	s_cmp_eq_u64 s[0:1], 0
	s_cbranch_scc1 .LBB116_37
; %bb.1:
	v_cmp_lt_i64_e64 s[0:1], s[16:17], 1
	s_and_b64 vcc, exec, s[0:1]
	s_cbranch_vccnz .LBB116_36
; %bb.2:
	s_load_dword s0, s[4:5], 0xd3c
	v_mov_b32_e32 v4, 0x10000
	v_mov_b32_e32 v5, 0
	v_cmp_lt_u64_e32 vcc, s[16:17], v[4:5]
	v_lshlrev_b32_e32 v1, 1, v0
	s_waitcnt lgkmcnt(0)
	s_and_b32 s2, s0, 0xffff
	s_and_b64 s[0:1], vcc, exec
	s_cselect_b32 s23, s17, 0
	s_cselect_b32 s22, s16, 0x10000
	s_lshl_b32 s3, s2, 1
	s_lshl_b32 s29, s2, 2
	s_add_u32 s6, s18, s20
	s_addc_u32 s7, s19, s21
	v_mov_b32_e32 v2, s7
	v_add_co_u32_e32 v4, vcc, s6, v1
	s_mul_i32 s0, s2, 3
	v_addc_co_u32_e32 v5, vcc, 0, v2, vcc
	v_add_co_u32_e32 v1, vcc, s0, v0
	v_addc_co_u32_e64 v8, s[0:1], 0, 0, vcc
	v_add_co_u32_e32 v9, vcc, s3, v0
	v_addc_co_u32_e64 v10, s[0:1], 0, 0, vcc
	v_add_co_u32_e32 v11, vcc, s2, v0
	v_lshlrev_b32_e32 v2, 1, v11
	s_mov_b32 s28, 0
	v_addc_co_u32_e64 v12, s[0:1], 0, 0, vcc
	v_mov_b32_e32 v7, s7
	v_add_co_u32_e32 v6, vcc, s6, v2
	v_mov_b32_e32 v3, 0
	s_lshl_b32 s30, s2, 3
	s_mov_b32 s31, s28
	s_mul_i32 s33, s2, 6
	s_mov_b32 s34, s28
	v_addc_co_u32_e32 v7, vcc, 0, v7, vcc
	s_mov_b64 s[24:25], 0
	s_brev_b32 s35, 18
	s_mov_b32 s36, 0xfe5163ab
	s_mov_b32 s37, 0x3c439041
	;; [unrolled: 1-line block ×10, first 2 shown]
	v_mov_b32_e32 v13, 0xbe2aaa9d
	v_mov_b32_e32 v14, 0x3d2aabf7
	;; [unrolled: 1-line block ×3, first 2 shown]
	s_movk_i32 s46, 0x1f8
	v_not_b32_e32 v16, 63
	v_not_b32_e32 v17, 31
	v_mov_b32_e32 v18, 0x7fc00000
	s_branch .LBB116_4
.LBB116_3:                              ;   in Loop: Header=BB116_4 Depth=1
	s_or_b64 exec, exec, s[0:1]
	s_add_u32 s24, s24, s29
	s_addc_u32 s25, s25, 0
	v_pk_mov_b32 v[20:21], s[16:17], s[16:17] op_sel:[0,1]
	v_cmp_ge_i64_e32 vcc, s[24:25], v[20:21]
	v_mov_b32_e32 v20, 0xffff
	v_mov_b32_e32 v21, 0
	v_cmp_gt_u64_e64 s[0:1], s[24:25], v[20:21]
	s_or_b64 s[0:1], vcc, s[0:1]
	v_mov_b32_e32 v2, s31
	v_add_co_u32_e32 v4, vcc, s30, v4
	v_addc_co_u32_e32 v5, vcc, v5, v2, vcc
	v_add_co_u32_e32 v6, vcc, s30, v6
	v_addc_co_u32_e32 v7, vcc, v7, v2, vcc
	s_and_b64 vcc, exec, s[0:1]
	s_cbranch_vccnz .LBB116_36
.LBB116_4:                              ; =>This Inner Loop Header: Depth=1
	v_mov_b32_e32 v2, s25
	v_add_co_u32_e32 v20, vcc, s24, v0
	v_addc_co_u32_e32 v21, vcc, 0, v2, vcc
	v_cmp_gt_u64_e64 s[6:7], s[22:23], v[20:21]
	v_mov_b32_e32 v2, 0
	s_and_saveexec_b64 s[0:1], s[6:7]
	s_cbranch_execz .LBB116_6
; %bb.5:                                ;   in Loop: Header=BB116_4 Depth=1
	global_load_ushort v2, v[4:5], off
.LBB116_6:                              ;   in Loop: Header=BB116_4 Depth=1
	s_or_b64 exec, exec, s[0:1]
	v_mov_b32_e32 v19, s25
	v_add_co_u32_e32 v20, vcc, s24, v11
	v_addc_co_u32_e32 v21, vcc, v12, v19, vcc
	v_cmp_gt_u64_e64 s[2:3], s[22:23], v[20:21]
	v_mov_b32_e32 v23, 0
	s_and_saveexec_b64 s[0:1], s[2:3]
	s_cbranch_execz .LBB116_8
; %bb.7:                                ;   in Loop: Header=BB116_4 Depth=1
	global_load_ushort v23, v[6:7], off
.LBB116_8:                              ;   in Loop: Header=BB116_4 Depth=1
	s_or_b64 exec, exec, s[0:1]
	v_mov_b32_e32 v19, s25
	v_add_co_u32_e32 v20, vcc, s24, v9
	v_addc_co_u32_e32 v21, vcc, v10, v19, vcc
	v_cmp_gt_u64_e64 s[0:1], s[22:23], v[20:21]
	v_mov_b32_e32 v25, 0
	v_mov_b32_e32 v28, 0
	s_and_saveexec_b64 s[8:9], s[0:1]
	s_cbranch_execz .LBB116_10
; %bb.9:                                ;   in Loop: Header=BB116_4 Depth=1
	v_mov_b32_e32 v19, s28
	v_add_co_u32_e32 v20, vcc, s29, v4
	v_addc_co_u32_e32 v21, vcc, v5, v19, vcc
	global_load_ushort v28, v[20:21], off
.LBB116_10:                             ;   in Loop: Header=BB116_4 Depth=1
	s_or_b64 exec, exec, s[8:9]
	v_mov_b32_e32 v19, s25
	v_add_co_u32_e32 v20, vcc, s24, v1
	v_addc_co_u32_e32 v21, vcc, v8, v19, vcc
	v_cmp_gt_u64_e32 vcc, s[22:23], v[20:21]
	s_and_saveexec_b64 s[10:11], vcc
	s_cbranch_execz .LBB116_12
; %bb.11:                               ;   in Loop: Header=BB116_4 Depth=1
	v_mov_b32_e32 v19, s34
	v_add_co_u32_e64 v20, s[8:9], s33, v4
	v_addc_co_u32_e64 v21, s[8:9], v5, v19, s[8:9]
	global_load_ushort v25, v[20:21], off
.LBB116_12:                             ;   in Loop: Header=BB116_4 Depth=1
	s_or_b64 exec, exec, s[10:11]
	s_waitcnt vmcnt(0)
	v_cvt_f32_f16_e32 v19, v2
                                        ; implicit-def: $vgpr21
                                        ; implicit-def: $vgpr22
	v_and_b32_e32 v20, 0x7fffffff, v19
	v_cmp_nlt_f32_e64 s[8:9], |v19|, s35
	s_and_saveexec_b64 s[10:11], s[8:9]
	s_xor_b64 s[26:27], exec, s[10:11]
	s_cbranch_execz .LBB116_14
; %bb.13:                               ;   in Loop: Header=BB116_4 Depth=1
	v_lshrrev_b32_e32 v2, 23, v20
	v_add_u32_e32 v2, 0xffffff88, v2
	v_cmp_lt_u32_e64 s[8:9], 63, v2
	v_cndmask_b32_e64 v21, 0, v16, s[8:9]
	v_add_u32_e32 v2, v21, v2
	v_cmp_lt_u32_e64 s[10:11], 31, v2
	v_cndmask_b32_e64 v21, 0, v17, s[10:11]
	;; [unrolled: 3-line block ×3, first 2 shown]
	v_add_u32_e32 v21, v21, v2
	v_and_b32_e32 v2, 0x7fffff, v20
	v_or_b32_e32 v22, 0x800000, v2
	v_mad_u64_u32 v[26:27], s[14:15], v22, s36, 0
	v_mov_b32_e32 v2, v27
	v_mad_u64_u32 v[30:31], s[14:15], v22, s37, v[2:3]
	v_mov_b32_e32 v2, v31
	;; [unrolled: 2-line block ×6, first 2 shown]
	v_mad_u64_u32 v[40:41], s[14:15], v22, s42, v[2:3]
	v_cndmask_b32_e64 v24, v38, v34, s[8:9]
	v_cndmask_b32_e64 v2, v40, v36, s[8:9]
	;; [unrolled: 1-line block ×7, first 2 shown]
	v_sub_u32_e32 v29, 32, v21
	v_cmp_eq_u32_e64 s[14:15], 0, v21
	v_cndmask_b32_e64 v21, v34, v30, s[8:9]
	v_cndmask_b32_e64 v2, v2, v22, s[12:13]
	;; [unrolled: 1-line block ×4, first 2 shown]
	v_alignbit_b32 v31, v2, v22, v29
	v_cndmask_b32_e64 v24, v24, v27, s[12:13]
	v_cndmask_b32_e64 v2, v31, v2, s[14:15]
	v_alignbit_b32 v30, v22, v24, v29
	v_cndmask_b32_e64 v26, v32, v26, s[8:9]
	v_cndmask_b32_e64 v22, v30, v22, s[14:15]
	v_bfe_u32 v33, v2, 29, 1
	v_cndmask_b32_e64 v21, v21, v26, s[10:11]
	v_alignbit_b32 v30, v2, v22, 30
	v_sub_u32_e32 v34, 0, v33
	v_cndmask_b32_e64 v21, v27, v21, s[12:13]
	v_xor_b32_e32 v35, v30, v34
	v_alignbit_b32 v26, v24, v21, v29
	v_cndmask_b32_e64 v24, v26, v24, s[14:15]
	v_ffbh_u32_e32 v26, v35
	v_add_u32_e32 v26, 1, v26
	v_cmp_ne_u32_e64 s[8:9], v30, v34
	v_alignbit_b32 v22, v22, v24, 30
	v_cndmask_b32_e64 v26, 33, v26, s[8:9]
	v_alignbit_b32 v21, v24, v21, 30
	v_xor_b32_e32 v22, v22, v34
	v_sub_u32_e32 v27, 32, v26
	v_xor_b32_e32 v21, v21, v34
	v_alignbit_b32 v29, v35, v22, v27
	v_alignbit_b32 v21, v22, v21, v27
	;; [unrolled: 1-line block ×3, first 2 shown]
	v_ffbh_u32_e32 v24, v22
	v_min_u32_e32 v24, 32, v24
	v_lshrrev_b32_e32 v31, 29, v2
	v_sub_u32_e32 v27, 31, v24
	v_alignbit_b32 v21, v22, v21, v27
	v_lshlrev_b32_e32 v22, 31, v31
	v_or_b32_e32 v27, 0x33800000, v22
	v_add_lshl_u32 v24, v24, v26, 23
	v_lshrrev_b32_e32 v21, 9, v21
	v_sub_u32_e32 v24, v27, v24
	v_or_b32_e32 v21, v24, v21
	v_alignbit_b32 v24, v26, v29, 9
	v_or_b32_e32 v22, v24, v22
	v_xor_b32_e32 v22, 1.0, v22
	v_mul_f32_e32 v24, 0x3fc90fda, v22
	v_fma_f32 v26, v22, s43, -v24
	v_fmac_f32_e32 v26, 0x33a22168, v22
	v_fmac_f32_e32 v26, 0x3fc90fda, v21
	v_lshrrev_b32_e32 v2, 30, v2
	v_add_f32_e32 v22, v24, v26
	v_add_u32_e32 v21, v33, v2
.LBB116_14:                             ;   in Loop: Header=BB116_4 Depth=1
	s_andn2_saveexec_b64 s[8:9], s[26:27]
; %bb.15:                               ;   in Loop: Header=BB116_4 Depth=1
	v_mul_f32_e64 v2, |v19|, s44
	v_rndne_f32_e32 v2, v2
	v_cvt_i32_f32_e32 v21, v2
	v_fma_f32 v22, v2, s45, |v19|
	v_fmac_f32_e32 v22, 0xb3a22168, v2
	v_fmac_f32_e32 v22, 0xa7c234c4, v2
; %bb.16:                               ;   in Loop: Header=BB116_4 Depth=1
	s_or_b64 exec, exec, s[8:9]
	v_cvt_f32_f16_e32 v23, v23
                                        ; implicit-def: $vgpr26
                                        ; implicit-def: $vgpr27
	v_and_b32_e32 v24, 0x7fffffff, v23
	v_cmp_nlt_f32_e64 s[8:9], |v23|, s35
	s_and_saveexec_b64 s[10:11], s[8:9]
	s_xor_b64 s[26:27], exec, s[10:11]
	s_cbranch_execz .LBB116_18
; %bb.17:                               ;   in Loop: Header=BB116_4 Depth=1
	v_lshrrev_b32_e32 v2, 23, v24
	v_add_u32_e32 v2, 0xffffff88, v2
	v_cmp_lt_u32_e64 s[8:9], 63, v2
	v_cndmask_b32_e64 v26, 0, v16, s[8:9]
	v_add_u32_e32 v2, v26, v2
	v_cmp_lt_u32_e64 s[10:11], 31, v2
	v_cndmask_b32_e64 v26, 0, v17, s[10:11]
	;; [unrolled: 3-line block ×3, first 2 shown]
	v_add_u32_e32 v29, v26, v2
	v_and_b32_e32 v2, 0x7fffff, v24
	v_or_b32_e32 v40, 0x800000, v2
	v_mad_u64_u32 v[26:27], s[14:15], v40, s36, 0
	v_mov_b32_e32 v2, v27
	v_mad_u64_u32 v[30:31], s[14:15], v40, s37, v[2:3]
	v_mov_b32_e32 v2, v31
	;; [unrolled: 2-line block ×6, first 2 shown]
	v_mad_u64_u32 v[40:41], s[14:15], v40, s42, v[2:3]
	v_cndmask_b32_e64 v27, v38, v34, s[8:9]
	v_cndmask_b32_e64 v2, v40, v36, s[8:9]
	;; [unrolled: 1-line block ×7, first 2 shown]
	v_sub_u32_e32 v35, 32, v29
	v_cmp_eq_u32_e64 s[14:15], 0, v29
	v_cndmask_b32_e64 v29, v34, v30, s[8:9]
	v_cndmask_b32_e64 v2, v2, v31, s[12:13]
	;; [unrolled: 1-line block ×4, first 2 shown]
	v_alignbit_b32 v36, v2, v31, v35
	v_cndmask_b32_e64 v27, v27, v30, s[12:13]
	v_cndmask_b32_e64 v2, v36, v2, s[14:15]
	v_alignbit_b32 v33, v31, v27, v35
	v_cndmask_b32_e64 v31, v33, v31, s[14:15]
	v_bfe_u32 v36, v2, 29, 1
	v_cndmask_b32_e64 v26, v32, v26, s[8:9]
	v_alignbit_b32 v33, v2, v31, 30
	v_sub_u32_e32 v37, 0, v36
	v_cndmask_b32_e64 v26, v29, v26, s[10:11]
	v_xor_b32_e32 v38, v33, v37
	v_cndmask_b32_e64 v26, v30, v26, s[12:13]
	v_alignbit_b32 v29, v27, v26, v35
	v_ffbh_u32_e32 v30, v38
	v_cndmask_b32_e64 v27, v29, v27, s[14:15]
	v_add_u32_e32 v30, 1, v30
	v_cmp_ne_u32_e64 s[8:9], v33, v37
	v_alignbit_b32 v29, v31, v27, 30
	v_cndmask_b32_e64 v30, 33, v30, s[8:9]
	v_alignbit_b32 v26, v27, v26, 30
	v_xor_b32_e32 v29, v29, v37
	v_sub_u32_e32 v31, 32, v30
	v_xor_b32_e32 v26, v26, v37
	v_alignbit_b32 v32, v38, v29, v31
	v_alignbit_b32 v26, v29, v26, v31
	;; [unrolled: 1-line block ×3, first 2 shown]
	v_ffbh_u32_e32 v29, v27
	v_min_u32_e32 v29, 32, v29
	v_lshrrev_b32_e32 v34, 29, v2
	v_sub_u32_e32 v31, 31, v29
	v_alignbit_b32 v26, v27, v26, v31
	v_lshlrev_b32_e32 v27, 31, v34
	v_or_b32_e32 v31, 0x33800000, v27
	v_add_lshl_u32 v29, v29, v30, 23
	v_lshrrev_b32_e32 v26, 9, v26
	v_sub_u32_e32 v29, v31, v29
	v_or_b32_e32 v26, v29, v26
	v_alignbit_b32 v29, v30, v32, 9
	v_or_b32_e32 v27, v29, v27
	v_xor_b32_e32 v27, 1.0, v27
	v_mul_f32_e32 v29, 0x3fc90fda, v27
	v_fma_f32 v30, v27, s43, -v29
	v_fmac_f32_e32 v30, 0x33a22168, v27
	v_fmac_f32_e32 v30, 0x3fc90fda, v26
	v_lshrrev_b32_e32 v2, 30, v2
	v_add_f32_e32 v27, v29, v30
	v_add_u32_e32 v26, v36, v2
.LBB116_18:                             ;   in Loop: Header=BB116_4 Depth=1
	s_andn2_saveexec_b64 s[8:9], s[26:27]
; %bb.19:                               ;   in Loop: Header=BB116_4 Depth=1
	v_mul_f32_e64 v2, |v23|, s44
	v_rndne_f32_e32 v2, v2
	v_cvt_i32_f32_e32 v26, v2
	v_fma_f32 v27, v2, s45, |v23|
	v_fmac_f32_e32 v27, 0xb3a22168, v2
	v_fmac_f32_e32 v27, 0xa7c234c4, v2
; %bb.20:                               ;   in Loop: Header=BB116_4 Depth=1
	s_or_b64 exec, exec, s[8:9]
	v_cvt_f32_f16_e32 v28, v28
                                        ; implicit-def: $vgpr30
                                        ; implicit-def: $vgpr31
	v_and_b32_e32 v29, 0x7fffffff, v28
	v_cmp_nlt_f32_e64 s[8:9], |v28|, s35
	s_and_saveexec_b64 s[10:11], s[8:9]
	s_xor_b64 s[26:27], exec, s[10:11]
	s_cbranch_execz .LBB116_22
; %bb.21:                               ;   in Loop: Header=BB116_4 Depth=1
	v_lshrrev_b32_e32 v2, 23, v29
	v_add_u32_e32 v2, 0xffffff88, v2
	v_cmp_lt_u32_e64 s[8:9], 63, v2
	v_cndmask_b32_e64 v30, 0, v16, s[8:9]
	v_add_u32_e32 v2, v30, v2
	v_cmp_lt_u32_e64 s[10:11], 31, v2
	v_cndmask_b32_e64 v30, 0, v17, s[10:11]
	;; [unrolled: 3-line block ×3, first 2 shown]
	v_add_u32_e32 v44, v30, v2
	v_and_b32_e32 v2, 0x7fffff, v29
	v_or_b32_e32 v42, 0x800000, v2
	v_mad_u64_u32 v[30:31], s[14:15], v42, s36, 0
	v_mov_b32_e32 v2, v31
	v_mad_u64_u32 v[32:33], s[14:15], v42, s37, v[2:3]
	v_mov_b32_e32 v2, v33
	;; [unrolled: 2-line block ×6, first 2 shown]
	v_mad_u64_u32 v[42:43], s[14:15], v42, s42, v[2:3]
	v_cndmask_b32_e64 v31, v40, v36, s[8:9]
	v_cndmask_b32_e64 v2, v42, v38, s[8:9]
	;; [unrolled: 1-line block ×10, first 2 shown]
	v_sub_u32_e32 v37, 32, v44
	v_cndmask_b32_e64 v35, v35, v32, s[10:11]
	v_alignbit_b32 v38, v2, v33, v37
	v_cmp_eq_u32_e64 s[14:15], 0, v44
	v_cndmask_b32_e64 v31, v31, v35, s[12:13]
	v_cndmask_b32_e64 v30, v34, v30, s[8:9]
	;; [unrolled: 1-line block ×3, first 2 shown]
	v_alignbit_b32 v36, v33, v31, v37
	v_cndmask_b32_e64 v30, v32, v30, s[10:11]
	v_cndmask_b32_e64 v33, v36, v33, s[14:15]
	v_bfe_u32 v39, v2, 29, 1
	v_cndmask_b32_e64 v30, v35, v30, s[12:13]
	v_alignbit_b32 v36, v2, v33, 30
	v_sub_u32_e32 v40, 0, v39
	v_alignbit_b32 v32, v31, v30, v37
	v_xor_b32_e32 v41, v36, v40
	v_cndmask_b32_e64 v31, v32, v31, s[14:15]
	v_alignbit_b32 v32, v33, v31, 30
	v_ffbh_u32_e32 v33, v41
	v_add_u32_e32 v33, 1, v33
	v_cmp_ne_u32_e64 s[8:9], v36, v40
	v_cndmask_b32_e64 v33, 33, v33, s[8:9]
	v_alignbit_b32 v30, v31, v30, 30
	v_xor_b32_e32 v32, v32, v40
	v_sub_u32_e32 v34, 32, v33
	v_xor_b32_e32 v30, v30, v40
	v_alignbit_b32 v35, v41, v32, v34
	v_alignbit_b32 v30, v32, v30, v34
	;; [unrolled: 1-line block ×3, first 2 shown]
	v_ffbh_u32_e32 v32, v31
	v_min_u32_e32 v32, 32, v32
	v_lshrrev_b32_e32 v38, 29, v2
	v_sub_u32_e32 v34, 31, v32
	v_alignbit_b32 v30, v31, v30, v34
	v_lshlrev_b32_e32 v31, 31, v38
	v_or_b32_e32 v34, 0x33800000, v31
	v_add_lshl_u32 v32, v32, v33, 23
	v_lshrrev_b32_e32 v30, 9, v30
	v_sub_u32_e32 v32, v34, v32
	v_or_b32_e32 v30, v32, v30
	v_alignbit_b32 v32, v33, v35, 9
	v_or_b32_e32 v31, v32, v31
	v_xor_b32_e32 v31, 1.0, v31
	v_mul_f32_e32 v32, 0x3fc90fda, v31
	v_fma_f32 v33, v31, s43, -v32
	v_fmac_f32_e32 v33, 0x33a22168, v31
	v_fmac_f32_e32 v33, 0x3fc90fda, v30
	v_lshrrev_b32_e32 v2, 30, v2
	v_add_f32_e32 v31, v32, v33
	v_add_u32_e32 v30, v39, v2
.LBB116_22:                             ;   in Loop: Header=BB116_4 Depth=1
	s_andn2_saveexec_b64 s[8:9], s[26:27]
; %bb.23:                               ;   in Loop: Header=BB116_4 Depth=1
	v_mul_f32_e64 v2, |v28|, s44
	v_rndne_f32_e32 v2, v2
	v_cvt_i32_f32_e32 v30, v2
	v_fma_f32 v31, v2, s45, |v28|
	v_fmac_f32_e32 v31, 0xb3a22168, v2
	v_fmac_f32_e32 v31, 0xa7c234c4, v2
; %bb.24:                               ;   in Loop: Header=BB116_4 Depth=1
	s_or_b64 exec, exec, s[8:9]
	v_cvt_f32_f16_e32 v25, v25
                                        ; implicit-def: $vgpr2
                                        ; implicit-def: $vgpr33
	v_and_b32_e32 v32, 0x7fffffff, v25
	v_cmp_nlt_f32_e64 s[8:9], |v25|, s35
	s_and_saveexec_b64 s[10:11], s[8:9]
	s_xor_b64 s[26:27], exec, s[10:11]
	s_cbranch_execnz .LBB116_30
; %bb.25:                               ;   in Loop: Header=BB116_4 Depth=1
	s_andn2_saveexec_b64 s[8:9], s[26:27]
	s_cbranch_execnz .LBB116_31
.LBB116_26:                             ;   in Loop: Header=BB116_4 Depth=1
	s_or_b64 exec, exec, s[8:9]
	s_and_saveexec_b64 s[8:9], s[6:7]
	s_xor_b64 s[8:9], exec, s[8:9]
	s_cbranch_execnz .LBB116_32
.LBB116_27:                             ;   in Loop: Header=BB116_4 Depth=1
	s_or_b64 exec, exec, s[8:9]
	s_and_saveexec_b64 s[6:7], s[2:3]
	s_cbranch_execnz .LBB116_33
.LBB116_28:                             ;   in Loop: Header=BB116_4 Depth=1
	s_or_b64 exec, exec, s[6:7]
	s_and_saveexec_b64 s[2:3], s[0:1]
	s_cbranch_execnz .LBB116_34
.LBB116_29:                             ;   in Loop: Header=BB116_4 Depth=1
	s_or_b64 exec, exec, s[2:3]
	s_and_saveexec_b64 s[0:1], vcc
	s_cbranch_execz .LBB116_3
	s_branch .LBB116_35
.LBB116_30:                             ;   in Loop: Header=BB116_4 Depth=1
	v_lshrrev_b32_e32 v2, 23, v32
	v_add_u32_e32 v2, 0xffffff88, v2
	v_cmp_lt_u32_e64 s[8:9], 63, v2
	v_cndmask_b32_e64 v33, 0, v16, s[8:9]
	v_add_u32_e32 v2, v33, v2
	v_cmp_lt_u32_e64 s[10:11], 31, v2
	v_cndmask_b32_e64 v33, 0, v17, s[10:11]
	;; [unrolled: 3-line block ×3, first 2 shown]
	v_add_u32_e32 v33, v33, v2
	v_and_b32_e32 v2, 0x7fffff, v32
	v_or_b32_e32 v46, 0x800000, v2
	v_mad_u64_u32 v[34:35], s[14:15], v46, s36, 0
	v_mov_b32_e32 v2, v35
	v_mad_u64_u32 v[36:37], s[14:15], v46, s37, v[2:3]
	v_mov_b32_e32 v2, v37
	;; [unrolled: 2-line block ×6, first 2 shown]
	v_mad_u64_u32 v[46:47], s[14:15], v46, s42, v[2:3]
	v_cndmask_b32_e64 v35, v44, v40, s[8:9]
	v_cndmask_b32_e64 v2, v46, v42, s[8:9]
	v_cndmask_b32_e64 v39, v47, v44, s[8:9]
	v_cndmask_b32_e64 v37, v2, v35, s[10:11]
	v_cndmask_b32_e64 v2, v39, v2, s[10:11]
	v_cndmask_b32_e64 v39, v42, v38, s[8:9]
	v_cndmask_b32_e64 v35, v35, v39, s[10:11]
	v_sub_u32_e32 v41, 32, v33
	v_cmp_eq_u32_e64 s[14:15], 0, v33
	v_cndmask_b32_e64 v33, v40, v36, s[8:9]
	v_cndmask_b32_e64 v2, v2, v37, s[12:13]
	;; [unrolled: 1-line block ×4, first 2 shown]
	v_alignbit_b32 v42, v2, v37, v41
	v_cndmask_b32_e64 v35, v35, v36, s[12:13]
	v_cndmask_b32_e64 v2, v42, v2, s[14:15]
	v_alignbit_b32 v39, v37, v35, v41
	v_cndmask_b32_e64 v37, v39, v37, s[14:15]
	v_bfe_u32 v42, v2, 29, 1
	v_cndmask_b32_e64 v34, v38, v34, s[8:9]
	v_alignbit_b32 v39, v2, v37, 30
	v_sub_u32_e32 v43, 0, v42
	v_cndmask_b32_e64 v33, v33, v34, s[10:11]
	v_xor_b32_e32 v44, v39, v43
	v_cndmask_b32_e64 v33, v36, v33, s[12:13]
	v_alignbit_b32 v34, v35, v33, v41
	v_ffbh_u32_e32 v36, v44
	v_cndmask_b32_e64 v34, v34, v35, s[14:15]
	v_add_u32_e32 v36, 1, v36
	v_cmp_ne_u32_e64 s[8:9], v39, v43
	v_alignbit_b32 v35, v37, v34, 30
	v_cndmask_b32_e64 v36, 33, v36, s[8:9]
	v_alignbit_b32 v33, v34, v33, 30
	v_xor_b32_e32 v35, v35, v43
	v_sub_u32_e32 v37, 32, v36
	v_xor_b32_e32 v33, v33, v43
	v_alignbit_b32 v38, v44, v35, v37
	v_alignbit_b32 v33, v35, v33, v37
	;; [unrolled: 1-line block ×3, first 2 shown]
	v_ffbh_u32_e32 v35, v34
	v_min_u32_e32 v35, 32, v35
	v_lshrrev_b32_e32 v40, 29, v2
	v_sub_u32_e32 v37, 31, v35
	v_alignbit_b32 v33, v34, v33, v37
	v_lshlrev_b32_e32 v34, 31, v40
	v_or_b32_e32 v37, 0x33800000, v34
	v_add_lshl_u32 v35, v35, v36, 23
	v_lshrrev_b32_e32 v33, 9, v33
	v_sub_u32_e32 v35, v37, v35
	v_or_b32_e32 v33, v35, v33
	v_alignbit_b32 v35, v36, v38, 9
	v_or_b32_e32 v34, v35, v34
	v_xor_b32_e32 v34, 1.0, v34
	v_mul_f32_e32 v35, 0x3fc90fda, v34
	v_fma_f32 v36, v34, s43, -v35
	v_fmac_f32_e32 v36, 0x33a22168, v34
	v_fmac_f32_e32 v36, 0x3fc90fda, v33
	v_lshrrev_b32_e32 v2, 30, v2
	v_add_f32_e32 v33, v35, v36
	v_add_u32_e32 v2, v42, v2
	s_andn2_saveexec_b64 s[8:9], s[26:27]
	s_cbranch_execz .LBB116_26
.LBB116_31:                             ;   in Loop: Header=BB116_4 Depth=1
	v_mul_f32_e64 v2, |v25|, s44
	v_rndne_f32_e32 v34, v2
	v_cvt_i32_f32_e32 v2, v34
	v_fma_f32 v33, v34, s45, |v25|
	v_fmac_f32_e32 v33, 0xb3a22168, v34
	v_fmac_f32_e32 v33, 0xa7c234c4, v34
	s_or_b64 exec, exec, s[8:9]
	s_and_saveexec_b64 s[8:9], s[6:7]
	s_xor_b64 s[8:9], exec, s[8:9]
	s_cbranch_execz .LBB116_27
.LBB116_32:                             ;   in Loop: Header=BB116_4 Depth=1
	v_mul_f32_e32 v34, v22, v22
	v_mov_b32_e32 v35, 0x3c0881c4
	v_fmac_f32_e32 v35, 0xb94c1982, v34
	v_fma_f32 v35, v34, v35, v13
	v_mul_f32_e32 v35, v34, v35
	v_fmac_f32_e32 v22, v22, v35
	v_mov_b32_e32 v35, 0xbab64f3b
	v_fmac_f32_e32 v35, 0x37d75334, v34
	v_fma_f32 v35, v34, v35, v14
	v_fma_f32 v35, v34, v35, v15
	v_fma_f32 v34, v34, v35, 1.0
	v_and_b32_e32 v35, 1, v21
	v_lshlrev_b32_e32 v21, 30, v21
	v_cmp_eq_u32_e64 s[6:7], 0, v35
	v_and_b32_e32 v21, 0x80000000, v21
	v_xor_b32_e32 v20, v20, v19
	v_cndmask_b32_e64 v22, v34, v22, s[6:7]
	v_xor_b32_e32 v20, v20, v21
	v_xor_b32_e32 v20, v20, v22
	v_cmp_class_f32_e64 s[6:7], v19, s46
	v_cndmask_b32_e64 v19, v18, v20, s[6:7]
	v_cvt_f16_f32_e32 v19, v19
	global_store_short v[4:5], v19, off
	s_or_b64 exec, exec, s[8:9]
	s_and_saveexec_b64 s[6:7], s[2:3]
	s_cbranch_execz .LBB116_28
.LBB116_33:                             ;   in Loop: Header=BB116_4 Depth=1
	v_mul_f32_e32 v19, v27, v27
	v_mov_b32_e32 v20, 0x3c0881c4
	v_fmac_f32_e32 v20, 0xb94c1982, v19
	v_fma_f32 v20, v19, v20, v13
	v_mul_f32_e32 v20, v19, v20
	v_fmac_f32_e32 v27, v27, v20
	v_mov_b32_e32 v20, 0xbab64f3b
	v_fmac_f32_e32 v20, 0x37d75334, v19
	v_fma_f32 v20, v19, v20, v14
	v_fma_f32 v20, v19, v20, v15
	v_fma_f32 v19, v19, v20, 1.0
	v_and_b32_e32 v20, 1, v26
	v_cmp_eq_u32_e64 s[2:3], 0, v20
	v_lshlrev_b32_e32 v20, 30, v26
	v_and_b32_e32 v20, 0x80000000, v20
	v_xor_b32_e32 v21, v24, v23
	v_cndmask_b32_e64 v19, v19, v27, s[2:3]
	v_xor_b32_e32 v20, v21, v20
	v_xor_b32_e32 v19, v20, v19
	v_cmp_class_f32_e64 s[2:3], v23, s46
	v_cndmask_b32_e64 v19, v18, v19, s[2:3]
	v_cvt_f16_f32_e32 v19, v19
	global_store_short v[6:7], v19, off
	s_or_b64 exec, exec, s[6:7]
	s_and_saveexec_b64 s[2:3], s[0:1]
	s_cbranch_execz .LBB116_29
.LBB116_34:                             ;   in Loop: Header=BB116_4 Depth=1
	v_mul_f32_e32 v19, v31, v31
	v_mov_b32_e32 v20, 0x3c0881c4
	v_fmac_f32_e32 v20, 0xb94c1982, v19
	v_fma_f32 v20, v19, v20, v13
	v_mul_f32_e32 v20, v19, v20
	v_fmac_f32_e32 v31, v31, v20
	v_mov_b32_e32 v20, 0xbab64f3b
	v_fmac_f32_e32 v20, 0x37d75334, v19
	v_fma_f32 v20, v19, v20, v14
	v_fma_f32 v20, v19, v20, v15
	v_fma_f32 v19, v19, v20, 1.0
	v_and_b32_e32 v20, 1, v30
	v_cmp_eq_u32_e64 s[0:1], 0, v20
	v_lshlrev_b32_e32 v20, 30, v30
	v_and_b32_e32 v20, 0x80000000, v20
	v_xor_b32_e32 v21, v29, v28
	v_cndmask_b32_e64 v19, v19, v31, s[0:1]
	v_xor_b32_e32 v20, v21, v20
	v_xor_b32_e32 v19, v20, v19
	v_cmp_class_f32_e64 s[0:1], v28, s46
	v_cndmask_b32_e64 v19, v18, v19, s[0:1]
	v_cvt_f16_f32_e32 v19, v19
	v_mov_b32_e32 v21, s28
	v_add_co_u32_e64 v20, s[0:1], s29, v4
	v_addc_co_u32_e64 v21, s[0:1], v5, v21, s[0:1]
	global_store_short v[20:21], v19, off
	s_or_b64 exec, exec, s[2:3]
	s_and_saveexec_b64 s[0:1], vcc
	s_cbranch_execz .LBB116_3
.LBB116_35:                             ;   in Loop: Header=BB116_4 Depth=1
	v_mul_f32_e32 v19, v33, v33
	v_mov_b32_e32 v20, 0x3c0881c4
	v_fmac_f32_e32 v20, 0xb94c1982, v19
	v_fma_f32 v20, v19, v20, v13
	v_mul_f32_e32 v20, v19, v20
	v_fmac_f32_e32 v33, v33, v20
	v_mov_b32_e32 v20, 0xbab64f3b
	v_fmac_f32_e32 v20, 0x37d75334, v19
	v_fma_f32 v20, v19, v20, v14
	v_fma_f32 v20, v19, v20, v15
	v_fma_f32 v19, v19, v20, 1.0
	v_and_b32_e32 v20, 1, v2
	v_lshlrev_b32_e32 v2, 30, v2
	v_cmp_eq_u32_e32 vcc, 0, v20
	v_and_b32_e32 v2, 0x80000000, v2
	v_xor_b32_e32 v20, v32, v25
	v_cndmask_b32_e32 v19, v19, v33, vcc
	v_xor_b32_e32 v2, v20, v2
	v_xor_b32_e32 v2, v2, v19
	v_cmp_class_f32_e64 vcc, v25, s46
	v_cndmask_b32_e32 v2, v18, v2, vcc
	v_cvt_f16_f32_e32 v2, v2
	v_mov_b32_e32 v19, s34
	v_add_co_u32_e32 v20, vcc, s33, v4
	v_addc_co_u32_e32 v21, vcc, v5, v19, vcc
	global_store_short v[20:21], v2, off
	s_branch .LBB116_3
.LBB116_36:
	s_cbranch_execz .LBB116_38
	s_branch .LBB116_57
.LBB116_37:
.LBB116_38:
	v_mov_b32_e32 v3, 0
	v_lshlrev_b32_e32 v2, 2, v0
	s_mov_b32 s12, 0
	v_cmp_gt_i64_e32 vcc, s[16:17], v[2:3]
	s_and_saveexec_b64 s[0:1], vcc
	s_cbranch_execz .LBB116_57
; %bb.39:
	s_load_dword s0, s[4:5], 0xd3c
	v_lshlrev_b32_e32 v1, 3, v0
	s_mov_b32 s15, s12
	s_mov_b64 s[6:7], 0
	s_mov_b32 s22, 0xf534ddc0
	s_waitcnt lgkmcnt(0)
	s_and_b32 s0, s0, 0xffff
	s_lshl_b32 s13, s0, 2
	s_add_u32 s1, s18, s20
	s_addc_u32 s2, s19, s21
	v_add_lshl_u32 v2, v0, s0, 2
	v_mov_b32_e32 v0, s2
	v_add_co_u32_e32 v1, vcc, s1, v1
	v_addc_co_u32_e32 v4, vcc, 0, v0, vcc
	v_add_co_u32_e32 v0, vcc, 4, v1
	v_addc_co_u32_e32 v1, vcc, 0, v4, vcc
	s_lshl_b32 s14, s0, 3
	s_brev_b32 s18, 18
	s_mov_b32 s19, 0xfe5163ab
	s_mov_b32 s20, 0x3c439041
	;; [unrolled: 1-line block ×9, first 2 shown]
	v_mov_b32_e32 v8, 0xbe2aaa9d
	v_mov_b32_e32 v9, 0x3d2aabf7
	;; [unrolled: 1-line block ×3, first 2 shown]
	s_movk_i32 s29, 0x1f8
	s_mov_b64 s[8:9], 0xffff
	v_not_b32_e32 v11, 63
	v_not_b32_e32 v12, 31
	v_mov_b32_e32 v13, 0x7fc00000
	v_pk_mov_b32 v[4:5], v[2:3], v[2:3] op_sel:[0,1]
	s_branch .LBB116_41
.LBB116_40:                             ;   in Loop: Header=BB116_41 Depth=1
	s_or_b64 exec, exec, s[0:1]
	v_mul_f32_e32 v27, v25, v25
	v_mov_b32_e32 v28, 0x3c0881c4
	v_fmac_f32_e32 v28, 0xb94c1982, v27
	v_fma_f32 v28, v27, v28, v8
	v_mul_f32_e32 v28, v27, v28
	v_fmac_f32_e32 v25, v25, v28
	v_mov_b32_e32 v28, 0xbab64f3b
	v_fmac_f32_e32 v28, 0x37d75334, v27
	v_fma_f32 v28, v27, v28, v9
	v_fma_f32 v28, v27, v28, v10
	v_fma_f32 v27, v27, v28, 1.0
	v_and_b32_e32 v28, 1, v24
	v_lshlrev_b32_e32 v24, 30, v24
	v_cmp_eq_u32_e32 vcc, 0, v28
	v_and_b32_e32 v24, 0x80000000, v24
	v_xor_b32_e32 v22, v22, v21
	v_cndmask_b32_e32 v25, v27, v25, vcc
	v_xor_b32_e32 v22, v22, v24
	v_xor_b32_e32 v22, v22, v25
	v_cmp_class_f32_e64 vcc, v21, s29
	v_cndmask_b32_e32 v21, v13, v22, vcc
	v_mul_f32_e32 v22, v20, v20
	v_mov_b32_e32 v24, 0x3c0881c4
	v_fmac_f32_e32 v24, 0xb94c1982, v22
	v_fma_f32 v24, v22, v24, v8
	v_mul_f32_e32 v24, v22, v24
	v_fmac_f32_e32 v20, v20, v24
	v_mov_b32_e32 v24, 0xbab64f3b
	v_fmac_f32_e32 v24, 0x37d75334, v22
	v_fma_f32 v24, v22, v24, v9
	v_fma_f32 v24, v22, v24, v10
	v_fma_f32 v22, v22, v24, 1.0
	v_and_b32_e32 v24, 1, v19
	v_lshlrev_b32_e32 v19, 30, v19
	v_cmp_eq_u32_e32 vcc, 0, v24
	v_and_b32_e32 v19, 0x80000000, v19
	v_xor_b32_e32 v18, v18, v6
	v_cndmask_b32_e32 v20, v22, v20, vcc
	v_xor_b32_e32 v18, v18, v19
	v_xor_b32_e32 v18, v18, v20
	v_cmp_class_f32_e64 vcc, v6, s29
	v_cndmask_b32_e32 v6, v13, v18, vcc
	;; [unrolled: 21-line block ×4, first 2 shown]
	v_cvt_f16_f32_e32 v21, v21
	v_cvt_f16_f32_e32 v2, v2
	;; [unrolled: 1-line block ×4, first 2 shown]
	v_cmp_le_i64_e32 vcc, s[16:17], v[4:5]
	v_cmp_lt_u64_e64 s[0:1], s[8:9], v[4:5]
	v_pack_b32_f16 v7, v21, v2
	s_or_b64 s[0:1], vcc, s[0:1]
	v_mov_b32_e32 v2, s12
	v_add_co_u32_e32 v4, vcc, s13, v4
	v_pack_b32_f16 v6, v14, v6
	v_addc_co_u32_e32 v5, vcc, v5, v2, vcc
	global_store_dwordx2 v[0:1], v[6:7], off offset:-4
	v_mov_b32_e32 v2, s15
	s_and_b64 s[0:1], exec, s[0:1]
	v_add_co_u32_e32 v0, vcc, s14, v0
	s_or_b64 s[6:7], s[0:1], s[6:7]
	v_addc_co_u32_e32 v1, vcc, v1, v2, vcc
	s_andn2_b64 exec, exec, s[6:7]
	s_cbranch_execz .LBB116_57
.LBB116_41:                             ; =>This Inner Loop Header: Depth=1
	global_load_dwordx2 v[6:7], v[0:1], off offset:-4
                                        ; implicit-def: $vgpr16
                                        ; implicit-def: $vgpr17
	s_waitcnt vmcnt(0)
	v_cvt_f32_f16_e32 v14, v6
	v_and_b32_e32 v15, 0x7fffffff, v14
	v_cmp_nlt_f32_e64 s[0:1], |v14|, s18
	s_and_saveexec_b64 s[2:3], s[0:1]
	s_xor_b64 s[10:11], exec, s[2:3]
	s_cbranch_execz .LBB116_43
; %bb.42:                               ;   in Loop: Header=BB116_41 Depth=1
	v_lshrrev_b32_e32 v2, 23, v15
	v_add_u32_e32 v2, 0xffffff88, v2
	v_cmp_lt_u32_e32 vcc, 63, v2
	v_cndmask_b32_e32 v16, 0, v11, vcc
	v_add_u32_e32 v2, v16, v2
	v_cmp_lt_u32_e64 s[0:1], 31, v2
	v_cndmask_b32_e64 v16, 0, v12, s[0:1]
	v_add_u32_e32 v2, v16, v2
	v_cmp_lt_u32_e64 s[2:3], 31, v2
	v_cndmask_b32_e64 v16, 0, v12, s[2:3]
	v_add_u32_e32 v30, v16, v2
	v_and_b32_e32 v2, 0x7fffff, v15
	v_or_b32_e32 v28, 0x800000, v2
	v_mad_u64_u32 v[16:17], s[4:5], v28, s19, 0
	v_mov_b32_e32 v2, v17
	v_mad_u64_u32 v[18:19], s[4:5], v28, s20, v[2:3]
	v_mov_b32_e32 v2, v19
	v_mad_u64_u32 v[20:21], s[4:5], v28, s21, v[2:3]
	v_mov_b32_e32 v2, v21
	v_mad_u64_u32 v[22:23], s[4:5], v28, s22, v[2:3]
	v_mov_b32_e32 v2, v23
	v_mad_u64_u32 v[24:25], s[4:5], v28, s23, v[2:3]
	v_mov_b32_e32 v2, v25
	v_mad_u64_u32 v[26:27], s[4:5], v28, s24, v[2:3]
	v_mov_b32_e32 v2, v27
	v_mad_u64_u32 v[28:29], s[4:5], v28, s25, v[2:3]
	v_cndmask_b32_e32 v17, v26, v22, vcc
	v_cndmask_b32_e32 v2, v28, v24, vcc
	;; [unrolled: 1-line block ×3, first 2 shown]
	v_cndmask_b32_e64 v19, v2, v17, s[0:1]
	v_cndmask_b32_e64 v2, v21, v2, s[0:1]
	v_cndmask_b32_e32 v21, v24, v20, vcc
	v_cndmask_b32_e64 v17, v17, v21, s[0:1]
	v_cndmask_b32_e32 v18, v22, v18, vcc
	v_cndmask_b32_e64 v2, v2, v19, s[2:3]
	v_cndmask_b32_e64 v19, v19, v17, s[2:3]
	v_sub_u32_e32 v23, 32, v30
	v_cndmask_b32_e64 v21, v21, v18, s[0:1]
	v_alignbit_b32 v24, v2, v19, v23
	v_cmp_eq_u32_e64 s[4:5], 0, v30
	v_cndmask_b32_e64 v17, v17, v21, s[2:3]
	v_cndmask_b32_e32 v16, v20, v16, vcc
	v_cndmask_b32_e64 v2, v24, v2, s[4:5]
	v_alignbit_b32 v22, v19, v17, v23
	v_cndmask_b32_e64 v16, v18, v16, s[0:1]
	v_cndmask_b32_e64 v19, v22, v19, s[4:5]
	v_bfe_u32 v25, v2, 29, 1
	v_cndmask_b32_e64 v16, v21, v16, s[2:3]
	v_alignbit_b32 v22, v2, v19, 30
	v_sub_u32_e32 v26, 0, v25
	v_alignbit_b32 v18, v17, v16, v23
	v_xor_b32_e32 v27, v22, v26
	v_cndmask_b32_e64 v17, v18, v17, s[4:5]
	v_alignbit_b32 v18, v19, v17, 30
	v_ffbh_u32_e32 v19, v27
	v_add_u32_e32 v19, 1, v19
	v_cmp_ne_u32_e32 vcc, v22, v26
	v_cndmask_b32_e32 v19, 33, v19, vcc
	v_alignbit_b32 v16, v17, v16, 30
	v_xor_b32_e32 v18, v18, v26
	v_sub_u32_e32 v20, 32, v19
	v_xor_b32_e32 v16, v16, v26
	v_alignbit_b32 v21, v27, v18, v20
	v_alignbit_b32 v16, v18, v16, v20
	;; [unrolled: 1-line block ×3, first 2 shown]
	v_ffbh_u32_e32 v18, v17
	v_min_u32_e32 v18, 32, v18
	v_lshrrev_b32_e32 v24, 29, v2
	v_sub_u32_e32 v20, 31, v18
	v_alignbit_b32 v16, v17, v16, v20
	v_lshlrev_b32_e32 v17, 31, v24
	v_or_b32_e32 v20, 0x33800000, v17
	v_add_lshl_u32 v18, v18, v19, 23
	v_lshrrev_b32_e32 v16, 9, v16
	v_sub_u32_e32 v18, v20, v18
	v_or_b32_e32 v16, v18, v16
	v_alignbit_b32 v18, v19, v21, 9
	v_or_b32_e32 v17, v18, v17
	v_xor_b32_e32 v17, 1.0, v17
	v_mul_f32_e32 v18, 0x3fc90fda, v17
	v_fma_f32 v19, v17, s26, -v18
	v_fmac_f32_e32 v19, 0x33a22168, v17
	v_fmac_f32_e32 v19, 0x3fc90fda, v16
	v_lshrrev_b32_e32 v2, 30, v2
	v_add_f32_e32 v17, v18, v19
	v_add_u32_e32 v16, v25, v2
.LBB116_43:                             ;   in Loop: Header=BB116_41 Depth=1
	s_andn2_saveexec_b64 s[0:1], s[10:11]
; %bb.44:                               ;   in Loop: Header=BB116_41 Depth=1
	v_mul_f32_e64 v2, |v14|, s27
	v_rndne_f32_e32 v2, v2
	v_cvt_i32_f32_e32 v16, v2
	v_fma_f32 v17, v2, s28, |v14|
	v_fmac_f32_e32 v17, 0xb3a22168, v2
	v_fmac_f32_e32 v17, 0xa7c234c4, v2
; %bb.45:                               ;   in Loop: Header=BB116_41 Depth=1
	s_or_b64 exec, exec, s[0:1]
	v_cvt_f32_f16_sdwa v6, v6 dst_sel:DWORD dst_unused:UNUSED_PAD src0_sel:WORD_1
                                        ; implicit-def: $vgpr19
                                        ; implicit-def: $vgpr20
	v_and_b32_e32 v18, 0x7fffffff, v6
	v_cmp_nlt_f32_e64 s[0:1], |v6|, s18
	s_and_saveexec_b64 s[2:3], s[0:1]
	s_xor_b64 s[10:11], exec, s[2:3]
	s_cbranch_execz .LBB116_47
; %bb.46:                               ;   in Loop: Header=BB116_41 Depth=1
	v_lshrrev_b32_e32 v2, 23, v18
	v_add_u32_e32 v2, 0xffffff88, v2
	v_cmp_lt_u32_e32 vcc, 63, v2
	v_cndmask_b32_e32 v19, 0, v11, vcc
	v_add_u32_e32 v2, v19, v2
	v_cmp_lt_u32_e64 s[0:1], 31, v2
	v_cndmask_b32_e64 v19, 0, v12, s[0:1]
	v_add_u32_e32 v2, v19, v2
	v_cmp_lt_u32_e64 s[2:3], 31, v2
	v_cndmask_b32_e64 v19, 0, v12, s[2:3]
	v_add_u32_e32 v19, v19, v2
	v_and_b32_e32 v2, 0x7fffff, v18
	v_or_b32_e32 v32, 0x800000, v2
	v_mad_u64_u32 v[20:21], s[4:5], v32, s19, 0
	v_mov_b32_e32 v2, v21
	v_mad_u64_u32 v[22:23], s[4:5], v32, s20, v[2:3]
	v_mov_b32_e32 v2, v23
	;; [unrolled: 2-line block ×6, first 2 shown]
	v_mad_u64_u32 v[32:33], s[4:5], v32, s25, v[2:3]
	v_cndmask_b32_e32 v21, v30, v26, vcc
	v_cndmask_b32_e32 v2, v32, v28, vcc
	;; [unrolled: 1-line block ×3, first 2 shown]
	v_cndmask_b32_e64 v23, v2, v21, s[0:1]
	v_cndmask_b32_e64 v2, v25, v2, s[0:1]
	v_cndmask_b32_e32 v25, v28, v24, vcc
	v_cndmask_b32_e64 v21, v21, v25, s[0:1]
	v_sub_u32_e32 v27, 32, v19
	v_cmp_eq_u32_e64 s[4:5], 0, v19
	v_cndmask_b32_e32 v19, v26, v22, vcc
	v_cndmask_b32_e64 v2, v2, v23, s[2:3]
	v_cndmask_b32_e64 v23, v23, v21, s[2:3]
	;; [unrolled: 1-line block ×3, first 2 shown]
	v_alignbit_b32 v28, v2, v23, v27
	v_cndmask_b32_e64 v21, v21, v22, s[2:3]
	v_cndmask_b32_e64 v2, v28, v2, s[4:5]
	v_alignbit_b32 v25, v23, v21, v27
	v_cndmask_b32_e64 v23, v25, v23, s[4:5]
	v_bfe_u32 v28, v2, 29, 1
	v_cndmask_b32_e32 v20, v24, v20, vcc
	v_alignbit_b32 v25, v2, v23, 30
	v_sub_u32_e32 v29, 0, v28
	v_cndmask_b32_e64 v19, v19, v20, s[0:1]
	v_xor_b32_e32 v30, v25, v29
	v_cndmask_b32_e64 v19, v22, v19, s[2:3]
	v_alignbit_b32 v20, v21, v19, v27
	v_ffbh_u32_e32 v22, v30
	v_cndmask_b32_e64 v20, v20, v21, s[4:5]
	v_add_u32_e32 v22, 1, v22
	v_cmp_ne_u32_e32 vcc, v25, v29
	v_alignbit_b32 v21, v23, v20, 30
	v_cndmask_b32_e32 v22, 33, v22, vcc
	v_alignbit_b32 v19, v20, v19, 30
	v_xor_b32_e32 v21, v21, v29
	v_sub_u32_e32 v23, 32, v22
	v_xor_b32_e32 v19, v19, v29
	v_alignbit_b32 v24, v30, v21, v23
	v_alignbit_b32 v19, v21, v19, v23
	;; [unrolled: 1-line block ×3, first 2 shown]
	v_ffbh_u32_e32 v21, v20
	v_min_u32_e32 v21, 32, v21
	v_lshrrev_b32_e32 v26, 29, v2
	v_sub_u32_e32 v23, 31, v21
	v_alignbit_b32 v19, v20, v19, v23
	v_lshlrev_b32_e32 v20, 31, v26
	v_or_b32_e32 v23, 0x33800000, v20
	v_add_lshl_u32 v21, v21, v22, 23
	v_lshrrev_b32_e32 v19, 9, v19
	v_sub_u32_e32 v21, v23, v21
	v_or_b32_e32 v19, v21, v19
	v_alignbit_b32 v21, v22, v24, 9
	v_or_b32_e32 v20, v21, v20
	v_xor_b32_e32 v20, 1.0, v20
	v_mul_f32_e32 v21, 0x3fc90fda, v20
	v_fma_f32 v22, v20, s26, -v21
	v_fmac_f32_e32 v22, 0x33a22168, v20
	v_fmac_f32_e32 v22, 0x3fc90fda, v19
	v_lshrrev_b32_e32 v2, 30, v2
	v_add_f32_e32 v20, v21, v22
	v_add_u32_e32 v19, v28, v2
.LBB116_47:                             ;   in Loop: Header=BB116_41 Depth=1
	s_andn2_saveexec_b64 s[0:1], s[10:11]
; %bb.48:                               ;   in Loop: Header=BB116_41 Depth=1
	v_mul_f32_e64 v2, |v6|, s27
	v_rndne_f32_e32 v2, v2
	v_cvt_i32_f32_e32 v19, v2
	v_fma_f32 v20, v2, s28, |v6|
	v_fmac_f32_e32 v20, 0xb3a22168, v2
	v_fmac_f32_e32 v20, 0xa7c234c4, v2
; %bb.49:                               ;   in Loop: Header=BB116_41 Depth=1
	s_or_b64 exec, exec, s[0:1]
	v_cvt_f32_f16_e32 v21, v7
                                        ; implicit-def: $vgpr24
                                        ; implicit-def: $vgpr25
	v_and_b32_e32 v22, 0x7fffffff, v21
	v_cmp_nlt_f32_e64 s[0:1], |v21|, s18
	s_and_saveexec_b64 s[2:3], s[0:1]
	s_xor_b64 s[10:11], exec, s[2:3]
	s_cbranch_execz .LBB116_51
; %bb.50:                               ;   in Loop: Header=BB116_41 Depth=1
	v_lshrrev_b32_e32 v2, 23, v22
	v_add_u32_e32 v2, 0xffffff88, v2
	v_cmp_lt_u32_e32 vcc, 63, v2
	v_cndmask_b32_e32 v23, 0, v11, vcc
	v_add_u32_e32 v2, v23, v2
	v_cmp_lt_u32_e64 s[0:1], 31, v2
	v_cndmask_b32_e64 v23, 0, v12, s[0:1]
	v_add_u32_e32 v2, v23, v2
	v_cmp_lt_u32_e64 s[2:3], 31, v2
	v_cndmask_b32_e64 v23, 0, v12, s[2:3]
	v_add_u32_e32 v23, v23, v2
	v_and_b32_e32 v2, 0x7fffff, v22
	v_or_b32_e32 v36, 0x800000, v2
	v_mad_u64_u32 v[24:25], s[4:5], v36, s19, 0
	v_mov_b32_e32 v2, v25
	v_mad_u64_u32 v[26:27], s[4:5], v36, s20, v[2:3]
	v_mov_b32_e32 v2, v27
	;; [unrolled: 2-line block ×6, first 2 shown]
	v_mad_u64_u32 v[36:37], s[4:5], v36, s25, v[2:3]
	v_cndmask_b32_e32 v25, v34, v30, vcc
	v_cndmask_b32_e32 v2, v36, v32, vcc
	;; [unrolled: 1-line block ×3, first 2 shown]
	v_cndmask_b32_e64 v27, v2, v25, s[0:1]
	v_cndmask_b32_e64 v2, v29, v2, s[0:1]
	v_cndmask_b32_e32 v29, v32, v28, vcc
	v_cndmask_b32_e64 v25, v25, v29, s[0:1]
	v_sub_u32_e32 v31, 32, v23
	v_cmp_eq_u32_e64 s[4:5], 0, v23
	v_cndmask_b32_e32 v23, v30, v26, vcc
	v_cndmask_b32_e64 v2, v2, v27, s[2:3]
	v_cndmask_b32_e64 v27, v27, v25, s[2:3]
	;; [unrolled: 1-line block ×3, first 2 shown]
	v_alignbit_b32 v32, v2, v27, v31
	v_cndmask_b32_e64 v25, v25, v26, s[2:3]
	v_cndmask_b32_e64 v2, v32, v2, s[4:5]
	v_alignbit_b32 v29, v27, v25, v31
	v_cndmask_b32_e64 v27, v29, v27, s[4:5]
	v_bfe_u32 v32, v2, 29, 1
	v_cndmask_b32_e32 v24, v28, v24, vcc
	v_alignbit_b32 v29, v2, v27, 30
	v_sub_u32_e32 v33, 0, v32
	v_cndmask_b32_e64 v23, v23, v24, s[0:1]
	v_xor_b32_e32 v34, v29, v33
	v_cndmask_b32_e64 v23, v26, v23, s[2:3]
	v_alignbit_b32 v24, v25, v23, v31
	v_ffbh_u32_e32 v26, v34
	v_cndmask_b32_e64 v24, v24, v25, s[4:5]
	v_add_u32_e32 v26, 1, v26
	v_cmp_ne_u32_e32 vcc, v29, v33
	v_alignbit_b32 v25, v27, v24, 30
	v_cndmask_b32_e32 v26, 33, v26, vcc
	v_alignbit_b32 v23, v24, v23, 30
	v_xor_b32_e32 v25, v25, v33
	v_sub_u32_e32 v27, 32, v26
	v_xor_b32_e32 v23, v23, v33
	v_alignbit_b32 v28, v34, v25, v27
	v_alignbit_b32 v23, v25, v23, v27
	;; [unrolled: 1-line block ×3, first 2 shown]
	v_ffbh_u32_e32 v25, v24
	v_min_u32_e32 v25, 32, v25
	v_lshrrev_b32_e32 v30, 29, v2
	v_sub_u32_e32 v27, 31, v25
	v_alignbit_b32 v23, v24, v23, v27
	v_lshlrev_b32_e32 v24, 31, v30
	v_or_b32_e32 v27, 0x33800000, v24
	v_add_lshl_u32 v25, v25, v26, 23
	v_lshrrev_b32_e32 v23, 9, v23
	v_sub_u32_e32 v25, v27, v25
	v_or_b32_e32 v23, v25, v23
	v_alignbit_b32 v25, v26, v28, 9
	v_or_b32_e32 v24, v25, v24
	v_xor_b32_e32 v24, 1.0, v24
	v_mul_f32_e32 v25, 0x3fc90fda, v24
	v_fma_f32 v26, v24, s26, -v25
	v_fmac_f32_e32 v26, 0x33a22168, v24
	v_fmac_f32_e32 v26, 0x3fc90fda, v23
	v_lshrrev_b32_e32 v2, 30, v2
	v_add_f32_e32 v25, v25, v26
	v_add_u32_e32 v24, v32, v2
.LBB116_51:                             ;   in Loop: Header=BB116_41 Depth=1
	s_andn2_saveexec_b64 s[0:1], s[10:11]
; %bb.52:                               ;   in Loop: Header=BB116_41 Depth=1
	v_mul_f32_e64 v2, |v21|, s27
	v_rndne_f32_e32 v2, v2
	v_cvt_i32_f32_e32 v24, v2
	v_fma_f32 v25, v2, s28, |v21|
	v_fmac_f32_e32 v25, 0xb3a22168, v2
	v_fmac_f32_e32 v25, 0xa7c234c4, v2
; %bb.53:                               ;   in Loop: Header=BB116_41 Depth=1
	s_or_b64 exec, exec, s[0:1]
	v_cvt_f32_f16_sdwa v7, v7 dst_sel:DWORD dst_unused:UNUSED_PAD src0_sel:WORD_1
                                        ; implicit-def: $vgpr2
                                        ; implicit-def: $vgpr26
	v_and_b32_e32 v23, 0x7fffffff, v7
	v_cmp_nlt_f32_e64 s[0:1], |v7|, s18
	s_and_saveexec_b64 s[2:3], s[0:1]
	s_xor_b64 s[10:11], exec, s[2:3]
	s_cbranch_execz .LBB116_55
; %bb.54:                               ;   in Loop: Header=BB116_41 Depth=1
	v_lshrrev_b32_e32 v2, 23, v23
	v_add_u32_e32 v2, 0xffffff88, v2
	v_cmp_lt_u32_e32 vcc, 63, v2
	v_cndmask_b32_e32 v26, 0, v11, vcc
	v_add_u32_e32 v2, v26, v2
	v_cmp_lt_u32_e64 s[0:1], 31, v2
	v_cndmask_b32_e64 v26, 0, v12, s[0:1]
	v_add_u32_e32 v2, v26, v2
	v_cmp_lt_u32_e64 s[2:3], 31, v2
	v_cndmask_b32_e64 v26, 0, v12, s[2:3]
	v_add_u32_e32 v40, v26, v2
	v_and_b32_e32 v2, 0x7fffff, v23
	v_or_b32_e32 v38, 0x800000, v2
	v_mad_u64_u32 v[26:27], s[4:5], v38, s19, 0
	v_mov_b32_e32 v2, v27
	v_mad_u64_u32 v[28:29], s[4:5], v38, s20, v[2:3]
	v_mov_b32_e32 v2, v29
	;; [unrolled: 2-line block ×6, first 2 shown]
	v_mad_u64_u32 v[38:39], s[4:5], v38, s25, v[2:3]
	v_cndmask_b32_e32 v27, v36, v32, vcc
	v_cndmask_b32_e32 v2, v38, v34, vcc
	;; [unrolled: 1-line block ×3, first 2 shown]
	v_cndmask_b32_e64 v29, v2, v27, s[0:1]
	v_cndmask_b32_e64 v2, v31, v2, s[0:1]
	v_cndmask_b32_e32 v31, v34, v30, vcc
	v_cndmask_b32_e64 v27, v27, v31, s[0:1]
	v_cndmask_b32_e32 v28, v32, v28, vcc
	v_cndmask_b32_e64 v2, v2, v29, s[2:3]
	v_cndmask_b32_e64 v29, v29, v27, s[2:3]
	v_sub_u32_e32 v33, 32, v40
	v_cndmask_b32_e64 v31, v31, v28, s[0:1]
	v_alignbit_b32 v34, v2, v29, v33
	v_cmp_eq_u32_e64 s[4:5], 0, v40
	v_cndmask_b32_e64 v27, v27, v31, s[2:3]
	v_cndmask_b32_e32 v26, v30, v26, vcc
	v_cndmask_b32_e64 v2, v34, v2, s[4:5]
	v_alignbit_b32 v32, v29, v27, v33
	v_cndmask_b32_e64 v26, v28, v26, s[0:1]
	v_cndmask_b32_e64 v29, v32, v29, s[4:5]
	v_bfe_u32 v35, v2, 29, 1
	v_cndmask_b32_e64 v26, v31, v26, s[2:3]
	v_alignbit_b32 v32, v2, v29, 30
	v_sub_u32_e32 v36, 0, v35
	v_alignbit_b32 v28, v27, v26, v33
	v_xor_b32_e32 v37, v32, v36
	v_cndmask_b32_e64 v27, v28, v27, s[4:5]
	v_alignbit_b32 v28, v29, v27, 30
	v_ffbh_u32_e32 v29, v37
	v_add_u32_e32 v29, 1, v29
	v_cmp_ne_u32_e32 vcc, v32, v36
	v_cndmask_b32_e32 v29, 33, v29, vcc
	v_alignbit_b32 v26, v27, v26, 30
	v_xor_b32_e32 v28, v28, v36
	v_sub_u32_e32 v30, 32, v29
	v_xor_b32_e32 v26, v26, v36
	v_alignbit_b32 v31, v37, v28, v30
	v_alignbit_b32 v26, v28, v26, v30
	;; [unrolled: 1-line block ×3, first 2 shown]
	v_ffbh_u32_e32 v28, v27
	v_min_u32_e32 v28, 32, v28
	v_lshrrev_b32_e32 v34, 29, v2
	v_sub_u32_e32 v30, 31, v28
	v_alignbit_b32 v26, v27, v26, v30
	v_lshlrev_b32_e32 v27, 31, v34
	v_or_b32_e32 v30, 0x33800000, v27
	v_add_lshl_u32 v28, v28, v29, 23
	v_lshrrev_b32_e32 v26, 9, v26
	v_sub_u32_e32 v28, v30, v28
	v_or_b32_e32 v26, v28, v26
	v_alignbit_b32 v28, v29, v31, 9
	v_or_b32_e32 v27, v28, v27
	v_xor_b32_e32 v27, 1.0, v27
	v_mul_f32_e32 v28, 0x3fc90fda, v27
	v_fma_f32 v29, v27, s26, -v28
	v_fmac_f32_e32 v29, 0x33a22168, v27
	v_fmac_f32_e32 v29, 0x3fc90fda, v26
	v_lshrrev_b32_e32 v2, 30, v2
	v_add_f32_e32 v26, v28, v29
	v_add_u32_e32 v2, v35, v2
.LBB116_55:                             ;   in Loop: Header=BB116_41 Depth=1
	s_andn2_saveexec_b64 s[0:1], s[10:11]
	s_cbranch_execz .LBB116_40
; %bb.56:                               ;   in Loop: Header=BB116_41 Depth=1
	v_mul_f32_e64 v2, |v7|, s27
	v_rndne_f32_e32 v27, v2
	v_cvt_i32_f32_e32 v2, v27
	v_fma_f32 v26, v27, s28, |v7|
	v_fmac_f32_e32 v26, 0xb3a22168, v27
	v_fmac_f32_e32 v26, 0xa7c234c4, v27
	s_branch .LBB116_40
.LBB116_57:
	s_endpgm
	.section	.rodata,"a",@progbits
	.p2align	6, 0x0
	.amdhsa_kernel _ZN2at6native12_GLOBAL__N_125multi_tensor_apply_kernelINS1_18TensorListMetadataILi1EEENS1_14UnaryOpFunctorIN3c104HalfELi1ELi1ELi0EEEJNS0_3SinIfEEEEEvT_T0_DpT1_
		.amdhsa_group_segment_fixed_size 0
		.amdhsa_private_segment_fixed_size 0
		.amdhsa_kernarg_size 3632
		.amdhsa_user_sgpr_count 6
		.amdhsa_user_sgpr_private_segment_buffer 1
		.amdhsa_user_sgpr_dispatch_ptr 0
		.amdhsa_user_sgpr_queue_ptr 0
		.amdhsa_user_sgpr_kernarg_segment_ptr 1
		.amdhsa_user_sgpr_dispatch_id 0
		.amdhsa_user_sgpr_flat_scratch_init 0
		.amdhsa_user_sgpr_kernarg_preload_length 0
		.amdhsa_user_sgpr_kernarg_preload_offset 0
		.amdhsa_user_sgpr_private_segment_size 0
		.amdhsa_uses_dynamic_stack 0
		.amdhsa_system_sgpr_private_segment_wavefront_offset 0
		.amdhsa_system_sgpr_workgroup_id_x 1
		.amdhsa_system_sgpr_workgroup_id_y 0
		.amdhsa_system_sgpr_workgroup_id_z 0
		.amdhsa_system_sgpr_workgroup_info 0
		.amdhsa_system_vgpr_workitem_id 0
		.amdhsa_next_free_vgpr 48
		.amdhsa_next_free_sgpr 47
		.amdhsa_accum_offset 48
		.amdhsa_reserve_vcc 1
		.amdhsa_reserve_flat_scratch 0
		.amdhsa_float_round_mode_32 0
		.amdhsa_float_round_mode_16_64 0
		.amdhsa_float_denorm_mode_32 3
		.amdhsa_float_denorm_mode_16_64 3
		.amdhsa_dx10_clamp 1
		.amdhsa_ieee_mode 1
		.amdhsa_fp16_overflow 0
		.amdhsa_tg_split 0
		.amdhsa_exception_fp_ieee_invalid_op 0
		.amdhsa_exception_fp_denorm_src 0
		.amdhsa_exception_fp_ieee_div_zero 0
		.amdhsa_exception_fp_ieee_overflow 0
		.amdhsa_exception_fp_ieee_underflow 0
		.amdhsa_exception_fp_ieee_inexact 0
		.amdhsa_exception_int_div_zero 0
	.end_amdhsa_kernel
	.section	.text._ZN2at6native12_GLOBAL__N_125multi_tensor_apply_kernelINS1_18TensorListMetadataILi1EEENS1_14UnaryOpFunctorIN3c104HalfELi1ELi1ELi0EEEJNS0_3SinIfEEEEEvT_T0_DpT1_,"axG",@progbits,_ZN2at6native12_GLOBAL__N_125multi_tensor_apply_kernelINS1_18TensorListMetadataILi1EEENS1_14UnaryOpFunctorIN3c104HalfELi1ELi1ELi0EEEJNS0_3SinIfEEEEEvT_T0_DpT1_,comdat
.Lfunc_end116:
	.size	_ZN2at6native12_GLOBAL__N_125multi_tensor_apply_kernelINS1_18TensorListMetadataILi1EEENS1_14UnaryOpFunctorIN3c104HalfELi1ELi1ELi0EEEJNS0_3SinIfEEEEEvT_T0_DpT1_, .Lfunc_end116-_ZN2at6native12_GLOBAL__N_125multi_tensor_apply_kernelINS1_18TensorListMetadataILi1EEENS1_14UnaryOpFunctorIN3c104HalfELi1ELi1ELi0EEEJNS0_3SinIfEEEEEvT_T0_DpT1_
                                        ; -- End function
	.section	.AMDGPU.csdata,"",@progbits
; Kernel info:
; codeLenInByte = 7328
; NumSgprs: 51
; NumVgprs: 48
; NumAgprs: 0
; TotalNumVgprs: 48
; ScratchSize: 0
; MemoryBound: 0
; FloatMode: 240
; IeeeMode: 1
; LDSByteSize: 0 bytes/workgroup (compile time only)
; SGPRBlocks: 6
; VGPRBlocks: 5
; NumSGPRsForWavesPerEU: 51
; NumVGPRsForWavesPerEU: 48
; AccumOffset: 48
; Occupancy: 8
; WaveLimiterHint : 0
; COMPUTE_PGM_RSRC2:SCRATCH_EN: 0
; COMPUTE_PGM_RSRC2:USER_SGPR: 6
; COMPUTE_PGM_RSRC2:TRAP_HANDLER: 0
; COMPUTE_PGM_RSRC2:TGID_X_EN: 1
; COMPUTE_PGM_RSRC2:TGID_Y_EN: 0
; COMPUTE_PGM_RSRC2:TGID_Z_EN: 0
; COMPUTE_PGM_RSRC2:TIDIG_COMP_CNT: 0
; COMPUTE_PGM_RSRC3_GFX90A:ACCUM_OFFSET: 11
; COMPUTE_PGM_RSRC3_GFX90A:TG_SPLIT: 0
	.section	.text._ZN2at6native12_GLOBAL__N_125multi_tensor_apply_kernelINS1_18TensorListMetadataILi1EEENS1_14UnaryOpFunctorIN3c108BFloat16ELi1ELi1ELi0EEEJNS0_3SinIfEEEEEvT_T0_DpT1_,"axG",@progbits,_ZN2at6native12_GLOBAL__N_125multi_tensor_apply_kernelINS1_18TensorListMetadataILi1EEENS1_14UnaryOpFunctorIN3c108BFloat16ELi1ELi1ELi0EEEJNS0_3SinIfEEEEEvT_T0_DpT1_,comdat
	.globl	_ZN2at6native12_GLOBAL__N_125multi_tensor_apply_kernelINS1_18TensorListMetadataILi1EEENS1_14UnaryOpFunctorIN3c108BFloat16ELi1ELi1ELi0EEEJNS0_3SinIfEEEEEvT_T0_DpT1_ ; -- Begin function _ZN2at6native12_GLOBAL__N_125multi_tensor_apply_kernelINS1_18TensorListMetadataILi1EEENS1_14UnaryOpFunctorIN3c108BFloat16ELi1ELi1ELi0EEEJNS0_3SinIfEEEEEvT_T0_DpT1_
	.p2align	8
	.type	_ZN2at6native12_GLOBAL__N_125multi_tensor_apply_kernelINS1_18TensorListMetadataILi1EEENS1_14UnaryOpFunctorIN3c108BFloat16ELi1ELi1ELi0EEEJNS0_3SinIfEEEEEvT_T0_DpT1_,@function
_ZN2at6native12_GLOBAL__N_125multi_tensor_apply_kernelINS1_18TensorListMetadataILi1EEENS1_14UnaryOpFunctorIN3c108BFloat16ELi1ELi1ELi0EEEJNS0_3SinIfEEEEEvT_T0_DpT1_: ; @_ZN2at6native12_GLOBAL__N_125multi_tensor_apply_kernelINS1_18TensorListMetadataILi1EEENS1_14UnaryOpFunctorIN3c108BFloat16ELi1ELi1ELi0EEEJNS0_3SinIfEEEEEvT_T0_DpT1_
; %bb.0:
	v_mov_b32_e32 v1, s6
	global_load_ubyte v1, v1, s[4:5] offset:1760
	s_add_u32 s0, s4, s6
	s_mul_hi_u32 s1, s6, 3
	s_mul_i32 s6, s6, 3
	s_addc_u32 s2, s5, 0
	s_add_u32 s0, s0, s6
	s_addc_u32 s1, s2, s1
	s_load_dword s0, s[0:1], 0x820
	s_mov_b32 s7, 0
	s_waitcnt vmcnt(0)
	v_readfirstlane_b32 s2, v1
	s_lshl_b32 s1, s2, 3
	s_load_dwordx2 s[2:3], s[4:5], s1 offset:0x370
	s_load_dwordx2 s[18:19], s[4:5], s1 offset:0x0
	s_waitcnt lgkmcnt(0)
	s_ashr_i32 s1, s0, 31
	s_lshl_b64 s[20:21], s[0:1], 17
	s_lshl_b64 s[0:1], s[0:1], 16
	s_and_b32 s6, s18, 7
	s_sub_u32 s16, s2, s0
	s_subb_u32 s17, s3, s1
	s_and_b32 s0, s2, 3
	s_mov_b32 s1, s7
	s_or_b64 s[0:1], s[6:7], s[0:1]
	s_cmp_eq_u64 s[0:1], 0
	s_cbranch_scc1 .LBB117_37
; %bb.1:
	v_cmp_lt_i64_e64 s[0:1], s[16:17], 1
	s_and_b64 vcc, exec, s[0:1]
	s_cbranch_vccnz .LBB117_36
; %bb.2:
	s_load_dword s0, s[4:5], 0xd3c
	v_mov_b32_e32 v4, 0x10000
	v_mov_b32_e32 v5, 0
	v_cmp_lt_u64_e32 vcc, s[16:17], v[4:5]
	v_lshlrev_b32_e32 v1, 1, v0
	s_waitcnt lgkmcnt(0)
	s_and_b32 s2, s0, 0xffff
	s_and_b64 s[0:1], vcc, exec
	s_cselect_b32 s23, s17, 0
	s_cselect_b32 s22, s16, 0x10000
	s_lshl_b32 s3, s2, 1
	s_lshl_b32 s29, s2, 2
	s_add_u32 s6, s18, s20
	s_addc_u32 s7, s19, s21
	v_mov_b32_e32 v2, s7
	v_add_co_u32_e32 v4, vcc, s6, v1
	s_mul_i32 s0, s2, 3
	v_addc_co_u32_e32 v5, vcc, 0, v2, vcc
	v_add_co_u32_e32 v1, vcc, s0, v0
	v_addc_co_u32_e64 v8, s[0:1], 0, 0, vcc
	v_add_co_u32_e32 v9, vcc, s3, v0
	v_addc_co_u32_e64 v10, s[0:1], 0, 0, vcc
	v_add_co_u32_e32 v11, vcc, s2, v0
	v_lshlrev_b32_e32 v2, 1, v11
	s_mov_b32 s28, 0
	v_addc_co_u32_e64 v12, s[0:1], 0, 0, vcc
	v_mov_b32_e32 v7, s7
	v_add_co_u32_e32 v6, vcc, s6, v2
	v_mov_b32_e32 v3, 0
	s_lshl_b32 s30, s2, 3
	s_mov_b32 s31, s28
	s_mul_i32 s33, s2, 6
	s_mov_b32 s34, s28
	v_addc_co_u32_e32 v7, vcc, 0, v7, vcc
	s_mov_b64 s[24:25], 0
	s_brev_b32 s35, 18
	s_mov_b32 s36, 0xfe5163ab
	s_mov_b32 s37, 0x3c439041
	;; [unrolled: 1-line block ×10, first 2 shown]
	v_mov_b32_e32 v13, 0xbe2aaa9d
	v_mov_b32_e32 v14, 0x3d2aabf7
	;; [unrolled: 1-line block ×3, first 2 shown]
	s_movk_i32 s46, 0x1f8
	s_movk_i32 s47, 0x7fff
	v_not_b32_e32 v16, 63
	v_not_b32_e32 v17, 31
	v_mov_b32_e32 v18, 0x7fc00000
	v_mov_b32_e32 v19, 0x7fc0
	s_branch .LBB117_4
.LBB117_3:                              ;   in Loop: Header=BB117_4 Depth=1
	s_or_b64 exec, exec, s[0:1]
	s_add_u32 s24, s24, s29
	s_addc_u32 s25, s25, 0
	v_pk_mov_b32 v[20:21], s[16:17], s[16:17] op_sel:[0,1]
	v_cmp_ge_i64_e32 vcc, s[24:25], v[20:21]
	v_mov_b32_e32 v20, 0xffff
	v_mov_b32_e32 v21, 0
	v_cmp_gt_u64_e64 s[0:1], s[24:25], v[20:21]
	s_or_b64 s[0:1], vcc, s[0:1]
	v_mov_b32_e32 v2, s31
	v_add_co_u32_e32 v4, vcc, s30, v4
	v_addc_co_u32_e32 v5, vcc, v5, v2, vcc
	v_add_co_u32_e32 v6, vcc, s30, v6
	v_addc_co_u32_e32 v7, vcc, v7, v2, vcc
	s_and_b64 vcc, exec, s[0:1]
	s_cbranch_vccnz .LBB117_36
.LBB117_4:                              ; =>This Inner Loop Header: Depth=1
	v_mov_b32_e32 v2, s25
	v_add_co_u32_e32 v20, vcc, s24, v0
	v_addc_co_u32_e32 v21, vcc, 0, v2, vcc
	v_cmp_gt_u64_e64 s[6:7], s[22:23], v[20:21]
	v_mov_b32_e32 v2, 0
	s_and_saveexec_b64 s[0:1], s[6:7]
	s_cbranch_execz .LBB117_6
; %bb.5:                                ;   in Loop: Header=BB117_4 Depth=1
	global_load_ushort v2, v[4:5], off
.LBB117_6:                              ;   in Loop: Header=BB117_4 Depth=1
	s_or_b64 exec, exec, s[0:1]
	v_mov_b32_e32 v21, s25
	v_add_co_u32_e32 v20, vcc, s24, v11
	v_addc_co_u32_e32 v21, vcc, v12, v21, vcc
	v_cmp_gt_u64_e64 s[2:3], s[22:23], v[20:21]
	v_mov_b32_e32 v24, 0
	s_and_saveexec_b64 s[0:1], s[2:3]
	s_cbranch_execz .LBB117_8
; %bb.7:                                ;   in Loop: Header=BB117_4 Depth=1
	global_load_ushort v24, v[6:7], off
.LBB117_8:                              ;   in Loop: Header=BB117_4 Depth=1
	s_or_b64 exec, exec, s[0:1]
	v_mov_b32_e32 v21, s25
	v_add_co_u32_e32 v20, vcc, s24, v9
	v_addc_co_u32_e32 v21, vcc, v10, v21, vcc
	v_cmp_gt_u64_e64 s[0:1], s[22:23], v[20:21]
	v_mov_b32_e32 v26, 0
	v_mov_b32_e32 v27, 0
	s_and_saveexec_b64 s[8:9], s[0:1]
	s_cbranch_execz .LBB117_10
; %bb.9:                                ;   in Loop: Header=BB117_4 Depth=1
	v_mov_b32_e32 v21, s28
	v_add_co_u32_e32 v20, vcc, s29, v4
	v_addc_co_u32_e32 v21, vcc, v5, v21, vcc
	global_load_ushort v27, v[20:21], off
.LBB117_10:                             ;   in Loop: Header=BB117_4 Depth=1
	s_or_b64 exec, exec, s[8:9]
	v_mov_b32_e32 v21, s25
	v_add_co_u32_e32 v20, vcc, s24, v1
	v_addc_co_u32_e32 v21, vcc, v8, v21, vcc
	v_cmp_gt_u64_e32 vcc, s[22:23], v[20:21]
	s_and_saveexec_b64 s[10:11], vcc
	s_cbranch_execz .LBB117_12
; %bb.11:                               ;   in Loop: Header=BB117_4 Depth=1
	v_mov_b32_e32 v21, s34
	v_add_co_u32_e64 v20, s[8:9], s33, v4
	v_addc_co_u32_e64 v21, s[8:9], v5, v21, s[8:9]
	global_load_ushort v26, v[20:21], off
.LBB117_12:                             ;   in Loop: Header=BB117_4 Depth=1
	s_or_b64 exec, exec, s[10:11]
	s_waitcnt vmcnt(0)
	v_lshlrev_b32_e32 v20, 16, v2
	v_and_b32_e32 v21, 0x7fffffff, v20
	v_cmp_nlt_f32_e64 s[8:9], |v20|, s35
                                        ; implicit-def: $vgpr22
                                        ; implicit-def: $vgpr23
	s_and_saveexec_b64 s[10:11], s[8:9]
	s_xor_b64 s[26:27], exec, s[10:11]
	s_cbranch_execz .LBB117_14
; %bb.13:                               ;   in Loop: Header=BB117_4 Depth=1
	v_lshrrev_b32_e32 v2, 23, v21
	v_add_u32_e32 v2, 0xffffff88, v2
	v_cmp_lt_u32_e64 s[8:9], 63, v2
	v_cndmask_b32_e64 v22, 0, v16, s[8:9]
	v_add_u32_e32 v2, v22, v2
	v_cmp_lt_u32_e64 s[10:11], 31, v2
	v_cndmask_b32_e64 v22, 0, v17, s[10:11]
	;; [unrolled: 3-line block ×3, first 2 shown]
	v_add_u32_e32 v25, v22, v2
	v_and_b32_e32 v2, 0x7fffff, v21
	v_or_b32_e32 v38, 0x800000, v2
	v_mad_u64_u32 v[22:23], s[14:15], v38, s36, 0
	v_mov_b32_e32 v2, v23
	v_mad_u64_u32 v[28:29], s[14:15], v38, s37, v[2:3]
	v_mov_b32_e32 v2, v29
	;; [unrolled: 2-line block ×6, first 2 shown]
	v_mad_u64_u32 v[38:39], s[14:15], v38, s42, v[2:3]
	v_cndmask_b32_e64 v23, v36, v32, s[8:9]
	v_cndmask_b32_e64 v2, v38, v34, s[8:9]
	;; [unrolled: 1-line block ×7, first 2 shown]
	v_sub_u32_e32 v33, 32, v25
	v_cmp_eq_u32_e64 s[14:15], 0, v25
	v_cndmask_b32_e64 v25, v32, v28, s[8:9]
	v_cndmask_b32_e64 v2, v2, v29, s[12:13]
	;; [unrolled: 1-line block ×4, first 2 shown]
	v_alignbit_b32 v34, v2, v29, v33
	v_cndmask_b32_e64 v23, v23, v28, s[12:13]
	v_cndmask_b32_e64 v2, v34, v2, s[14:15]
	v_alignbit_b32 v31, v29, v23, v33
	v_cndmask_b32_e64 v29, v31, v29, s[14:15]
	v_bfe_u32 v34, v2, 29, 1
	v_cndmask_b32_e64 v22, v30, v22, s[8:9]
	v_alignbit_b32 v31, v2, v29, 30
	v_sub_u32_e32 v35, 0, v34
	v_cndmask_b32_e64 v22, v25, v22, s[10:11]
	v_xor_b32_e32 v36, v31, v35
	v_cndmask_b32_e64 v22, v28, v22, s[12:13]
	v_alignbit_b32 v25, v23, v22, v33
	v_ffbh_u32_e32 v28, v36
	v_cndmask_b32_e64 v23, v25, v23, s[14:15]
	v_add_u32_e32 v28, 1, v28
	v_cmp_ne_u32_e64 s[8:9], v31, v35
	v_alignbit_b32 v25, v29, v23, 30
	v_cndmask_b32_e64 v28, 33, v28, s[8:9]
	v_alignbit_b32 v22, v23, v22, 30
	v_xor_b32_e32 v25, v25, v35
	v_sub_u32_e32 v29, 32, v28
	v_xor_b32_e32 v22, v22, v35
	v_alignbit_b32 v30, v36, v25, v29
	v_alignbit_b32 v22, v25, v22, v29
	;; [unrolled: 1-line block ×3, first 2 shown]
	v_ffbh_u32_e32 v25, v23
	v_min_u32_e32 v25, 32, v25
	v_lshrrev_b32_e32 v32, 29, v2
	v_sub_u32_e32 v29, 31, v25
	v_alignbit_b32 v22, v23, v22, v29
	v_lshlrev_b32_e32 v23, 31, v32
	v_or_b32_e32 v29, 0x33800000, v23
	v_add_lshl_u32 v25, v25, v28, 23
	v_lshrrev_b32_e32 v22, 9, v22
	v_sub_u32_e32 v25, v29, v25
	v_or_b32_e32 v22, v25, v22
	v_alignbit_b32 v25, v28, v30, 9
	v_or_b32_e32 v23, v25, v23
	v_xor_b32_e32 v23, 1.0, v23
	v_mul_f32_e32 v25, 0x3fc90fda, v23
	v_fma_f32 v28, v23, s43, -v25
	v_fmac_f32_e32 v28, 0x33a22168, v23
	v_fmac_f32_e32 v28, 0x3fc90fda, v22
	v_lshrrev_b32_e32 v2, 30, v2
	v_add_f32_e32 v23, v25, v28
	v_add_u32_e32 v22, v34, v2
.LBB117_14:                             ;   in Loop: Header=BB117_4 Depth=1
	s_andn2_saveexec_b64 s[8:9], s[26:27]
; %bb.15:                               ;   in Loop: Header=BB117_4 Depth=1
	v_mul_f32_e64 v2, |v20|, s44
	v_rndne_f32_e32 v2, v2
	v_cvt_i32_f32_e32 v22, v2
	v_fma_f32 v23, v2, s45, |v20|
	v_fmac_f32_e32 v23, 0xb3a22168, v2
	v_fmac_f32_e32 v23, 0xa7c234c4, v2
; %bb.16:                               ;   in Loop: Header=BB117_4 Depth=1
	s_or_b64 exec, exec, s[8:9]
	v_lshlrev_b32_e32 v24, 16, v24
	v_and_b32_e32 v25, 0x7fffffff, v24
	v_cmp_nlt_f32_e64 s[8:9], |v24|, s35
                                        ; implicit-def: $vgpr28
                                        ; implicit-def: $vgpr29
	s_and_saveexec_b64 s[10:11], s[8:9]
	s_xor_b64 s[26:27], exec, s[10:11]
	s_cbranch_execz .LBB117_18
; %bb.17:                               ;   in Loop: Header=BB117_4 Depth=1
	v_lshrrev_b32_e32 v2, 23, v25
	v_add_u32_e32 v2, 0xffffff88, v2
	v_cmp_lt_u32_e64 s[8:9], 63, v2
	v_cndmask_b32_e64 v28, 0, v16, s[8:9]
	v_add_u32_e32 v2, v28, v2
	v_cmp_lt_u32_e64 s[10:11], 31, v2
	v_cndmask_b32_e64 v28, 0, v17, s[10:11]
	;; [unrolled: 3-line block ×3, first 2 shown]
	v_add_u32_e32 v42, v28, v2
	v_and_b32_e32 v2, 0x7fffff, v25
	v_or_b32_e32 v40, 0x800000, v2
	v_mad_u64_u32 v[28:29], s[14:15], v40, s36, 0
	v_mov_b32_e32 v2, v29
	v_mad_u64_u32 v[30:31], s[14:15], v40, s37, v[2:3]
	v_mov_b32_e32 v2, v31
	;; [unrolled: 2-line block ×6, first 2 shown]
	v_mad_u64_u32 v[40:41], s[14:15], v40, s42, v[2:3]
	v_cndmask_b32_e64 v29, v38, v34, s[8:9]
	v_cndmask_b32_e64 v2, v40, v36, s[8:9]
	;; [unrolled: 1-line block ×10, first 2 shown]
	v_sub_u32_e32 v35, 32, v42
	v_cndmask_b32_e64 v33, v33, v30, s[10:11]
	v_alignbit_b32 v36, v2, v31, v35
	v_cmp_eq_u32_e64 s[14:15], 0, v42
	v_cndmask_b32_e64 v29, v29, v33, s[12:13]
	v_cndmask_b32_e64 v28, v32, v28, s[8:9]
	;; [unrolled: 1-line block ×3, first 2 shown]
	v_alignbit_b32 v34, v31, v29, v35
	v_cndmask_b32_e64 v28, v30, v28, s[10:11]
	v_cndmask_b32_e64 v31, v34, v31, s[14:15]
	v_bfe_u32 v37, v2, 29, 1
	v_cndmask_b32_e64 v28, v33, v28, s[12:13]
	v_alignbit_b32 v34, v2, v31, 30
	v_sub_u32_e32 v38, 0, v37
	v_alignbit_b32 v30, v29, v28, v35
	v_xor_b32_e32 v39, v34, v38
	v_cndmask_b32_e64 v29, v30, v29, s[14:15]
	v_alignbit_b32 v30, v31, v29, 30
	v_ffbh_u32_e32 v31, v39
	v_add_u32_e32 v31, 1, v31
	v_cmp_ne_u32_e64 s[8:9], v34, v38
	v_cndmask_b32_e64 v31, 33, v31, s[8:9]
	v_alignbit_b32 v28, v29, v28, 30
	v_xor_b32_e32 v30, v30, v38
	v_sub_u32_e32 v32, 32, v31
	v_xor_b32_e32 v28, v28, v38
	v_alignbit_b32 v33, v39, v30, v32
	v_alignbit_b32 v28, v30, v28, v32
	;; [unrolled: 1-line block ×3, first 2 shown]
	v_ffbh_u32_e32 v30, v29
	v_min_u32_e32 v30, 32, v30
	v_lshrrev_b32_e32 v36, 29, v2
	v_sub_u32_e32 v32, 31, v30
	v_alignbit_b32 v28, v29, v28, v32
	v_lshlrev_b32_e32 v29, 31, v36
	v_or_b32_e32 v32, 0x33800000, v29
	v_add_lshl_u32 v30, v30, v31, 23
	v_lshrrev_b32_e32 v28, 9, v28
	v_sub_u32_e32 v30, v32, v30
	v_or_b32_e32 v28, v30, v28
	v_alignbit_b32 v30, v31, v33, 9
	v_or_b32_e32 v29, v30, v29
	v_xor_b32_e32 v29, 1.0, v29
	v_mul_f32_e32 v30, 0x3fc90fda, v29
	v_fma_f32 v31, v29, s43, -v30
	v_fmac_f32_e32 v31, 0x33a22168, v29
	v_fmac_f32_e32 v31, 0x3fc90fda, v28
	v_lshrrev_b32_e32 v2, 30, v2
	v_add_f32_e32 v29, v30, v31
	v_add_u32_e32 v28, v37, v2
.LBB117_18:                             ;   in Loop: Header=BB117_4 Depth=1
	s_andn2_saveexec_b64 s[8:9], s[26:27]
; %bb.19:                               ;   in Loop: Header=BB117_4 Depth=1
	v_mul_f32_e64 v2, |v24|, s44
	v_rndne_f32_e32 v2, v2
	v_cvt_i32_f32_e32 v28, v2
	v_fma_f32 v29, v2, s45, |v24|
	v_fmac_f32_e32 v29, 0xb3a22168, v2
	v_fmac_f32_e32 v29, 0xa7c234c4, v2
; %bb.20:                               ;   in Loop: Header=BB117_4 Depth=1
	s_or_b64 exec, exec, s[8:9]
	v_lshlrev_b32_e32 v27, 16, v27
	v_and_b32_e32 v30, 0x7fffffff, v27
	v_cmp_nlt_f32_e64 s[8:9], |v27|, s35
                                        ; implicit-def: $vgpr32
                                        ; implicit-def: $vgpr33
	s_and_saveexec_b64 s[10:11], s[8:9]
	s_xor_b64 s[26:27], exec, s[10:11]
	s_cbranch_execz .LBB117_22
; %bb.21:                               ;   in Loop: Header=BB117_4 Depth=1
	v_lshrrev_b32_e32 v2, 23, v30
	v_add_u32_e32 v2, 0xffffff88, v2
	v_cmp_lt_u32_e64 s[8:9], 63, v2
	v_cndmask_b32_e64 v31, 0, v16, s[8:9]
	v_add_u32_e32 v2, v31, v2
	v_cmp_lt_u32_e64 s[10:11], 31, v2
	v_cndmask_b32_e64 v31, 0, v17, s[10:11]
	;; [unrolled: 3-line block ×3, first 2 shown]
	v_add_u32_e32 v31, v31, v2
	v_and_b32_e32 v2, 0x7fffff, v30
	v_or_b32_e32 v44, 0x800000, v2
	v_mad_u64_u32 v[32:33], s[14:15], v44, s36, 0
	v_mov_b32_e32 v2, v33
	v_mad_u64_u32 v[34:35], s[14:15], v44, s37, v[2:3]
	v_mov_b32_e32 v2, v35
	;; [unrolled: 2-line block ×6, first 2 shown]
	v_mad_u64_u32 v[44:45], s[14:15], v44, s42, v[2:3]
	v_cndmask_b32_e64 v33, v42, v38, s[8:9]
	v_cndmask_b32_e64 v2, v44, v40, s[8:9]
	;; [unrolled: 1-line block ×7, first 2 shown]
	v_sub_u32_e32 v39, 32, v31
	v_cmp_eq_u32_e64 s[14:15], 0, v31
	v_cndmask_b32_e64 v31, v38, v34, s[8:9]
	v_cndmask_b32_e64 v2, v2, v35, s[12:13]
	;; [unrolled: 1-line block ×4, first 2 shown]
	v_alignbit_b32 v40, v2, v35, v39
	v_cndmask_b32_e64 v33, v33, v34, s[12:13]
	v_cndmask_b32_e64 v2, v40, v2, s[14:15]
	v_alignbit_b32 v37, v35, v33, v39
	v_cndmask_b32_e64 v35, v37, v35, s[14:15]
	v_bfe_u32 v40, v2, 29, 1
	v_cndmask_b32_e64 v32, v36, v32, s[8:9]
	v_alignbit_b32 v37, v2, v35, 30
	v_sub_u32_e32 v41, 0, v40
	v_cndmask_b32_e64 v31, v31, v32, s[10:11]
	v_xor_b32_e32 v42, v37, v41
	v_cndmask_b32_e64 v31, v34, v31, s[12:13]
	v_alignbit_b32 v32, v33, v31, v39
	v_ffbh_u32_e32 v34, v42
	v_cndmask_b32_e64 v32, v32, v33, s[14:15]
	v_add_u32_e32 v34, 1, v34
	v_cmp_ne_u32_e64 s[8:9], v37, v41
	v_alignbit_b32 v33, v35, v32, 30
	v_cndmask_b32_e64 v34, 33, v34, s[8:9]
	v_alignbit_b32 v31, v32, v31, 30
	v_xor_b32_e32 v33, v33, v41
	v_sub_u32_e32 v35, 32, v34
	v_xor_b32_e32 v31, v31, v41
	v_alignbit_b32 v36, v42, v33, v35
	v_alignbit_b32 v31, v33, v31, v35
	;; [unrolled: 1-line block ×3, first 2 shown]
	v_ffbh_u32_e32 v33, v32
	v_min_u32_e32 v33, 32, v33
	v_lshrrev_b32_e32 v38, 29, v2
	v_sub_u32_e32 v35, 31, v33
	v_alignbit_b32 v31, v32, v31, v35
	v_lshlrev_b32_e32 v32, 31, v38
	v_or_b32_e32 v35, 0x33800000, v32
	v_add_lshl_u32 v33, v33, v34, 23
	v_lshrrev_b32_e32 v31, 9, v31
	v_sub_u32_e32 v33, v35, v33
	v_or_b32_e32 v31, v33, v31
	v_alignbit_b32 v33, v34, v36, 9
	v_or_b32_e32 v32, v33, v32
	v_xor_b32_e32 v32, 1.0, v32
	v_mul_f32_e32 v33, 0x3fc90fda, v32
	v_fma_f32 v34, v32, s43, -v33
	v_fmac_f32_e32 v34, 0x33a22168, v32
	v_fmac_f32_e32 v34, 0x3fc90fda, v31
	v_lshrrev_b32_e32 v2, 30, v2
	v_add_f32_e32 v33, v33, v34
	v_add_u32_e32 v32, v40, v2
.LBB117_22:                             ;   in Loop: Header=BB117_4 Depth=1
	s_andn2_saveexec_b64 s[8:9], s[26:27]
; %bb.23:                               ;   in Loop: Header=BB117_4 Depth=1
	v_mul_f32_e64 v2, |v27|, s44
	v_rndne_f32_e32 v2, v2
	v_cvt_i32_f32_e32 v32, v2
	v_fma_f32 v33, v2, s45, |v27|
	v_fmac_f32_e32 v33, 0xb3a22168, v2
	v_fmac_f32_e32 v33, 0xa7c234c4, v2
; %bb.24:                               ;   in Loop: Header=BB117_4 Depth=1
	s_or_b64 exec, exec, s[8:9]
	v_lshlrev_b32_e32 v26, 16, v26
	v_and_b32_e32 v31, 0x7fffffff, v26
	v_cmp_nlt_f32_e64 s[8:9], |v26|, s35
                                        ; implicit-def: $vgpr2
                                        ; implicit-def: $vgpr34
	s_and_saveexec_b64 s[10:11], s[8:9]
	s_xor_b64 s[26:27], exec, s[10:11]
	s_cbranch_execnz .LBB117_30
; %bb.25:                               ;   in Loop: Header=BB117_4 Depth=1
	s_andn2_saveexec_b64 s[8:9], s[26:27]
	s_cbranch_execnz .LBB117_31
.LBB117_26:                             ;   in Loop: Header=BB117_4 Depth=1
	s_or_b64 exec, exec, s[8:9]
	s_and_saveexec_b64 s[8:9], s[6:7]
	s_xor_b64 s[8:9], exec, s[8:9]
	s_cbranch_execnz .LBB117_32
.LBB117_27:                             ;   in Loop: Header=BB117_4 Depth=1
	s_or_b64 exec, exec, s[8:9]
	s_and_saveexec_b64 s[6:7], s[2:3]
	s_cbranch_execnz .LBB117_33
.LBB117_28:                             ;   in Loop: Header=BB117_4 Depth=1
	s_or_b64 exec, exec, s[6:7]
	s_and_saveexec_b64 s[2:3], s[0:1]
	s_cbranch_execnz .LBB117_34
.LBB117_29:                             ;   in Loop: Header=BB117_4 Depth=1
	s_or_b64 exec, exec, s[2:3]
	s_and_saveexec_b64 s[0:1], vcc
	s_cbranch_execz .LBB117_3
	s_branch .LBB117_35
.LBB117_30:                             ;   in Loop: Header=BB117_4 Depth=1
	v_lshrrev_b32_e32 v2, 23, v31
	v_add_u32_e32 v2, 0xffffff88, v2
	v_cmp_lt_u32_e64 s[8:9], 63, v2
	v_cndmask_b32_e64 v34, 0, v16, s[8:9]
	v_add_u32_e32 v2, v34, v2
	v_cmp_lt_u32_e64 s[10:11], 31, v2
	v_cndmask_b32_e64 v34, 0, v17, s[10:11]
	;; [unrolled: 3-line block ×3, first 2 shown]
	v_add_u32_e32 v48, v34, v2
	v_and_b32_e32 v2, 0x7fffff, v31
	v_or_b32_e32 v46, 0x800000, v2
	v_mad_u64_u32 v[34:35], s[14:15], v46, s36, 0
	v_mov_b32_e32 v2, v35
	v_mad_u64_u32 v[36:37], s[14:15], v46, s37, v[2:3]
	v_mov_b32_e32 v2, v37
	;; [unrolled: 2-line block ×6, first 2 shown]
	v_mad_u64_u32 v[46:47], s[14:15], v46, s42, v[2:3]
	v_cndmask_b32_e64 v35, v44, v40, s[8:9]
	v_cndmask_b32_e64 v2, v46, v42, s[8:9]
	;; [unrolled: 1-line block ×10, first 2 shown]
	v_sub_u32_e32 v41, 32, v48
	v_cndmask_b32_e64 v39, v39, v36, s[10:11]
	v_alignbit_b32 v42, v2, v37, v41
	v_cmp_eq_u32_e64 s[14:15], 0, v48
	v_cndmask_b32_e64 v35, v35, v39, s[12:13]
	v_cndmask_b32_e64 v34, v38, v34, s[8:9]
	;; [unrolled: 1-line block ×3, first 2 shown]
	v_alignbit_b32 v40, v37, v35, v41
	v_cndmask_b32_e64 v34, v36, v34, s[10:11]
	v_cndmask_b32_e64 v37, v40, v37, s[14:15]
	v_bfe_u32 v43, v2, 29, 1
	v_cndmask_b32_e64 v34, v39, v34, s[12:13]
	v_alignbit_b32 v40, v2, v37, 30
	v_sub_u32_e32 v44, 0, v43
	v_alignbit_b32 v36, v35, v34, v41
	v_xor_b32_e32 v45, v40, v44
	v_cndmask_b32_e64 v35, v36, v35, s[14:15]
	v_alignbit_b32 v36, v37, v35, 30
	v_ffbh_u32_e32 v37, v45
	v_add_u32_e32 v37, 1, v37
	v_cmp_ne_u32_e64 s[8:9], v40, v44
	v_cndmask_b32_e64 v37, 33, v37, s[8:9]
	v_alignbit_b32 v34, v35, v34, 30
	v_xor_b32_e32 v36, v36, v44
	v_sub_u32_e32 v38, 32, v37
	v_xor_b32_e32 v34, v34, v44
	v_alignbit_b32 v39, v45, v36, v38
	v_alignbit_b32 v34, v36, v34, v38
	;; [unrolled: 1-line block ×3, first 2 shown]
	v_ffbh_u32_e32 v36, v35
	v_min_u32_e32 v36, 32, v36
	v_lshrrev_b32_e32 v42, 29, v2
	v_sub_u32_e32 v38, 31, v36
	v_alignbit_b32 v34, v35, v34, v38
	v_lshlrev_b32_e32 v35, 31, v42
	v_or_b32_e32 v38, 0x33800000, v35
	v_add_lshl_u32 v36, v36, v37, 23
	v_lshrrev_b32_e32 v34, 9, v34
	v_sub_u32_e32 v36, v38, v36
	v_or_b32_e32 v34, v36, v34
	v_alignbit_b32 v36, v37, v39, 9
	v_or_b32_e32 v35, v36, v35
	v_xor_b32_e32 v35, 1.0, v35
	v_mul_f32_e32 v36, 0x3fc90fda, v35
	v_fma_f32 v37, v35, s43, -v36
	v_fmac_f32_e32 v37, 0x33a22168, v35
	v_fmac_f32_e32 v37, 0x3fc90fda, v34
	v_lshrrev_b32_e32 v2, 30, v2
	v_add_f32_e32 v34, v36, v37
	v_add_u32_e32 v2, v43, v2
	s_andn2_saveexec_b64 s[8:9], s[26:27]
	s_cbranch_execz .LBB117_26
.LBB117_31:                             ;   in Loop: Header=BB117_4 Depth=1
	v_mul_f32_e64 v2, |v26|, s44
	v_rndne_f32_e32 v35, v2
	v_cvt_i32_f32_e32 v2, v35
	v_fma_f32 v34, v35, s45, |v26|
	v_fmac_f32_e32 v34, 0xb3a22168, v35
	v_fmac_f32_e32 v34, 0xa7c234c4, v35
	s_or_b64 exec, exec, s[8:9]
	s_and_saveexec_b64 s[8:9], s[6:7]
	s_xor_b64 s[8:9], exec, s[8:9]
	s_cbranch_execz .LBB117_27
.LBB117_32:                             ;   in Loop: Header=BB117_4 Depth=1
	v_mul_f32_e32 v35, v23, v23
	v_mov_b32_e32 v36, 0x3c0881c4
	v_fmac_f32_e32 v36, 0xb94c1982, v35
	v_fma_f32 v36, v35, v36, v13
	v_mul_f32_e32 v36, v35, v36
	v_fmac_f32_e32 v23, v23, v36
	v_mov_b32_e32 v36, 0xbab64f3b
	v_fmac_f32_e32 v36, 0x37d75334, v35
	v_fma_f32 v36, v35, v36, v14
	v_fma_f32 v36, v35, v36, v15
	v_fma_f32 v35, v35, v36, 1.0
	v_and_b32_e32 v36, 1, v22
	v_lshlrev_b32_e32 v22, 30, v22
	v_cmp_eq_u32_e64 s[6:7], 0, v36
	v_and_b32_e32 v22, 0x80000000, v22
	v_cndmask_b32_e64 v23, v35, v23, s[6:7]
	v_xor_b32_e32 v21, v21, v22
	v_xor_b32_e32 v21, v21, v23
	;; [unrolled: 1-line block ×3, first 2 shown]
	v_cmp_class_f32_e64 s[6:7], v20, s46
	v_cndmask_b32_e64 v20, v18, v21, s[6:7]
	v_bfe_u32 v21, v20, 16, 1
	v_add3_u32 v21, v20, v21, s47
	v_lshrrev_b32_e32 v21, 16, v21
	v_cmp_o_f32_e64 s[6:7], v20, v20
	v_cndmask_b32_e64 v20, v19, v21, s[6:7]
	global_store_short v[4:5], v20, off
	s_or_b64 exec, exec, s[8:9]
	s_and_saveexec_b64 s[6:7], s[2:3]
	s_cbranch_execz .LBB117_28
.LBB117_33:                             ;   in Loop: Header=BB117_4 Depth=1
	v_mul_f32_e32 v20, v29, v29
	v_mov_b32_e32 v21, 0x3c0881c4
	v_fmac_f32_e32 v21, 0xb94c1982, v20
	v_fma_f32 v21, v20, v21, v13
	v_mul_f32_e32 v21, v20, v21
	v_fmac_f32_e32 v29, v29, v21
	v_mov_b32_e32 v21, 0xbab64f3b
	v_fmac_f32_e32 v21, 0x37d75334, v20
	v_fma_f32 v21, v20, v21, v14
	v_fma_f32 v21, v20, v21, v15
	v_fma_f32 v20, v20, v21, 1.0
	v_and_b32_e32 v21, 1, v28
	v_cmp_eq_u32_e64 s[2:3], 0, v21
	v_lshlrev_b32_e32 v21, 30, v28
	v_and_b32_e32 v21, 0x80000000, v21
	v_cndmask_b32_e64 v20, v20, v29, s[2:3]
	v_xor_b32_e32 v21, v25, v21
	v_xor_b32_e32 v20, v21, v20
	;; [unrolled: 1-line block ×3, first 2 shown]
	v_cmp_class_f32_e64 s[2:3], v24, s46
	v_cndmask_b32_e64 v20, v18, v20, s[2:3]
	v_bfe_u32 v21, v20, 16, 1
	v_add3_u32 v21, v20, v21, s47
	v_lshrrev_b32_e32 v21, 16, v21
	v_cmp_o_f32_e64 s[2:3], v20, v20
	v_cndmask_b32_e64 v20, v19, v21, s[2:3]
	global_store_short v[6:7], v20, off
	s_or_b64 exec, exec, s[6:7]
	s_and_saveexec_b64 s[2:3], s[0:1]
	s_cbranch_execz .LBB117_29
.LBB117_34:                             ;   in Loop: Header=BB117_4 Depth=1
	v_mul_f32_e32 v20, v33, v33
	v_mov_b32_e32 v21, 0x3c0881c4
	v_fmac_f32_e32 v21, 0xb94c1982, v20
	v_fma_f32 v21, v20, v21, v13
	v_mul_f32_e32 v21, v20, v21
	v_fmac_f32_e32 v33, v33, v21
	v_mov_b32_e32 v21, 0xbab64f3b
	v_fmac_f32_e32 v21, 0x37d75334, v20
	v_fma_f32 v21, v20, v21, v14
	v_fma_f32 v21, v20, v21, v15
	v_fma_f32 v20, v20, v21, 1.0
	v_and_b32_e32 v21, 1, v32
	v_cmp_eq_u32_e64 s[0:1], 0, v21
	v_lshlrev_b32_e32 v21, 30, v32
	v_and_b32_e32 v21, 0x80000000, v21
	v_cndmask_b32_e64 v20, v20, v33, s[0:1]
	v_xor_b32_e32 v21, v30, v21
	v_xor_b32_e32 v20, v21, v20
	;; [unrolled: 1-line block ×3, first 2 shown]
	v_cmp_class_f32_e64 s[0:1], v27, s46
	v_cndmask_b32_e64 v20, v18, v20, s[0:1]
	v_bfe_u32 v21, v20, 16, 1
	v_add3_u32 v21, v20, v21, s47
	v_lshrrev_b32_e32 v21, 16, v21
	v_cmp_o_f32_e64 s[0:1], v20, v20
	v_cndmask_b32_e64 v22, v19, v21, s[0:1]
	v_mov_b32_e32 v21, s28
	v_add_co_u32_e64 v20, s[0:1], s29, v4
	v_addc_co_u32_e64 v21, s[0:1], v5, v21, s[0:1]
	global_store_short v[20:21], v22, off
	s_or_b64 exec, exec, s[2:3]
	s_and_saveexec_b64 s[0:1], vcc
	s_cbranch_execz .LBB117_3
.LBB117_35:                             ;   in Loop: Header=BB117_4 Depth=1
	v_mul_f32_e32 v20, v34, v34
	v_mov_b32_e32 v21, 0x3c0881c4
	v_fmac_f32_e32 v21, 0xb94c1982, v20
	v_fma_f32 v21, v20, v21, v13
	v_mul_f32_e32 v21, v20, v21
	v_fmac_f32_e32 v34, v34, v21
	v_mov_b32_e32 v21, 0xbab64f3b
	v_fmac_f32_e32 v21, 0x37d75334, v20
	v_fma_f32 v21, v20, v21, v14
	v_fma_f32 v21, v20, v21, v15
	v_fma_f32 v20, v20, v21, 1.0
	v_and_b32_e32 v21, 1, v2
	v_lshlrev_b32_e32 v2, 30, v2
	v_cmp_eq_u32_e32 vcc, 0, v21
	v_and_b32_e32 v2, 0x80000000, v2
	v_cndmask_b32_e32 v20, v20, v34, vcc
	v_xor_b32_e32 v2, v31, v2
	v_xor_b32_e32 v2, v2, v20
	;; [unrolled: 1-line block ×3, first 2 shown]
	v_cmp_class_f32_e64 vcc, v26, s46
	v_cndmask_b32_e32 v2, v18, v2, vcc
	v_bfe_u32 v20, v2, 16, 1
	v_add3_u32 v20, v2, v20, s47
	v_lshrrev_b32_e32 v20, 16, v20
	v_cmp_o_f32_e32 vcc, v2, v2
	v_cndmask_b32_e32 v2, v19, v20, vcc
	v_mov_b32_e32 v21, s34
	v_add_co_u32_e32 v20, vcc, s33, v4
	v_addc_co_u32_e32 v21, vcc, v5, v21, vcc
	global_store_short v[20:21], v2, off
	s_branch .LBB117_3
.LBB117_36:
	s_cbranch_execz .LBB117_38
	s_branch .LBB117_57
.LBB117_37:
.LBB117_38:
	v_mov_b32_e32 v3, 0
	v_lshlrev_b32_e32 v2, 2, v0
	s_mov_b32 s12, 0
	v_cmp_gt_i64_e32 vcc, s[16:17], v[2:3]
	s_and_saveexec_b64 s[0:1], vcc
	s_cbranch_execz .LBB117_57
; %bb.39:
	s_load_dword s0, s[4:5], 0xd3c
	v_lshlrev_b32_e32 v1, 3, v0
	s_mov_b32 s15, s12
	s_mov_b64 s[6:7], 0
	s_mov_b32 s22, 0xf534ddc0
	s_waitcnt lgkmcnt(0)
	s_and_b32 s0, s0, 0xffff
	s_add_u32 s1, s18, s20
	s_addc_u32 s2, s19, s21
	v_mov_b32_e32 v2, s2
	v_add_co_u32_e32 v4, vcc, s1, v1
	v_addc_co_u32_e32 v5, vcc, 0, v2, vcc
	v_add_lshl_u32 v2, v0, s0, 2
	s_lshl_b32 s13, s0, 3
	s_lshl_b32 s14, s0, 2
	s_brev_b32 s18, 18
	s_mov_b32 s19, 0xfe5163ab
	s_mov_b32 s20, 0x3c439041
	;; [unrolled: 1-line block ×9, first 2 shown]
	v_mov_b32_e32 v8, 0xbe2aaa9d
	v_mov_b32_e32 v9, 0x3d2aabf7
	;; [unrolled: 1-line block ×3, first 2 shown]
	s_movk_i32 s29, 0x1f8
	s_movk_i32 s30, 0x7fff
	s_mov_b64 s[8:9], 0xffff
	v_not_b32_e32 v11, 63
	v_not_b32_e32 v12, 31
	v_mov_b32_e32 v13, 0x7fc00000
	v_mov_b32_e32 v14, 0x7fc0
	v_pk_mov_b32 v[0:1], v[2:3], v[2:3] op_sel:[0,1]
	s_branch .LBB117_41
.LBB117_40:                             ;   in Loop: Header=BB117_41 Depth=1
	s_or_b64 exec, exec, s[0:1]
	v_mul_f32_e32 v28, v26, v26
	v_mov_b32_e32 v29, 0x3c0881c4
	v_fmac_f32_e32 v29, 0xb94c1982, v28
	v_fma_f32 v29, v28, v29, v8
	v_mul_f32_e32 v29, v28, v29
	v_fmac_f32_e32 v26, v26, v29
	v_mov_b32_e32 v29, 0xbab64f3b
	v_fmac_f32_e32 v29, 0x37d75334, v28
	v_fma_f32 v29, v28, v29, v9
	v_fma_f32 v29, v28, v29, v10
	v_fma_f32 v28, v28, v29, 1.0
	v_and_b32_e32 v29, 1, v25
	v_lshlrev_b32_e32 v25, 30, v25
	v_cmp_eq_u32_e32 vcc, 0, v29
	v_and_b32_e32 v25, 0x80000000, v25
	v_cndmask_b32_e32 v26, v28, v26, vcc
	v_xor_b32_e32 v23, v23, v25
	v_xor_b32_e32 v23, v23, v26
	v_mul_f32_e32 v25, v22, v22
	v_mov_b32_e32 v26, 0x3c0881c4
	v_fmac_f32_e32 v26, 0xb94c1982, v25
	v_fma_f32 v26, v25, v26, v8
	v_mul_f32_e32 v26, v25, v26
	v_fmac_f32_e32 v22, v22, v26
	v_mov_b32_e32 v26, 0xbab64f3b
	v_fmac_f32_e32 v26, 0x37d75334, v25
	v_fma_f32 v26, v25, v26, v9
	v_fma_f32 v26, v25, v26, v10
	v_xor_b32_e32 v23, v23, v6
	v_cmp_class_f32_e64 vcc, v6, s29
	v_fma_f32 v25, v25, v26, 1.0
	v_and_b32_e32 v26, 1, v21
	v_lshlrev_b32_e32 v21, 30, v21
	v_cndmask_b32_e32 v6, v13, v23, vcc
	v_cmp_eq_u32_e32 vcc, 0, v26
	v_and_b32_e32 v21, 0x80000000, v21
	v_cndmask_b32_e32 v22, v25, v22, vcc
	v_xor_b32_e32 v20, v20, v21
	v_xor_b32_e32 v20, v20, v22
	v_mul_f32_e32 v21, v18, v18
	v_mov_b32_e32 v22, 0x3c0881c4
	v_fmac_f32_e32 v22, 0xb94c1982, v21
	v_fma_f32 v22, v21, v22, v8
	v_mul_f32_e32 v22, v21, v22
	v_fmac_f32_e32 v18, v18, v22
	v_mov_b32_e32 v22, 0xbab64f3b
	v_fmac_f32_e32 v22, 0x37d75334, v21
	v_fma_f32 v22, v21, v22, v9
	v_fma_f32 v22, v21, v22, v10
	v_xor_b32_e32 v20, v20, v19
	v_cmp_class_f32_e64 vcc, v19, s29
	v_fma_f32 v21, v21, v22, 1.0
	v_and_b32_e32 v22, 1, v17
	v_lshlrev_b32_e32 v17, 30, v17
	v_cndmask_b32_e32 v19, v13, v20, vcc
	;; [unrolled: 21-line block ×3, first 2 shown]
	v_cmp_eq_u32_e32 vcc, 0, v18
	v_and_b32_e32 v2, 0x80000000, v2
	v_cndmask_b32_e32 v17, v17, v27, vcc
	v_xor_b32_e32 v2, v24, v2
	v_xor_b32_e32 v2, v2, v17
	v_xor_b32_e32 v2, v2, v7
	v_cmp_class_f32_e64 vcc, v7, s29
	v_cndmask_b32_e32 v2, v13, v2, vcc
	v_bfe_u32 v7, v2, 16, 1
	v_bfe_u32 v23, v6, 16, 1
	v_add3_u32 v7, v2, v7, s30
	v_add3_u32 v23, v6, v23, s30
	v_bfe_u32 v20, v19, 16, 1
	v_and_b32_e32 v7, 0xffff0000, v7
	v_cmp_o_f32_e32 vcc, v2, v2
	v_lshrrev_b32_e32 v23, 16, v23
	v_add3_u32 v20, v19, v20, s30
	v_bfe_u32 v16, v15, 16, 1
	v_cndmask_b32_e32 v2, v13, v7, vcc
	v_cmp_o_f32_e32 vcc, v6, v6
	v_and_b32_e32 v20, 0xffff0000, v20
	v_add3_u32 v16, v15, v16, s30
	v_cndmask_b32_e32 v6, v14, v23, vcc
	v_cmp_o_f32_e32 vcc, v19, v19
	v_lshrrev_b32_e32 v16, 16, v16
	v_cndmask_b32_e32 v7, v13, v20, vcc
	v_cmp_o_f32_e32 vcc, v15, v15
	v_cndmask_b32_e32 v15, v14, v16, vcc
	v_or_b32_e32 v15, v7, v15
	v_or3_b32 v7, 0, v6, v2
	v_or3_b32 v6, v15, 0, 0
	v_cmp_le_i64_e32 vcc, s[16:17], v[0:1]
	v_cmp_lt_u64_e64 s[0:1], s[8:9], v[0:1]
	global_store_dwordx2 v[4:5], v[6:7], off
	s_or_b64 s[0:1], vcc, s[0:1]
	v_mov_b32_e32 v2, s12
	v_add_co_u32_e32 v4, vcc, s13, v4
	v_addc_co_u32_e32 v5, vcc, v5, v2, vcc
	v_mov_b32_e32 v2, s15
	s_and_b64 s[0:1], exec, s[0:1]
	v_add_co_u32_e32 v0, vcc, s14, v0
	s_or_b64 s[6:7], s[0:1], s[6:7]
	v_addc_co_u32_e32 v1, vcc, v1, v2, vcc
	s_andn2_b64 exec, exec, s[6:7]
	s_cbranch_execz .LBB117_57
.LBB117_41:                             ; =>This Inner Loop Header: Depth=1
	global_load_dwordx2 v[6:7], v[4:5], off
                                        ; implicit-def: $vgpr17
                                        ; implicit-def: $vgpr18
	s_waitcnt vmcnt(0)
	v_lshlrev_b32_e32 v15, 16, v6
	v_and_b32_e32 v16, 0x7fffffff, v15
	v_cmp_nlt_f32_e64 s[0:1], |v15|, s18
	s_and_saveexec_b64 s[2:3], s[0:1]
	s_xor_b64 s[10:11], exec, s[2:3]
	s_cbranch_execz .LBB117_43
; %bb.42:                               ;   in Loop: Header=BB117_41 Depth=1
	v_lshrrev_b32_e32 v2, 23, v16
	v_add_u32_e32 v2, 0xffffff88, v2
	v_cmp_lt_u32_e32 vcc, 63, v2
	v_cndmask_b32_e32 v17, 0, v11, vcc
	v_add_u32_e32 v2, v17, v2
	v_cmp_lt_u32_e64 s[0:1], 31, v2
	v_cndmask_b32_e64 v17, 0, v12, s[0:1]
	v_add_u32_e32 v2, v17, v2
	v_cmp_lt_u32_e64 s[2:3], 31, v2
	v_cndmask_b32_e64 v17, 0, v12, s[2:3]
	v_add_u32_e32 v17, v17, v2
	v_and_b32_e32 v2, 0x7fffff, v16
	v_or_b32_e32 v30, 0x800000, v2
	v_mad_u64_u32 v[18:19], s[4:5], v30, s19, 0
	v_mov_b32_e32 v2, v19
	v_mad_u64_u32 v[20:21], s[4:5], v30, s20, v[2:3]
	v_mov_b32_e32 v2, v21
	;; [unrolled: 2-line block ×6, first 2 shown]
	v_mad_u64_u32 v[30:31], s[4:5], v30, s25, v[2:3]
	v_cndmask_b32_e32 v19, v28, v24, vcc
	v_cndmask_b32_e32 v2, v30, v26, vcc
	;; [unrolled: 1-line block ×3, first 2 shown]
	v_cndmask_b32_e64 v21, v2, v19, s[0:1]
	v_cndmask_b32_e64 v2, v23, v2, s[0:1]
	v_cndmask_b32_e32 v23, v26, v22, vcc
	v_cndmask_b32_e64 v19, v19, v23, s[0:1]
	v_sub_u32_e32 v25, 32, v17
	v_cmp_eq_u32_e64 s[4:5], 0, v17
	v_cndmask_b32_e32 v17, v24, v20, vcc
	v_cndmask_b32_e64 v2, v2, v21, s[2:3]
	v_cndmask_b32_e64 v21, v21, v19, s[2:3]
	;; [unrolled: 1-line block ×3, first 2 shown]
	v_alignbit_b32 v26, v2, v21, v25
	v_cndmask_b32_e64 v19, v19, v20, s[2:3]
	v_cndmask_b32_e64 v2, v26, v2, s[4:5]
	v_alignbit_b32 v23, v21, v19, v25
	v_cndmask_b32_e64 v21, v23, v21, s[4:5]
	v_bfe_u32 v26, v2, 29, 1
	v_cndmask_b32_e32 v18, v22, v18, vcc
	v_alignbit_b32 v23, v2, v21, 30
	v_sub_u32_e32 v27, 0, v26
	v_cndmask_b32_e64 v17, v17, v18, s[0:1]
	v_xor_b32_e32 v28, v23, v27
	v_cndmask_b32_e64 v17, v20, v17, s[2:3]
	v_alignbit_b32 v18, v19, v17, v25
	v_ffbh_u32_e32 v20, v28
	v_cndmask_b32_e64 v18, v18, v19, s[4:5]
	v_add_u32_e32 v20, 1, v20
	v_cmp_ne_u32_e32 vcc, v23, v27
	v_alignbit_b32 v19, v21, v18, 30
	v_cndmask_b32_e32 v20, 33, v20, vcc
	v_alignbit_b32 v17, v18, v17, 30
	v_xor_b32_e32 v19, v19, v27
	v_sub_u32_e32 v21, 32, v20
	v_xor_b32_e32 v17, v17, v27
	v_alignbit_b32 v22, v28, v19, v21
	v_alignbit_b32 v17, v19, v17, v21
	;; [unrolled: 1-line block ×3, first 2 shown]
	v_ffbh_u32_e32 v19, v18
	v_min_u32_e32 v19, 32, v19
	v_lshrrev_b32_e32 v24, 29, v2
	v_sub_u32_e32 v21, 31, v19
	v_alignbit_b32 v17, v18, v17, v21
	v_lshlrev_b32_e32 v18, 31, v24
	v_or_b32_e32 v21, 0x33800000, v18
	v_add_lshl_u32 v19, v19, v20, 23
	v_lshrrev_b32_e32 v17, 9, v17
	v_sub_u32_e32 v19, v21, v19
	v_or_b32_e32 v17, v19, v17
	v_alignbit_b32 v19, v20, v22, 9
	v_or_b32_e32 v18, v19, v18
	v_xor_b32_e32 v18, 1.0, v18
	v_mul_f32_e32 v19, 0x3fc90fda, v18
	v_fma_f32 v20, v18, s26, -v19
	v_fmac_f32_e32 v20, 0x33a22168, v18
	v_fmac_f32_e32 v20, 0x3fc90fda, v17
	v_lshrrev_b32_e32 v2, 30, v2
	v_add_f32_e32 v18, v19, v20
	v_add_u32_e32 v17, v26, v2
.LBB117_43:                             ;   in Loop: Header=BB117_41 Depth=1
	s_andn2_saveexec_b64 s[0:1], s[10:11]
; %bb.44:                               ;   in Loop: Header=BB117_41 Depth=1
	v_mul_f32_e64 v2, |v15|, s27
	v_rndne_f32_e32 v2, v2
	v_cvt_i32_f32_e32 v17, v2
	v_fma_f32 v18, v2, s28, |v15|
	v_fmac_f32_e32 v18, 0xb3a22168, v2
	v_fmac_f32_e32 v18, 0xa7c234c4, v2
; %bb.45:                               ;   in Loop: Header=BB117_41 Depth=1
	s_or_b64 exec, exec, s[0:1]
	v_and_b32_e32 v19, 0xffff0000, v6
	v_and_b32_e32 v20, 0x7fffffff, v19
	v_cmp_nlt_f32_e64 s[0:1], |v19|, s18
                                        ; implicit-def: $vgpr21
                                        ; implicit-def: $vgpr22
	s_and_saveexec_b64 s[2:3], s[0:1]
	s_xor_b64 s[10:11], exec, s[2:3]
	s_cbranch_execz .LBB117_47
; %bb.46:                               ;   in Loop: Header=BB117_41 Depth=1
	v_lshrrev_b32_e32 v2, 23, v20
	v_add_u32_e32 v2, 0xffffff88, v2
	v_cmp_lt_u32_e32 vcc, 63, v2
	v_cndmask_b32_e32 v21, 0, v11, vcc
	v_add_u32_e32 v2, v21, v2
	v_cmp_lt_u32_e64 s[0:1], 31, v2
	v_cndmask_b32_e64 v21, 0, v12, s[0:1]
	v_add_u32_e32 v2, v21, v2
	v_cmp_lt_u32_e64 s[2:3], 31, v2
	v_cndmask_b32_e64 v21, 0, v12, s[2:3]
	v_add_u32_e32 v21, v21, v2
	v_and_b32_e32 v2, 0x7fffff, v20
	v_or_b32_e32 v34, 0x800000, v2
	v_mad_u64_u32 v[22:23], s[4:5], v34, s19, 0
	v_mov_b32_e32 v2, v23
	v_mad_u64_u32 v[24:25], s[4:5], v34, s20, v[2:3]
	v_mov_b32_e32 v2, v25
	;; [unrolled: 2-line block ×6, first 2 shown]
	v_mad_u64_u32 v[34:35], s[4:5], v34, s25, v[2:3]
	v_cndmask_b32_e32 v23, v32, v28, vcc
	v_cndmask_b32_e32 v2, v34, v30, vcc
	;; [unrolled: 1-line block ×3, first 2 shown]
	v_cndmask_b32_e64 v25, v2, v23, s[0:1]
	v_cndmask_b32_e64 v2, v27, v2, s[0:1]
	v_cndmask_b32_e32 v27, v30, v26, vcc
	v_cndmask_b32_e64 v23, v23, v27, s[0:1]
	v_sub_u32_e32 v29, 32, v21
	v_cmp_eq_u32_e64 s[4:5], 0, v21
	v_cndmask_b32_e32 v21, v28, v24, vcc
	v_cndmask_b32_e64 v2, v2, v25, s[2:3]
	v_cndmask_b32_e64 v25, v25, v23, s[2:3]
	;; [unrolled: 1-line block ×3, first 2 shown]
	v_alignbit_b32 v30, v2, v25, v29
	v_cndmask_b32_e64 v23, v23, v24, s[2:3]
	v_cndmask_b32_e64 v2, v30, v2, s[4:5]
	v_alignbit_b32 v27, v25, v23, v29
	v_cndmask_b32_e64 v25, v27, v25, s[4:5]
	v_bfe_u32 v30, v2, 29, 1
	v_cndmask_b32_e32 v22, v26, v22, vcc
	v_alignbit_b32 v27, v2, v25, 30
	v_sub_u32_e32 v31, 0, v30
	v_cndmask_b32_e64 v21, v21, v22, s[0:1]
	v_xor_b32_e32 v32, v27, v31
	v_cndmask_b32_e64 v21, v24, v21, s[2:3]
	v_alignbit_b32 v22, v23, v21, v29
	v_ffbh_u32_e32 v24, v32
	v_cndmask_b32_e64 v22, v22, v23, s[4:5]
	v_add_u32_e32 v24, 1, v24
	v_cmp_ne_u32_e32 vcc, v27, v31
	v_alignbit_b32 v23, v25, v22, 30
	v_cndmask_b32_e32 v24, 33, v24, vcc
	v_alignbit_b32 v21, v22, v21, 30
	v_xor_b32_e32 v23, v23, v31
	v_sub_u32_e32 v25, 32, v24
	v_xor_b32_e32 v21, v21, v31
	v_alignbit_b32 v26, v32, v23, v25
	v_alignbit_b32 v21, v23, v21, v25
	;; [unrolled: 1-line block ×3, first 2 shown]
	v_ffbh_u32_e32 v23, v22
	v_min_u32_e32 v23, 32, v23
	v_lshrrev_b32_e32 v28, 29, v2
	v_sub_u32_e32 v25, 31, v23
	v_alignbit_b32 v21, v22, v21, v25
	v_lshlrev_b32_e32 v22, 31, v28
	v_or_b32_e32 v25, 0x33800000, v22
	v_add_lshl_u32 v23, v23, v24, 23
	v_lshrrev_b32_e32 v21, 9, v21
	v_sub_u32_e32 v23, v25, v23
	v_or_b32_e32 v21, v23, v21
	v_alignbit_b32 v23, v24, v26, 9
	v_or_b32_e32 v22, v23, v22
	v_xor_b32_e32 v22, 1.0, v22
	v_mul_f32_e32 v23, 0x3fc90fda, v22
	v_fma_f32 v24, v22, s26, -v23
	v_fmac_f32_e32 v24, 0x33a22168, v22
	v_fmac_f32_e32 v24, 0x3fc90fda, v21
	v_lshrrev_b32_e32 v2, 30, v2
	v_add_f32_e32 v22, v23, v24
	v_add_u32_e32 v21, v30, v2
.LBB117_47:                             ;   in Loop: Header=BB117_41 Depth=1
	s_andn2_saveexec_b64 s[0:1], s[10:11]
; %bb.48:                               ;   in Loop: Header=BB117_41 Depth=1
	v_mul_f32_e64 v2, |v19|, s27
	v_rndne_f32_e32 v2, v2
	v_cvt_i32_f32_e32 v21, v2
	v_fma_f32 v22, v2, s28, |v19|
	v_fmac_f32_e32 v22, 0xb3a22168, v2
	v_fmac_f32_e32 v22, 0xa7c234c4, v2
; %bb.49:                               ;   in Loop: Header=BB117_41 Depth=1
	s_or_b64 exec, exec, s[0:1]
	v_alignbit_b32 v2, v7, v6, 16
	v_and_b32_e32 v6, 0xffff0000, v2
	v_and_b32_e32 v23, 0x7fffffff, v6
	v_cmp_nlt_f32_e64 s[0:1], |v6|, s18
                                        ; implicit-def: $vgpr25
                                        ; implicit-def: $vgpr26
	s_and_saveexec_b64 s[2:3], s[0:1]
	s_xor_b64 s[10:11], exec, s[2:3]
	s_cbranch_execz .LBB117_51
; %bb.50:                               ;   in Loop: Header=BB117_41 Depth=1
	v_lshrrev_b32_e32 v2, 23, v23
	v_add_u32_e32 v2, 0xffffff88, v2
	v_cmp_lt_u32_e32 vcc, 63, v2
	v_cndmask_b32_e32 v24, 0, v11, vcc
	v_add_u32_e32 v2, v24, v2
	v_cmp_lt_u32_e64 s[0:1], 31, v2
	v_cndmask_b32_e64 v24, 0, v12, s[0:1]
	v_add_u32_e32 v2, v24, v2
	v_cmp_lt_u32_e64 s[2:3], 31, v2
	v_cndmask_b32_e64 v24, 0, v12, s[2:3]
	v_add_u32_e32 v38, v24, v2
	v_and_b32_e32 v2, 0x7fffff, v23
	v_or_b32_e32 v36, 0x800000, v2
	v_mad_u64_u32 v[24:25], s[4:5], v36, s19, 0
	v_mov_b32_e32 v2, v25
	v_mad_u64_u32 v[26:27], s[4:5], v36, s20, v[2:3]
	v_mov_b32_e32 v2, v27
	;; [unrolled: 2-line block ×6, first 2 shown]
	v_mad_u64_u32 v[36:37], s[4:5], v36, s25, v[2:3]
	v_cndmask_b32_e32 v25, v34, v30, vcc
	v_cndmask_b32_e32 v2, v36, v32, vcc
	v_cndmask_b32_e32 v29, v37, v34, vcc
	v_cndmask_b32_e64 v27, v2, v25, s[0:1]
	v_cndmask_b32_e64 v2, v29, v2, s[0:1]
	v_cndmask_b32_e32 v29, v32, v28, vcc
	v_cndmask_b32_e64 v25, v25, v29, s[0:1]
	v_cndmask_b32_e32 v26, v30, v26, vcc
	v_cndmask_b32_e64 v2, v2, v27, s[2:3]
	v_cndmask_b32_e64 v27, v27, v25, s[2:3]
	v_sub_u32_e32 v31, 32, v38
	v_cndmask_b32_e64 v29, v29, v26, s[0:1]
	v_alignbit_b32 v32, v2, v27, v31
	v_cmp_eq_u32_e64 s[4:5], 0, v38
	v_cndmask_b32_e64 v25, v25, v29, s[2:3]
	v_cndmask_b32_e32 v24, v28, v24, vcc
	v_cndmask_b32_e64 v2, v32, v2, s[4:5]
	v_alignbit_b32 v30, v27, v25, v31
	v_cndmask_b32_e64 v24, v26, v24, s[0:1]
	v_cndmask_b32_e64 v27, v30, v27, s[4:5]
	v_bfe_u32 v33, v2, 29, 1
	v_cndmask_b32_e64 v24, v29, v24, s[2:3]
	v_alignbit_b32 v30, v2, v27, 30
	v_sub_u32_e32 v34, 0, v33
	v_alignbit_b32 v26, v25, v24, v31
	v_xor_b32_e32 v35, v30, v34
	v_cndmask_b32_e64 v25, v26, v25, s[4:5]
	v_alignbit_b32 v26, v27, v25, 30
	v_ffbh_u32_e32 v27, v35
	v_add_u32_e32 v27, 1, v27
	v_cmp_ne_u32_e32 vcc, v30, v34
	v_cndmask_b32_e32 v27, 33, v27, vcc
	v_alignbit_b32 v24, v25, v24, 30
	v_xor_b32_e32 v26, v26, v34
	v_sub_u32_e32 v28, 32, v27
	v_xor_b32_e32 v24, v24, v34
	v_alignbit_b32 v29, v35, v26, v28
	v_alignbit_b32 v24, v26, v24, v28
	;; [unrolled: 1-line block ×3, first 2 shown]
	v_ffbh_u32_e32 v26, v25
	v_min_u32_e32 v26, 32, v26
	v_lshrrev_b32_e32 v32, 29, v2
	v_sub_u32_e32 v28, 31, v26
	v_alignbit_b32 v24, v25, v24, v28
	v_lshlrev_b32_e32 v25, 31, v32
	v_or_b32_e32 v28, 0x33800000, v25
	v_add_lshl_u32 v26, v26, v27, 23
	v_lshrrev_b32_e32 v24, 9, v24
	v_sub_u32_e32 v26, v28, v26
	v_or_b32_e32 v24, v26, v24
	v_alignbit_b32 v26, v27, v29, 9
	v_or_b32_e32 v25, v26, v25
	v_xor_b32_e32 v25, 1.0, v25
	v_mul_f32_e32 v26, 0x3fc90fda, v25
	v_fma_f32 v27, v25, s26, -v26
	v_fmac_f32_e32 v27, 0x33a22168, v25
	v_fmac_f32_e32 v27, 0x3fc90fda, v24
	v_lshrrev_b32_e32 v2, 30, v2
	v_add_f32_e32 v26, v26, v27
	v_add_u32_e32 v25, v33, v2
.LBB117_51:                             ;   in Loop: Header=BB117_41 Depth=1
	s_andn2_saveexec_b64 s[0:1], s[10:11]
; %bb.52:                               ;   in Loop: Header=BB117_41 Depth=1
	v_mul_f32_e64 v2, |v6|, s27
	v_rndne_f32_e32 v2, v2
	v_cvt_i32_f32_e32 v25, v2
	v_fma_f32 v26, v2, s28, |v6|
	v_fmac_f32_e32 v26, 0xb3a22168, v2
	v_fmac_f32_e32 v26, 0xa7c234c4, v2
; %bb.53:                               ;   in Loop: Header=BB117_41 Depth=1
	s_or_b64 exec, exec, s[0:1]
	v_and_b32_e32 v7, 0xffff0000, v7
	v_and_b32_e32 v24, 0x7fffffff, v7
	v_cmp_nlt_f32_e64 s[0:1], |v7|, s18
                                        ; implicit-def: $vgpr2
                                        ; implicit-def: $vgpr27
	s_and_saveexec_b64 s[2:3], s[0:1]
	s_xor_b64 s[10:11], exec, s[2:3]
	s_cbranch_execz .LBB117_55
; %bb.54:                               ;   in Loop: Header=BB117_41 Depth=1
	v_lshrrev_b32_e32 v2, 23, v24
	v_add_u32_e32 v2, 0xffffff88, v2
	v_cmp_lt_u32_e32 vcc, 63, v2
	v_cndmask_b32_e32 v27, 0, v11, vcc
	v_add_u32_e32 v2, v27, v2
	v_cmp_lt_u32_e64 s[0:1], 31, v2
	v_cndmask_b32_e64 v27, 0, v12, s[0:1]
	v_add_u32_e32 v2, v27, v2
	v_cmp_lt_u32_e64 s[2:3], 31, v2
	v_cndmask_b32_e64 v27, 0, v12, s[2:3]
	v_add_u32_e32 v27, v27, v2
	v_and_b32_e32 v2, 0x7fffff, v24
	v_or_b32_e32 v40, 0x800000, v2
	v_mad_u64_u32 v[28:29], s[4:5], v40, s19, 0
	v_mov_b32_e32 v2, v29
	v_mad_u64_u32 v[30:31], s[4:5], v40, s20, v[2:3]
	v_mov_b32_e32 v2, v31
	;; [unrolled: 2-line block ×6, first 2 shown]
	v_mad_u64_u32 v[40:41], s[4:5], v40, s25, v[2:3]
	v_cndmask_b32_e32 v29, v38, v34, vcc
	v_cndmask_b32_e32 v2, v40, v36, vcc
	;; [unrolled: 1-line block ×3, first 2 shown]
	v_cndmask_b32_e64 v31, v2, v29, s[0:1]
	v_cndmask_b32_e64 v2, v33, v2, s[0:1]
	v_cndmask_b32_e32 v33, v36, v32, vcc
	v_cndmask_b32_e64 v29, v29, v33, s[0:1]
	v_sub_u32_e32 v35, 32, v27
	v_cmp_eq_u32_e64 s[4:5], 0, v27
	v_cndmask_b32_e32 v27, v34, v30, vcc
	v_cndmask_b32_e64 v2, v2, v31, s[2:3]
	v_cndmask_b32_e64 v31, v31, v29, s[2:3]
	v_cndmask_b32_e64 v30, v33, v27, s[0:1]
	v_alignbit_b32 v36, v2, v31, v35
	v_cndmask_b32_e64 v29, v29, v30, s[2:3]
	v_cndmask_b32_e64 v2, v36, v2, s[4:5]
	v_alignbit_b32 v33, v31, v29, v35
	v_cndmask_b32_e64 v31, v33, v31, s[4:5]
	v_bfe_u32 v36, v2, 29, 1
	v_cndmask_b32_e32 v28, v32, v28, vcc
	v_alignbit_b32 v33, v2, v31, 30
	v_sub_u32_e32 v37, 0, v36
	v_cndmask_b32_e64 v27, v27, v28, s[0:1]
	v_xor_b32_e32 v38, v33, v37
	v_cndmask_b32_e64 v27, v30, v27, s[2:3]
	v_alignbit_b32 v28, v29, v27, v35
	v_ffbh_u32_e32 v30, v38
	v_cndmask_b32_e64 v28, v28, v29, s[4:5]
	v_add_u32_e32 v30, 1, v30
	v_cmp_ne_u32_e32 vcc, v33, v37
	v_alignbit_b32 v29, v31, v28, 30
	v_cndmask_b32_e32 v30, 33, v30, vcc
	v_alignbit_b32 v27, v28, v27, 30
	v_xor_b32_e32 v29, v29, v37
	v_sub_u32_e32 v31, 32, v30
	v_xor_b32_e32 v27, v27, v37
	v_alignbit_b32 v32, v38, v29, v31
	v_alignbit_b32 v27, v29, v27, v31
	;; [unrolled: 1-line block ×3, first 2 shown]
	v_ffbh_u32_e32 v29, v28
	v_min_u32_e32 v29, 32, v29
	v_lshrrev_b32_e32 v34, 29, v2
	v_sub_u32_e32 v31, 31, v29
	v_alignbit_b32 v27, v28, v27, v31
	v_lshlrev_b32_e32 v28, 31, v34
	v_or_b32_e32 v31, 0x33800000, v28
	v_add_lshl_u32 v29, v29, v30, 23
	v_lshrrev_b32_e32 v27, 9, v27
	v_sub_u32_e32 v29, v31, v29
	v_or_b32_e32 v27, v29, v27
	v_alignbit_b32 v29, v30, v32, 9
	v_or_b32_e32 v28, v29, v28
	v_xor_b32_e32 v28, 1.0, v28
	v_mul_f32_e32 v29, 0x3fc90fda, v28
	v_fma_f32 v30, v28, s26, -v29
	v_fmac_f32_e32 v30, 0x33a22168, v28
	v_fmac_f32_e32 v30, 0x3fc90fda, v27
	v_lshrrev_b32_e32 v2, 30, v2
	v_add_f32_e32 v27, v29, v30
	v_add_u32_e32 v2, v36, v2
.LBB117_55:                             ;   in Loop: Header=BB117_41 Depth=1
	s_andn2_saveexec_b64 s[0:1], s[10:11]
	s_cbranch_execz .LBB117_40
; %bb.56:                               ;   in Loop: Header=BB117_41 Depth=1
	v_mul_f32_e64 v2, |v7|, s27
	v_rndne_f32_e32 v28, v2
	v_cvt_i32_f32_e32 v2, v28
	v_fma_f32 v27, v28, s28, |v7|
	v_fmac_f32_e32 v27, 0xb3a22168, v28
	v_fmac_f32_e32 v27, 0xa7c234c4, v28
	s_branch .LBB117_40
.LBB117_57:
	s_endpgm
	.section	.rodata,"a",@progbits
	.p2align	6, 0x0
	.amdhsa_kernel _ZN2at6native12_GLOBAL__N_125multi_tensor_apply_kernelINS1_18TensorListMetadataILi1EEENS1_14UnaryOpFunctorIN3c108BFloat16ELi1ELi1ELi0EEEJNS0_3SinIfEEEEEvT_T0_DpT1_
		.amdhsa_group_segment_fixed_size 0
		.amdhsa_private_segment_fixed_size 0
		.amdhsa_kernarg_size 3632
		.amdhsa_user_sgpr_count 6
		.amdhsa_user_sgpr_private_segment_buffer 1
		.amdhsa_user_sgpr_dispatch_ptr 0
		.amdhsa_user_sgpr_queue_ptr 0
		.amdhsa_user_sgpr_kernarg_segment_ptr 1
		.amdhsa_user_sgpr_dispatch_id 0
		.amdhsa_user_sgpr_flat_scratch_init 0
		.amdhsa_user_sgpr_kernarg_preload_length 0
		.amdhsa_user_sgpr_kernarg_preload_offset 0
		.amdhsa_user_sgpr_private_segment_size 0
		.amdhsa_uses_dynamic_stack 0
		.amdhsa_system_sgpr_private_segment_wavefront_offset 0
		.amdhsa_system_sgpr_workgroup_id_x 1
		.amdhsa_system_sgpr_workgroup_id_y 0
		.amdhsa_system_sgpr_workgroup_id_z 0
		.amdhsa_system_sgpr_workgroup_info 0
		.amdhsa_system_vgpr_workitem_id 0
		.amdhsa_next_free_vgpr 49
		.amdhsa_next_free_sgpr 48
		.amdhsa_accum_offset 52
		.amdhsa_reserve_vcc 1
		.amdhsa_reserve_flat_scratch 0
		.amdhsa_float_round_mode_32 0
		.amdhsa_float_round_mode_16_64 0
		.amdhsa_float_denorm_mode_32 3
		.amdhsa_float_denorm_mode_16_64 3
		.amdhsa_dx10_clamp 1
		.amdhsa_ieee_mode 1
		.amdhsa_fp16_overflow 0
		.amdhsa_tg_split 0
		.amdhsa_exception_fp_ieee_invalid_op 0
		.amdhsa_exception_fp_denorm_src 0
		.amdhsa_exception_fp_ieee_div_zero 0
		.amdhsa_exception_fp_ieee_overflow 0
		.amdhsa_exception_fp_ieee_underflow 0
		.amdhsa_exception_fp_ieee_inexact 0
		.amdhsa_exception_int_div_zero 0
	.end_amdhsa_kernel
	.section	.text._ZN2at6native12_GLOBAL__N_125multi_tensor_apply_kernelINS1_18TensorListMetadataILi1EEENS1_14UnaryOpFunctorIN3c108BFloat16ELi1ELi1ELi0EEEJNS0_3SinIfEEEEEvT_T0_DpT1_,"axG",@progbits,_ZN2at6native12_GLOBAL__N_125multi_tensor_apply_kernelINS1_18TensorListMetadataILi1EEENS1_14UnaryOpFunctorIN3c108BFloat16ELi1ELi1ELi0EEEJNS0_3SinIfEEEEEvT_T0_DpT1_,comdat
.Lfunc_end117:
	.size	_ZN2at6native12_GLOBAL__N_125multi_tensor_apply_kernelINS1_18TensorListMetadataILi1EEENS1_14UnaryOpFunctorIN3c108BFloat16ELi1ELi1ELi0EEEJNS0_3SinIfEEEEEvT_T0_DpT1_, .Lfunc_end117-_ZN2at6native12_GLOBAL__N_125multi_tensor_apply_kernelINS1_18TensorListMetadataILi1EEENS1_14UnaryOpFunctorIN3c108BFloat16ELi1ELi1ELi0EEEJNS0_3SinIfEEEEEvT_T0_DpT1_
                                        ; -- End function
	.section	.AMDGPU.csdata,"",@progbits
; Kernel info:
; codeLenInByte = 7584
; NumSgprs: 52
; NumVgprs: 49
; NumAgprs: 0
; TotalNumVgprs: 49
; ScratchSize: 0
; MemoryBound: 0
; FloatMode: 240
; IeeeMode: 1
; LDSByteSize: 0 bytes/workgroup (compile time only)
; SGPRBlocks: 6
; VGPRBlocks: 6
; NumSGPRsForWavesPerEU: 52
; NumVGPRsForWavesPerEU: 49
; AccumOffset: 52
; Occupancy: 8
; WaveLimiterHint : 0
; COMPUTE_PGM_RSRC2:SCRATCH_EN: 0
; COMPUTE_PGM_RSRC2:USER_SGPR: 6
; COMPUTE_PGM_RSRC2:TRAP_HANDLER: 0
; COMPUTE_PGM_RSRC2:TGID_X_EN: 1
; COMPUTE_PGM_RSRC2:TGID_Y_EN: 0
; COMPUTE_PGM_RSRC2:TGID_Z_EN: 0
; COMPUTE_PGM_RSRC2:TIDIG_COMP_CNT: 0
; COMPUTE_PGM_RSRC3_GFX90A:ACCUM_OFFSET: 12
; COMPUTE_PGM_RSRC3_GFX90A:TG_SPLIT: 0
	.section	.text._ZN2at6native12_GLOBAL__N_125multi_tensor_apply_kernelINS1_18TensorListMetadataILi2EEENS1_14UnaryOpFunctorIdLi2ELi1ELi1EEEJNS0_4SinhIdEEEEEvT_T0_DpT1_,"axG",@progbits,_ZN2at6native12_GLOBAL__N_125multi_tensor_apply_kernelINS1_18TensorListMetadataILi2EEENS1_14UnaryOpFunctorIdLi2ELi1ELi1EEEJNS0_4SinhIdEEEEEvT_T0_DpT1_,comdat
	.globl	_ZN2at6native12_GLOBAL__N_125multi_tensor_apply_kernelINS1_18TensorListMetadataILi2EEENS1_14UnaryOpFunctorIdLi2ELi1ELi1EEEJNS0_4SinhIdEEEEEvT_T0_DpT1_ ; -- Begin function _ZN2at6native12_GLOBAL__N_125multi_tensor_apply_kernelINS1_18TensorListMetadataILi2EEENS1_14UnaryOpFunctorIdLi2ELi1ELi1EEEJNS0_4SinhIdEEEEEvT_T0_DpT1_
	.p2align	8
	.type	_ZN2at6native12_GLOBAL__N_125multi_tensor_apply_kernelINS1_18TensorListMetadataILi2EEENS1_14UnaryOpFunctorIdLi2ELi1ELi1EEEJNS0_4SinhIdEEEEEvT_T0_DpT1_,@function
_ZN2at6native12_GLOBAL__N_125multi_tensor_apply_kernelINS1_18TensorListMetadataILi2EEENS1_14UnaryOpFunctorIdLi2ELi1ELi1EEEJNS0_4SinhIdEEEEEvT_T0_DpT1_: ; @_ZN2at6native12_GLOBAL__N_125multi_tensor_apply_kernelINS1_18TensorListMetadataILi2EEENS1_14UnaryOpFunctorIdLi2ELi1ELi1EEEJNS0_4SinhIdEEEEEvT_T0_DpT1_
; %bb.0:
	v_mov_b32_e32 v1, s6
	global_load_ubyte v1, v1, s[4:5] offset:1536
	s_add_u32 s0, s4, s6
	s_mul_hi_u32 s3, s6, 3
	s_mul_i32 s6, s6, 3
	s_addc_u32 s7, s5, 0
	s_add_u32 s2, s0, s6
	s_addc_u32 s3, s7, s3
	s_load_dword s14, s[2:3], 0x740
	s_mov_b32 s1, 0
	s_mov_b32 s13, s1
	;; [unrolled: 1-line block ×3, first 2 shown]
	s_waitcnt lgkmcnt(0)
	s_ashr_i32 s15, s14, 31
	s_lshl_b64 s[8:9], s[14:15], 19
	s_waitcnt vmcnt(0)
	v_readfirstlane_b32 s0, v1
	s_lshl_b32 s0, s0, 3
	s_load_dwordx2 s[6:7], s[4:5], s0 offset:0x0
	s_load_dwordx2 s[16:17], s[4:5], s0 offset:0x400
	;; [unrolled: 1-line block ×3, first 2 shown]
	s_waitcnt lgkmcnt(0)
	s_add_u32 s33, s6, s8
	s_addc_u32 s56, s7, s9
	s_and_b32 s0, s33, 31
	s_add_u32 s57, s2, s8
	s_addc_u32 s58, s3, s9
	s_and_b32 s12, s16, 3
	s_and_b32 s10, s57, 31
	s_or_b64 s[12:13], s[0:1], s[12:13]
	s_or_b64 s[12:13], s[10:11], s[12:13]
	s_lshl_b64 s[10:11], s[14:15], 16
	s_sub_u32 s10, s16, s10
	s_subb_u32 s11, s17, s11
	s_cmp_eq_u64 s[12:13], 0
	s_mov_b64 s[12:13], -1
	s_cbranch_scc0 .LBB118_5
; %bb.1:
	v_mov_b32_e32 v11, 0
	v_lshlrev_b32_e32 v10, 2, v0
	v_cmp_gt_i64_e32 vcc, s[10:11], v[10:11]
	s_and_saveexec_b64 s[12:13], vcc
	s_cbranch_execz .LBB118_4
; %bb.2:
	s_load_dword s0, s[4:5], 0xc5c
	s_mov_b32 s34, 0xfca7ab0c
	s_mov_b32 s16, 0xfefa39ef
	;; [unrolled: 1-line block ×4, first 2 shown]
	s_waitcnt lgkmcnt(0)
	s_and_b32 s0, s0, 0xffff
	s_mov_b32 s20, 0x3b39803f
	s_mov_b32 s22, 0x652b82fe
	s_mov_b32 s26, 0xf278e000
	s_mov_b32 s28, 0xf97b57a0
	s_mov_b32 s30, 0x6a5dcb37
	v_pk_mov_b32 v[14:15], s[34:35], s[34:35] op_sel:[0,1]
	s_mov_b32 s34, 0x623fde64
	s_mov_b32 s36, 0x7c89e6b0
	;; [unrolled: 1-line block ×10, first 2 shown]
	v_lshlrev_b32_e32 v12, 5, v0
	s_mov_b64 s[14:15], 0
	v_add_lshl_u32 v10, v0, s0, 2
	s_lshl_b32 s59, s0, 2
	s_lshl_b32 s60, s0, 5
	s_brev_b32 s61, -2
	s_mov_b32 s19, 0x3fe62e42
	s_mov_b32 s18, s16
	;; [unrolled: 1-line block ×18, first 2 shown]
	v_mov_b32_e32 v1, 0x7ff00000
	s_mov_b32 s53, 0x3e400000
	s_mov_b64 s[54:55], 0xffff
	v_mov_b32_e32 v13, s1
.LBB118_3:                              ; =>This Inner Loop Header: Depth=1
	v_add_co_u32_e32 v6, vcc, s33, v12
	v_mov_b32_e32 v2, s56
	v_addc_co_u32_e32 v7, vcc, 0, v2, vcc
	global_load_dwordx4 v[2:5], v[6:7], off offset:16
	s_nop 0
	global_load_dwordx4 v[6:9], v[6:7], off
	v_cmp_lt_u64_e64 s[0:1], s[54:55], v[10:11]
	s_waitcnt vmcnt(0)
	v_add_f64 v[16:17], |v[6:7]|, s[16:17]
	v_add_f64 v[18:19], v[16:17], -|v[6:7]|
	v_add_f64 v[20:21], v[18:19], -v[16:17]
	v_add_f64 v[20:21], |v[6:7]|, v[20:21]
	v_add_f64 v[18:19], v[18:19], s[18:19]
	v_add_f64 v[18:19], v[20:21], -v[18:19]
	v_add_f64 v[18:19], v[18:19], s[20:21]
	v_add_f64 v[20:21], v[16:17], v[18:19]
	v_add_f64 v[16:17], v[16:17], -v[20:21]
	v_add_f64 v[16:17], v[18:19], v[16:17]
	v_mul_f64 v[18:19], v[20:21], s[22:23]
	v_rndne_f64_e32 v[18:19], v[18:19]
	v_fmac_f64_e32 v[20:21], s[24:25], v[18:19]
	v_add_f64 v[22:23], v[16:17], v[20:21]
	v_add_f64 v[20:21], v[20:21], -v[22:23]
	v_add_f64 v[16:17], v[16:17], v[20:21]
	v_mul_f64 v[20:21], v[18:19], s[26:27]
	v_add_f64 v[24:25], v[22:23], -v[20:21]
	v_add_f64 v[22:23], v[22:23], -v[24:25]
	;; [unrolled: 1-line block ×3, first 2 shown]
	v_add_f64 v[16:17], v[16:17], v[20:21]
	v_add_f64 v[20:21], v[24:25], v[16:17]
	v_add_f64 v[22:23], v[24:25], -v[20:21]
	v_add_f64 v[16:17], v[16:17], v[22:23]
	v_mul_f64 v[22:23], v[18:19], s[28:29]
	v_add_f64 v[24:25], v[20:21], -v[22:23]
	v_add_f64 v[20:21], v[20:21], -v[24:25]
	;; [unrolled: 1-line block ×3, first 2 shown]
	v_add_f64 v[16:17], v[16:17], v[20:21]
	v_add_f64 v[20:21], v[24:25], v[16:17]
	v_add_f64 v[22:23], v[24:25], -v[20:21]
	v_add_f64 v[16:17], v[16:17], v[22:23]
	v_fma_f64 v[22:23], s[30:31], v[20:21], v[14:15]
	v_fma_f64 v[22:23], v[20:21], v[22:23], s[34:35]
	;; [unrolled: 1-line block ×5, first 2 shown]
	v_mul_f64 v[24:25], v[20:21], v[20:21]
	v_fma_f64 v[22:23], v[20:21], v[22:23], s[42:43]
	v_fma_f64 v[26:27], v[20:21], v[20:21], -v[24:25]
	v_add_f64 v[28:29], v[16:17], v[16:17]
	v_fma_f64 v[22:23], v[20:21], v[22:23], s[44:45]
	v_fmac_f64_e32 v[26:27], v[20:21], v[28:29]
	v_fma_f64 v[22:23], v[20:21], v[22:23], s[46:47]
	v_add_f64 v[28:29], v[24:25], v[26:27]
	v_fma_f64 v[22:23], v[20:21], v[22:23], s[48:49]
	v_add_f64 v[24:25], v[28:29], -v[24:25]
	v_add_f64 v[24:25], v[26:27], -v[24:25]
	v_mul_f64 v[26:27], v[28:29], v[22:23]
	v_fma_f64 v[28:29], v[28:29], v[22:23], -v[26:27]
	v_fmac_f64_e32 v[28:29], v[24:25], v[22:23]
	v_add_f64 v[22:23], v[26:27], v[28:29]
	v_add_f64 v[24:25], v[22:23], -v[26:27]
	v_add_f64 v[26:27], v[20:21], v[22:23]
	v_add_f64 v[24:25], v[28:29], -v[24:25]
	v_add_f64 v[20:21], v[26:27], -v[20:21]
	;; [unrolled: 1-line block ×3, first 2 shown]
	v_add_f64 v[16:17], v[16:17], v[24:25]
	v_add_f64 v[16:17], v[16:17], v[20:21]
	;; [unrolled: 1-line block ×3, first 2 shown]
	v_add_f64 v[22:23], v[20:21], -v[26:27]
	v_add_f64 v[16:17], v[16:17], -v[22:23]
	v_add_f64 v[22:23], v[20:21], 1.0
	v_add_f64 v[24:25], v[22:23], -1.0
	v_add_f64 v[20:21], v[20:21], -v[24:25]
	v_add_f64 v[16:17], v[16:17], v[20:21]
	v_add_f64 v[20:21], v[22:23], v[16:17]
	v_add_f64 v[22:23], v[20:21], -v[22:23]
	v_add_f64 v[16:17], v[16:17], -v[22:23]
	v_cvt_i32_f64_e32 v22, v[18:19]
	v_ldexp_f64 v[18:19], v[20:21], v22
	v_rcp_f64_e32 v[20:21], v[18:19]
	v_ldexp_f64 v[16:17], v[16:17], v22
	v_cmp_nge_f64_e64 vcc, |v[6:7]|, s[50:51]
	v_and_b32_e32 v36, 0x7fffffff, v7
	v_fma_f64 v[22:23], -v[18:19], v[20:21], 1.0
	v_fmac_f64_e32 v[20:21], v[22:23], v[20:21]
	v_fma_f64 v[22:23], -v[18:19], v[20:21], 1.0
	v_fmac_f64_e32 v[20:21], v[22:23], v[20:21]
	v_mul_f64 v[22:23], v[18:19], v[20:21]
	v_fma_f64 v[24:25], v[20:21], v[18:19], -v[22:23]
	v_fmac_f64_e32 v[24:25], v[20:21], v[16:17]
	v_add_f64 v[26:27], v[22:23], v[24:25]
	v_add_f64 v[28:29], -v[26:27], 1.0
	v_add_f64 v[22:23], v[26:27], -v[22:23]
	v_add_f64 v[30:31], -v[28:29], 1.0
	v_add_f64 v[26:27], v[30:31], -v[26:27]
	v_add_f64 v[22:23], v[22:23], -v[24:25]
	v_add_f64 v[22:23], v[22:23], v[26:27]
	v_add_f64 v[24:25], v[28:29], v[22:23]
	v_add_f64 v[26:27], v[28:29], -v[24:25]
	v_add_f64 v[22:23], v[22:23], v[26:27]
	v_mul_f64 v[26:27], v[20:21], v[24:25]
	v_mul_f64 v[28:29], v[18:19], v[26:27]
	v_fma_f64 v[30:31], v[26:27], v[18:19], -v[28:29]
	v_fmac_f64_e32 v[30:31], v[26:27], v[16:17]
	v_add_f64 v[32:33], v[28:29], v[30:31]
	v_add_f64 v[34:35], v[24:25], -v[32:33]
	v_add_f64 v[24:25], v[24:25], -v[34:35]
	;; [unrolled: 1-line block ×4, first 2 shown]
	v_add_f64 v[22:23], v[22:23], v[24:25]
	v_add_f64 v[24:25], v[28:29], -v[30:31]
	v_add_f64 v[22:23], v[24:25], v[22:23]
	v_add_f64 v[22:23], v[34:35], v[22:23]
	;; [unrolled: 1-line block ×3, first 2 shown]
	v_mul_f64 v[22:23], v[20:21], v[22:23]
	v_add_f64 v[20:21], v[24:25], -v[20:21]
	v_add_f64 v[20:21], v[26:27], -v[20:21]
	v_add_f64 v[20:21], v[20:21], v[22:23]
	v_add_f64 v[22:23], v[24:25], v[20:21]
	v_add_f64 v[24:25], v[22:23], -v[24:25]
	v_ldexp_f64 v[22:23], v[22:23], -2
	v_add_f64 v[20:21], v[20:21], -v[24:25]
	v_add_f64 v[24:25], v[18:19], -v[22:23]
	v_add_f64 v[18:19], v[18:19], -v[24:25]
	v_add_f64 v[18:19], v[18:19], -v[22:23]
	v_ldexp_f64 v[20:21], v[20:21], -2
	v_add_f64 v[16:17], v[16:17], v[18:19]
	v_add_f64 v[16:17], v[16:17], -v[20:21]
	v_add_f64 v[16:17], v[24:25], v[16:17]
	v_cndmask_b32_e32 v17, v1, v17, vcc
	v_cndmask_b32_e32 v16, 0, v16, vcc
	v_cmp_lt_f64_e64 vcc, |v[6:7]|, s[52:53]
	v_cndmask_b32_e32 v6, v16, v6, vcc
	v_cndmask_b32_e32 v16, v17, v36, vcc
	v_bfi_b32 v7, s61, v16, v7
	v_add_f64 v[16:17], |v[8:9]|, s[16:17]
	v_add_f64 v[18:19], v[16:17], -|v[8:9]|
	v_add_f64 v[20:21], v[18:19], -v[16:17]
	v_add_f64 v[20:21], |v[8:9]|, v[20:21]
	v_add_f64 v[18:19], v[18:19], s[18:19]
	v_add_f64 v[18:19], v[20:21], -v[18:19]
	v_add_f64 v[18:19], v[18:19], s[20:21]
	v_add_f64 v[20:21], v[16:17], v[18:19]
	v_add_f64 v[16:17], v[16:17], -v[20:21]
	v_add_f64 v[16:17], v[18:19], v[16:17]
	v_mul_f64 v[18:19], v[20:21], s[22:23]
	v_rndne_f64_e32 v[18:19], v[18:19]
	v_fmac_f64_e32 v[20:21], s[24:25], v[18:19]
	v_add_f64 v[22:23], v[16:17], v[20:21]
	v_add_f64 v[20:21], v[20:21], -v[22:23]
	v_add_f64 v[16:17], v[16:17], v[20:21]
	v_mul_f64 v[20:21], v[18:19], s[26:27]
	v_add_f64 v[24:25], v[22:23], -v[20:21]
	v_add_f64 v[22:23], v[22:23], -v[24:25]
	;; [unrolled: 1-line block ×3, first 2 shown]
	v_add_f64 v[16:17], v[16:17], v[20:21]
	v_add_f64 v[20:21], v[24:25], v[16:17]
	v_add_f64 v[22:23], v[24:25], -v[20:21]
	v_add_f64 v[16:17], v[16:17], v[22:23]
	v_mul_f64 v[22:23], v[18:19], s[28:29]
	v_add_f64 v[24:25], v[20:21], -v[22:23]
	v_add_f64 v[20:21], v[20:21], -v[24:25]
	;; [unrolled: 1-line block ×3, first 2 shown]
	v_add_f64 v[16:17], v[16:17], v[20:21]
	v_add_f64 v[20:21], v[24:25], v[16:17]
	v_add_f64 v[22:23], v[24:25], -v[20:21]
	v_add_f64 v[16:17], v[16:17], v[22:23]
	v_fma_f64 v[22:23], s[30:31], v[20:21], v[14:15]
	v_fma_f64 v[22:23], v[20:21], v[22:23], s[34:35]
	;; [unrolled: 1-line block ×5, first 2 shown]
	v_mul_f64 v[24:25], v[20:21], v[20:21]
	v_fma_f64 v[22:23], v[20:21], v[22:23], s[42:43]
	v_fma_f64 v[26:27], v[20:21], v[20:21], -v[24:25]
	v_add_f64 v[28:29], v[16:17], v[16:17]
	v_fma_f64 v[22:23], v[20:21], v[22:23], s[44:45]
	v_fmac_f64_e32 v[26:27], v[20:21], v[28:29]
	v_fma_f64 v[22:23], v[20:21], v[22:23], s[46:47]
	v_add_f64 v[28:29], v[24:25], v[26:27]
	v_fma_f64 v[22:23], v[20:21], v[22:23], s[48:49]
	v_add_f64 v[24:25], v[28:29], -v[24:25]
	v_add_f64 v[24:25], v[26:27], -v[24:25]
	v_mul_f64 v[26:27], v[28:29], v[22:23]
	v_fma_f64 v[28:29], v[28:29], v[22:23], -v[26:27]
	v_fmac_f64_e32 v[28:29], v[24:25], v[22:23]
	v_add_f64 v[22:23], v[26:27], v[28:29]
	v_add_f64 v[24:25], v[22:23], -v[26:27]
	v_add_f64 v[26:27], v[20:21], v[22:23]
	v_add_f64 v[24:25], v[28:29], -v[24:25]
	v_add_f64 v[20:21], v[26:27], -v[20:21]
	v_add_f64 v[20:21], v[22:23], -v[20:21]
	v_add_f64 v[16:17], v[16:17], v[24:25]
	v_add_f64 v[16:17], v[16:17], v[20:21]
	v_add_f64 v[20:21], v[26:27], v[16:17]
	v_add_f64 v[22:23], v[20:21], -v[26:27]
	v_add_f64 v[16:17], v[16:17], -v[22:23]
	v_add_f64 v[22:23], v[20:21], 1.0
	v_add_f64 v[24:25], v[22:23], -1.0
	v_add_f64 v[20:21], v[20:21], -v[24:25]
	v_add_f64 v[16:17], v[16:17], v[20:21]
	v_add_f64 v[20:21], v[22:23], v[16:17]
	v_add_f64 v[22:23], v[20:21], -v[22:23]
	v_add_f64 v[16:17], v[16:17], -v[22:23]
	v_cvt_i32_f64_e32 v22, v[18:19]
	v_ldexp_f64 v[18:19], v[20:21], v22
	v_rcp_f64_e32 v[20:21], v[18:19]
	v_ldexp_f64 v[16:17], v[16:17], v22
	v_cmp_nge_f64_e64 vcc, |v[8:9]|, s[50:51]
	v_and_b32_e32 v36, 0x7fffffff, v9
	v_fma_f64 v[22:23], -v[18:19], v[20:21], 1.0
	v_fmac_f64_e32 v[20:21], v[22:23], v[20:21]
	v_fma_f64 v[22:23], -v[18:19], v[20:21], 1.0
	v_fmac_f64_e32 v[20:21], v[22:23], v[20:21]
	v_mul_f64 v[22:23], v[18:19], v[20:21]
	v_fma_f64 v[24:25], v[20:21], v[18:19], -v[22:23]
	v_fmac_f64_e32 v[24:25], v[20:21], v[16:17]
	v_add_f64 v[26:27], v[22:23], v[24:25]
	v_add_f64 v[28:29], -v[26:27], 1.0
	v_add_f64 v[22:23], v[26:27], -v[22:23]
	v_add_f64 v[30:31], -v[28:29], 1.0
	v_add_f64 v[26:27], v[30:31], -v[26:27]
	v_add_f64 v[22:23], v[22:23], -v[24:25]
	v_add_f64 v[22:23], v[22:23], v[26:27]
	v_add_f64 v[24:25], v[28:29], v[22:23]
	v_add_f64 v[26:27], v[28:29], -v[24:25]
	v_add_f64 v[22:23], v[22:23], v[26:27]
	v_mul_f64 v[26:27], v[20:21], v[24:25]
	v_mul_f64 v[28:29], v[18:19], v[26:27]
	v_fma_f64 v[30:31], v[26:27], v[18:19], -v[28:29]
	v_fmac_f64_e32 v[30:31], v[26:27], v[16:17]
	v_add_f64 v[32:33], v[28:29], v[30:31]
	v_add_f64 v[34:35], v[24:25], -v[32:33]
	v_add_f64 v[24:25], v[24:25], -v[34:35]
	;; [unrolled: 1-line block ×4, first 2 shown]
	v_add_f64 v[22:23], v[22:23], v[24:25]
	v_add_f64 v[24:25], v[28:29], -v[30:31]
	v_add_f64 v[22:23], v[24:25], v[22:23]
	v_add_f64 v[22:23], v[34:35], v[22:23]
	;; [unrolled: 1-line block ×3, first 2 shown]
	v_mul_f64 v[22:23], v[20:21], v[22:23]
	v_add_f64 v[20:21], v[24:25], -v[20:21]
	v_add_f64 v[20:21], v[26:27], -v[20:21]
	v_add_f64 v[20:21], v[20:21], v[22:23]
	v_add_f64 v[22:23], v[24:25], v[20:21]
	v_add_f64 v[24:25], v[22:23], -v[24:25]
	v_ldexp_f64 v[22:23], v[22:23], -2
	v_add_f64 v[20:21], v[20:21], -v[24:25]
	v_add_f64 v[24:25], v[18:19], -v[22:23]
	;; [unrolled: 1-line block ×4, first 2 shown]
	v_ldexp_f64 v[20:21], v[20:21], -2
	v_add_f64 v[16:17], v[16:17], v[18:19]
	v_add_f64 v[16:17], v[16:17], -v[20:21]
	v_add_f64 v[16:17], v[24:25], v[16:17]
	v_cndmask_b32_e32 v17, v1, v17, vcc
	v_cndmask_b32_e32 v16, 0, v16, vcc
	v_cmp_lt_f64_e64 vcc, |v[8:9]|, s[52:53]
	v_cndmask_b32_e32 v8, v16, v8, vcc
	v_cndmask_b32_e32 v16, v17, v36, vcc
	v_bfi_b32 v9, s61, v16, v9
	v_add_f64 v[16:17], |v[2:3]|, s[16:17]
	v_add_f64 v[18:19], v[16:17], -|v[2:3]|
	v_add_f64 v[20:21], v[18:19], -v[16:17]
	v_add_f64 v[20:21], |v[2:3]|, v[20:21]
	v_add_f64 v[18:19], v[18:19], s[18:19]
	v_add_f64 v[18:19], v[20:21], -v[18:19]
	v_add_f64 v[18:19], v[18:19], s[20:21]
	v_add_f64 v[20:21], v[16:17], v[18:19]
	v_add_f64 v[16:17], v[16:17], -v[20:21]
	v_add_f64 v[16:17], v[18:19], v[16:17]
	v_mul_f64 v[18:19], v[20:21], s[22:23]
	v_rndne_f64_e32 v[18:19], v[18:19]
	v_fmac_f64_e32 v[20:21], s[24:25], v[18:19]
	v_add_f64 v[22:23], v[16:17], v[20:21]
	v_add_f64 v[20:21], v[20:21], -v[22:23]
	v_add_f64 v[16:17], v[16:17], v[20:21]
	v_mul_f64 v[20:21], v[18:19], s[26:27]
	v_add_f64 v[24:25], v[22:23], -v[20:21]
	v_add_f64 v[22:23], v[22:23], -v[24:25]
	;; [unrolled: 1-line block ×3, first 2 shown]
	v_add_f64 v[16:17], v[16:17], v[20:21]
	v_add_f64 v[20:21], v[24:25], v[16:17]
	v_add_f64 v[22:23], v[24:25], -v[20:21]
	v_add_f64 v[16:17], v[16:17], v[22:23]
	v_mul_f64 v[22:23], v[18:19], s[28:29]
	v_add_f64 v[24:25], v[20:21], -v[22:23]
	v_add_f64 v[20:21], v[20:21], -v[24:25]
	;; [unrolled: 1-line block ×3, first 2 shown]
	v_add_f64 v[16:17], v[16:17], v[20:21]
	v_add_f64 v[20:21], v[24:25], v[16:17]
	v_add_f64 v[22:23], v[24:25], -v[20:21]
	v_add_f64 v[16:17], v[16:17], v[22:23]
	v_fma_f64 v[22:23], s[30:31], v[20:21], v[14:15]
	v_fma_f64 v[22:23], v[20:21], v[22:23], s[34:35]
	;; [unrolled: 1-line block ×5, first 2 shown]
	v_mul_f64 v[24:25], v[20:21], v[20:21]
	v_fma_f64 v[22:23], v[20:21], v[22:23], s[42:43]
	v_fma_f64 v[26:27], v[20:21], v[20:21], -v[24:25]
	v_add_f64 v[28:29], v[16:17], v[16:17]
	v_fma_f64 v[22:23], v[20:21], v[22:23], s[44:45]
	v_fmac_f64_e32 v[26:27], v[20:21], v[28:29]
	v_fma_f64 v[22:23], v[20:21], v[22:23], s[46:47]
	v_add_f64 v[28:29], v[24:25], v[26:27]
	v_fma_f64 v[22:23], v[20:21], v[22:23], s[48:49]
	v_add_f64 v[24:25], v[28:29], -v[24:25]
	v_add_f64 v[24:25], v[26:27], -v[24:25]
	v_mul_f64 v[26:27], v[28:29], v[22:23]
	v_fma_f64 v[28:29], v[28:29], v[22:23], -v[26:27]
	v_fmac_f64_e32 v[28:29], v[24:25], v[22:23]
	v_add_f64 v[22:23], v[26:27], v[28:29]
	v_add_f64 v[24:25], v[22:23], -v[26:27]
	v_add_f64 v[26:27], v[20:21], v[22:23]
	v_add_f64 v[24:25], v[28:29], -v[24:25]
	v_add_f64 v[20:21], v[26:27], -v[20:21]
	;; [unrolled: 1-line block ×3, first 2 shown]
	v_add_f64 v[16:17], v[16:17], v[24:25]
	v_add_f64 v[16:17], v[16:17], v[20:21]
	;; [unrolled: 1-line block ×3, first 2 shown]
	v_add_f64 v[22:23], v[20:21], -v[26:27]
	v_add_f64 v[16:17], v[16:17], -v[22:23]
	v_add_f64 v[22:23], v[20:21], 1.0
	v_add_f64 v[24:25], v[22:23], -1.0
	v_add_f64 v[20:21], v[20:21], -v[24:25]
	v_add_f64 v[16:17], v[16:17], v[20:21]
	v_add_f64 v[20:21], v[22:23], v[16:17]
	v_add_f64 v[22:23], v[20:21], -v[22:23]
	v_add_f64 v[16:17], v[16:17], -v[22:23]
	v_cvt_i32_f64_e32 v22, v[18:19]
	v_ldexp_f64 v[18:19], v[20:21], v22
	v_rcp_f64_e32 v[20:21], v[18:19]
	v_ldexp_f64 v[16:17], v[16:17], v22
	v_cmp_nge_f64_e64 vcc, |v[2:3]|, s[50:51]
	v_and_b32_e32 v36, 0x7fffffff, v3
	v_fma_f64 v[22:23], -v[18:19], v[20:21], 1.0
	v_fmac_f64_e32 v[20:21], v[22:23], v[20:21]
	v_fma_f64 v[22:23], -v[18:19], v[20:21], 1.0
	v_fmac_f64_e32 v[20:21], v[22:23], v[20:21]
	v_mul_f64 v[22:23], v[18:19], v[20:21]
	v_fma_f64 v[24:25], v[20:21], v[18:19], -v[22:23]
	v_fmac_f64_e32 v[24:25], v[20:21], v[16:17]
	v_add_f64 v[26:27], v[22:23], v[24:25]
	v_add_f64 v[28:29], -v[26:27], 1.0
	v_add_f64 v[22:23], v[26:27], -v[22:23]
	v_add_f64 v[30:31], -v[28:29], 1.0
	v_add_f64 v[26:27], v[30:31], -v[26:27]
	v_add_f64 v[22:23], v[22:23], -v[24:25]
	v_add_f64 v[22:23], v[22:23], v[26:27]
	v_add_f64 v[24:25], v[28:29], v[22:23]
	v_add_f64 v[26:27], v[28:29], -v[24:25]
	v_add_f64 v[22:23], v[22:23], v[26:27]
	v_mul_f64 v[26:27], v[20:21], v[24:25]
	v_mul_f64 v[28:29], v[18:19], v[26:27]
	v_fma_f64 v[30:31], v[26:27], v[18:19], -v[28:29]
	v_fmac_f64_e32 v[30:31], v[26:27], v[16:17]
	v_add_f64 v[32:33], v[28:29], v[30:31]
	v_add_f64 v[34:35], v[24:25], -v[32:33]
	v_add_f64 v[24:25], v[24:25], -v[34:35]
	v_add_f64 v[28:29], v[32:33], -v[28:29]
	v_add_f64 v[24:25], v[24:25], -v[32:33]
	v_add_f64 v[22:23], v[22:23], v[24:25]
	v_add_f64 v[24:25], v[28:29], -v[30:31]
	v_add_f64 v[22:23], v[24:25], v[22:23]
	v_add_f64 v[22:23], v[34:35], v[22:23]
	;; [unrolled: 1-line block ×3, first 2 shown]
	v_mul_f64 v[22:23], v[20:21], v[22:23]
	v_add_f64 v[20:21], v[24:25], -v[20:21]
	v_add_f64 v[20:21], v[26:27], -v[20:21]
	v_add_f64 v[20:21], v[20:21], v[22:23]
	v_add_f64 v[22:23], v[24:25], v[20:21]
	v_add_f64 v[24:25], v[22:23], -v[24:25]
	v_ldexp_f64 v[22:23], v[22:23], -2
	v_add_f64 v[20:21], v[20:21], -v[24:25]
	v_add_f64 v[24:25], v[18:19], -v[22:23]
	;; [unrolled: 1-line block ×4, first 2 shown]
	v_ldexp_f64 v[20:21], v[20:21], -2
	v_add_f64 v[16:17], v[16:17], v[18:19]
	v_add_f64 v[16:17], v[16:17], -v[20:21]
	v_add_f64 v[16:17], v[24:25], v[16:17]
	v_cndmask_b32_e32 v17, v1, v17, vcc
	v_cndmask_b32_e32 v16, 0, v16, vcc
	v_cmp_lt_f64_e64 vcc, |v[2:3]|, s[52:53]
	v_cndmask_b32_e32 v2, v16, v2, vcc
	v_cndmask_b32_e32 v16, v17, v36, vcc
	v_bfi_b32 v3, s61, v16, v3
	v_add_f64 v[16:17], |v[4:5]|, s[16:17]
	v_add_f64 v[18:19], v[16:17], -|v[4:5]|
	v_add_f64 v[22:23], v[18:19], -v[16:17]
	v_add_f64 v[22:23], |v[4:5]|, v[22:23]
	v_add_f64 v[18:19], v[18:19], s[18:19]
	v_add_f64 v[18:19], v[22:23], -v[18:19]
	v_add_f64 v[18:19], v[18:19], s[20:21]
	v_add_f64 v[22:23], v[16:17], v[18:19]
	v_add_f64 v[16:17], v[16:17], -v[22:23]
	v_add_f64 v[16:17], v[18:19], v[16:17]
	v_mul_f64 v[18:19], v[22:23], s[22:23]
	v_rndne_f64_e32 v[24:25], v[18:19]
	v_fmac_f64_e32 v[22:23], s[24:25], v[24:25]
	v_add_f64 v[18:19], v[16:17], v[22:23]
	v_add_f64 v[22:23], v[22:23], -v[18:19]
	v_add_f64 v[16:17], v[16:17], v[22:23]
	v_mul_f64 v[22:23], v[24:25], s[26:27]
	v_add_f64 v[26:27], v[18:19], -v[22:23]
	v_add_f64 v[18:19], v[18:19], -v[26:27]
	;; [unrolled: 1-line block ×3, first 2 shown]
	v_add_f64 v[16:17], v[16:17], v[18:19]
	v_add_f64 v[18:19], v[26:27], v[16:17]
	v_add_f64 v[22:23], v[26:27], -v[18:19]
	v_add_f64 v[16:17], v[16:17], v[22:23]
	v_mul_f64 v[22:23], v[24:25], s[28:29]
	v_add_f64 v[26:27], v[18:19], -v[22:23]
	v_add_f64 v[18:19], v[18:19], -v[26:27]
	;; [unrolled: 1-line block ×3, first 2 shown]
	v_add_f64 v[16:17], v[16:17], v[18:19]
	v_add_f64 v[18:19], v[26:27], v[16:17]
	v_add_f64 v[22:23], v[26:27], -v[18:19]
	v_add_f64 v[16:17], v[16:17], v[22:23]
	v_fma_f64 v[22:23], s[30:31], v[18:19], v[14:15]
	v_fma_f64 v[22:23], v[18:19], v[22:23], s[34:35]
	;; [unrolled: 1-line block ×5, first 2 shown]
	v_mul_f64 v[26:27], v[18:19], v[18:19]
	v_fma_f64 v[22:23], v[18:19], v[22:23], s[42:43]
	v_fma_f64 v[28:29], v[18:19], v[18:19], -v[26:27]
	v_add_f64 v[30:31], v[16:17], v[16:17]
	v_fma_f64 v[22:23], v[18:19], v[22:23], s[44:45]
	v_fmac_f64_e32 v[28:29], v[18:19], v[30:31]
	v_fma_f64 v[22:23], v[18:19], v[22:23], s[46:47]
	v_add_f64 v[30:31], v[26:27], v[28:29]
	v_fma_f64 v[22:23], v[18:19], v[22:23], s[48:49]
	v_add_f64 v[26:27], v[30:31], -v[26:27]
	v_add_f64 v[26:27], v[28:29], -v[26:27]
	v_mul_f64 v[28:29], v[30:31], v[22:23]
	v_fma_f64 v[30:31], v[30:31], v[22:23], -v[28:29]
	v_fmac_f64_e32 v[30:31], v[26:27], v[22:23]
	v_add_f64 v[22:23], v[28:29], v[30:31]
	v_add_f64 v[26:27], v[22:23], -v[28:29]
	v_add_f64 v[28:29], v[18:19], v[22:23]
	v_add_f64 v[26:27], v[30:31], -v[26:27]
	v_add_f64 v[18:19], v[28:29], -v[18:19]
	;; [unrolled: 1-line block ×3, first 2 shown]
	v_add_f64 v[16:17], v[16:17], v[26:27]
	v_add_f64 v[16:17], v[16:17], v[18:19]
	;; [unrolled: 1-line block ×3, first 2 shown]
	v_add_f64 v[22:23], v[18:19], -v[28:29]
	v_add_f64 v[16:17], v[16:17], -v[22:23]
	v_add_f64 v[22:23], v[18:19], 1.0
	v_add_f64 v[26:27], v[22:23], -1.0
	v_add_f64 v[18:19], v[18:19], -v[26:27]
	v_add_f64 v[18:19], v[16:17], v[18:19]
	v_add_f64 v[16:17], v[22:23], v[18:19]
	v_cvt_i32_f64_e32 v21, v[24:25]
	v_add_f64 v[22:23], v[16:17], -v[22:23]
	v_ldexp_f64 v[16:17], v[16:17], v21
	v_add_f64 v[18:19], v[18:19], -v[22:23]
	v_rcp_f64_e32 v[22:23], v[16:17]
	v_ldexp_f64 v[18:19], v[18:19], v21
	v_cmp_nge_f64_e64 vcc, |v[4:5]|, s[50:51]
	v_and_b32_e32 v20, 0x7fffffff, v5
	v_fma_f64 v[24:25], -v[16:17], v[22:23], 1.0
	v_fmac_f64_e32 v[22:23], v[24:25], v[22:23]
	v_fma_f64 v[24:25], -v[16:17], v[22:23], 1.0
	v_fmac_f64_e32 v[22:23], v[24:25], v[22:23]
	v_mul_f64 v[24:25], v[16:17], v[22:23]
	v_fma_f64 v[26:27], v[22:23], v[16:17], -v[24:25]
	v_fmac_f64_e32 v[26:27], v[22:23], v[18:19]
	v_add_f64 v[28:29], v[24:25], v[26:27]
	v_add_f64 v[30:31], -v[28:29], 1.0
	v_add_f64 v[24:25], v[28:29], -v[24:25]
	v_add_f64 v[32:33], -v[30:31], 1.0
	v_add_f64 v[28:29], v[32:33], -v[28:29]
	v_add_f64 v[24:25], v[24:25], -v[26:27]
	v_add_f64 v[24:25], v[24:25], v[28:29]
	v_add_f64 v[26:27], v[30:31], v[24:25]
	v_add_f64 v[28:29], v[30:31], -v[26:27]
	v_add_f64 v[24:25], v[24:25], v[28:29]
	v_mul_f64 v[28:29], v[22:23], v[26:27]
	v_mul_f64 v[30:31], v[16:17], v[28:29]
	v_fma_f64 v[32:33], v[28:29], v[16:17], -v[30:31]
	v_fmac_f64_e32 v[32:33], v[28:29], v[18:19]
	v_add_f64 v[34:35], v[30:31], v[32:33]
	v_add_f64 v[36:37], v[26:27], -v[34:35]
	v_add_f64 v[26:27], v[26:27], -v[36:37]
	;; [unrolled: 1-line block ×4, first 2 shown]
	v_add_f64 v[24:25], v[24:25], v[26:27]
	v_add_f64 v[26:27], v[30:31], -v[32:33]
	v_add_f64 v[24:25], v[26:27], v[24:25]
	v_add_f64 v[24:25], v[36:37], v[24:25]
	v_add_f64 v[26:27], v[22:23], v[28:29]
	v_mul_f64 v[24:25], v[22:23], v[24:25]
	v_add_f64 v[22:23], v[26:27], -v[22:23]
	v_add_f64 v[22:23], v[28:29], -v[22:23]
	v_add_f64 v[22:23], v[22:23], v[24:25]
	v_add_f64 v[24:25], v[26:27], v[22:23]
	v_add_f64 v[26:27], v[24:25], -v[26:27]
	v_ldexp_f64 v[24:25], v[24:25], -2
	v_add_f64 v[22:23], v[22:23], -v[26:27]
	v_add_f64 v[26:27], v[16:17], -v[24:25]
	;; [unrolled: 1-line block ×4, first 2 shown]
	v_ldexp_f64 v[22:23], v[22:23], -2
	v_add_f64 v[16:17], v[18:19], v[16:17]
	v_add_f64 v[16:17], v[16:17], -v[22:23]
	v_add_f64 v[16:17], v[26:27], v[16:17]
	v_cndmask_b32_e32 v17, v1, v17, vcc
	v_cndmask_b32_e32 v16, 0, v16, vcc
	v_cmp_lt_f64_e64 vcc, |v[4:5]|, s[52:53]
	v_cndmask_b32_e32 v4, v16, v4, vcc
	v_cndmask_b32_e32 v16, v17, v20, vcc
	v_bfi_b32 v5, s61, v16, v5
	v_add_co_u32_e32 v16, vcc, s57, v12
	v_mov_b32_e32 v17, s58
	v_addc_co_u32_e32 v17, vcc, 0, v17, vcc
	v_cmp_le_i64_e32 vcc, s[10:11], v[10:11]
	s_or_b64 s[0:1], vcc, s[0:1]
	s_add_u32 s33, s33, s60
	s_addc_u32 s56, s56, 0
	s_add_u32 s57, s57, s60
	s_addc_u32 s58, s58, 0
	v_add_co_u32_e32 v10, vcc, s59, v10
	s_and_b64 s[0:1], exec, s[0:1]
	v_addc_co_u32_e32 v11, vcc, v11, v13, vcc
	s_or_b64 s[14:15], s[0:1], s[14:15]
	global_store_dwordx4 v[16:17], v[6:9], off
	global_store_dwordx4 v[16:17], v[2:5], off offset:16
	s_andn2_b64 exec, exec, s[14:15]
	s_cbranch_execnz .LBB118_3
.LBB118_4:
	s_or_b64 exec, exec, s[12:13]
	s_mov_b64 s[12:13], 0
.LBB118_5:
	s_andn2_b64 vcc, exec, s[12:13]
	s_cbranch_vccnz .LBB118_25
; %bb.6:
	v_cmp_lt_i64_e64 s[0:1], s[10:11], 1
	s_and_b64 vcc, exec, s[0:1]
	s_cbranch_vccnz .LBB118_25
; %bb.7:
	s_load_dword s0, s[4:5], 0xc5c
	v_mov_b32_e32 v2, 0x10000
	v_mov_b32_e32 v3, 0
	v_cmp_lt_u64_e32 vcc, s[10:11], v[2:3]
	v_lshlrev_b32_e32 v10, 3, v0
	s_waitcnt lgkmcnt(0)
	s_and_b32 s4, s0, 0xffff
	s_and_b64 s[0:1], vcc, exec
	v_mov_b32_e32 v13, s7
	v_add_co_u32_e32 v2, vcc, s6, v10
	v_addc_co_u32_e32 v1, vcc, 0, v13, vcc
	v_mov_b32_e32 v11, 0
	v_mov_b32_e32 v15, s3
	v_add_co_u32_e32 v4, vcc, s2, v10
	v_addc_co_u32_e32 v3, vcc, 0, v15, vcc
	v_mad_u64_u32 v[8:9], s[0:1], s4, 24, v[10:11]
	v_add_co_u32_e32 v6, vcc, s6, v8
	v_addc_co_u32_e32 v5, vcc, v13, v9, vcc
	v_add_co_u32_e32 v8, vcc, s2, v8
	s_mul_i32 s14, s4, 3
	v_addc_co_u32_e32 v7, vcc, v15, v9, vcc
	v_add_co_u32_e32 v17, vcc, s14, v0
	v_addc_co_u32_e64 v44, s[0:1], 0, 0, vcc
	s_cselect_b32 s13, s11, 0
	s_cselect_b32 s12, s10, 0x10000
	s_lshl_b32 s0, s4, 4
	v_add_co_u32_e32 v11, vcc, s0, v10
	v_addc_co_u32_e64 v14, s[0:1], 0, 0, vcc
	v_add_co_u32_e32 v10, vcc, s6, v11
	v_addc_co_u32_e32 v9, vcc, v13, v14, vcc
	v_add_co_u32_e32 v12, vcc, s2, v11
	s_lshl_b32 s5, s4, 1
	v_addc_co_u32_e32 v11, vcc, v15, v14, vcc
	v_add_co_u32_e32 v45, vcc, s5, v0
	v_addc_co_u32_e64 v46, s[0:1], 0, 0, vcc
	v_add_co_u32_e32 v47, vcc, s4, v0
	v_lshlrev_b32_e32 v16, 3, v47
	v_addc_co_u32_e64 v48, s[0:1], 0, 0, vcc
	v_add_co_u32_e32 v14, vcc, s6, v16
	v_addc_co_u32_e32 v13, vcc, 0, v13, vcc
	v_add_co_u32_e32 v16, vcc, s2, v16
	s_mov_b32 s16, 0
	s_mov_b32 s18, 0xfefa39ef
	;; [unrolled: 1-line block ×9, first 2 shown]
	s_lshl_b32 s40, s4, 2
	s_lshl_b32 s41, s4, 5
	v_addc_co_u32_e32 v15, vcc, 0, v15, vcc
	s_mov_b64 s[14:15], 0
	s_brev_b32 s42, -2
	s_mov_b32 s17, 0x3e400000
	s_mov_b32 s19, 0xbfe62e42
	s_mov_b32 s21, 0x3fe62e42
	s_mov_b32 s23, 0xbc7abc9e
	s_mov_b32 s25, 0x3ff71547
	s_mov_b32 s26, 0xfefa3000
	s_mov_b32 s29, 0xbd53de6a
	s_mov_b32 s31, 0xbac9cc01
	s_mov_b32 s35, 0x3e5ade15
	s_mov_b32 s37, 0x408633ce
	v_mov_b32_e32 v18, 0xfca7ab0c
	v_mov_b32_e32 v19, 0x3e928af3
	;; [unrolled: 1-line block ×19, first 2 shown]
	s_branch .LBB118_9
.LBB118_8:                              ;   in Loop: Header=BB118_9 Depth=1
	s_or_b64 exec, exec, s[0:1]
	s_add_u32 s14, s14, s40
	s_addc_u32 s15, s15, 0
	s_waitcnt vmcnt(0)
	v_pk_mov_b32 v[36:37], s[10:11], s[10:11] op_sel:[0,1]
	v_cmp_ge_i64_e32 vcc, s[14:15], v[36:37]
	v_mov_b32_e32 v36, 0xffff
	v_mov_b32_e32 v37, 0
	v_cmp_gt_u64_e64 s[0:1], s[14:15], v[36:37]
	s_or_b64 s[0:1], vcc, s[0:1]
	v_mov_b32_e32 v36, s33
	v_add_co_u32_e32 v2, vcc, s41, v2
	v_addc_co_u32_e32 v1, vcc, v1, v36, vcc
	v_add_co_u32_e32 v4, vcc, s41, v4
	v_addc_co_u32_e32 v3, vcc, v3, v36, vcc
	;; [unrolled: 2-line block ×8, first 2 shown]
	s_and_b64 vcc, exec, s[0:1]
	s_cbranch_vccnz .LBB118_25
.LBB118_9:                              ; =>This Inner Loop Header: Depth=1
	v_mov_b32_e32 v37, s15
	v_add_co_u32_e32 v36, vcc, s14, v0
	v_addc_co_u32_e32 v37, vcc, 0, v37, vcc
	v_pk_mov_b32 v[40:41], 0, 0
	v_cmp_gt_u64_e64 s[4:5], s[12:13], v[36:37]
	v_pk_mov_b32 v[42:43], v[40:41], v[40:41] op_sel:[0,1]
	s_and_saveexec_b64 s[0:1], s[4:5]
	s_cbranch_execz .LBB118_11
; %bb.10:                               ;   in Loop: Header=BB118_9 Depth=1
	v_mov_b32_e32 v37, s9
	v_add_co_u32_e32 v36, vcc, s8, v2
	v_addc_co_u32_e32 v37, vcc, v1, v37, vcc
	global_load_dwordx2 v[42:43], v[36:37], off
.LBB118_11:                             ;   in Loop: Header=BB118_9 Depth=1
	s_or_b64 exec, exec, s[0:1]
	v_mov_b32_e32 v37, s15
	v_add_co_u32_e32 v36, vcc, s14, v47
	v_addc_co_u32_e32 v37, vcc, v48, v37, vcc
	v_cmp_gt_u64_e64 s[2:3], s[12:13], v[36:37]
	s_and_saveexec_b64 s[0:1], s[2:3]
	s_cbranch_execz .LBB118_13
; %bb.12:                               ;   in Loop: Header=BB118_9 Depth=1
	v_mov_b32_e32 v37, s9
	v_add_co_u32_e32 v36, vcc, s8, v14
	v_addc_co_u32_e32 v37, vcc, v13, v37, vcc
	global_load_dwordx2 v[40:41], v[36:37], off
.LBB118_13:                             ;   in Loop: Header=BB118_9 Depth=1
	s_or_b64 exec, exec, s[0:1]
	v_mov_b32_e32 v37, s15
	v_add_co_u32_e32 v36, vcc, s14, v45
	v_addc_co_u32_e32 v37, vcc, v46, v37, vcc
	v_cmp_gt_u64_e64 s[0:1], s[12:13], v[36:37]
	v_pk_mov_b32 v[36:37], 0, 0
	v_pk_mov_b32 v[38:39], v[36:37], v[36:37] op_sel:[0,1]
	s_and_saveexec_b64 s[6:7], s[0:1]
	s_cbranch_execz .LBB118_15
; %bb.14:                               ;   in Loop: Header=BB118_9 Depth=1
	v_mov_b32_e32 v39, s9
	v_add_co_u32_e32 v38, vcc, s8, v10
	v_addc_co_u32_e32 v39, vcc, v9, v39, vcc
	global_load_dwordx2 v[38:39], v[38:39], off
.LBB118_15:                             ;   in Loop: Header=BB118_9 Depth=1
	s_or_b64 exec, exec, s[6:7]
	v_mov_b32_e32 v51, s15
	v_add_co_u32_e32 v50, vcc, s14, v17
	v_addc_co_u32_e32 v51, vcc, v44, v51, vcc
	v_cmp_gt_u64_e32 vcc, s[12:13], v[50:51]
	s_and_saveexec_b64 s[38:39], vcc
	s_cbranch_execnz .LBB118_20
; %bb.16:                               ;   in Loop: Header=BB118_9 Depth=1
	s_or_b64 exec, exec, s[38:39]
	s_and_saveexec_b64 s[6:7], s[4:5]
	s_cbranch_execnz .LBB118_21
.LBB118_17:                             ;   in Loop: Header=BB118_9 Depth=1
	s_or_b64 exec, exec, s[6:7]
	s_and_saveexec_b64 s[4:5], s[2:3]
	s_cbranch_execnz .LBB118_22
.LBB118_18:                             ;   in Loop: Header=BB118_9 Depth=1
	s_or_b64 exec, exec, s[4:5]
	s_and_saveexec_b64 s[2:3], s[0:1]
	s_cbranch_execnz .LBB118_23
.LBB118_19:                             ;   in Loop: Header=BB118_9 Depth=1
	s_or_b64 exec, exec, s[2:3]
	s_and_saveexec_b64 s[0:1], vcc
	s_cbranch_execz .LBB118_8
	s_branch .LBB118_24
.LBB118_20:                             ;   in Loop: Header=BB118_9 Depth=1
	v_mov_b32_e32 v37, s9
	v_add_co_u32_e64 v36, s[6:7], s8, v6
	v_addc_co_u32_e64 v37, s[6:7], v5, v37, s[6:7]
	global_load_dwordx2 v[36:37], v[36:37], off
	s_or_b64 exec, exec, s[38:39]
	s_and_saveexec_b64 s[6:7], s[4:5]
	s_cbranch_execz .LBB118_17
.LBB118_21:                             ;   in Loop: Header=BB118_9 Depth=1
	s_waitcnt vmcnt(0)
	v_add_f64 v[50:51], |v[42:43]|, s[18:19]
	v_add_f64 v[52:53], v[50:51], -|v[42:43]|
	v_add_f64 v[54:55], v[52:53], -v[50:51]
	s_mov_b32 s20, s18
	v_add_f64 v[54:55], |v[42:43]|, v[54:55]
	v_add_f64 v[52:53], v[52:53], s[20:21]
	v_add_f64 v[52:53], v[54:55], -v[52:53]
	v_add_f64 v[52:53], v[52:53], s[22:23]
	v_add_f64 v[54:55], v[50:51], v[52:53]
	v_add_f64 v[50:51], v[50:51], -v[54:55]
	v_add_f64 v[50:51], v[52:53], v[50:51]
	v_mul_f64 v[52:53], v[54:55], s[24:25]
	v_rndne_f64_e32 v[52:53], v[52:53]
	s_mov_b32 s27, s19
	v_fmac_f64_e32 v[54:55], s[26:27], v[52:53]
	v_add_f64 v[56:57], v[50:51], v[54:55]
	v_mul_f64 v[58:59], v[52:53], s[28:29]
	v_add_f64 v[60:61], v[56:57], v[58:59]
	v_add_f64 v[54:55], v[54:55], -v[56:57]
	v_add_f64 v[50:51], v[50:51], v[54:55]
	v_add_f64 v[54:55], v[56:57], -v[60:61]
	v_add_f64 v[54:55], v[54:55], v[58:59]
	v_add_f64 v[50:51], v[50:51], v[54:55]
	;; [unrolled: 1-line block ×3, first 2 shown]
	v_mul_f64 v[56:57], v[52:53], s[30:31]
	v_add_f64 v[58:59], v[54:55], v[56:57]
	v_add_f64 v[60:61], v[60:61], -v[54:55]
	v_add_f64 v[54:55], v[54:55], -v[58:59]
	v_add_f64 v[50:51], v[50:51], v[60:61]
	v_add_f64 v[54:55], v[54:55], v[56:57]
	;; [unrolled: 1-line block ×4, first 2 shown]
	v_pk_mov_b32 v[62:63], v[18:19], v[18:19] op_sel:[0,1]
	v_fmac_f64_e32 v[62:63], s[34:35], v[54:55]
	v_pk_mov_b32 v[64:65], v[20:21], v[20:21] op_sel:[0,1]
	v_fmac_f64_e32 v[64:65], v[54:55], v[62:63]
	;; [unrolled: 2-line block ×4, first 2 shown]
	v_pk_mov_b32 v[62:63], v[26:27], v[26:27] op_sel:[0,1]
	v_add_f64 v[58:59], v[58:59], -v[54:55]
	v_fmac_f64_e32 v[62:63], v[54:55], v[64:65]
	v_pk_mov_b32 v[64:65], v[28:29], v[28:29] op_sel:[0,1]
	v_mul_f64 v[56:57], v[54:55], v[54:55]
	v_add_f64 v[50:51], v[50:51], v[58:59]
	v_fmac_f64_e32 v[64:65], v[54:55], v[62:63]
	v_pk_mov_b32 v[62:63], v[30:31], v[30:31] op_sel:[0,1]
	v_add_f64 v[58:59], v[50:51], v[50:51]
	v_fma_f64 v[60:61], v[54:55], v[54:55], -v[56:57]
	v_fmac_f64_e32 v[62:63], v[54:55], v[64:65]
	v_pk_mov_b32 v[64:65], v[32:33], v[32:33] op_sel:[0,1]
	v_fmac_f64_e32 v[60:61], v[54:55], v[58:59]
	v_fmac_f64_e32 v[64:65], v[54:55], v[62:63]
	v_pk_mov_b32 v[62:63], v[34:35], v[34:35] op_sel:[0,1]
	v_add_f64 v[58:59], v[56:57], v[60:61]
	v_fmac_f64_e32 v[62:63], v[54:55], v[64:65]
	v_mul_f64 v[64:65], v[58:59], v[62:63]
	v_add_f64 v[56:57], v[58:59], -v[56:57]
	v_add_f64 v[56:57], v[60:61], -v[56:57]
	v_fma_f64 v[58:59], v[58:59], v[62:63], -v[64:65]
	v_fmac_f64_e32 v[58:59], v[56:57], v[62:63]
	v_add_f64 v[56:57], v[64:65], v[58:59]
	v_add_f64 v[60:61], v[54:55], v[56:57]
	v_add_f64 v[62:63], v[56:57], -v[64:65]
	v_add_f64 v[58:59], v[58:59], -v[62:63]
	;; [unrolled: 1-line block ×3, first 2 shown]
	v_add_f64 v[50:51], v[50:51], v[58:59]
	v_add_f64 v[54:55], v[56:57], -v[54:55]
	v_add_f64 v[50:51], v[50:51], v[54:55]
	v_add_f64 v[54:55], v[60:61], v[50:51]
	v_add_f64 v[56:57], v[54:55], 1.0
	v_add_f64 v[58:59], v[54:55], -v[60:61]
	v_add_f64 v[50:51], v[50:51], -v[58:59]
	v_add_f64 v[58:59], v[56:57], -1.0
	v_add_f64 v[54:55], v[54:55], -v[58:59]
	v_add_f64 v[50:51], v[50:51], v[54:55]
	v_add_f64 v[54:55], v[56:57], v[50:51]
	v_cvt_i32_f64_e32 v62, v[52:53]
	v_ldexp_f64 v[52:53], v[54:55], v62
	v_rcp_f64_e32 v[58:59], v[52:53]
	v_add_f64 v[54:55], v[54:55], -v[56:57]
	v_add_f64 v[50:51], v[50:51], -v[54:55]
	v_ldexp_f64 v[50:51], v[50:51], v62
	v_fma_f64 v[60:61], -v[52:53], v[58:59], 1.0
	v_fmac_f64_e32 v[58:59], v[60:61], v[58:59]
	v_fma_f64 v[60:61], -v[52:53], v[58:59], 1.0
	v_fmac_f64_e32 v[58:59], v[60:61], v[58:59]
	v_mul_f64 v[60:61], v[52:53], v[58:59]
	v_fma_f64 v[54:55], v[58:59], v[52:53], -v[60:61]
	v_fmac_f64_e32 v[54:55], v[58:59], v[50:51]
	v_add_f64 v[56:57], v[60:61], v[54:55]
	v_add_f64 v[62:63], -v[56:57], 1.0
	v_add_f64 v[60:61], v[56:57], -v[60:61]
	v_add_f64 v[54:55], v[60:61], -v[54:55]
	v_add_f64 v[60:61], -v[62:63], 1.0
	v_add_f64 v[56:57], v[60:61], -v[56:57]
	v_add_f64 v[54:55], v[54:55], v[56:57]
	v_add_f64 v[56:57], v[62:63], v[54:55]
	v_mul_f64 v[60:61], v[58:59], v[56:57]
	v_mul_f64 v[68:69], v[52:53], v[60:61]
	v_add_f64 v[64:65], v[58:59], v[60:61]
	v_fma_f64 v[70:71], v[60:61], v[52:53], -v[68:69]
	v_add_f64 v[66:67], v[64:65], -v[58:59]
	v_fmac_f64_e32 v[70:71], v[60:61], v[50:51]
	v_add_f64 v[66:67], v[60:61], -v[66:67]
	v_add_f64 v[60:61], v[68:69], v[70:71]
	v_add_f64 v[72:73], v[56:57], -v[60:61]
	v_add_f64 v[62:63], v[62:63], -v[56:57]
	;; [unrolled: 1-line block ×4, first 2 shown]
	v_add_f64 v[54:55], v[54:55], v[62:63]
	v_add_f64 v[56:57], v[56:57], -v[60:61]
	v_add_f64 v[68:69], v[68:69], -v[70:71]
	v_add_f64 v[54:55], v[54:55], v[56:57]
	v_add_f64 v[54:55], v[68:69], v[54:55]
	;; [unrolled: 1-line block ×3, first 2 shown]
	v_mul_f64 v[54:55], v[58:59], v[54:55]
	v_add_f64 v[54:55], v[66:67], v[54:55]
	v_add_f64 v[56:57], v[64:65], v[54:55]
	v_ldexp_f64 v[58:59], v[56:57], -2
	v_add_f64 v[60:61], v[52:53], -v[58:59]
	v_add_f64 v[52:53], v[52:53], -v[60:61]
	;; [unrolled: 1-line block ×3, first 2 shown]
	v_add_f64 v[50:51], v[50:51], v[52:53]
	v_add_f64 v[52:53], v[56:57], -v[64:65]
	v_add_f64 v[52:53], v[54:55], -v[52:53]
	v_ldexp_f64 v[52:53], v[52:53], -2
	v_add_f64 v[50:51], v[50:51], -v[52:53]
	v_add_f64 v[50:51], v[60:61], v[50:51]
	v_cmp_nge_f64_e64 s[4:5], |v[42:43]|, s[36:37]
	v_and_b32_e32 v74, 0x7fffffff, v43
	v_cndmask_b32_e64 v51, v49, v51, s[4:5]
	v_cndmask_b32_e64 v50, 0, v50, s[4:5]
	v_cmp_lt_f64_e64 s[4:5], |v[42:43]|, s[16:17]
	v_cndmask_b32_e64 v42, v50, v42, s[4:5]
	v_cndmask_b32_e64 v50, v51, v74, s[4:5]
	v_bfi_b32 v43, s42, v50, v43
	v_mov_b32_e32 v51, s9
	v_add_co_u32_e64 v50, s[4:5], s8, v4
	v_addc_co_u32_e64 v51, s[4:5], v3, v51, s[4:5]
	global_store_dwordx2 v[50:51], v[42:43], off
	s_or_b64 exec, exec, s[6:7]
	s_and_saveexec_b64 s[4:5], s[2:3]
	s_cbranch_execz .LBB118_18
.LBB118_22:                             ;   in Loop: Header=BB118_9 Depth=1
	s_waitcnt vmcnt(0)
	v_add_f64 v[42:43], |v[40:41]|, s[18:19]
	v_add_f64 v[50:51], v[42:43], -|v[40:41]|
	v_add_f64 v[52:53], v[50:51], -v[42:43]
	s_mov_b32 s20, s18
	v_add_f64 v[52:53], |v[40:41]|, v[52:53]
	v_add_f64 v[50:51], v[50:51], s[20:21]
	v_add_f64 v[50:51], v[52:53], -v[50:51]
	v_add_f64 v[50:51], v[50:51], s[22:23]
	v_add_f64 v[52:53], v[42:43], v[50:51]
	v_add_f64 v[42:43], v[42:43], -v[52:53]
	v_add_f64 v[42:43], v[50:51], v[42:43]
	v_mul_f64 v[50:51], v[52:53], s[24:25]
	v_rndne_f64_e32 v[50:51], v[50:51]
	s_mov_b32 s27, s19
	v_fmac_f64_e32 v[52:53], s[26:27], v[50:51]
	v_add_f64 v[54:55], v[42:43], v[52:53]
	v_add_f64 v[52:53], v[52:53], -v[54:55]
	v_add_f64 v[42:43], v[42:43], v[52:53]
	v_mul_f64 v[52:53], v[50:51], s[28:29]
	v_add_f64 v[56:57], v[54:55], v[52:53]
	v_add_f64 v[54:55], v[54:55], -v[56:57]
	v_add_f64 v[52:53], v[54:55], v[52:53]
	v_add_f64 v[42:43], v[42:43], v[52:53]
	;; [unrolled: 1-line block ×3, first 2 shown]
	v_add_f64 v[54:55], v[56:57], -v[52:53]
	v_add_f64 v[42:43], v[42:43], v[54:55]
	v_mul_f64 v[54:55], v[50:51], s[30:31]
	v_add_f64 v[56:57], v[52:53], v[54:55]
	v_add_f64 v[52:53], v[52:53], -v[56:57]
	v_add_f64 v[52:53], v[52:53], v[54:55]
	v_add_f64 v[42:43], v[42:43], v[52:53]
	;; [unrolled: 1-line block ×3, first 2 shown]
	v_add_f64 v[54:55], v[56:57], -v[52:53]
	v_add_f64 v[42:43], v[42:43], v[54:55]
	v_pk_mov_b32 v[54:55], v[18:19], v[18:19] op_sel:[0,1]
	v_fmac_f64_e32 v[54:55], s[34:35], v[52:53]
	v_pk_mov_b32 v[56:57], v[20:21], v[20:21] op_sel:[0,1]
	v_fmac_f64_e32 v[56:57], v[52:53], v[54:55]
	;; [unrolled: 2-line block ×9, first 2 shown]
	v_mul_f64 v[56:57], v[52:53], v[52:53]
	v_fma_f64 v[58:59], v[52:53], v[52:53], -v[56:57]
	v_add_f64 v[60:61], v[42:43], v[42:43]
	v_fmac_f64_e32 v[58:59], v[52:53], v[60:61]
	v_add_f64 v[60:61], v[56:57], v[58:59]
	v_add_f64 v[56:57], v[60:61], -v[56:57]
	v_add_f64 v[56:57], v[58:59], -v[56:57]
	v_mul_f64 v[58:59], v[60:61], v[54:55]
	v_fma_f64 v[60:61], v[60:61], v[54:55], -v[58:59]
	v_fmac_f64_e32 v[60:61], v[56:57], v[54:55]
	v_add_f64 v[54:55], v[58:59], v[60:61]
	v_add_f64 v[56:57], v[54:55], -v[58:59]
	v_add_f64 v[58:59], v[52:53], v[54:55]
	v_add_f64 v[56:57], v[60:61], -v[56:57]
	v_add_f64 v[52:53], v[58:59], -v[52:53]
	;; [unrolled: 1-line block ×3, first 2 shown]
	v_add_f64 v[42:43], v[42:43], v[56:57]
	v_add_f64 v[42:43], v[42:43], v[52:53]
	;; [unrolled: 1-line block ×3, first 2 shown]
	v_add_f64 v[54:55], v[52:53], -v[58:59]
	v_add_f64 v[42:43], v[42:43], -v[54:55]
	v_add_f64 v[54:55], v[52:53], 1.0
	v_add_f64 v[56:57], v[54:55], -1.0
	v_add_f64 v[52:53], v[52:53], -v[56:57]
	v_add_f64 v[42:43], v[42:43], v[52:53]
	v_add_f64 v[52:53], v[54:55], v[42:43]
	v_cvt_i32_f64_e32 v58, v[50:51]
	v_ldexp_f64 v[50:51], v[52:53], v58
	v_rcp_f64_e32 v[56:57], v[50:51]
	v_add_f64 v[52:53], v[52:53], -v[54:55]
	v_add_f64 v[42:43], v[42:43], -v[52:53]
	v_ldexp_f64 v[42:43], v[42:43], v58
	v_fma_f64 v[52:53], -v[50:51], v[56:57], 1.0
	v_fmac_f64_e32 v[56:57], v[52:53], v[56:57]
	v_fma_f64 v[52:53], -v[50:51], v[56:57], 1.0
	v_fmac_f64_e32 v[56:57], v[52:53], v[56:57]
	v_mul_f64 v[52:53], v[50:51], v[56:57]
	v_fma_f64 v[54:55], v[56:57], v[50:51], -v[52:53]
	v_fmac_f64_e32 v[54:55], v[56:57], v[42:43]
	v_add_f64 v[58:59], v[52:53], v[54:55]
	v_add_f64 v[60:61], -v[58:59], 1.0
	v_add_f64 v[52:53], v[58:59], -v[52:53]
	v_add_f64 v[62:63], -v[60:61], 1.0
	v_add_f64 v[58:59], v[62:63], -v[58:59]
	v_add_f64 v[52:53], v[52:53], -v[54:55]
	v_add_f64 v[52:53], v[52:53], v[58:59]
	v_add_f64 v[54:55], v[60:61], v[52:53]
	v_add_f64 v[58:59], v[60:61], -v[54:55]
	v_add_f64 v[52:53], v[52:53], v[58:59]
	v_mul_f64 v[58:59], v[56:57], v[54:55]
	v_mul_f64 v[60:61], v[50:51], v[58:59]
	v_fma_f64 v[62:63], v[58:59], v[50:51], -v[60:61]
	v_fmac_f64_e32 v[62:63], v[58:59], v[42:43]
	v_add_f64 v[64:65], v[60:61], v[62:63]
	v_add_f64 v[66:67], v[54:55], -v[64:65]
	v_add_f64 v[54:55], v[54:55], -v[66:67]
	;; [unrolled: 1-line block ×4, first 2 shown]
	v_add_f64 v[52:53], v[52:53], v[54:55]
	v_add_f64 v[54:55], v[60:61], -v[62:63]
	v_add_f64 v[52:53], v[54:55], v[52:53]
	v_add_f64 v[52:53], v[66:67], v[52:53]
	;; [unrolled: 1-line block ×3, first 2 shown]
	v_mul_f64 v[52:53], v[56:57], v[52:53]
	v_add_f64 v[56:57], v[54:55], -v[56:57]
	v_add_f64 v[56:57], v[58:59], -v[56:57]
	v_add_f64 v[52:53], v[56:57], v[52:53]
	v_add_f64 v[56:57], v[54:55], v[52:53]
	v_add_f64 v[54:55], v[56:57], -v[54:55]
	v_add_f64 v[52:53], v[52:53], -v[54:55]
	v_ldexp_f64 v[54:55], v[56:57], -2
	v_add_f64 v[56:57], v[50:51], -v[54:55]
	v_add_f64 v[50:51], v[50:51], -v[56:57]
	;; [unrolled: 1-line block ×3, first 2 shown]
	v_ldexp_f64 v[52:53], v[52:53], -2
	v_add_f64 v[42:43], v[42:43], v[50:51]
	v_add_f64 v[42:43], v[42:43], -v[52:53]
	v_add_f64 v[42:43], v[56:57], v[42:43]
	v_cmp_nge_f64_e64 s[2:3], |v[40:41]|, s[36:37]
	v_and_b32_e32 v68, 0x7fffffff, v41
	v_cndmask_b32_e64 v43, v49, v43, s[2:3]
	v_cndmask_b32_e64 v42, 0, v42, s[2:3]
	v_cmp_lt_f64_e64 s[2:3], |v[40:41]|, s[16:17]
	v_cndmask_b32_e64 v40, v42, v40, s[2:3]
	v_cndmask_b32_e64 v42, v43, v68, s[2:3]
	v_bfi_b32 v41, s42, v42, v41
	v_mov_b32_e32 v43, s9
	v_add_co_u32_e64 v42, s[2:3], s8, v16
	v_addc_co_u32_e64 v43, s[2:3], v15, v43, s[2:3]
	global_store_dwordx2 v[42:43], v[40:41], off
	s_or_b64 exec, exec, s[4:5]
	s_and_saveexec_b64 s[2:3], s[0:1]
	s_cbranch_execz .LBB118_19
.LBB118_23:                             ;   in Loop: Header=BB118_9 Depth=1
	s_waitcnt vmcnt(0)
	v_add_f64 v[40:41], |v[38:39]|, s[18:19]
	v_add_f64 v[42:43], v[40:41], -|v[38:39]|
	v_add_f64 v[50:51], v[42:43], -v[40:41]
	s_mov_b32 s20, s18
	v_add_f64 v[50:51], |v[38:39]|, v[50:51]
	v_add_f64 v[42:43], v[42:43], s[20:21]
	v_add_f64 v[42:43], v[50:51], -v[42:43]
	v_add_f64 v[42:43], v[42:43], s[22:23]
	v_add_f64 v[50:51], v[40:41], v[42:43]
	v_add_f64 v[40:41], v[40:41], -v[50:51]
	v_add_f64 v[40:41], v[42:43], v[40:41]
	v_mul_f64 v[42:43], v[50:51], s[24:25]
	v_rndne_f64_e32 v[42:43], v[42:43]
	s_mov_b32 s27, s19
	v_fmac_f64_e32 v[50:51], s[26:27], v[42:43]
	v_add_f64 v[52:53], v[40:41], v[50:51]
	v_add_f64 v[50:51], v[50:51], -v[52:53]
	v_add_f64 v[40:41], v[40:41], v[50:51]
	v_mul_f64 v[50:51], v[42:43], s[28:29]
	v_add_f64 v[54:55], v[52:53], v[50:51]
	v_add_f64 v[52:53], v[52:53], -v[54:55]
	v_add_f64 v[50:51], v[52:53], v[50:51]
	v_add_f64 v[40:41], v[40:41], v[50:51]
	;; [unrolled: 1-line block ×3, first 2 shown]
	v_add_f64 v[52:53], v[54:55], -v[50:51]
	v_add_f64 v[40:41], v[40:41], v[52:53]
	v_mul_f64 v[52:53], v[42:43], s[30:31]
	v_add_f64 v[54:55], v[50:51], v[52:53]
	v_add_f64 v[50:51], v[50:51], -v[54:55]
	v_add_f64 v[50:51], v[50:51], v[52:53]
	v_add_f64 v[40:41], v[40:41], v[50:51]
	;; [unrolled: 1-line block ×3, first 2 shown]
	v_add_f64 v[52:53], v[54:55], -v[50:51]
	v_add_f64 v[40:41], v[40:41], v[52:53]
	v_pk_mov_b32 v[52:53], v[18:19], v[18:19] op_sel:[0,1]
	v_fmac_f64_e32 v[52:53], s[34:35], v[50:51]
	v_pk_mov_b32 v[54:55], v[20:21], v[20:21] op_sel:[0,1]
	v_fmac_f64_e32 v[54:55], v[50:51], v[52:53]
	;; [unrolled: 2-line block ×9, first 2 shown]
	v_mul_f64 v[54:55], v[50:51], v[50:51]
	v_fma_f64 v[56:57], v[50:51], v[50:51], -v[54:55]
	v_add_f64 v[58:59], v[40:41], v[40:41]
	v_fmac_f64_e32 v[56:57], v[50:51], v[58:59]
	v_add_f64 v[58:59], v[54:55], v[56:57]
	v_add_f64 v[54:55], v[58:59], -v[54:55]
	v_add_f64 v[54:55], v[56:57], -v[54:55]
	v_mul_f64 v[56:57], v[58:59], v[52:53]
	v_fma_f64 v[58:59], v[58:59], v[52:53], -v[56:57]
	v_fmac_f64_e32 v[58:59], v[54:55], v[52:53]
	v_add_f64 v[52:53], v[56:57], v[58:59]
	v_add_f64 v[54:55], v[52:53], -v[56:57]
	v_add_f64 v[56:57], v[50:51], v[52:53]
	v_add_f64 v[54:55], v[58:59], -v[54:55]
	v_add_f64 v[50:51], v[56:57], -v[50:51]
	;; [unrolled: 1-line block ×3, first 2 shown]
	v_add_f64 v[40:41], v[40:41], v[54:55]
	v_add_f64 v[40:41], v[40:41], v[50:51]
	;; [unrolled: 1-line block ×3, first 2 shown]
	v_add_f64 v[52:53], v[50:51], -v[56:57]
	v_add_f64 v[40:41], v[40:41], -v[52:53]
	v_add_f64 v[52:53], v[50:51], 1.0
	v_add_f64 v[54:55], v[52:53], -1.0
	v_add_f64 v[50:51], v[50:51], -v[54:55]
	v_add_f64 v[40:41], v[40:41], v[50:51]
	v_add_f64 v[50:51], v[52:53], v[40:41]
	v_cvt_i32_f64_e32 v56, v[42:43]
	v_ldexp_f64 v[42:43], v[50:51], v56
	v_rcp_f64_e32 v[54:55], v[42:43]
	v_add_f64 v[50:51], v[50:51], -v[52:53]
	v_add_f64 v[40:41], v[40:41], -v[50:51]
	v_ldexp_f64 v[40:41], v[40:41], v56
	v_fma_f64 v[50:51], -v[42:43], v[54:55], 1.0
	v_fmac_f64_e32 v[54:55], v[50:51], v[54:55]
	v_fma_f64 v[50:51], -v[42:43], v[54:55], 1.0
	v_fmac_f64_e32 v[54:55], v[50:51], v[54:55]
	v_mul_f64 v[50:51], v[42:43], v[54:55]
	v_fma_f64 v[52:53], v[54:55], v[42:43], -v[50:51]
	v_fmac_f64_e32 v[52:53], v[54:55], v[40:41]
	v_add_f64 v[56:57], v[50:51], v[52:53]
	v_add_f64 v[58:59], -v[56:57], 1.0
	v_add_f64 v[50:51], v[56:57], -v[50:51]
	v_add_f64 v[60:61], -v[58:59], 1.0
	v_add_f64 v[56:57], v[60:61], -v[56:57]
	v_add_f64 v[50:51], v[50:51], -v[52:53]
	v_add_f64 v[50:51], v[50:51], v[56:57]
	v_add_f64 v[52:53], v[58:59], v[50:51]
	v_add_f64 v[56:57], v[58:59], -v[52:53]
	v_add_f64 v[50:51], v[50:51], v[56:57]
	v_mul_f64 v[56:57], v[54:55], v[52:53]
	v_mul_f64 v[58:59], v[42:43], v[56:57]
	v_fma_f64 v[60:61], v[56:57], v[42:43], -v[58:59]
	v_fmac_f64_e32 v[60:61], v[56:57], v[40:41]
	v_add_f64 v[62:63], v[58:59], v[60:61]
	v_add_f64 v[64:65], v[52:53], -v[62:63]
	v_add_f64 v[52:53], v[52:53], -v[64:65]
	v_add_f64 v[58:59], v[62:63], -v[58:59]
	v_add_f64 v[52:53], v[52:53], -v[62:63]
	v_add_f64 v[50:51], v[50:51], v[52:53]
	v_add_f64 v[52:53], v[58:59], -v[60:61]
	v_add_f64 v[50:51], v[52:53], v[50:51]
	v_add_f64 v[50:51], v[64:65], v[50:51]
	;; [unrolled: 1-line block ×3, first 2 shown]
	v_mul_f64 v[50:51], v[54:55], v[50:51]
	v_add_f64 v[54:55], v[52:53], -v[54:55]
	v_add_f64 v[54:55], v[56:57], -v[54:55]
	v_add_f64 v[50:51], v[54:55], v[50:51]
	v_add_f64 v[54:55], v[52:53], v[50:51]
	v_add_f64 v[52:53], v[54:55], -v[52:53]
	v_add_f64 v[50:51], v[50:51], -v[52:53]
	v_ldexp_f64 v[52:53], v[54:55], -2
	v_add_f64 v[54:55], v[42:43], -v[52:53]
	v_add_f64 v[42:43], v[42:43], -v[54:55]
	;; [unrolled: 1-line block ×3, first 2 shown]
	v_ldexp_f64 v[50:51], v[50:51], -2
	v_add_f64 v[40:41], v[40:41], v[42:43]
	v_add_f64 v[40:41], v[40:41], -v[50:51]
	v_add_f64 v[40:41], v[54:55], v[40:41]
	v_cmp_nge_f64_e64 s[0:1], |v[38:39]|, s[36:37]
	v_and_b32_e32 v66, 0x7fffffff, v39
	v_cndmask_b32_e64 v41, v49, v41, s[0:1]
	v_cndmask_b32_e64 v40, 0, v40, s[0:1]
	v_cmp_lt_f64_e64 s[0:1], |v[38:39]|, s[16:17]
	v_cndmask_b32_e64 v38, v40, v38, s[0:1]
	v_cndmask_b32_e64 v40, v41, v66, s[0:1]
	v_bfi_b32 v39, s42, v40, v39
	v_mov_b32_e32 v41, s9
	v_add_co_u32_e64 v40, s[0:1], s8, v12
	v_addc_co_u32_e64 v41, s[0:1], v11, v41, s[0:1]
	global_store_dwordx2 v[40:41], v[38:39], off
	s_or_b64 exec, exec, s[2:3]
	s_and_saveexec_b64 s[0:1], vcc
	s_cbranch_execz .LBB118_8
.LBB118_24:                             ;   in Loop: Header=BB118_9 Depth=1
	s_waitcnt vmcnt(0)
	v_add_f64 v[38:39], |v[36:37]|, s[18:19]
	v_add_f64 v[40:41], v[38:39], -|v[36:37]|
	v_add_f64 v[42:43], v[40:41], -v[38:39]
	s_mov_b32 s20, s18
	v_add_f64 v[42:43], |v[36:37]|, v[42:43]
	v_add_f64 v[40:41], v[40:41], s[20:21]
	v_add_f64 v[40:41], v[42:43], -v[40:41]
	v_add_f64 v[40:41], v[40:41], s[22:23]
	v_add_f64 v[42:43], v[38:39], v[40:41]
	v_add_f64 v[38:39], v[38:39], -v[42:43]
	v_add_f64 v[38:39], v[40:41], v[38:39]
	v_mul_f64 v[40:41], v[42:43], s[24:25]
	v_rndne_f64_e32 v[40:41], v[40:41]
	s_mov_b32 s27, s19
	v_fmac_f64_e32 v[42:43], s[26:27], v[40:41]
	v_add_f64 v[50:51], v[38:39], v[42:43]
	v_add_f64 v[42:43], v[42:43], -v[50:51]
	v_add_f64 v[38:39], v[38:39], v[42:43]
	v_mul_f64 v[42:43], v[40:41], s[28:29]
	v_add_f64 v[52:53], v[50:51], v[42:43]
	v_add_f64 v[50:51], v[50:51], -v[52:53]
	v_add_f64 v[42:43], v[50:51], v[42:43]
	v_add_f64 v[38:39], v[38:39], v[42:43]
	;; [unrolled: 1-line block ×3, first 2 shown]
	v_add_f64 v[50:51], v[52:53], -v[42:43]
	v_add_f64 v[38:39], v[38:39], v[50:51]
	v_mul_f64 v[50:51], v[40:41], s[30:31]
	v_add_f64 v[52:53], v[42:43], v[50:51]
	v_add_f64 v[42:43], v[42:43], -v[52:53]
	v_add_f64 v[42:43], v[42:43], v[50:51]
	v_add_f64 v[38:39], v[38:39], v[42:43]
	;; [unrolled: 1-line block ×3, first 2 shown]
	v_add_f64 v[50:51], v[52:53], -v[42:43]
	v_add_f64 v[38:39], v[38:39], v[50:51]
	v_pk_mov_b32 v[50:51], v[18:19], v[18:19] op_sel:[0,1]
	v_fmac_f64_e32 v[50:51], s[34:35], v[42:43]
	v_pk_mov_b32 v[52:53], v[20:21], v[20:21] op_sel:[0,1]
	v_fmac_f64_e32 v[52:53], v[42:43], v[50:51]
	;; [unrolled: 2-line block ×9, first 2 shown]
	v_mul_f64 v[52:53], v[42:43], v[42:43]
	v_fma_f64 v[54:55], v[42:43], v[42:43], -v[52:53]
	v_add_f64 v[56:57], v[38:39], v[38:39]
	v_fmac_f64_e32 v[54:55], v[42:43], v[56:57]
	v_add_f64 v[56:57], v[52:53], v[54:55]
	v_add_f64 v[52:53], v[56:57], -v[52:53]
	v_add_f64 v[52:53], v[54:55], -v[52:53]
	v_mul_f64 v[54:55], v[56:57], v[50:51]
	v_fma_f64 v[56:57], v[56:57], v[50:51], -v[54:55]
	v_fmac_f64_e32 v[56:57], v[52:53], v[50:51]
	v_add_f64 v[50:51], v[54:55], v[56:57]
	v_add_f64 v[52:53], v[50:51], -v[54:55]
	v_add_f64 v[54:55], v[42:43], v[50:51]
	v_add_f64 v[52:53], v[56:57], -v[52:53]
	v_add_f64 v[42:43], v[54:55], -v[42:43]
	;; [unrolled: 1-line block ×3, first 2 shown]
	v_add_f64 v[38:39], v[38:39], v[52:53]
	v_add_f64 v[38:39], v[38:39], v[42:43]
	;; [unrolled: 1-line block ×3, first 2 shown]
	v_add_f64 v[50:51], v[42:43], -v[54:55]
	v_add_f64 v[38:39], v[38:39], -v[50:51]
	v_add_f64 v[50:51], v[42:43], 1.0
	v_add_f64 v[52:53], v[50:51], -1.0
	v_add_f64 v[42:43], v[42:43], -v[52:53]
	v_add_f64 v[38:39], v[38:39], v[42:43]
	v_add_f64 v[42:43], v[50:51], v[38:39]
	v_cvt_i32_f64_e32 v54, v[40:41]
	v_ldexp_f64 v[40:41], v[42:43], v54
	v_rcp_f64_e32 v[52:53], v[40:41]
	v_add_f64 v[42:43], v[42:43], -v[50:51]
	v_add_f64 v[38:39], v[38:39], -v[42:43]
	v_ldexp_f64 v[38:39], v[38:39], v54
	v_fma_f64 v[42:43], -v[40:41], v[52:53], 1.0
	v_fmac_f64_e32 v[52:53], v[42:43], v[52:53]
	v_fma_f64 v[42:43], -v[40:41], v[52:53], 1.0
	v_fmac_f64_e32 v[52:53], v[42:43], v[52:53]
	v_mul_f64 v[42:43], v[40:41], v[52:53]
	v_fma_f64 v[50:51], v[52:53], v[40:41], -v[42:43]
	v_fmac_f64_e32 v[50:51], v[52:53], v[38:39]
	v_add_f64 v[54:55], v[42:43], v[50:51]
	v_add_f64 v[56:57], -v[54:55], 1.0
	v_add_f64 v[42:43], v[54:55], -v[42:43]
	v_add_f64 v[58:59], -v[56:57], 1.0
	v_add_f64 v[54:55], v[58:59], -v[54:55]
	v_add_f64 v[42:43], v[42:43], -v[50:51]
	v_add_f64 v[42:43], v[42:43], v[54:55]
	v_add_f64 v[50:51], v[56:57], v[42:43]
	v_add_f64 v[54:55], v[56:57], -v[50:51]
	v_add_f64 v[42:43], v[42:43], v[54:55]
	v_mul_f64 v[54:55], v[52:53], v[50:51]
	v_mul_f64 v[56:57], v[40:41], v[54:55]
	v_fma_f64 v[58:59], v[54:55], v[40:41], -v[56:57]
	v_fmac_f64_e32 v[58:59], v[54:55], v[38:39]
	v_add_f64 v[60:61], v[56:57], v[58:59]
	v_add_f64 v[62:63], v[50:51], -v[60:61]
	v_add_f64 v[50:51], v[50:51], -v[62:63]
	;; [unrolled: 1-line block ×4, first 2 shown]
	v_add_f64 v[42:43], v[42:43], v[50:51]
	v_add_f64 v[50:51], v[56:57], -v[58:59]
	v_add_f64 v[42:43], v[50:51], v[42:43]
	v_add_f64 v[42:43], v[62:63], v[42:43]
	;; [unrolled: 1-line block ×3, first 2 shown]
	v_mul_f64 v[42:43], v[52:53], v[42:43]
	v_add_f64 v[52:53], v[50:51], -v[52:53]
	v_add_f64 v[52:53], v[54:55], -v[52:53]
	v_add_f64 v[42:43], v[52:53], v[42:43]
	v_add_f64 v[52:53], v[50:51], v[42:43]
	v_add_f64 v[50:51], v[52:53], -v[50:51]
	v_add_f64 v[42:43], v[42:43], -v[50:51]
	v_ldexp_f64 v[50:51], v[52:53], -2
	v_add_f64 v[52:53], v[40:41], -v[50:51]
	v_add_f64 v[40:41], v[40:41], -v[52:53]
	v_add_f64 v[40:41], v[40:41], -v[50:51]
	v_ldexp_f64 v[42:43], v[42:43], -2
	v_add_f64 v[38:39], v[38:39], v[40:41]
	v_add_f64 v[38:39], v[38:39], -v[42:43]
	v_add_f64 v[38:39], v[52:53], v[38:39]
	v_cmp_nge_f64_e64 vcc, |v[36:37]|, s[36:37]
	v_and_b32_e32 v64, 0x7fffffff, v37
	v_cndmask_b32_e32 v39, v49, v39, vcc
	v_cndmask_b32_e32 v38, 0, v38, vcc
	v_cmp_lt_f64_e64 vcc, |v[36:37]|, s[16:17]
	v_cndmask_b32_e32 v36, v38, v36, vcc
	v_cndmask_b32_e32 v38, v39, v64, vcc
	v_bfi_b32 v37, s42, v38, v37
	v_mov_b32_e32 v39, s9
	v_add_co_u32_e32 v38, vcc, s8, v8
	v_addc_co_u32_e32 v39, vcc, v7, v39, vcc
	global_store_dwordx2 v[38:39], v[36:37], off
	s_branch .LBB118_8
.LBB118_25:
	s_endpgm
	.section	.rodata,"a",@progbits
	.p2align	6, 0x0
	.amdhsa_kernel _ZN2at6native12_GLOBAL__N_125multi_tensor_apply_kernelINS1_18TensorListMetadataILi2EEENS1_14UnaryOpFunctorIdLi2ELi1ELi1EEEJNS0_4SinhIdEEEEEvT_T0_DpT1_
		.amdhsa_group_segment_fixed_size 0
		.amdhsa_private_segment_fixed_size 0
		.amdhsa_kernarg_size 3408
		.amdhsa_user_sgpr_count 6
		.amdhsa_user_sgpr_private_segment_buffer 1
		.amdhsa_user_sgpr_dispatch_ptr 0
		.amdhsa_user_sgpr_queue_ptr 0
		.amdhsa_user_sgpr_kernarg_segment_ptr 1
		.amdhsa_user_sgpr_dispatch_id 0
		.amdhsa_user_sgpr_flat_scratch_init 0
		.amdhsa_user_sgpr_kernarg_preload_length 0
		.amdhsa_user_sgpr_kernarg_preload_offset 0
		.amdhsa_user_sgpr_private_segment_size 0
		.amdhsa_uses_dynamic_stack 0
		.amdhsa_system_sgpr_private_segment_wavefront_offset 0
		.amdhsa_system_sgpr_workgroup_id_x 1
		.amdhsa_system_sgpr_workgroup_id_y 0
		.amdhsa_system_sgpr_workgroup_id_z 0
		.amdhsa_system_sgpr_workgroup_info 0
		.amdhsa_system_vgpr_workitem_id 0
		.amdhsa_next_free_vgpr 75
		.amdhsa_next_free_sgpr 62
		.amdhsa_accum_offset 76
		.amdhsa_reserve_vcc 1
		.amdhsa_reserve_flat_scratch 0
		.amdhsa_float_round_mode_32 0
		.amdhsa_float_round_mode_16_64 0
		.amdhsa_float_denorm_mode_32 3
		.amdhsa_float_denorm_mode_16_64 3
		.amdhsa_dx10_clamp 1
		.amdhsa_ieee_mode 1
		.amdhsa_fp16_overflow 0
		.amdhsa_tg_split 0
		.amdhsa_exception_fp_ieee_invalid_op 0
		.amdhsa_exception_fp_denorm_src 0
		.amdhsa_exception_fp_ieee_div_zero 0
		.amdhsa_exception_fp_ieee_overflow 0
		.amdhsa_exception_fp_ieee_underflow 0
		.amdhsa_exception_fp_ieee_inexact 0
		.amdhsa_exception_int_div_zero 0
	.end_amdhsa_kernel
	.section	.text._ZN2at6native12_GLOBAL__N_125multi_tensor_apply_kernelINS1_18TensorListMetadataILi2EEENS1_14UnaryOpFunctorIdLi2ELi1ELi1EEEJNS0_4SinhIdEEEEEvT_T0_DpT1_,"axG",@progbits,_ZN2at6native12_GLOBAL__N_125multi_tensor_apply_kernelINS1_18TensorListMetadataILi2EEENS1_14UnaryOpFunctorIdLi2ELi1ELi1EEEJNS0_4SinhIdEEEEEvT_T0_DpT1_,comdat
.Lfunc_end118:
	.size	_ZN2at6native12_GLOBAL__N_125multi_tensor_apply_kernelINS1_18TensorListMetadataILi2EEENS1_14UnaryOpFunctorIdLi2ELi1ELi1EEEJNS0_4SinhIdEEEEEvT_T0_DpT1_, .Lfunc_end118-_ZN2at6native12_GLOBAL__N_125multi_tensor_apply_kernelINS1_18TensorListMetadataILi2EEENS1_14UnaryOpFunctorIdLi2ELi1ELi1EEEJNS0_4SinhIdEEEEEvT_T0_DpT1_
                                        ; -- End function
	.section	.AMDGPU.csdata,"",@progbits
; Kernel info:
; codeLenInByte = 9720
; NumSgprs: 66
; NumVgprs: 75
; NumAgprs: 0
; TotalNumVgprs: 75
; ScratchSize: 0
; MemoryBound: 0
; FloatMode: 240
; IeeeMode: 1
; LDSByteSize: 0 bytes/workgroup (compile time only)
; SGPRBlocks: 8
; VGPRBlocks: 9
; NumSGPRsForWavesPerEU: 66
; NumVGPRsForWavesPerEU: 75
; AccumOffset: 76
; Occupancy: 6
; WaveLimiterHint : 0
; COMPUTE_PGM_RSRC2:SCRATCH_EN: 0
; COMPUTE_PGM_RSRC2:USER_SGPR: 6
; COMPUTE_PGM_RSRC2:TRAP_HANDLER: 0
; COMPUTE_PGM_RSRC2:TGID_X_EN: 1
; COMPUTE_PGM_RSRC2:TGID_Y_EN: 0
; COMPUTE_PGM_RSRC2:TGID_Z_EN: 0
; COMPUTE_PGM_RSRC2:TIDIG_COMP_CNT: 0
; COMPUTE_PGM_RSRC3_GFX90A:ACCUM_OFFSET: 18
; COMPUTE_PGM_RSRC3_GFX90A:TG_SPLIT: 0
	.section	.text._ZN2at6native12_GLOBAL__N_125multi_tensor_apply_kernelINS1_18TensorListMetadataILi2EEENS1_14UnaryOpFunctorIfLi2ELi1ELi1EEEJNS0_4SinhIfEEEEEvT_T0_DpT1_,"axG",@progbits,_ZN2at6native12_GLOBAL__N_125multi_tensor_apply_kernelINS1_18TensorListMetadataILi2EEENS1_14UnaryOpFunctorIfLi2ELi1ELi1EEEJNS0_4SinhIfEEEEEvT_T0_DpT1_,comdat
	.globl	_ZN2at6native12_GLOBAL__N_125multi_tensor_apply_kernelINS1_18TensorListMetadataILi2EEENS1_14UnaryOpFunctorIfLi2ELi1ELi1EEEJNS0_4SinhIfEEEEEvT_T0_DpT1_ ; -- Begin function _ZN2at6native12_GLOBAL__N_125multi_tensor_apply_kernelINS1_18TensorListMetadataILi2EEENS1_14UnaryOpFunctorIfLi2ELi1ELi1EEEJNS0_4SinhIfEEEEEvT_T0_DpT1_
	.p2align	8
	.type	_ZN2at6native12_GLOBAL__N_125multi_tensor_apply_kernelINS1_18TensorListMetadataILi2EEENS1_14UnaryOpFunctorIfLi2ELi1ELi1EEEJNS0_4SinhIfEEEEEvT_T0_DpT1_,@function
_ZN2at6native12_GLOBAL__N_125multi_tensor_apply_kernelINS1_18TensorListMetadataILi2EEENS1_14UnaryOpFunctorIfLi2ELi1ELi1EEEJNS0_4SinhIfEEEEEvT_T0_DpT1_: ; @_ZN2at6native12_GLOBAL__N_125multi_tensor_apply_kernelINS1_18TensorListMetadataILi2EEENS1_14UnaryOpFunctorIfLi2ELi1ELi1EEEJNS0_4SinhIfEEEEEvT_T0_DpT1_
; %bb.0:
	v_mov_b32_e32 v1, s6
	global_load_ubyte v1, v1, s[4:5] offset:1536
	s_add_u32 s0, s4, s6
	s_mul_hi_u32 s2, s6, 3
	s_mul_i32 s6, s6, 3
	s_addc_u32 s7, s5, 0
	s_add_u32 s8, s0, s6
	s_addc_u32 s9, s7, s2
	s_mov_b32 s1, 0
	s_mov_b32 s17, s1
	;; [unrolled: 1-line block ×3, first 2 shown]
	s_waitcnt vmcnt(0)
	v_readfirstlane_b32 s0, v1
	s_lshl_b32 s0, s0, 3
	s_load_dword s10, s[8:9], 0x740
	s_load_dwordx2 s[12:13], s[4:5], s0 offset:0x0
	s_load_dwordx2 s[14:15], s[4:5], s0 offset:0x400
	;; [unrolled: 1-line block ×3, first 2 shown]
	s_waitcnt lgkmcnt(0)
	s_ashr_i32 s11, s10, 31
	s_and_b32 s0, s12, 15
	s_and_b32 s16, s14, 3
	;; [unrolled: 1-line block ×3, first 2 shown]
	s_or_b64 s[16:17], s[0:1], s[16:17]
	s_lshl_b64 s[8:9], s[10:11], 18
	s_or_b64 s[2:3], s[2:3], s[16:17]
	s_lshl_b64 s[10:11], s[10:11], 16
	s_sub_u32 s10, s14, s10
	s_subb_u32 s11, s15, s11
	s_cmp_eq_u64 s[2:3], 0
	s_mov_b64 s[2:3], -1
	s_cbranch_scc0 .LBB119_5
; %bb.1:
	v_mov_b32_e32 v7, 0
	v_lshlrev_b32_e32 v6, 2, v0
	v_cmp_gt_i64_e32 vcc, s[10:11], v[6:7]
	s_and_saveexec_b64 s[14:15], vcc
	s_cbranch_execz .LBB119_4
; %bb.2:
	s_load_dword s0, s[4:5], 0xc5c
	v_lshlrev_b32_e32 v1, 4, v0
	v_mov_b32_e32 v2, s9
	v_add_co_u32_e32 v1, vcc, s8, v1
	v_addc_co_u32_e32 v2, vcc, 0, v2, vcc
	s_waitcnt lgkmcnt(0)
	s_and_b32 s0, s0, 0xffff
	v_add_co_u32_e32 v8, vcc, 8, v1
	v_add_lshl_u32 v6, v0, s0, 2
	s_lshl_b32 s18, s0, 2
	v_addc_co_u32_e32 v1, vcc, 0, v2, vcc
	s_lshl_b32 s22, s0, 4
	s_mov_b64 s[16:17], 0
	v_mov_b32_e32 v9, s13
	v_mov_b32_e32 v18, s7
	s_brev_b32 s23, -2
	s_mov_b32 s24, 0xbf317218
	v_mov_b32_e32 v19, 0x3d2aadcc
	v_mov_b32_e32 v20, 0x3e2aaa47
	v_mov_b32_e32 v21, 0x3efffffc
	s_mov_b32 s19, -1.0
	s_mov_b32 s25, 0x42b2d4fc
	v_mov_b32_e32 v22, 0x7f800000
	s_mov_b32 s26, 0x39800000
	s_mov_b64 s[20:21], 0xffff
	v_mov_b32_e32 v23, s1
	v_mov_b32_e32 v24, s1
	;; [unrolled: 1-line block ×3, first 2 shown]
	v_mov_b32_e32 v13, -1.0
	v_mov_b32_e32 v15, 1.0
.LBB119_3:                              ; =>This Inner Loop Header: Depth=1
	v_add_co_u32_e32 v2, vcc, s12, v8
	v_addc_co_u32_e32 v3, vcc, v9, v1, vcc
	global_load_dwordx4 v[2:5], v[2:3], off offset:-8
	v_mov_b32_e32 v12, 0x3c091de6
	v_mov_b32_e32 v14, 0x3c091de6
	;; [unrolled: 1-line block ×4, first 2 shown]
	v_add_co_u32_e32 v16, vcc, s6, v8
	v_addc_co_u32_e32 v17, vcc, v18, v1, vcc
	v_cmp_le_i64_e32 vcc, s[10:11], v[6:7]
	v_cmp_lt_u64_e64 s[0:1], s[20:21], v[6:7]
	s_or_b64 s[0:1], vcc, s[0:1]
	s_and_b64 s[0:1], exec, s[0:1]
	s_or_b64 s[16:17], s[0:1], s[16:17]
	v_add_co_u32_e64 v6, s[2:3], s18, v6
	v_addc_co_u32_e64 v7, s[2:3], v7, v23, s[2:3]
	v_add_co_u32_e64 v8, s[2:3], s22, v8
	v_addc_co_u32_e64 v1, s[2:3], v1, v24, s[2:3]
	s_waitcnt vmcnt(0)
	v_add_f32_e64 v34, |v2|, s24
	v_sub_f32_e64 v27, v34, |v2|
	v_and_b32_e32 v10, 0x7fffffff, v2
	v_add_f32_e64 v35, |v3|, s24
	v_sub_f32_e32 v26, v27, v34
	v_add_f32_e64 v36, |v4|, s24
	v_sub_f32_e64 v29, v35, |v3|
	v_pk_add_f32 v[26:27], v[10:11], v[26:27]
	v_add_f32_e64 v37, |v5|, s24
	v_sub_f32_e64 v31, v36, |v4|
	v_sub_f32_e32 v28, v29, v35
	v_and_b32_e32 v10, 0x7fffffff, v3
	v_sub_f32_e32 v38, v26, v27
	v_sub_f32_e64 v33, v37, |v5|
	v_sub_f32_e32 v30, v31, v36
	v_pk_add_f32 v[26:27], v[10:11], v[28:29]
	v_and_b32_e32 v10, 0x7fffffff, v4
	v_add_f32_e32 v28, 0x3102e308, v38
	v_sub_f32_e32 v32, v33, v37
	v_sub_f32_e32 v29, v26, v27
	v_pk_add_f32 v[26:27], v[10:11], v[30:31]
	v_and_b32_e32 v10, 0x7fffffff, v5
	v_add_f32_e32 v30, v34, v28
	v_add_f32_e32 v29, 0x3102e308, v29
	v_sub_f32_e32 v31, v26, v27
	v_pk_add_f32 v[26:27], v[10:11], v[32:33]
	v_sub_f32_e32 v10, v34, v30
	v_mul_f32_e32 v32, 0x3fb8aa3b, v30
	v_add_f32_e32 v34, v35, v29
	v_add_f32_e32 v31, 0x3102e308, v31
	v_sub_f32_e32 v26, v26, v27
	v_add_f32_e32 v10, v28, v10
	v_rndne_f32_e32 v28, v32
	v_sub_f32_e32 v32, v35, v34
	v_mul_f32_e32 v33, 0x3fb8aa3b, v34
	v_add_f32_e32 v35, v36, v31
	v_add_f32_e32 v26, 0x3102e308, v26
	v_fmac_f32_e32 v30, 0xbf317200, v28
	v_mul_f32_e32 v38, 0x35bfbc00, v28
	v_mul_f32_e32 v27, 0x2ea39ef3, v28
	v_cvt_i32_f32_e32 v45, v28
	v_add_f32_e32 v28, v29, v32
	v_rndne_f32_e32 v32, v33
	v_sub_f32_e32 v33, v36, v35
	v_mul_f32_e32 v36, 0x3fb8aa3b, v35
	v_add_f32_e32 v39, v37, v26
	v_add_f32_e32 v40, v10, v30
	v_fmac_f32_e32 v34, 0xbf317200, v32
	v_mul_f32_e32 v41, 0x35bfbc00, v32
	v_mul_f32_e32 v29, 0x2ea39ef3, v32
	v_cvt_i32_f32_e32 v46, v32
	v_rndne_f32_e32 v32, v36
	v_sub_f32_e32 v36, v37, v39
	v_mul_f32_e32 v37, 0x3fb8aa3b, v39
	v_sub_f32_e32 v42, v30, v40
	v_sub_f32_e32 v30, v40, v38
	v_add_f32_e32 v31, v31, v33
	v_add_f32_e32 v43, v28, v34
	v_fmac_f32_e32 v35, 0xbf317200, v32
	v_mul_f32_e32 v47, 0x35bfbc00, v32
	v_mul_f32_e32 v33, 0x2ea39ef3, v32
	v_cvt_i32_f32_e32 v48, v32
	v_add_f32_e32 v26, v26, v36
	v_rndne_f32_e32 v32, v37
	v_sub_f32_e32 v36, v40, v30
	v_add_f32_e32 v10, v10, v42
	v_sub_f32_e32 v40, v34, v43
	v_sub_f32_e32 v34, v43, v41
	v_add_f32_e32 v42, v31, v35
	v_fmac_f32_e32 v39, 0xbf317200, v32
	v_mul_f32_e32 v49, 0x35bfbc00, v32
	v_mul_f32_e32 v37, 0x2ea39ef3, v32
	v_cvt_i32_f32_e32 v50, v32
	v_sub_f32_e32 v32, v36, v38
	v_sub_f32_e32 v36, v43, v34
	;; [unrolled: 1-line block ×4, first 2 shown]
	v_add_f32_e32 v10, v10, v32
	v_add_f32_e32 v32, v26, v39
	;; [unrolled: 1-line block ×3, first 2 shown]
	v_sub_f32_e32 v36, v36, v41
	v_add_f32_e32 v41, v31, v35
	v_sub_f32_e32 v35, v42, v38
	v_sub_f32_e32 v39, v39, v32
	;; [unrolled: 1-line block ×3, first 2 shown]
	v_add_f32_e32 v31, v30, v10
	v_add_f32_e32 v36, v28, v36
	v_sub_f32_e32 v28, v35, v47
	v_add_f32_e32 v47, v26, v39
	v_sub_f32_e32 v32, v32, v40
	v_mov_b32_e32 v26, v31
	v_add_f32_e32 v35, v34, v36
	v_add_f32_e32 v51, v41, v28
	v_sub_f32_e32 v32, v32, v49
	v_pk_add_f32 v[42:43], v[30:31], v[26:27] neg_lo:[0,1] neg_hi:[0,1]
	v_mov_b32_e32 v28, v35
	v_add_f32_e32 v39, v38, v51
	v_add_f32_e32 v47, v47, v32
	v_sub_f32_e32 v26, v31, v43
	v_add_f32_e32 v10, v10, v42
	v_pk_add_f32 v[30:31], v[34:35], v[28:29] neg_lo:[0,1] neg_hi:[0,1]
	v_mov_b32_e32 v32, v39
	v_add_f32_e32 v41, v40, v47
	v_sub_f32_e32 v28, v26, v27
	v_sub_f32_e32 v34, v35, v31
	v_add_f32_e32 v30, v36, v30
	v_pk_add_f32 v[26:27], v[38:39], v[32:33] neg_lo:[0,1] neg_hi:[0,1]
	v_mov_b32_e32 v36, v41
	v_add_f32_e32 v10, v10, v28
	v_sub_f32_e32 v32, v34, v29
	v_sub_f32_e32 v34, v39, v27
	v_pk_add_f32 v[28:29], v[40:41], v[36:37] neg_lo:[0,1] neg_hi:[0,1]
	v_add_f32_e32 v35, v43, v10
	v_add_f32_e32 v26, v51, v26
	;; [unrolled: 1-line block ×3, first 2 shown]
	v_sub_f32_e32 v32, v34, v33
	v_sub_f32_e32 v33, v41, v29
	;; [unrolled: 1-line block ×3, first 2 shown]
	v_add_f32_e32 v28, v47, v28
	v_fmac_f32_e32 v12, 0x3ab42872, v35
	v_mul_f32_e32 v36, v35, v35
	v_add_f32_e32 v38, v31, v30
	v_add_f32_e32 v26, v26, v32
	v_sub_f32_e32 v32, v33, v37
	v_add_f32_e32 v10, v10, v34
	v_fma_f32 v12, v35, v12, v19
	v_fma_f32 v33, v35, v35, -v36
	v_sub_f32_e32 v31, v31, v38
	v_add_f32_e32 v37, v27, v26
	v_add_f32_e32 v28, v28, v32
	;; [unrolled: 1-line block ×3, first 2 shown]
	v_fmac_f32_e32 v14, 0x3ab42872, v38
	v_mul_f32_e32 v34, v38, v38
	v_fma_f32 v12, v35, v12, v20
	v_add_f32_e32 v30, v30, v31
	v_sub_f32_e32 v27, v27, v37
	v_add_f32_e32 v40, v29, v28
	v_fmac_f32_e32 v33, v35, v32
	v_fma_f32 v14, v38, v14, v19
	v_fma_f32 v31, v38, v38, -v34
	v_fmac_f32_e32 v25, 0x3ab42872, v37
	v_mul_f32_e32 v39, v37, v37
	v_fma_f32 v12, v35, v12, v21
	v_add_f32_e32 v32, v30, v30
	v_add_f32_e32 v27, v26, v27
	v_fmac_f32_e32 v44, 0x3ab42872, v40
	v_sub_f32_e32 v29, v29, v40
	v_add_f32_e32 v42, v36, v33
	v_fma_f32 v14, v38, v14, v20
	v_fma_f32 v25, v37, v25, v19
	v_fma_f32 v26, v37, v37, -v39
	v_mul_f32_e32 v41, v40, v40
	v_fmac_f32_e32 v31, v38, v32
	v_add_f32_e32 v32, v27, v27
	v_fma_f32 v43, v40, v44, v19
	v_add_f32_e32 v44, v28, v29
	v_sub_f32_e32 v29, v42, v36
	v_mul_f32_e32 v36, v12, v42
	v_fma_f32 v14, v38, v14, v21
	v_fma_f32 v25, v37, v25, v20
	v_fma_f32 v28, v40, v40, -v41
	v_add_f32_e32 v47, v34, v31
	v_fmac_f32_e32 v26, v37, v32
	v_fma_f32 v32, v40, v43, v20
	v_add_f32_e32 v43, v44, v44
	v_sub_f32_e32 v29, v33, v29
	v_fma_f32 v33, v42, v12, -v36
	v_fma_f32 v25, v37, v25, v21
	v_sub_f32_e32 v34, v47, v34
	v_mul_f32_e32 v42, v14, v47
	v_add_f32_e32 v49, v39, v26
	v_fmac_f32_e32 v28, v40, v43
	v_fmac_f32_e32 v33, v29, v12
	v_fma_f32 v32, v40, v32, v21
	v_sub_f32_e32 v12, v31, v34
	v_fma_f32 v29, v47, v14, -v42
	v_sub_f32_e32 v31, v49, v39
	v_mul_f32_e32 v34, v25, v49
	v_add_f32_e32 v39, v41, v28
	v_add_f32_e32 v43, v36, v33
	v_fmac_f32_e32 v29, v12, v14
	v_sub_f32_e32 v14, v26, v31
	v_fma_f32 v31, v49, v25, -v34
	v_sub_f32_e32 v26, v39, v41
	v_mul_f32_e32 v41, v32, v39
	v_sub_f32_e32 v36, v43, v36
	v_add_f32_e32 v12, v35, v43
	v_add_f32_e32 v47, v42, v29
	v_fmac_f32_e32 v31, v14, v25
	v_sub_f32_e32 v14, v28, v26
	v_fma_f32 v25, v39, v32, -v41
	v_sub_f32_e32 v26, v33, v36
	v_sub_f32_e32 v28, v12, v35
	;; [unrolled: 1-line block ×3, first 2 shown]
	v_add_f32_e32 v35, v34, v31
	v_fmac_f32_e32 v25, v14, v32
	v_sub_f32_e32 v14, v43, v28
	v_add_f32_e32 v10, v10, v26
	v_sub_f32_e32 v28, v29, v33
	v_sub_f32_e32 v29, v35, v34
	v_add_f32_e32 v34, v41, v25
	v_add_f32_e32 v26, v10, v14
	;; [unrolled: 1-line block ×3, first 2 shown]
	v_sub_f32_e32 v14, v31, v29
	v_sub_f32_e32 v29, v34, v41
	v_add_f32_e32 v28, v12, v26
	v_sub_f32_e32 v25, v25, v29
	v_add_f32_e32 v29, 1.0, v28
	v_pk_add_f32 v[30:31], v[28:29], v[12:13] neg_lo:[0,1] neg_hi:[0,1]
	v_pk_add_f32 v[32:33], v[28:29], s[18:19]
	v_add_f32_e32 v14, v27, v14
	v_mov_b32_e32 v27, v28
	v_add_f32_e32 v12, v38, v47
	v_mov_b32_e32 v31, v33
	v_sub_f32_e32 v28, v12, v38
	v_pk_add_f32 v[26:27], v[26:27], v[30:31] neg_lo:[0,1] neg_hi:[0,1]
	v_sub_f32_e32 v28, v47, v28
	v_add_f32_e32 v30, v26, v27
	v_add_f32_e32 v26, v10, v28
	;; [unrolled: 1-line block ×4, first 2 shown]
	v_sub_f32_e32 v31, v10, v29
	v_ldexp_f32 v10, v10, v45
	v_add_f32_e32 v29, 1.0, v28
	v_rcp_f32_e32 v42, v10
	v_sub_f32_e32 v36, v30, v31
	v_pk_add_f32 v[30:31], v[28:29], v[12:13] neg_lo:[0,1] neg_hi:[0,1]
	v_pk_add_f32 v[32:33], v[28:29], s[18:19]
	v_add_f32_e32 v12, v37, v35
	v_mov_b32_e32 v27, v28
	v_mov_b32_e32 v31, v33
	v_sub_f32_e32 v28, v12, v37
	v_pk_add_f32 v[26:27], v[26:27], v[30:31] neg_lo:[0,1] neg_hi:[0,1]
	v_sub_f32_e32 v28, v35, v28
	v_add_f32_e32 v33, v26, v27
	v_add_f32_e32 v26, v14, v28
	v_mul_f32_e32 v28, v10, v42
	v_ldexp_f32 v43, v36, v45
	v_add_f32_e32 v14, v29, v33
	v_add_f32_e32 v30, v12, v26
	v_fma_f32 v32, v42, v10, -v28
	v_sub_f32_e32 v29, v14, v29
	v_ldexp_f32 v35, v14, v46
	v_add_f32_e32 v31, 1.0, v30
	v_fmac_f32_e32 v32, v42, v43
	v_add_f32_e32 v25, v44, v25
	v_sub_f32_e32 v29, v33, v29
	v_rcp_f32_e32 v44, v35
	v_pk_add_f32 v[36:37], v[30:31], v[12:13] neg_lo:[0,1] neg_hi:[0,1]
	v_pk_add_f32 v[38:39], v[30:31], s[18:19]
	v_add_f32_e32 v12, v40, v34
	v_add_f32_e32 v14, v28, v32
	v_mov_b32_e32 v27, v30
	v_ldexp_f32 v45, v29, v46
	v_mov_b32_e32 v37, v39
	v_sub_f32_e32 v30, v12, v40
	v_sub_f32_e32 v29, 1.0, v14
	v_mov_b32_e32 v33, v14
	v_pk_add_f32 v[26:27], v[26:27], v[36:37] neg_lo:[0,1] neg_hi:[0,1]
	v_sub_f32_e32 v30, v34, v30
	v_pk_add_f32 v[36:37], v[14:15], v[28:29] neg_lo:[0,1] neg_hi:[0,1]
	v_add_f32_e32 v14, v26, v27
	v_add_f32_e32 v26, v25, v30
	v_pk_add_f32 v[32:33], v[36:37], v[32:33] neg_lo:[0,1] neg_hi:[0,1]
	v_mul_f32_e32 v28, v35, v44
	v_add_f32_e32 v25, v31, v14
	v_add_f32_e32 v30, v12, v26
	;; [unrolled: 1-line block ×3, first 2 shown]
	v_fma_f32 v32, v44, v35, -v28
	v_sub_f32_e32 v34, v25, v31
	v_add_f32_e32 v31, 1.0, v30
	v_add_f32_e32 v37, v29, v33
	v_ldexp_f32 v25, v25, v48
	v_fmac_f32_e32 v32, v44, v45
	v_pk_add_f32 v[38:39], v[30:31], v[12:13] neg_lo:[0,1] neg_hi:[0,1]
	v_pk_add_f32 v[40:41], v[30:31], s[18:19]
	v_mul_f32_e32 v12, v42, v37
	v_mov_b32_e32 v27, v30
	v_sub_f32_e32 v34, v14, v34
	v_rcp_f32_e32 v46, v25
	v_sub_f32_e32 v29, v29, v37
	v_add_f32_e32 v14, v28, v32
	v_mov_b32_e32 v39, v41
	v_mul_f32_e32 v30, v10, v12
	v_ldexp_f32 v47, v34, v48
	v_add_f32_e32 v34, v33, v29
	v_add_f32_e32 v48, v42, v12
	v_sub_f32_e32 v29, 1.0, v14
	v_pk_add_f32 v[26:27], v[26:27], v[38:39] neg_lo:[0,1] neg_hi:[0,1]
	v_fma_f32 v38, v12, v10, -v30
	v_mov_b32_e32 v33, v14
	v_sub_f32_e32 v36, v48, v42
	v_pk_add_f32 v[40:41], v[14:15], v[28:29] neg_lo:[0,1] neg_hi:[0,1]
	v_add_f32_e32 v14, v26, v27
	v_fmac_f32_e32 v38, v12, v43
	v_sub_f32_e32 v12, v12, v36
	v_pk_add_f32 v[26:27], v[40:41], v[32:33] neg_lo:[0,1] neg_hi:[0,1]
	v_add_f32_e32 v32, v31, v14
	v_add_f32_e32 v36, v30, v38
	v_mul_f32_e32 v28, v25, v46
	v_add_f32_e32 v27, v26, v27
	v_sub_f32_e32 v40, v32, v31
	v_sub_f32_e32 v31, v37, v36
	v_fma_f32 v26, v46, v25, -v28
	v_ldexp_f32 v33, v32, v50
	v_mov_b32_e32 v39, v36
	v_add_f32_e32 v41, v29, v27
	v_pk_add_f32 v[36:37], v[36:37], v[30:31] neg_lo:[0,1] neg_hi:[0,1]
	v_fmac_f32_e32 v26, v46, v47
	v_sub_f32_e32 v32, v14, v40
	v_rcp_f32_e32 v49, v33
	v_mul_f32_e32 v40, v44, v41
	v_pk_add_f32 v[36:37], v[36:37], v[38:39] neg_lo:[0,1] neg_hi:[0,1]
	v_sub_f32_e32 v29, v29, v41
	v_add_f32_e32 v14, v28, v26
	v_mul_f32_e32 v30, v35, v40
	v_add_f32_e32 v51, v44, v40
	v_add_f32_e32 v34, v34, v37
	v_ldexp_f32 v50, v32, v50
	v_add_f32_e32 v32, v27, v29
	v_sub_f32_e32 v29, 1.0, v14
	v_fma_f32 v38, v40, v35, -v30
	v_add_f32_e32 v34, v36, v34
	v_sub_f32_e32 v36, v51, v44
	v_mov_b32_e32 v27, v14
	v_fmac_f32_e32 v38, v40, v45
	v_sub_f32_e32 v52, v40, v36
	v_pk_add_f32 v[36:37], v[14:15], v[28:29] neg_lo:[0,1] neg_hi:[0,1]
	v_pk_add_f32 v[26:27], v[36:37], v[26:27] neg_lo:[0,1] neg_hi:[0,1]
	v_mul_f32_e32 v28, v33, v49
	v_add_f32_e32 v40, v30, v38
	v_add_f32_e32 v14, v31, v34
	;; [unrolled: 1-line block ×3, first 2 shown]
	v_fma_f32 v26, v49, v33, -v28
	v_sub_f32_e32 v31, v41, v40
	v_mul_f32_e32 v14, v42, v14
	v_mov_b32_e32 v39, v40
	v_add_f32_e32 v37, v29, v27
	v_fmac_f32_e32 v26, v49, v50
	v_pk_add_f32 v[40:41], v[40:41], v[30:31] neg_lo:[0,1] neg_hi:[0,1]
	v_add_f32_e32 v12, v12, v14
	v_sub_f32_e32 v29, v29, v37
	v_add_f32_e32 v14, v28, v26
	v_pk_add_f32 v[38:39], v[40:41], v[38:39] neg_lo:[0,1] neg_hi:[0,1]
	v_mul_f32_e32 v34, v46, v37
	v_add_f32_e32 v42, v27, v29
	v_sub_f32_e32 v29, 1.0, v14
	v_add_f32_e32 v32, v32, v39
	v_add_f32_e32 v36, v48, v12
	v_mul_f32_e32 v30, v25, v34
	v_mov_b32_e32 v27, v14
	v_add_f32_e32 v32, v38, v32
	v_pk_add_f32 v[38:39], v[14:15], v[28:29] neg_lo:[0,1] neg_hi:[0,1]
	v_sub_f32_e32 v40, v36, v48
	v_ldexp_f32 v41, v36, -2
	v_pk_add_f32 v[26:27], v[38:39], v[26:27] neg_lo:[0,1] neg_hi:[0,1]
	v_fma_f32 v38, v34, v25, -v30
	v_sub_f32_e32 v12, v12, v40
	v_sub_f32_e32 v28, v10, v41
	v_fmac_f32_e32 v38, v34, v47
	v_add_f32_e32 v53, v46, v34
	v_add_f32_e32 v31, v31, v32
	v_ldexp_f32 v40, v12, -2
	v_sub_f32_e32 v10, v10, v28
	v_add_f32_e32 v36, v30, v38
	v_add_f32_e32 v12, v26, v27
	v_sub_f32_e32 v14, v53, v46
	v_sub_f32_e32 v10, v10, v41
	v_mul_f32_e32 v26, v44, v31
	v_sub_f32_e32 v31, v37, v36
	v_add_f32_e32 v27, v29, v12
	v_sub_f32_e32 v14, v34, v14
	v_mov_b32_e32 v39, v36
	v_add_f32_e32 v34, v43, v10
	v_add_f32_e32 v10, v52, v26
	v_pk_add_f32 v[36:37], v[36:37], v[30:31] neg_lo:[0,1] neg_hi:[0,1]
	v_mul_f32_e32 v26, v49, v27
	v_sub_f32_e32 v29, v29, v27
	v_add_f32_e32 v32, v51, v10
	v_pk_add_f32 v[36:37], v[36:37], v[38:39] neg_lo:[0,1] neg_hi:[0,1]
	v_mul_f32_e32 v30, v33, v26
	v_add_f32_e32 v12, v12, v29
	v_add_f32_e32 v44, v49, v26
	v_sub_f32_e32 v29, v32, v51
	v_ldexp_f32 v41, v32, -2
	v_add_f32_e32 v32, v42, v37
	v_fma_f32 v38, v26, v33, -v30
	v_sub_f32_e32 v37, v44, v49
	v_sub_f32_e32 v10, v10, v29
	v_pk_add_f32 v[42:43], v[34:35], v[40:41] neg_lo:[0,1] neg_hi:[0,1]
	v_add_f32_e32 v29, v36, v32
	v_fmac_f32_e32 v38, v26, v50
	v_sub_f32_e32 v34, v26, v37
	v_sub_f32_e32 v32, v35, v43
	v_add_f32_e32 v29, v31, v29
	v_add_f32_e32 v26, v30, v38
	v_sub_f32_e32 v32, v32, v41
	v_mul_f32_e32 v29, v46, v29
	v_sub_f32_e32 v31, v27, v26
	v_ldexp_f32 v10, v10, -2
	v_mov_b32_e32 v39, v26
	v_add_f32_e32 v32, v45, v32
	v_add_f32_e32 v14, v14, v29
	v_pk_add_f32 v[26:27], v[26:27], v[30:31] neg_lo:[0,1] neg_hi:[0,1]
	v_sub_f32_e32 v29, v32, v10
	v_add_f32_e32 v10, v53, v14
	v_pk_add_f32 v[26:27], v[26:27], v[38:39] neg_lo:[0,1] neg_hi:[0,1]
	v_pk_add_f32 v[28:29], v[42:43], v[28:29]
	v_cmp_ngt_f32_e64 vcc, |v2|, s25
	v_sub_f32_e32 v30, v10, v53
	v_ldexp_f32 v10, v10, -2
	v_add_f32_e32 v12, v12, v27
	v_cmp_ngt_f32_e64 s[0:1], |v3|, s25
	v_cndmask_b32_e64 v27, v22, v29, s[0:1]
	v_cndmask_b32_e32 v29, v22, v28, vcc
	v_sub_f32_e32 v14, v14, v30
	v_sub_f32_e32 v28, v25, v10
	v_add_f32_e32 v12, v26, v12
	v_ldexp_f32 v26, v14, -2
	v_sub_f32_e32 v14, v25, v28
	v_add_f32_e32 v12, v31, v12
	v_sub_f32_e32 v10, v14, v10
	v_mul_f32_e32 v12, v49, v12
	v_cmp_lt_f32_e64 s[0:1], |v3|, s26
	v_add_f32_e32 v32, v47, v10
	v_add_f32_e32 v10, v34, v12
	v_cndmask_b32_e64 v27, v27, |v3|, s[0:1]
	v_add_f32_e32 v12, v44, v10
	v_bfi_b32 v3, s23, v27, v3
	v_ldexp_f32 v27, v12, -2
	v_pk_add_f32 v[30:31], v[32:33], v[26:27] neg_lo:[0,1] neg_hi:[0,1]
	v_sub_f32_e32 v14, v12, v44
	v_sub_f32_e32 v12, v33, v31
	v_cmp_lt_f32_e64 s[2:3], |v2|, s26
	v_sub_f32_e32 v10, v10, v14
	v_sub_f32_e32 v12, v12, v27
	v_cndmask_b32_e64 v29, v29, |v2|, s[2:3]
	v_ldexp_f32 v10, v10, -2
	v_add_f32_e32 v12, v50, v12
	v_bfi_b32 v2, s23, v29, v2
	v_sub_f32_e32 v29, v12, v10
	v_pk_add_f32 v[26:27], v[30:31], v[28:29]
	v_cmp_ngt_f32_e64 vcc, |v4|, s25
	v_cmp_ngt_f32_e64 s[0:1], |v5|, s25
	v_cndmask_b32_e64 v10, v22, v27, s[0:1]
	v_cndmask_b32_e32 v12, v22, v26, vcc
	v_cmp_lt_f32_e64 s[0:1], |v5|, s26
	v_cmp_lt_f32_e64 s[2:3], |v4|, s26
	v_cndmask_b32_e64 v12, v12, |v4|, s[2:3]
	v_cndmask_b32_e64 v10, v10, |v5|, s[0:1]
	v_bfi_b32 v5, s23, v10, v5
	v_bfi_b32 v4, s23, v12, v4
	global_store_dwordx4 v[16:17], v[2:5], off offset:-8
	s_andn2_b64 exec, exec, s[16:17]
	s_cbranch_execnz .LBB119_3
.LBB119_4:
	s_or_b64 exec, exec, s[14:15]
	s_mov_b64 s[2:3], 0
.LBB119_5:
	s_andn2_b64 vcc, exec, s[2:3]
	s_cbranch_vccnz .LBB119_25
; %bb.6:
	v_cmp_lt_i64_e64 s[0:1], s[10:11], 1
	s_and_b64 vcc, exec, s[0:1]
	s_cbranch_vccnz .LBB119_25
; %bb.7:
	s_load_dword s0, s[4:5], 0xc5c
	v_mov_b32_e32 v2, 0x10000
	v_mov_b32_e32 v3, 0
	v_cmp_lt_u64_e32 vcc, s[10:11], v[2:3]
	v_lshlrev_b32_e32 v10, 2, v0
	s_waitcnt lgkmcnt(0)
	s_and_b32 s2, s0, 0xffff
	s_and_b64 s[0:1], vcc, exec
	v_mov_b32_e32 v13, s13
	v_add_co_u32_e32 v2, vcc, s12, v10
	v_addc_co_u32_e32 v1, vcc, 0, v13, vcc
	v_mov_b32_e32 v11, 0
	v_mov_b32_e32 v15, s7
	v_add_co_u32_e32 v4, vcc, s6, v10
	v_addc_co_u32_e32 v3, vcc, 0, v15, vcc
	v_mad_u64_u32 v[8:9], s[0:1], s2, 12, v[10:11]
	v_add_co_u32_e32 v6, vcc, s12, v8
	v_addc_co_u32_e32 v5, vcc, v13, v9, vcc
	v_add_co_u32_e32 v8, vcc, s6, v8
	s_mul_i32 s4, s2, 3
	v_addc_co_u32_e32 v7, vcc, v15, v9, vcc
	v_add_co_u32_e32 v17, vcc, s4, v0
	v_addc_co_u32_e64 v24, s[0:1], 0, 0, vcc
	s_cselect_b32 s15, s11, 0
	s_cselect_b32 s14, s10, 0x10000
	s_lshl_b32 s0, s2, 3
	v_add_co_u32_e32 v11, vcc, s0, v10
	v_addc_co_u32_e64 v14, s[0:1], 0, 0, vcc
	v_add_co_u32_e32 v10, vcc, s12, v11
	v_addc_co_u32_e32 v9, vcc, v13, v14, vcc
	v_add_co_u32_e32 v12, vcc, s6, v11
	s_lshl_b32 s3, s2, 1
	v_addc_co_u32_e32 v11, vcc, v15, v14, vcc
	v_add_co_u32_e32 v25, vcc, s3, v0
	v_addc_co_u32_e64 v26, s[0:1], 0, 0, vcc
	v_add_co_u32_e32 v27, vcc, s2, v0
	v_lshlrev_b32_e32 v16, 2, v27
	v_addc_co_u32_e64 v28, s[0:1], 0, 0, vcc
	v_add_co_u32_e32 v14, vcc, s12, v16
	v_addc_co_u32_e32 v13, vcc, 0, v13, vcc
	v_add_co_u32_e32 v16, vcc, s6, v16
	s_mov_b32 s16, 0
	s_lshl_b32 s20, s2, 2
	s_lshl_b32 s21, s2, 4
	v_addc_co_u32_e32 v15, vcc, 0, v15, vcc
	s_mov_b64 s[12:13], 0
	s_brev_b32 s22, -2
	s_mov_b32 s23, 0x39800000
	s_mov_b32 s24, 0xbf317218
	v_mov_b32_e32 v19, 0x3f317218
	v_mov_b32_e32 v29, 0x3d2aadcc
	;; [unrolled: 1-line block ×4, first 2 shown]
	s_mov_b32 s17, -1.0
	s_mov_b32 s25, 0x42b2d4fc
	v_mov_b32_e32 v21, -1.0
	v_mov_b32_e32 v23, 1.0
	v_mov_b32_e32 v32, 0x7f800000
	s_branch .LBB119_9
.LBB119_8:                              ;   in Loop: Header=BB119_9 Depth=1
	s_or_b64 exec, exec, s[0:1]
	s_add_u32 s12, s12, s20
	s_addc_u32 s13, s13, 0
	s_waitcnt vmcnt(0)
	v_pk_mov_b32 v[34:35], s[10:11], s[10:11] op_sel:[0,1]
	v_cmp_ge_i64_e32 vcc, s[12:13], v[34:35]
	v_mov_b32_e32 v34, 0xffff
	v_mov_b32_e32 v35, 0
	v_cmp_gt_u64_e64 s[0:1], s[12:13], v[34:35]
	s_or_b64 s[0:1], vcc, s[0:1]
	v_mov_b32_e32 v18, s16
	v_add_co_u32_e32 v2, vcc, s21, v2
	v_addc_co_u32_e32 v1, vcc, v1, v18, vcc
	v_add_co_u32_e32 v4, vcc, s21, v4
	v_addc_co_u32_e32 v3, vcc, v3, v18, vcc
	;; [unrolled: 2-line block ×8, first 2 shown]
	s_and_b64 vcc, exec, s[0:1]
	s_cbranch_vccnz .LBB119_25
.LBB119_9:                              ; =>This Inner Loop Header: Depth=1
	v_mov_b32_e32 v18, s13
	v_add_co_u32_e32 v34, vcc, s12, v0
	v_addc_co_u32_e32 v35, vcc, 0, v18, vcc
	v_cmp_gt_u64_e64 s[4:5], s[14:15], v[34:35]
	v_mov_b32_e32 v36, 0
	s_and_saveexec_b64 s[0:1], s[4:5]
	s_cbranch_execz .LBB119_11
; %bb.10:                               ;   in Loop: Header=BB119_9 Depth=1
	v_mov_b32_e32 v18, s9
	v_add_co_u32_e32 v34, vcc, s8, v2
	v_addc_co_u32_e32 v35, vcc, v1, v18, vcc
	global_load_dword v36, v[34:35], off
.LBB119_11:                             ;   in Loop: Header=BB119_9 Depth=1
	s_or_b64 exec, exec, s[0:1]
	v_mov_b32_e32 v18, s13
	v_add_co_u32_e32 v34, vcc, s12, v27
	v_addc_co_u32_e32 v35, vcc, v28, v18, vcc
	v_cmp_gt_u64_e64 s[2:3], s[14:15], v[34:35]
	v_mov_b32_e32 v35, 0
	s_and_saveexec_b64 s[0:1], s[2:3]
	s_cbranch_execz .LBB119_13
; %bb.12:                               ;   in Loop: Header=BB119_9 Depth=1
	v_mov_b32_e32 v18, s9
	v_add_co_u32_e32 v34, vcc, s8, v14
	v_addc_co_u32_e32 v35, vcc, v13, v18, vcc
	global_load_dword v35, v[34:35], off
.LBB119_13:                             ;   in Loop: Header=BB119_9 Depth=1
	s_or_b64 exec, exec, s[0:1]
	v_mov_b32_e32 v18, s13
	v_add_co_u32_e32 v38, vcc, s12, v25
	v_addc_co_u32_e32 v39, vcc, v26, v18, vcc
	v_cmp_gt_u64_e64 s[0:1], s[14:15], v[38:39]
	v_mov_b32_e32 v33, 0
	v_mov_b32_e32 v34, 0
	s_and_saveexec_b64 s[6:7], s[0:1]
	s_cbranch_execz .LBB119_15
; %bb.14:                               ;   in Loop: Header=BB119_9 Depth=1
	v_mov_b32_e32 v18, s9
	v_add_co_u32_e32 v38, vcc, s8, v10
	v_addc_co_u32_e32 v39, vcc, v9, v18, vcc
	global_load_dword v34, v[38:39], off
.LBB119_15:                             ;   in Loop: Header=BB119_9 Depth=1
	s_or_b64 exec, exec, s[6:7]
	v_mov_b32_e32 v18, s13
	v_add_co_u32_e32 v38, vcc, s12, v17
	v_addc_co_u32_e32 v39, vcc, v24, v18, vcc
	v_cmp_gt_u64_e32 vcc, s[14:15], v[38:39]
	s_and_saveexec_b64 s[18:19], vcc
	s_cbranch_execnz .LBB119_20
; %bb.16:                               ;   in Loop: Header=BB119_9 Depth=1
	s_or_b64 exec, exec, s[18:19]
	s_and_saveexec_b64 s[6:7], s[4:5]
	s_cbranch_execnz .LBB119_21
.LBB119_17:                             ;   in Loop: Header=BB119_9 Depth=1
	s_or_b64 exec, exec, s[6:7]
	s_and_saveexec_b64 s[4:5], s[2:3]
	s_cbranch_execnz .LBB119_22
.LBB119_18:                             ;   in Loop: Header=BB119_9 Depth=1
	s_or_b64 exec, exec, s[4:5]
	s_and_saveexec_b64 s[2:3], s[0:1]
	s_cbranch_execnz .LBB119_23
.LBB119_19:                             ;   in Loop: Header=BB119_9 Depth=1
	s_or_b64 exec, exec, s[2:3]
	s_and_saveexec_b64 s[0:1], vcc
	s_cbranch_execz .LBB119_8
	s_branch .LBB119_24
.LBB119_20:                             ;   in Loop: Header=BB119_9 Depth=1
	v_mov_b32_e32 v18, s9
	v_add_co_u32_e64 v38, s[6:7], s8, v6
	v_addc_co_u32_e64 v39, s[6:7], v5, v18, s[6:7]
	global_load_dword v33, v[38:39], off
	s_or_b64 exec, exec, s[18:19]
	s_and_saveexec_b64 s[6:7], s[4:5]
	s_cbranch_execz .LBB119_17
.LBB119_21:                             ;   in Loop: Header=BB119_9 Depth=1
	s_waitcnt vmcnt(0)
	v_add_f32_e64 v20, |v36|, s24
	v_sub_f32_e64 v39, v20, |v36|
	v_and_b32_e32 v18, 0x7fffffff, v36
	v_sub_f32_e32 v38, v39, v20
	v_pk_add_f32 v[38:39], v[18:19], v[38:39]
	v_sub_f32_e32 v18, v38, v39
	v_add_f32_e32 v18, 0x3102e308, v18
	v_add_f32_e32 v22, v20, v18
	v_sub_f32_e32 v20, v20, v22
	v_add_f32_e32 v18, v18, v20
	v_mul_f32_e32 v20, 0x3fb8aa3b, v22
	v_rndne_f32_e32 v37, v20
	v_fmac_f32_e32 v22, 0xbf317200, v37
	v_add_f32_e32 v20, v18, v22
	v_mul_f32_e32 v38, 0x35bfbc00, v37
	v_sub_f32_e32 v40, v20, v38
	v_sub_f32_e32 v22, v22, v20
	;; [unrolled: 1-line block ×3, first 2 shown]
	v_add_f32_e32 v18, v18, v22
	v_sub_f32_e32 v20, v20, v38
	v_add_f32_e32 v18, v18, v20
	v_add_f32_e32 v41, v40, v18
	v_mul_f32_e32 v39, 0x2ea39ef3, v37
	v_mov_b32_e32 v38, v41
	v_pk_add_f32 v[42:43], v[40:41], v[38:39] neg_lo:[0,1] neg_hi:[0,1]
	v_sub_f32_e32 v20, v41, v43
	v_sub_f32_e32 v20, v20, v39
	v_add_f32_e32 v18, v18, v42
	v_add_f32_e32 v18, v18, v20
	;; [unrolled: 1-line block ×3, first 2 shown]
	v_mov_b32_e32 v20, 0x3c091de6
	v_sub_f32_e32 v39, v43, v22
	v_fmac_f32_e32 v20, 0x3ab42872, v22
	v_mul_f32_e32 v38, v22, v22
	v_add_f32_e32 v18, v18, v39
	v_fma_f32 v20, v22, v20, v29
	v_add_f32_e32 v39, v18, v18
	v_fma_f32 v40, v22, v22, -v38
	v_fma_f32 v20, v22, v20, v30
	v_fmac_f32_e32 v40, v22, v39
	v_fma_f32 v20, v22, v20, v31
	v_add_f32_e32 v39, v38, v40
	v_mul_f32_e32 v41, v20, v39
	v_sub_f32_e32 v38, v39, v38
	v_sub_f32_e32 v38, v40, v38
	v_fma_f32 v39, v39, v20, -v41
	v_fmac_f32_e32 v39, v38, v20
	v_add_f32_e32 v38, v41, v39
	v_add_f32_e32 v20, v22, v38
	v_sub_f32_e32 v40, v38, v41
	v_sub_f32_e32 v39, v39, v40
	;; [unrolled: 1-line block ×3, first 2 shown]
	v_add_f32_e32 v18, v18, v39
	v_sub_f32_e32 v22, v38, v22
	v_add_f32_e32 v38, v18, v22
	v_add_f32_e32 v40, v20, v38
	v_add_f32_e32 v41, 1.0, v40
	v_pk_add_f32 v[42:43], v[40:41], v[20:21] neg_lo:[0,1] neg_hi:[0,1]
	v_pk_add_f32 v[44:45], v[40:41], s[16:17]
	v_mov_b32_e32 v43, v45
	v_mov_b32_e32 v39, v40
	v_cvt_i32_f32_e32 v18, v37
	v_pk_add_f32 v[38:39], v[38:39], v[42:43] neg_lo:[0,1] neg_hi:[0,1]
	v_add_f32_e32 v20, v38, v39
	v_add_f32_e32 v22, v41, v20
	v_ldexp_f32 v37, v22, v18
	v_rcp_f32_e32 v46, v37
	v_sub_f32_e32 v22, v22, v41
	v_sub_f32_e32 v20, v20, v22
	v_ldexp_f32 v18, v20, v18
	v_mul_f32_e32 v38, v37, v46
	v_fma_f32 v40, v46, v37, -v38
	v_fmac_f32_e32 v40, v46, v18
	v_add_f32_e32 v22, v38, v40
	v_sub_f32_e32 v39, 1.0, v22
	v_pk_add_f32 v[42:43], v[22:23], v[38:39] neg_lo:[0,1] neg_hi:[0,1]
	v_mov_b32_e32 v41, v22
	v_pk_add_f32 v[40:41], v[42:43], v[40:41] neg_lo:[0,1] neg_hi:[0,1]
	v_add_f32_e32 v20, v40, v41
	v_add_f32_e32 v41, v39, v20
	v_mul_f32_e32 v22, v46, v41
	v_add_f32_e32 v47, v46, v22
	v_sub_f32_e32 v38, v47, v46
	v_mul_f32_e32 v42, v37, v22
	v_sub_f32_e32 v48, v22, v38
	v_fma_f32 v38, v22, v37, -v42
	v_fmac_f32_e32 v38, v22, v18
	v_add_f32_e32 v40, v42, v38
	v_sub_f32_e32 v43, v41, v40
	v_sub_f32_e32 v22, v39, v41
	v_pk_add_f32 v[44:45], v[40:41], v[42:43] neg_lo:[0,1] neg_hi:[0,1]
	v_mov_b32_e32 v39, v40
	v_add_f32_e32 v20, v20, v22
	v_pk_add_f32 v[38:39], v[44:45], v[38:39] neg_lo:[0,1] neg_hi:[0,1]
	v_add_f32_e32 v20, v20, v39
	v_add_f32_e32 v20, v38, v20
	;; [unrolled: 1-line block ×3, first 2 shown]
	v_mul_f32_e32 v20, v46, v20
	v_add_f32_e32 v20, v48, v20
	v_add_f32_e32 v22, v47, v20
	v_ldexp_f32 v38, v22, -2
	v_sub_f32_e32 v39, v37, v38
	v_sub_f32_e32 v37, v37, v39
	;; [unrolled: 1-line block ×5, first 2 shown]
	v_add_f32_e32 v18, v18, v37
	v_ldexp_f32 v20, v20, -2
	v_sub_f32_e32 v18, v18, v20
	v_add_f32_e32 v18, v39, v18
	v_cmp_ngt_f32_e64 s[4:5], |v36|, s25
	v_cndmask_b32_e64 v18, v32, v18, s[4:5]
	v_cmp_lt_f32_e64 s[4:5], |v36|, s23
	v_cndmask_b32_e64 v18, v18, |v36|, s[4:5]
	v_bfi_b32 v18, s22, v18, v36
	v_mov_b32_e32 v20, s9
	v_add_co_u32_e64 v36, s[4:5], s8, v4
	v_addc_co_u32_e64 v37, s[4:5], v3, v20, s[4:5]
	global_store_dword v[36:37], v18, off
	s_or_b64 exec, exec, s[6:7]
	s_and_saveexec_b64 s[4:5], s[2:3]
	s_cbranch_execz .LBB119_18
.LBB119_22:                             ;   in Loop: Header=BB119_9 Depth=1
	s_waitcnt vmcnt(0)
	v_add_f32_e64 v18, |v35|, s24
	v_sub_f32_e64 v20, v18, |v35|
	v_sub_f32_e32 v22, v20, v18
	v_add_f32_e64 v22, |v35|, v22
	v_add_f32_e32 v20, 0x3f317218, v20
	v_sub_f32_e32 v20, v22, v20
	v_add_f32_e32 v20, 0x3102e308, v20
	v_add_f32_e32 v22, v18, v20
	v_sub_f32_e32 v18, v18, v22
	v_add_f32_e32 v18, v20, v18
	v_mul_f32_e32 v20, 0x3fb8aa3b, v22
	v_rndne_f32_e32 v20, v20
	v_fmac_f32_e32 v22, 0xbf317200, v20
	v_add_f32_e32 v36, v18, v22
	v_sub_f32_e32 v22, v22, v36
	v_add_f32_e32 v18, v18, v22
	v_mul_f32_e32 v22, 0x35bfbc00, v20
	v_sub_f32_e32 v37, v36, v22
	v_sub_f32_e32 v36, v36, v37
	;; [unrolled: 1-line block ×3, first 2 shown]
	v_add_f32_e32 v18, v18, v22
	v_add_f32_e32 v22, v37, v18
	v_sub_f32_e32 v36, v37, v22
	v_add_f32_e32 v18, v18, v36
	v_mul_f32_e32 v36, 0x2ea39ef3, v20
	v_sub_f32_e32 v37, v22, v36
	v_sub_f32_e32 v22, v22, v37
	;; [unrolled: 1-line block ×3, first 2 shown]
	v_add_f32_e32 v18, v18, v22
	v_add_f32_e32 v22, v37, v18
	v_sub_f32_e32 v37, v37, v22
	v_mov_b32_e32 v36, 0x3c091de6
	v_add_f32_e32 v18, v18, v37
	v_mul_f32_e32 v38, v22, v22
	v_fmac_f32_e32 v36, 0x3ab42872, v22
	v_add_f32_e32 v37, v18, v18
	v_fma_f32 v39, v22, v22, -v38
	v_fma_f32 v36, v22, v36, v29
	v_fmac_f32_e32 v39, v22, v37
	v_fma_f32 v36, v22, v36, v30
	v_add_f32_e32 v37, v38, v39
	v_fma_f32 v36, v22, v36, v31
	v_sub_f32_e32 v38, v37, v38
	v_sub_f32_e32 v38, v39, v38
	v_mul_f32_e32 v39, v36, v37
	v_fma_f32 v37, v37, v36, -v39
	v_fmac_f32_e32 v37, v38, v36
	v_add_f32_e32 v36, v39, v37
	v_sub_f32_e32 v38, v36, v39
	v_sub_f32_e32 v37, v37, v38
	v_add_f32_e32 v38, v22, v36
	v_sub_f32_e32 v22, v38, v22
	v_sub_f32_e32 v22, v36, v22
	v_add_f32_e32 v18, v18, v37
	v_add_f32_e32 v18, v18, v22
	v_add_f32_e32 v22, v38, v18
	v_sub_f32_e32 v36, v22, v38
	v_sub_f32_e32 v18, v18, v36
	v_add_f32_e32 v36, 1.0, v22
	v_add_f32_e32 v37, -1.0, v36
	v_cvt_i32_f32_e32 v20, v20
	v_sub_f32_e32 v22, v22, v37
	v_add_f32_e32 v18, v18, v22
	v_add_f32_e32 v22, v36, v18
	v_ldexp_f32 v37, v22, v20
	v_rcp_f32_e32 v38, v37
	v_sub_f32_e32 v22, v22, v36
	v_sub_f32_e32 v18, v18, v22
	v_ldexp_f32 v18, v18, v20
	v_mul_f32_e32 v20, v37, v38
	v_fma_f32 v22, v38, v37, -v20
	v_fmac_f32_e32 v22, v38, v18
	v_add_f32_e32 v36, v20, v22
	v_sub_f32_e32 v39, 1.0, v36
	v_sub_f32_e32 v40, 1.0, v39
	v_sub_f32_e32 v20, v36, v20
	v_sub_f32_e32 v40, v40, v36
	v_sub_f32_e32 v20, v20, v22
	v_add_f32_e32 v20, v20, v40
	v_add_f32_e32 v22, v39, v20
	v_mul_f32_e32 v36, v38, v22
	v_mul_f32_e32 v40, v37, v36
	v_fma_f32 v41, v36, v37, -v40
	v_fmac_f32_e32 v41, v36, v18
	v_sub_f32_e32 v39, v39, v22
	v_add_f32_e32 v20, v20, v39
	v_add_f32_e32 v39, v40, v41
	v_sub_f32_e32 v42, v22, v39
	v_sub_f32_e32 v22, v22, v42
	;; [unrolled: 1-line block ×4, first 2 shown]
	v_add_f32_e32 v20, v20, v22
	v_sub_f32_e32 v22, v40, v41
	v_add_f32_e32 v20, v22, v20
	v_add_f32_e32 v20, v42, v20
	;; [unrolled: 1-line block ×3, first 2 shown]
	v_mul_f32_e32 v20, v38, v20
	v_sub_f32_e32 v38, v22, v38
	v_sub_f32_e32 v36, v36, v38
	v_add_f32_e32 v20, v36, v20
	v_add_f32_e32 v36, v22, v20
	v_sub_f32_e32 v22, v36, v22
	v_sub_f32_e32 v20, v20, v22
	v_ldexp_f32 v22, v36, -2
	v_sub_f32_e32 v36, v37, v22
	v_sub_f32_e32 v37, v37, v36
	;; [unrolled: 1-line block ×3, first 2 shown]
	v_ldexp_f32 v20, v20, -2
	v_add_f32_e32 v18, v18, v22
	v_sub_f32_e32 v18, v18, v20
	v_add_f32_e32 v18, v36, v18
	v_cmp_ngt_f32_e64 s[2:3], |v35|, s25
	v_cndmask_b32_e64 v18, v32, v18, s[2:3]
	v_cmp_lt_f32_e64 s[2:3], |v35|, s23
	v_cndmask_b32_e64 v18, v18, |v35|, s[2:3]
	v_mov_b32_e32 v20, s9
	v_add_co_u32_e64 v36, s[2:3], s8, v16
	v_bfi_b32 v18, s22, v18, v35
	v_addc_co_u32_e64 v37, s[2:3], v15, v20, s[2:3]
	global_store_dword v[36:37], v18, off
	s_or_b64 exec, exec, s[4:5]
	s_and_saveexec_b64 s[2:3], s[0:1]
	s_cbranch_execz .LBB119_19
.LBB119_23:                             ;   in Loop: Header=BB119_9 Depth=1
	s_waitcnt vmcnt(0)
	v_add_f32_e64 v18, |v34|, s24
	v_sub_f32_e64 v20, v18, |v34|
	v_sub_f32_e32 v22, v20, v18
	v_add_f32_e64 v22, |v34|, v22
	v_add_f32_e32 v20, 0x3f317218, v20
	v_sub_f32_e32 v20, v22, v20
	v_add_f32_e32 v20, 0x3102e308, v20
	v_add_f32_e32 v22, v18, v20
	v_sub_f32_e32 v18, v18, v22
	v_add_f32_e32 v18, v20, v18
	v_mul_f32_e32 v20, 0x3fb8aa3b, v22
	v_rndne_f32_e32 v20, v20
	v_fmac_f32_e32 v22, 0xbf317200, v20
	v_add_f32_e32 v35, v18, v22
	v_sub_f32_e32 v22, v22, v35
	v_add_f32_e32 v18, v18, v22
	v_mul_f32_e32 v22, 0x35bfbc00, v20
	v_sub_f32_e32 v36, v35, v22
	v_sub_f32_e32 v35, v35, v36
	;; [unrolled: 1-line block ×3, first 2 shown]
	v_add_f32_e32 v18, v18, v22
	v_add_f32_e32 v22, v36, v18
	v_sub_f32_e32 v35, v36, v22
	v_add_f32_e32 v18, v18, v35
	v_mul_f32_e32 v35, 0x2ea39ef3, v20
	v_sub_f32_e32 v36, v22, v35
	v_sub_f32_e32 v22, v22, v36
	;; [unrolled: 1-line block ×3, first 2 shown]
	v_add_f32_e32 v18, v18, v22
	v_add_f32_e32 v22, v36, v18
	v_sub_f32_e32 v36, v36, v22
	v_mov_b32_e32 v35, 0x3c091de6
	v_add_f32_e32 v18, v18, v36
	v_mul_f32_e32 v37, v22, v22
	v_fmac_f32_e32 v35, 0x3ab42872, v22
	v_add_f32_e32 v36, v18, v18
	v_fma_f32 v38, v22, v22, -v37
	v_fma_f32 v35, v22, v35, v29
	v_fmac_f32_e32 v38, v22, v36
	v_fma_f32 v35, v22, v35, v30
	v_add_f32_e32 v36, v37, v38
	v_fma_f32 v35, v22, v35, v31
	v_sub_f32_e32 v37, v36, v37
	v_sub_f32_e32 v37, v38, v37
	v_mul_f32_e32 v38, v35, v36
	v_fma_f32 v36, v36, v35, -v38
	v_fmac_f32_e32 v36, v37, v35
	v_add_f32_e32 v35, v38, v36
	v_sub_f32_e32 v37, v35, v38
	v_sub_f32_e32 v36, v36, v37
	v_add_f32_e32 v37, v22, v35
	v_sub_f32_e32 v22, v37, v22
	v_sub_f32_e32 v22, v35, v22
	v_add_f32_e32 v18, v18, v36
	v_add_f32_e32 v18, v18, v22
	;; [unrolled: 1-line block ×3, first 2 shown]
	v_sub_f32_e32 v35, v22, v37
	v_sub_f32_e32 v18, v18, v35
	v_add_f32_e32 v35, 1.0, v22
	v_add_f32_e32 v36, -1.0, v35
	v_cvt_i32_f32_e32 v20, v20
	v_sub_f32_e32 v22, v22, v36
	v_add_f32_e32 v18, v18, v22
	v_add_f32_e32 v22, v35, v18
	v_ldexp_f32 v36, v22, v20
	v_rcp_f32_e32 v37, v36
	v_sub_f32_e32 v22, v22, v35
	v_sub_f32_e32 v18, v18, v22
	v_ldexp_f32 v18, v18, v20
	v_mul_f32_e32 v20, v36, v37
	v_fma_f32 v22, v37, v36, -v20
	v_fmac_f32_e32 v22, v37, v18
	v_add_f32_e32 v35, v20, v22
	v_sub_f32_e32 v38, 1.0, v35
	v_sub_f32_e32 v39, 1.0, v38
	v_sub_f32_e32 v20, v35, v20
	v_sub_f32_e32 v39, v39, v35
	;; [unrolled: 1-line block ×3, first 2 shown]
	v_add_f32_e32 v20, v20, v39
	v_add_f32_e32 v22, v38, v20
	v_mul_f32_e32 v35, v37, v22
	v_mul_f32_e32 v39, v36, v35
	v_fma_f32 v40, v35, v36, -v39
	v_fmac_f32_e32 v40, v35, v18
	v_sub_f32_e32 v38, v38, v22
	v_add_f32_e32 v20, v20, v38
	v_add_f32_e32 v38, v39, v40
	v_sub_f32_e32 v41, v22, v38
	v_sub_f32_e32 v22, v22, v41
	;; [unrolled: 1-line block ×4, first 2 shown]
	v_add_f32_e32 v20, v20, v22
	v_sub_f32_e32 v22, v39, v40
	v_add_f32_e32 v20, v22, v20
	v_add_f32_e32 v20, v41, v20
	;; [unrolled: 1-line block ×3, first 2 shown]
	v_mul_f32_e32 v20, v37, v20
	v_sub_f32_e32 v37, v22, v37
	v_sub_f32_e32 v35, v35, v37
	v_add_f32_e32 v20, v35, v20
	v_add_f32_e32 v35, v22, v20
	v_sub_f32_e32 v22, v35, v22
	v_sub_f32_e32 v20, v20, v22
	v_ldexp_f32 v22, v35, -2
	v_sub_f32_e32 v35, v36, v22
	v_sub_f32_e32 v36, v36, v35
	;; [unrolled: 1-line block ×3, first 2 shown]
	v_ldexp_f32 v20, v20, -2
	v_add_f32_e32 v18, v18, v22
	v_sub_f32_e32 v18, v18, v20
	v_add_f32_e32 v18, v35, v18
	v_cmp_ngt_f32_e64 s[0:1], |v34|, s25
	v_cndmask_b32_e64 v18, v32, v18, s[0:1]
	v_cmp_lt_f32_e64 s[0:1], |v34|, s23
	v_cndmask_b32_e64 v18, v18, |v34|, s[0:1]
	v_bfi_b32 v18, s22, v18, v34
	v_mov_b32_e32 v20, s9
	v_add_co_u32_e64 v34, s[0:1], s8, v12
	v_addc_co_u32_e64 v35, s[0:1], v11, v20, s[0:1]
	global_store_dword v[34:35], v18, off
	s_or_b64 exec, exec, s[2:3]
	s_and_saveexec_b64 s[0:1], vcc
	s_cbranch_execz .LBB119_8
.LBB119_24:                             ;   in Loop: Header=BB119_9 Depth=1
	s_waitcnt vmcnt(0)
	v_add_f32_e64 v18, |v33|, s24
	v_sub_f32_e64 v20, v18, |v33|
	v_sub_f32_e32 v22, v20, v18
	v_add_f32_e64 v22, |v33|, v22
	v_add_f32_e32 v20, 0x3f317218, v20
	v_sub_f32_e32 v20, v22, v20
	v_add_f32_e32 v20, 0x3102e308, v20
	v_add_f32_e32 v22, v18, v20
	v_sub_f32_e32 v18, v18, v22
	v_add_f32_e32 v18, v20, v18
	v_mul_f32_e32 v20, 0x3fb8aa3b, v22
	v_rndne_f32_e32 v20, v20
	v_fmac_f32_e32 v22, 0xbf317200, v20
	v_add_f32_e32 v34, v18, v22
	v_sub_f32_e32 v22, v22, v34
	v_add_f32_e32 v18, v18, v22
	v_mul_f32_e32 v22, 0x35bfbc00, v20
	v_sub_f32_e32 v35, v34, v22
	v_sub_f32_e32 v34, v34, v35
	;; [unrolled: 1-line block ×3, first 2 shown]
	v_add_f32_e32 v18, v18, v22
	v_add_f32_e32 v22, v35, v18
	v_sub_f32_e32 v34, v35, v22
	v_add_f32_e32 v18, v18, v34
	v_mul_f32_e32 v34, 0x2ea39ef3, v20
	v_sub_f32_e32 v35, v22, v34
	v_sub_f32_e32 v22, v22, v35
	;; [unrolled: 1-line block ×3, first 2 shown]
	v_add_f32_e32 v18, v18, v22
	v_add_f32_e32 v22, v35, v18
	v_sub_f32_e32 v35, v35, v22
	v_mov_b32_e32 v34, 0x3c091de6
	v_add_f32_e32 v18, v18, v35
	v_mul_f32_e32 v36, v22, v22
	v_fmac_f32_e32 v34, 0x3ab42872, v22
	v_add_f32_e32 v35, v18, v18
	v_fma_f32 v37, v22, v22, -v36
	v_fma_f32 v34, v22, v34, v29
	v_fmac_f32_e32 v37, v22, v35
	v_fma_f32 v34, v22, v34, v30
	v_add_f32_e32 v35, v36, v37
	v_fma_f32 v34, v22, v34, v31
	v_sub_f32_e32 v36, v35, v36
	v_sub_f32_e32 v36, v37, v36
	v_mul_f32_e32 v37, v34, v35
	v_fma_f32 v35, v35, v34, -v37
	v_fmac_f32_e32 v35, v36, v34
	v_add_f32_e32 v34, v37, v35
	v_sub_f32_e32 v36, v34, v37
	v_sub_f32_e32 v35, v35, v36
	v_add_f32_e32 v36, v22, v34
	v_sub_f32_e32 v22, v36, v22
	v_sub_f32_e32 v22, v34, v22
	v_add_f32_e32 v18, v18, v35
	v_add_f32_e32 v18, v18, v22
	;; [unrolled: 1-line block ×3, first 2 shown]
	v_sub_f32_e32 v34, v22, v36
	v_sub_f32_e32 v18, v18, v34
	v_add_f32_e32 v34, 1.0, v22
	v_add_f32_e32 v35, -1.0, v34
	v_cvt_i32_f32_e32 v20, v20
	v_sub_f32_e32 v22, v22, v35
	v_add_f32_e32 v18, v18, v22
	v_add_f32_e32 v22, v34, v18
	v_ldexp_f32 v35, v22, v20
	v_rcp_f32_e32 v36, v35
	v_sub_f32_e32 v22, v22, v34
	v_sub_f32_e32 v18, v18, v22
	v_ldexp_f32 v18, v18, v20
	v_mul_f32_e32 v20, v35, v36
	v_fma_f32 v22, v36, v35, -v20
	v_fmac_f32_e32 v22, v36, v18
	v_add_f32_e32 v34, v20, v22
	v_sub_f32_e32 v37, 1.0, v34
	v_sub_f32_e32 v38, 1.0, v37
	v_sub_f32_e32 v20, v34, v20
	v_sub_f32_e32 v38, v38, v34
	;; [unrolled: 1-line block ×3, first 2 shown]
	v_add_f32_e32 v20, v20, v38
	v_add_f32_e32 v22, v37, v20
	v_mul_f32_e32 v34, v36, v22
	v_mul_f32_e32 v38, v35, v34
	v_fma_f32 v39, v34, v35, -v38
	v_fmac_f32_e32 v39, v34, v18
	v_sub_f32_e32 v37, v37, v22
	v_add_f32_e32 v20, v20, v37
	v_add_f32_e32 v37, v38, v39
	v_sub_f32_e32 v40, v22, v37
	v_sub_f32_e32 v22, v22, v40
	;; [unrolled: 1-line block ×4, first 2 shown]
	v_add_f32_e32 v20, v20, v22
	v_sub_f32_e32 v22, v38, v39
	v_add_f32_e32 v20, v22, v20
	v_add_f32_e32 v20, v40, v20
	;; [unrolled: 1-line block ×3, first 2 shown]
	v_mul_f32_e32 v20, v36, v20
	v_sub_f32_e32 v36, v22, v36
	v_sub_f32_e32 v34, v34, v36
	v_add_f32_e32 v20, v34, v20
	v_add_f32_e32 v34, v22, v20
	v_sub_f32_e32 v22, v34, v22
	v_sub_f32_e32 v20, v20, v22
	v_ldexp_f32 v22, v34, -2
	v_sub_f32_e32 v34, v35, v22
	v_sub_f32_e32 v35, v35, v34
	;; [unrolled: 1-line block ×3, first 2 shown]
	v_ldexp_f32 v20, v20, -2
	v_add_f32_e32 v18, v18, v22
	v_sub_f32_e32 v18, v18, v20
	v_add_f32_e32 v18, v34, v18
	v_cmp_ngt_f32_e64 vcc, |v33|, s25
	v_cndmask_b32_e32 v18, v32, v18, vcc
	v_cmp_lt_f32_e64 s[2:3], |v33|, s23
	v_cndmask_b32_e64 v18, v18, |v33|, s[2:3]
	v_mov_b32_e32 v20, s9
	v_add_co_u32_e32 v34, vcc, s8, v8
	v_bfi_b32 v18, s22, v18, v33
	v_addc_co_u32_e32 v35, vcc, v7, v20, vcc
	global_store_dword v[34:35], v18, off
	s_branch .LBB119_8
.LBB119_25:
	s_endpgm
	.section	.rodata,"a",@progbits
	.p2align	6, 0x0
	.amdhsa_kernel _ZN2at6native12_GLOBAL__N_125multi_tensor_apply_kernelINS1_18TensorListMetadataILi2EEENS1_14UnaryOpFunctorIfLi2ELi1ELi1EEEJNS0_4SinhIfEEEEEvT_T0_DpT1_
		.amdhsa_group_segment_fixed_size 0
		.amdhsa_private_segment_fixed_size 0
		.amdhsa_kernarg_size 3408
		.amdhsa_user_sgpr_count 6
		.amdhsa_user_sgpr_private_segment_buffer 1
		.amdhsa_user_sgpr_dispatch_ptr 0
		.amdhsa_user_sgpr_queue_ptr 0
		.amdhsa_user_sgpr_kernarg_segment_ptr 1
		.amdhsa_user_sgpr_dispatch_id 0
		.amdhsa_user_sgpr_flat_scratch_init 0
		.amdhsa_user_sgpr_kernarg_preload_length 0
		.amdhsa_user_sgpr_kernarg_preload_offset 0
		.amdhsa_user_sgpr_private_segment_size 0
		.amdhsa_uses_dynamic_stack 0
		.amdhsa_system_sgpr_private_segment_wavefront_offset 0
		.amdhsa_system_sgpr_workgroup_id_x 1
		.amdhsa_system_sgpr_workgroup_id_y 0
		.amdhsa_system_sgpr_workgroup_id_z 0
		.amdhsa_system_sgpr_workgroup_info 0
		.amdhsa_system_vgpr_workitem_id 0
		.amdhsa_next_free_vgpr 54
		.amdhsa_next_free_sgpr 27
		.amdhsa_accum_offset 56
		.amdhsa_reserve_vcc 1
		.amdhsa_reserve_flat_scratch 0
		.amdhsa_float_round_mode_32 0
		.amdhsa_float_round_mode_16_64 0
		.amdhsa_float_denorm_mode_32 3
		.amdhsa_float_denorm_mode_16_64 3
		.amdhsa_dx10_clamp 1
		.amdhsa_ieee_mode 1
		.amdhsa_fp16_overflow 0
		.amdhsa_tg_split 0
		.amdhsa_exception_fp_ieee_invalid_op 0
		.amdhsa_exception_fp_denorm_src 0
		.amdhsa_exception_fp_ieee_div_zero 0
		.amdhsa_exception_fp_ieee_overflow 0
		.amdhsa_exception_fp_ieee_underflow 0
		.amdhsa_exception_fp_ieee_inexact 0
		.amdhsa_exception_int_div_zero 0
	.end_amdhsa_kernel
	.section	.text._ZN2at6native12_GLOBAL__N_125multi_tensor_apply_kernelINS1_18TensorListMetadataILi2EEENS1_14UnaryOpFunctorIfLi2ELi1ELi1EEEJNS0_4SinhIfEEEEEvT_T0_DpT1_,"axG",@progbits,_ZN2at6native12_GLOBAL__N_125multi_tensor_apply_kernelINS1_18TensorListMetadataILi2EEENS1_14UnaryOpFunctorIfLi2ELi1ELi1EEEJNS0_4SinhIfEEEEEvT_T0_DpT1_,comdat
.Lfunc_end119:
	.size	_ZN2at6native12_GLOBAL__N_125multi_tensor_apply_kernelINS1_18TensorListMetadataILi2EEENS1_14UnaryOpFunctorIfLi2ELi1ELi1EEEJNS0_4SinhIfEEEEEvT_T0_DpT1_, .Lfunc_end119-_ZN2at6native12_GLOBAL__N_125multi_tensor_apply_kernelINS1_18TensorListMetadataILi2EEENS1_14UnaryOpFunctorIfLi2ELi1ELi1EEEJNS0_4SinhIfEEEEEvT_T0_DpT1_
                                        ; -- End function
	.section	.AMDGPU.csdata,"",@progbits
; Kernel info:
; codeLenInByte = 6056
; NumSgprs: 31
; NumVgprs: 54
; NumAgprs: 0
; TotalNumVgprs: 54
; ScratchSize: 0
; MemoryBound: 0
; FloatMode: 240
; IeeeMode: 1
; LDSByteSize: 0 bytes/workgroup (compile time only)
; SGPRBlocks: 3
; VGPRBlocks: 6
; NumSGPRsForWavesPerEU: 31
; NumVGPRsForWavesPerEU: 54
; AccumOffset: 56
; Occupancy: 8
; WaveLimiterHint : 0
; COMPUTE_PGM_RSRC2:SCRATCH_EN: 0
; COMPUTE_PGM_RSRC2:USER_SGPR: 6
; COMPUTE_PGM_RSRC2:TRAP_HANDLER: 0
; COMPUTE_PGM_RSRC2:TGID_X_EN: 1
; COMPUTE_PGM_RSRC2:TGID_Y_EN: 0
; COMPUTE_PGM_RSRC2:TGID_Z_EN: 0
; COMPUTE_PGM_RSRC2:TIDIG_COMP_CNT: 0
; COMPUTE_PGM_RSRC3_GFX90A:ACCUM_OFFSET: 13
; COMPUTE_PGM_RSRC3_GFX90A:TG_SPLIT: 0
	.section	.text._ZN2at6native12_GLOBAL__N_125multi_tensor_apply_kernelINS1_18TensorListMetadataILi2EEENS1_14UnaryOpFunctorIN3c107complexIdEELi2ELi1ELi1EEEJNS0_4SinhIS8_EEEEEvT_T0_DpT1_,"axG",@progbits,_ZN2at6native12_GLOBAL__N_125multi_tensor_apply_kernelINS1_18TensorListMetadataILi2EEENS1_14UnaryOpFunctorIN3c107complexIdEELi2ELi1ELi1EEEJNS0_4SinhIS8_EEEEEvT_T0_DpT1_,comdat
	.globl	_ZN2at6native12_GLOBAL__N_125multi_tensor_apply_kernelINS1_18TensorListMetadataILi2EEENS1_14UnaryOpFunctorIN3c107complexIdEELi2ELi1ELi1EEEJNS0_4SinhIS8_EEEEEvT_T0_DpT1_ ; -- Begin function _ZN2at6native12_GLOBAL__N_125multi_tensor_apply_kernelINS1_18TensorListMetadataILi2EEENS1_14UnaryOpFunctorIN3c107complexIdEELi2ELi1ELi1EEEJNS0_4SinhIS8_EEEEEvT_T0_DpT1_
	.p2align	8
	.type	_ZN2at6native12_GLOBAL__N_125multi_tensor_apply_kernelINS1_18TensorListMetadataILi2EEENS1_14UnaryOpFunctorIN3c107complexIdEELi2ELi1ELi1EEEJNS0_4SinhIS8_EEEEEvT_T0_DpT1_,@function
_ZN2at6native12_GLOBAL__N_125multi_tensor_apply_kernelINS1_18TensorListMetadataILi2EEENS1_14UnaryOpFunctorIN3c107complexIdEELi2ELi1ELi1EEEJNS0_4SinhIS8_EEEEEvT_T0_DpT1_: ; @_ZN2at6native12_GLOBAL__N_125multi_tensor_apply_kernelINS1_18TensorListMetadataILi2EEENS1_14UnaryOpFunctorIN3c107complexIdEELi2ELi1ELi1EEEJNS0_4SinhIS8_EEEEEvT_T0_DpT1_
; %bb.0:
	v_mov_b32_e32 v50, v0
	v_mov_b32_e32 v0, s8
	global_load_ubyte v0, v0, s[4:5] offset:1536
	s_add_u32 flat_scratch_lo, s6, s9
	s_addc_u32 flat_scratch_hi, s7, 0
	s_add_u32 s0, s0, s9
	s_addc_u32 s1, s1, 0
	s_mov_b64 s[40:41], s[4:5]
	s_add_u32 s4, s40, s8
	s_mul_hi_u32 s6, s8, 3
	s_mul_i32 s8, s8, 3
	s_addc_u32 s9, s41, 0
	s_add_u32 s8, s4, s8
	s_addc_u32 s9, s9, s6
	s_load_dword s8, s[8:9], 0x740
	s_mov_b32 s5, 0
	s_mov_b32 s7, s5
	;; [unrolled: 1-line block ×4, first 2 shown]
	s_waitcnt lgkmcnt(0)
	s_ashr_i32 s9, s8, 31
	s_lshl_b64 s[46:47], s[8:9], 20
	s_waitcnt vmcnt(0)
	v_readfirstlane_b32 s4, v0
	s_lshl_b32 s4, s4, 3
	s_load_dwordx2 s[44:45], s[40:41], s4 offset:0x0
	s_load_dwordx2 s[10:11], s[40:41], s4 offset:0x400
	;; [unrolled: 1-line block ×3, first 2 shown]
	s_waitcnt lgkmcnt(0)
	s_add_u32 s33, s44, s46
	s_addc_u32 s56, s45, s47
	s_add_u32 s57, s42, s46
	s_addc_u32 s58, s43, s47
	s_and_b32 s6, s33, 63
	s_and_b32 s12, s10, 3
	;; [unrolled: 1-line block ×3, first 2 shown]
	s_or_b64 s[6:7], s[6:7], s[12:13]
	s_lshl_b64 s[8:9], s[8:9], 16
	s_or_b64 s[6:7], s[4:5], s[6:7]
	s_sub_u32 s48, s10, s8
	s_subb_u32 s49, s11, s9
	s_cmp_eq_u64 s[6:7], 0
	s_mov_b64 s[6:7], -1
	s_cbranch_scc0 .LBB120_5
; %bb.1:
	v_mov_b32_e32 v57, 0
	v_lshlrev_b32_e32 v56, 2, v50
	v_cmp_gt_i64_e32 vcc, s[48:49], v[56:57]
	s_and_saveexec_b64 s[50:51], vcc
	s_cbranch_execz .LBB120_4
; %bb.2:
	s_load_dword s4, s[40:41], 0xc5c
	v_lshlrev_b32_e32 v58, 6, v50
	s_mov_b64 s[52:53], 0
	s_mov_b64 s[54:55], 0xffff
	v_mov_b32_e32 v51, s5
	s_waitcnt lgkmcnt(0)
	s_and_b32 s4, s4, 0xffff
	v_add_lshl_u32 v56, v50, s4, 2
	s_lshl_b32 s59, s4, 2
	s_lshl_b32 s60, s4, 6
.LBB120_3:                              ; =>This Inner Loop Header: Depth=1
	v_mov_b32_e32 v0, s56
	v_add_co_u32_e32 v4, vcc, s33, v58
	v_addc_co_u32_e32 v5, vcc, 0, v0, vcc
	global_load_dwordx4 v[0:3], v[4:5], off
	global_load_dwordx4 v[38:41], v[4:5], off offset:16
	global_load_dwordx4 v[42:45], v[4:5], off offset:48
	;; [unrolled: 1-line block ×3, first 2 shown]
	s_getpc_b64 s[62:63]
	s_add_u32 s62, s62, _ZN6thrust23THRUST_200600_302600_NS6detail7complex5csinhERKNS0_7complexIdEE@rel32@lo+4
	s_addc_u32 s63, s63, _ZN6thrust23THRUST_200600_302600_NS6detail7complex5csinhERKNS0_7complexIdEE@rel32@hi+12
	s_swappc_b64 s[30:31], s[62:63]
	v_mov_b32_e32 v52, v0
	v_mov_b32_e32 v53, v1
	v_mov_b32_e32 v54, v2
	v_mov_b32_e32 v55, v3
	v_mov_b32_e32 v0, v38
	v_mov_b32_e32 v1, v39
	v_mov_b32_e32 v2, v40
	v_mov_b32_e32 v3, v41
	s_swappc_b64 s[30:31], s[62:63]
	v_mov_b32_e32 v38, v0
	v_mov_b32_e32 v39, v1
	v_mov_b32_e32 v40, v2
	v_mov_b32_e32 v41, v3
	v_mov_b32_e32 v0, v46
	v_mov_b32_e32 v1, v47
	v_mov_b32_e32 v2, v48
	v_mov_b32_e32 v3, v49
	;; [unrolled: 9-line block ×3, first 2 shown]
	s_swappc_b64 s[30:31], s[62:63]
	v_cmp_le_i64_e32 vcc, s[48:49], v[56:57]
	v_cmp_lt_u64_e64 s[4:5], s[54:55], v[56:57]
	s_or_b64 s[4:5], vcc, s[4:5]
	v_add_co_u32_e64 v56, s[6:7], s59, v56
	s_add_u32 s33, s33, s60
	v_addc_co_u32_e64 v57, s[6:7], v57, v51, s[6:7]
	s_addc_u32 s56, s56, 0
	v_add_co_u32_e64 v4, s[6:7], s57, v58
	s_add_u32 s57, s57, s60
	v_mov_b32_e32 v5, s58
	s_addc_u32 s58, s58, 0
	s_and_b64 s[4:5], exec, s[4:5]
	v_addc_co_u32_e64 v5, s[6:7], 0, v5, s[6:7]
	s_or_b64 s[52:53], s[4:5], s[52:53]
	global_store_dwordx4 v[4:5], v[52:55], off
	global_store_dwordx4 v[4:5], v[38:41], off offset:16
	global_store_dwordx4 v[4:5], v[46:49], off offset:32
	;; [unrolled: 1-line block ×3, first 2 shown]
	s_andn2_b64 exec, exec, s[52:53]
	s_cbranch_execnz .LBB120_3
.LBB120_4:
	s_or_b64 exec, exec, s[50:51]
	s_mov_b64 s[6:7], 0
.LBB120_5:
	s_andn2_b64 vcc, exec, s[6:7]
	s_cbranch_vccnz .LBB120_25
; %bb.6:
	v_cmp_lt_i64_e64 s[4:5], s[48:49], 1
	s_and_b64 vcc, exec, s[4:5]
	s_cbranch_vccnz .LBB120_25
; %bb.7:
	s_load_dword s4, s[40:41], 0xc5c
	v_mov_b32_e32 v0, 0x10000
	v_mov_b32_e32 v1, 0
	v_cmp_lt_u64_e32 vcc, s[48:49], v[0:1]
	v_lshl_or_b32 v0, v50, 4, 8
	s_waitcnt lgkmcnt(0)
	s_and_b32 s58, s4, 0xffff
	s_and_b64 s[4:5], vcc, exec
	v_mov_b32_e32 v4, s45
	v_add_co_u32_e32 v52, vcc, s44, v0
	v_addc_co_u32_e32 v53, vcc, 0, v4, vcc
	v_mov_b32_e32 v5, s43
	v_add_co_u32_e32 v54, vcc, s42, v0
	v_mov_b32_e32 v51, 0
	v_addc_co_u32_e32 v55, vcc, 0, v5, vcc
	v_add_lshl_u32 v6, v50, s58, 4
	v_mov_b32_e32 v1, v51
	v_add_co_u32_e32 v56, vcc, s42, v6
	v_addc_co_u32_e32 v57, vcc, 0, v5, vcc
	v_mad_u64_u32 v[2:3], s[4:5], s58, 48, v[0:1]
	v_add_co_u32_e32 v58, vcc, s44, v2
	v_addc_co_u32_e32 v59, vcc, v4, v3, vcc
	v_add_co_u32_e32 v60, vcc, s44, v6
	v_addc_co_u32_e32 v61, vcc, 0, v4, vcc
	v_add_co_u32_e32 v62, vcc, s42, v2
	s_cselect_b32 s51, s49, 0
	s_cselect_b32 s50, s48, 0x10000
	v_addc_co_u32_e32 v63, vcc, v5, v3, vcc
	s_lshl_b32 s4, s58, 5
	v_add_co_u32_e32 v0, vcc, s4, v0
	v_addc_co_u32_e64 v1, s[4:5], 0, 0, vcc
	v_add_co_u32_e32 v64, vcc, s44, v0
	s_mov_b32 s33, 0
	v_addc_co_u32_e32 v65, vcc, v4, v1, vcc
	s_lshl_b32 s52, s58, 2
	s_mov_b32 s53, s33
	v_add_co_u32_e32 v66, vcc, s42, v0
	s_lshl_b32 s59, s58, 1
	s_mov_b32 s60, s33
	s_mul_i32 s61, s58, 3
	s_mov_b32 s62, s33
	s_lshl_b32 s63, s58, 6
	s_mov_b32 s64, s33
	v_addc_co_u32_e32 v67, vcc, v5, v1, vcc
	s_mov_b64 s[54:55], s[52:53]
	s_branch .LBB120_9
.LBB120_8:                              ;   in Loop: Header=BB120_9 Depth=1
	s_or_b64 exec, exec, s[40:41]
	s_waitcnt vmcnt(0)
	v_pk_mov_b32 v[0:1], s[48:49], s[48:49] op_sel:[0,1]
	v_cmp_ge_i64_e32 vcc, s[54:55], v[0:1]
	v_mov_b32_e32 v0, 0xffff
	v_mov_b32_e32 v1, 0
	v_cmp_gt_u64_e64 s[4:5], s[54:55], v[0:1]
	s_or_b64 s[4:5], vcc, s[4:5]
	v_mov_b32_e32 v0, s53
	v_add_co_u32_e32 v50, vcc, s52, v50
	v_addc_co_u32_e32 v51, vcc, v51, v0, vcc
	v_mov_b32_e32 v0, s64
	v_add_co_u32_e32 v52, vcc, s63, v52
	v_addc_co_u32_e32 v53, vcc, v53, v0, vcc
	v_add_co_u32_e32 v54, vcc, s63, v54
	v_addc_co_u32_e32 v55, vcc, v55, v0, vcc
	v_add_co_u32_e32 v56, vcc, s63, v56
	v_addc_co_u32_e32 v57, vcc, v57, v0, vcc
	v_add_co_u32_e32 v58, vcc, s63, v58
	v_addc_co_u32_e32 v59, vcc, v59, v0, vcc
	v_add_co_u32_e32 v60, vcc, s63, v60
	v_addc_co_u32_e32 v61, vcc, v61, v0, vcc
	v_add_co_u32_e32 v62, vcc, s63, v62
	v_addc_co_u32_e32 v63, vcc, v63, v0, vcc
	v_add_co_u32_e32 v64, vcc, s63, v64
	v_addc_co_u32_e32 v65, vcc, v65, v0, vcc
	v_add_co_u32_e32 v66, vcc, s63, v66
	s_add_u32 s54, s54, s52
	v_addc_co_u32_e32 v67, vcc, v67, v0, vcc
	s_addc_u32 s55, s55, 0
	s_and_b64 vcc, exec, s[4:5]
	s_cbranch_vccnz .LBB120_25
.LBB120_9:                              ; =>This Inner Loop Header: Depth=1
	v_pk_mov_b32 v[44:45], 0, 0
	v_cmp_gt_u64_e32 vcc, s[50:51], v[50:51]
	v_pk_mov_b32 v[2:3], v[44:45], v[44:45] op_sel:[0,1]
	v_pk_mov_b32 v[0:1], v[44:45], v[44:45] op_sel:[0,1]
	s_and_saveexec_b64 s[6:7], vcc
	s_cbranch_execz .LBB120_11
; %bb.10:                               ;   in Loop: Header=BB120_9 Depth=1
	v_mov_b32_e32 v1, s47
	v_add_co_u32_e64 v0, s[4:5], s46, v52
	v_addc_co_u32_e64 v1, s[4:5], v53, v1, s[4:5]
	global_load_dwordx4 v[0:3], v[0:1], off offset:-8
.LBB120_11:                             ;   in Loop: Header=BB120_9 Depth=1
	s_or_b64 exec, exec, s[6:7]
	v_mov_b32_e32 v5, s33
	v_add_co_u32_e64 v4, s[4:5], s58, v50
	v_addc_co_u32_e64 v5, s[4:5], v5, v51, s[4:5]
	v_cmp_gt_u64_e64 s[44:45], s[50:51], v[4:5]
	v_pk_mov_b32 v[42:43], v[44:45], v[44:45] op_sel:[0,1]
	s_and_saveexec_b64 s[6:7], s[44:45]
	s_cbranch_execz .LBB120_13
; %bb.12:                               ;   in Loop: Header=BB120_9 Depth=1
	v_mov_b32_e32 v5, s47
	v_add_co_u32_e64 v4, s[4:5], s46, v60
	v_addc_co_u32_e64 v5, s[4:5], v61, v5, s[4:5]
	global_load_dwordx4 v[42:45], v[4:5], off
.LBB120_13:                             ;   in Loop: Header=BB120_9 Depth=1
	s_or_b64 exec, exec, s[6:7]
	v_mov_b32_e32 v5, s60
	v_add_co_u32_e64 v4, s[4:5], s59, v50
	v_addc_co_u32_e64 v5, s[4:5], v5, v51, s[4:5]
	v_pk_mov_b32 v[40:41], 0, 0
	v_cmp_gt_u64_e64 s[40:41], s[50:51], v[4:5]
	v_pk_mov_b32 v[48:49], v[40:41], v[40:41] op_sel:[0,1]
	v_pk_mov_b32 v[46:47], v[40:41], v[40:41] op_sel:[0,1]
	s_and_saveexec_b64 s[6:7], s[40:41]
	s_cbranch_execz .LBB120_15
; %bb.14:                               ;   in Loop: Header=BB120_9 Depth=1
	v_mov_b32_e32 v5, s47
	v_add_co_u32_e64 v4, s[4:5], s46, v64
	v_addc_co_u32_e64 v5, s[4:5], v65, v5, s[4:5]
	global_load_dwordx4 v[46:49], v[4:5], off offset:-8
.LBB120_15:                             ;   in Loop: Header=BB120_9 Depth=1
	s_or_b64 exec, exec, s[6:7]
	v_mov_b32_e32 v5, s62
	v_add_co_u32_e64 v4, s[4:5], s61, v50
	v_addc_co_u32_e64 v5, s[4:5], v5, v51, s[4:5]
	v_cmp_gt_u64_e64 s[42:43], s[50:51], v[4:5]
	v_pk_mov_b32 v[38:39], v[40:41], v[40:41] op_sel:[0,1]
	s_and_saveexec_b64 s[6:7], s[42:43]
	s_cbranch_execnz .LBB120_20
; %bb.16:                               ;   in Loop: Header=BB120_9 Depth=1
	s_or_b64 exec, exec, s[6:7]
	s_and_saveexec_b64 s[56:57], vcc
	s_cbranch_execnz .LBB120_21
.LBB120_17:                             ;   in Loop: Header=BB120_9 Depth=1
	s_or_b64 exec, exec, s[56:57]
	s_and_saveexec_b64 s[56:57], s[44:45]
	s_cbranch_execnz .LBB120_22
.LBB120_18:                             ;   in Loop: Header=BB120_9 Depth=1
	s_or_b64 exec, exec, s[56:57]
	s_and_saveexec_b64 s[44:45], s[40:41]
	s_cbranch_execnz .LBB120_23
.LBB120_19:                             ;   in Loop: Header=BB120_9 Depth=1
	s_or_b64 exec, exec, s[44:45]
	s_and_saveexec_b64 s[40:41], s[42:43]
	s_cbranch_execz .LBB120_8
	s_branch .LBB120_24
.LBB120_20:                             ;   in Loop: Header=BB120_9 Depth=1
	v_mov_b32_e32 v5, s47
	v_add_co_u32_e64 v4, s[4:5], s46, v58
	v_addc_co_u32_e64 v5, s[4:5], v59, v5, s[4:5]
	global_load_dwordx4 v[38:41], v[4:5], off offset:-8
	s_or_b64 exec, exec, s[6:7]
	s_and_saveexec_b64 s[56:57], vcc
	s_cbranch_execz .LBB120_17
.LBB120_21:                             ;   in Loop: Header=BB120_9 Depth=1
	s_getpc_b64 s[4:5]
	s_add_u32 s4, s4, _ZN6thrust23THRUST_200600_302600_NS6detail7complex5csinhERKNS0_7complexIdEE@rel32@lo+4
	s_addc_u32 s5, s5, _ZN6thrust23THRUST_200600_302600_NS6detail7complex5csinhERKNS0_7complexIdEE@rel32@hi+12
	s_swappc_b64 s[30:31], s[4:5]
	v_mov_b32_e32 v5, s47
	v_add_co_u32_e32 v4, vcc, s46, v54
	v_addc_co_u32_e32 v5, vcc, v55, v5, vcc
	global_store_dwordx4 v[4:5], v[0:3], off offset:-8
	s_or_b64 exec, exec, s[56:57]
	s_and_saveexec_b64 s[56:57], s[44:45]
	s_cbranch_execz .LBB120_18
.LBB120_22:                             ;   in Loop: Header=BB120_9 Depth=1
	s_waitcnt vmcnt(0)
	v_mov_b32_e32 v0, v42
	v_mov_b32_e32 v1, v43
	v_mov_b32_e32 v2, v44
	v_mov_b32_e32 v3, v45
	s_getpc_b64 s[4:5]
	s_add_u32 s4, s4, _ZN6thrust23THRUST_200600_302600_NS6detail7complex5csinhERKNS0_7complexIdEE@rel32@lo+4
	s_addc_u32 s5, s5, _ZN6thrust23THRUST_200600_302600_NS6detail7complex5csinhERKNS0_7complexIdEE@rel32@hi+12
	s_swappc_b64 s[30:31], s[4:5]
	v_mov_b32_e32 v5, s47
	v_add_co_u32_e32 v4, vcc, s46, v56
	v_addc_co_u32_e32 v5, vcc, v57, v5, vcc
	global_store_dwordx4 v[4:5], v[0:3], off
	s_or_b64 exec, exec, s[56:57]
	s_and_saveexec_b64 s[44:45], s[40:41]
	s_cbranch_execz .LBB120_19
.LBB120_23:                             ;   in Loop: Header=BB120_9 Depth=1
	s_waitcnt vmcnt(0)
	v_mov_b32_e32 v0, v46
	v_mov_b32_e32 v1, v47
	;; [unrolled: 1-line block ×4, first 2 shown]
	s_getpc_b64 s[4:5]
	s_add_u32 s4, s4, _ZN6thrust23THRUST_200600_302600_NS6detail7complex5csinhERKNS0_7complexIdEE@rel32@lo+4
	s_addc_u32 s5, s5, _ZN6thrust23THRUST_200600_302600_NS6detail7complex5csinhERKNS0_7complexIdEE@rel32@hi+12
	s_swappc_b64 s[30:31], s[4:5]
	v_mov_b32_e32 v5, s47
	v_add_co_u32_e32 v4, vcc, s46, v66
	v_addc_co_u32_e32 v5, vcc, v67, v5, vcc
	global_store_dwordx4 v[4:5], v[0:3], off offset:-8
	s_or_b64 exec, exec, s[44:45]
	s_and_saveexec_b64 s[40:41], s[42:43]
	s_cbranch_execz .LBB120_8
.LBB120_24:                             ;   in Loop: Header=BB120_9 Depth=1
	s_waitcnt vmcnt(0)
	v_mov_b32_e32 v0, v38
	v_mov_b32_e32 v1, v39
	;; [unrolled: 1-line block ×4, first 2 shown]
	s_getpc_b64 s[4:5]
	s_add_u32 s4, s4, _ZN6thrust23THRUST_200600_302600_NS6detail7complex5csinhERKNS0_7complexIdEE@rel32@lo+4
	s_addc_u32 s5, s5, _ZN6thrust23THRUST_200600_302600_NS6detail7complex5csinhERKNS0_7complexIdEE@rel32@hi+12
	s_swappc_b64 s[30:31], s[4:5]
	v_mov_b32_e32 v5, s47
	v_add_co_u32_e32 v4, vcc, s46, v62
	v_addc_co_u32_e32 v5, vcc, v63, v5, vcc
	global_store_dwordx4 v[4:5], v[0:3], off offset:-8
	s_branch .LBB120_8
.LBB120_25:
	s_endpgm
	.section	.rodata,"a",@progbits
	.p2align	6, 0x0
	.amdhsa_kernel _ZN2at6native12_GLOBAL__N_125multi_tensor_apply_kernelINS1_18TensorListMetadataILi2EEENS1_14UnaryOpFunctorIN3c107complexIdEELi2ELi1ELi1EEEJNS0_4SinhIS8_EEEEEvT_T0_DpT1_
		.amdhsa_group_segment_fixed_size 0
		.amdhsa_private_segment_fixed_size 8
		.amdhsa_kernarg_size 3408
		.amdhsa_user_sgpr_count 8
		.amdhsa_user_sgpr_private_segment_buffer 1
		.amdhsa_user_sgpr_dispatch_ptr 0
		.amdhsa_user_sgpr_queue_ptr 0
		.amdhsa_user_sgpr_kernarg_segment_ptr 1
		.amdhsa_user_sgpr_dispatch_id 0
		.amdhsa_user_sgpr_flat_scratch_init 1
		.amdhsa_user_sgpr_kernarg_preload_length 0
		.amdhsa_user_sgpr_kernarg_preload_offset 0
		.amdhsa_user_sgpr_private_segment_size 0
		.amdhsa_uses_dynamic_stack 0
		.amdhsa_system_sgpr_private_segment_wavefront_offset 1
		.amdhsa_system_sgpr_workgroup_id_x 1
		.amdhsa_system_sgpr_workgroup_id_y 0
		.amdhsa_system_sgpr_workgroup_id_z 0
		.amdhsa_system_sgpr_workgroup_info 0
		.amdhsa_system_vgpr_workitem_id 0
		.amdhsa_next_free_vgpr 68
		.amdhsa_next_free_sgpr 65
		.amdhsa_accum_offset 68
		.amdhsa_reserve_vcc 1
		.amdhsa_reserve_flat_scratch 1
		.amdhsa_float_round_mode_32 0
		.amdhsa_float_round_mode_16_64 0
		.amdhsa_float_denorm_mode_32 3
		.amdhsa_float_denorm_mode_16_64 3
		.amdhsa_dx10_clamp 1
		.amdhsa_ieee_mode 1
		.amdhsa_fp16_overflow 0
		.amdhsa_tg_split 0
		.amdhsa_exception_fp_ieee_invalid_op 0
		.amdhsa_exception_fp_denorm_src 0
		.amdhsa_exception_fp_ieee_div_zero 0
		.amdhsa_exception_fp_ieee_overflow 0
		.amdhsa_exception_fp_ieee_underflow 0
		.amdhsa_exception_fp_ieee_inexact 0
		.amdhsa_exception_int_div_zero 0
	.end_amdhsa_kernel
	.section	.text._ZN2at6native12_GLOBAL__N_125multi_tensor_apply_kernelINS1_18TensorListMetadataILi2EEENS1_14UnaryOpFunctorIN3c107complexIdEELi2ELi1ELi1EEEJNS0_4SinhIS8_EEEEEvT_T0_DpT1_,"axG",@progbits,_ZN2at6native12_GLOBAL__N_125multi_tensor_apply_kernelINS1_18TensorListMetadataILi2EEENS1_14UnaryOpFunctorIN3c107complexIdEELi2ELi1ELi1EEEJNS0_4SinhIS8_EEEEEvT_T0_DpT1_,comdat
.Lfunc_end120:
	.size	_ZN2at6native12_GLOBAL__N_125multi_tensor_apply_kernelINS1_18TensorListMetadataILi2EEENS1_14UnaryOpFunctorIN3c107complexIdEELi2ELi1ELi1EEEJNS0_4SinhIS8_EEEEEvT_T0_DpT1_, .Lfunc_end120-_ZN2at6native12_GLOBAL__N_125multi_tensor_apply_kernelINS1_18TensorListMetadataILi2EEENS1_14UnaryOpFunctorIN3c107complexIdEELi2ELi1ELi1EEEJNS0_4SinhIS8_EEEEEvT_T0_DpT1_
                                        ; -- End function
	.section	.AMDGPU.csdata,"",@progbits
; Kernel info:
; codeLenInByte = 1604
; NumSgprs: 71
; NumVgprs: 68
; NumAgprs: 0
; TotalNumVgprs: 68
; ScratchSize: 8
; MemoryBound: 1
; FloatMode: 240
; IeeeMode: 1
; LDSByteSize: 0 bytes/workgroup (compile time only)
; SGPRBlocks: 8
; VGPRBlocks: 8
; NumSGPRsForWavesPerEU: 71
; NumVGPRsForWavesPerEU: 68
; AccumOffset: 68
; Occupancy: 7
; WaveLimiterHint : 0
; COMPUTE_PGM_RSRC2:SCRATCH_EN: 1
; COMPUTE_PGM_RSRC2:USER_SGPR: 8
; COMPUTE_PGM_RSRC2:TRAP_HANDLER: 0
; COMPUTE_PGM_RSRC2:TGID_X_EN: 1
; COMPUTE_PGM_RSRC2:TGID_Y_EN: 0
; COMPUTE_PGM_RSRC2:TGID_Z_EN: 0
; COMPUTE_PGM_RSRC2:TIDIG_COMP_CNT: 0
; COMPUTE_PGM_RSRC3_GFX90A:ACCUM_OFFSET: 16
; COMPUTE_PGM_RSRC3_GFX90A:TG_SPLIT: 0
	.section	.text._ZN2at6native12_GLOBAL__N_125multi_tensor_apply_kernelINS1_18TensorListMetadataILi2EEENS1_14UnaryOpFunctorIN3c107complexIfEELi2ELi1ELi1EEEJNS0_4SinhIS8_EEEEEvT_T0_DpT1_,"axG",@progbits,_ZN2at6native12_GLOBAL__N_125multi_tensor_apply_kernelINS1_18TensorListMetadataILi2EEENS1_14UnaryOpFunctorIN3c107complexIfEELi2ELi1ELi1EEEJNS0_4SinhIS8_EEEEEvT_T0_DpT1_,comdat
	.globl	_ZN2at6native12_GLOBAL__N_125multi_tensor_apply_kernelINS1_18TensorListMetadataILi2EEENS1_14UnaryOpFunctorIN3c107complexIfEELi2ELi1ELi1EEEJNS0_4SinhIS8_EEEEEvT_T0_DpT1_ ; -- Begin function _ZN2at6native12_GLOBAL__N_125multi_tensor_apply_kernelINS1_18TensorListMetadataILi2EEENS1_14UnaryOpFunctorIN3c107complexIfEELi2ELi1ELi1EEEJNS0_4SinhIS8_EEEEEvT_T0_DpT1_
	.p2align	8
	.type	_ZN2at6native12_GLOBAL__N_125multi_tensor_apply_kernelINS1_18TensorListMetadataILi2EEENS1_14UnaryOpFunctorIN3c107complexIfEELi2ELi1ELi1EEEJNS0_4SinhIS8_EEEEEvT_T0_DpT1_,@function
_ZN2at6native12_GLOBAL__N_125multi_tensor_apply_kernelINS1_18TensorListMetadataILi2EEENS1_14UnaryOpFunctorIN3c107complexIfEELi2ELi1ELi1EEEJNS0_4SinhIS8_EEEEEvT_T0_DpT1_: ; @_ZN2at6native12_GLOBAL__N_125multi_tensor_apply_kernelINS1_18TensorListMetadataILi2EEENS1_14UnaryOpFunctorIN3c107complexIfEELi2ELi1ELi1EEEJNS0_4SinhIS8_EEEEEvT_T0_DpT1_
; %bb.0:
	v_mov_b32_e32 v22, v0
	v_mov_b32_e32 v0, s8
	global_load_ubyte v0, v0, s[4:5] offset:1536
	s_add_u32 flat_scratch_lo, s6, s9
	s_addc_u32 flat_scratch_hi, s7, 0
	s_add_u32 s0, s0, s9
	s_addc_u32 s1, s1, 0
	s_mov_b64 s[26:27], s[4:5]
	s_add_u32 s4, s26, s8
	s_mul_hi_u32 s6, s8, 3
	s_mul_i32 s8, s8, 3
	s_addc_u32 s9, s27, 0
	s_add_u32 s8, s4, s8
	s_addc_u32 s9, s9, s6
	s_load_dword s8, s[8:9], 0x740
	s_mov_b32 s5, 0
	s_mov_b32 s7, s5
	;; [unrolled: 1-line block ×4, first 2 shown]
	s_waitcnt lgkmcnt(0)
	s_ashr_i32 s9, s8, 31
	s_lshl_b64 s[36:37], s[8:9], 19
	s_waitcnt vmcnt(0)
	v_readfirstlane_b32 s4, v0
	s_lshl_b32 s4, s4, 3
	s_load_dwordx2 s[28:29], s[26:27], s4 offset:0x0
	s_load_dwordx2 s[10:11], s[26:27], s4 offset:0x400
	;; [unrolled: 1-line block ×3, first 2 shown]
	s_waitcnt lgkmcnt(0)
	s_add_u32 s33, s28, s36
	s_addc_u32 s46, s29, s37
	s_add_u32 s47, s34, s36
	s_addc_u32 s48, s35, s37
	s_and_b32 s6, s33, 31
	s_and_b32 s12, s10, 3
	;; [unrolled: 1-line block ×3, first 2 shown]
	s_or_b64 s[6:7], s[6:7], s[12:13]
	s_lshl_b64 s[8:9], s[8:9], 16
	s_or_b64 s[6:7], s[4:5], s[6:7]
	s_sub_u32 s38, s10, s8
	s_subb_u32 s39, s11, s9
	s_cmp_eq_u64 s[6:7], 0
	s_mov_b64 s[6:7], -1
	s_cbranch_scc0 .LBB121_5
; %bb.1:
	v_mov_b32_e32 v33, 0
	v_lshlrev_b32_e32 v32, 2, v22
	v_cmp_gt_i64_e32 vcc, s[38:39], v[32:33]
	s_and_saveexec_b64 s[40:41], vcc
	s_cbranch_execz .LBB121_4
; %bb.2:
	s_load_dword s4, s[26:27], 0xc5c
	v_lshlrev_b32_e32 v34, 5, v22
	s_mov_b64 s[42:43], 0
	s_mov_b64 s[44:45], 0xffff
	v_mov_b32_e32 v21, s5
	s_waitcnt lgkmcnt(0)
	s_and_b32 s4, s4, 0xffff
	v_add_lshl_u32 v32, v22, s4, 2
	s_lshl_b32 s49, s4, 2
	s_lshl_b32 s50, s4, 5
.LBB121_3:                              ; =>This Inner Loop Header: Depth=1
	v_mov_b32_e32 v1, s46
	v_add_co_u32_e32 v0, vcc, s33, v34
	v_addc_co_u32_e32 v1, vcc, 0, v1, vcc
	global_load_dwordx4 v[24:27], v[0:1], off
	global_load_dwordx4 v[28:31], v[0:1], off offset:16
	s_getpc_b64 s[52:53]
	s_add_u32 s52, s52, _ZN6thrust23THRUST_200600_302600_NS6detail7complex6csinhfERKNS0_7complexIfEE@rel32@lo+4
	s_addc_u32 s53, s53, _ZN6thrust23THRUST_200600_302600_NS6detail7complex6csinhfERKNS0_7complexIfEE@rel32@hi+12
	s_waitcnt vmcnt(1)
	v_mov_b32_e32 v0, v24
	v_mov_b32_e32 v1, v25
	s_swappc_b64 s[30:31], s[52:53]
	v_mov_b32_e32 v24, v0
	v_mov_b32_e32 v25, v1
	v_mov_b32_e32 v0, v26
	v_mov_b32_e32 v1, v27
	s_swappc_b64 s[30:31], s[52:53]
	v_mov_b32_e32 v26, v0
	v_mov_b32_e32 v27, v1
	;; [unrolled: 5-line block ×3, first 2 shown]
	v_mov_b32_e32 v0, v30
	v_mov_b32_e32 v1, v31
	s_swappc_b64 s[30:31], s[52:53]
	v_cmp_le_i64_e32 vcc, s[38:39], v[32:33]
	v_cmp_lt_u64_e64 s[4:5], s[44:45], v[32:33]
	s_or_b64 s[4:5], vcc, s[4:5]
	v_add_co_u32_e64 v32, s[6:7], s49, v32
	s_add_u32 s33, s33, s50
	v_addc_co_u32_e64 v33, s[6:7], v33, v21, s[6:7]
	s_addc_u32 s46, s46, 0
	v_mov_b32_e32 v30, v0
	v_add_co_u32_e64 v0, s[6:7], s47, v34
	s_add_u32 s47, s47, s50
	v_mov_b32_e32 v31, v1
	v_mov_b32_e32 v1, s48
	s_addc_u32 s48, s48, 0
	s_and_b64 s[4:5], exec, s[4:5]
	v_addc_co_u32_e64 v1, s[6:7], 0, v1, s[6:7]
	s_or_b64 s[42:43], s[4:5], s[42:43]
	global_store_dwordx4 v[0:1], v[24:27], off
	global_store_dwordx4 v[0:1], v[28:31], off offset:16
	s_andn2_b64 exec, exec, s[42:43]
	s_cbranch_execnz .LBB121_3
.LBB121_4:
	s_or_b64 exec, exec, s[40:41]
	s_mov_b64 s[6:7], 0
.LBB121_5:
	s_andn2_b64 vcc, exec, s[6:7]
	s_cbranch_vccnz .LBB121_25
; %bb.6:
	v_cmp_lt_i64_e64 s[4:5], s[38:39], 1
	s_and_b64 vcc, exec, s[4:5]
	s_cbranch_vccnz .LBB121_25
; %bb.7:
	s_load_dword s4, s[26:27], 0xc5c
	v_mov_b32_e32 v0, 0x10000
	v_mov_b32_e32 v1, 0
	v_cmp_lt_u64_e32 vcc, s[38:39], v[0:1]
	v_lshlrev_b32_e32 v0, 3, v22
	s_waitcnt lgkmcnt(0)
	s_and_b32 s33, s4, 0xffff
	s_and_b64 s[4:5], vcc, exec
	v_mov_b32_e32 v4, s29
	v_add_co_u32_e32 v30, vcc, s28, v0
	v_addc_co_u32_e32 v31, vcc, 0, v4, vcc
	v_mov_b32_e32 v5, s35
	v_add_co_u32_e32 v2, vcc, s34, v0
	v_mov_b32_e32 v23, 0
	v_addc_co_u32_e32 v3, vcc, 0, v5, vcc
	v_mov_b32_e32 v1, v23
	v_add_co_u32_e32 v32, vcc, 4, v2
	v_addc_co_u32_e32 v33, vcc, 0, v3, vcc
	v_mad_u64_u32 v[2:3], s[4:5], s33, 24, v[0:1]
	v_add_co_u32_e32 v34, vcc, s28, v2
	v_addc_co_u32_e32 v35, vcc, v4, v3, vcc
	v_add_co_u32_e32 v1, vcc, s34, v2
	v_addc_co_u32_e32 v2, vcc, v3, v5, vcc
	v_add_co_u32_e32 v36, vcc, 4, v1
	s_cselect_b32 s41, s39, 0
	s_cselect_b32 s40, s38, 0x10000
	v_addc_co_u32_e32 v37, vcc, 0, v2, vcc
	s_lshl_b32 s4, s33, 4
	v_add_co_u32_e32 v0, vcc, s4, v0
	v_addc_co_u32_e64 v1, s[4:5], 0, 0, vcc
	v_add_co_u32_e32 v38, vcc, s28, v0
	v_addc_co_u32_e32 v39, vcc, v4, v1, vcc
	v_add_lshl_u32 v2, v22, s33, 3
	v_mov_b32_e32 v3, s35
	v_add_co_u32_e32 v40, vcc, s34, v2
	v_addc_co_u32_e32 v41, vcc, 0, v3, vcc
	v_add_co_u32_e32 v0, vcc, s34, v0
	v_addc_co_u32_e32 v1, vcc, v1, v5, vcc
	v_add_co_u32_e32 v42, vcc, 4, v0
	s_mov_b32 s6, 0
	v_addc_co_u32_e32 v43, vcc, 0, v1, vcc
	s_lshl_b32 s42, s33, 2
	s_mov_b32 s43, s6
	v_add_co_u32_e32 v44, vcc, s28, v2
	s_lshl_b32 s48, s33, 1
	s_mov_b32 s49, s6
	s_mul_i32 s50, s33, 3
	s_mov_b32 s51, s6
	s_lshl_b32 s52, s33, 5
	s_mov_b32 s53, s6
	v_addc_co_u32_e32 v45, vcc, 0, v4, vcc
	v_mov_b32_e32 v21, s6
	s_mov_b64 s[44:45], s[42:43]
	s_branch .LBB121_9
.LBB121_8:                              ;   in Loop: Header=BB121_9 Depth=1
	s_or_b64 exec, exec, s[26:27]
	s_waitcnt vmcnt(0)
	v_pk_mov_b32 v[0:1], s[38:39], s[38:39] op_sel:[0,1]
	v_cmp_ge_i64_e32 vcc, s[44:45], v[0:1]
	v_mov_b32_e32 v0, 0xffff
	v_mov_b32_e32 v1, 0
	v_cmp_gt_u64_e64 s[4:5], s[44:45], v[0:1]
	s_or_b64 s[4:5], vcc, s[4:5]
	v_mov_b32_e32 v0, s53
	v_add_co_u32_e32 v30, vcc, s52, v30
	v_addc_co_u32_e32 v31, vcc, v31, v0, vcc
	v_mov_b32_e32 v1, s43
	v_add_co_u32_e32 v22, vcc, s42, v22
	v_addc_co_u32_e32 v23, vcc, v23, v1, vcc
	v_add_co_u32_e32 v32, vcc, s52, v32
	v_addc_co_u32_e32 v33, vcc, v33, v0, vcc
	;; [unrolled: 2-line block ×7, first 2 shown]
	v_add_co_u32_e32 v44, vcc, s52, v44
	s_add_u32 s44, s44, s42
	v_addc_co_u32_e32 v45, vcc, v45, v0, vcc
	s_addc_u32 s45, s45, 0
	s_and_b64 vcc, exec, s[4:5]
	s_cbranch_vccnz .LBB121_25
.LBB121_9:                              ; =>This Inner Loop Header: Depth=1
	v_cmp_gt_u64_e32 vcc, s[40:41], v[22:23]
	v_mov_b32_e32 v0, 0
	v_mov_b32_e32 v1, 0
	s_and_saveexec_b64 s[6:7], vcc
	s_cbranch_execz .LBB121_11
; %bb.10:                               ;   in Loop: Header=BB121_9 Depth=1
	v_mov_b32_e32 v1, s37
	v_add_co_u32_e64 v0, s[4:5], s36, v30
	v_addc_co_u32_e64 v1, s[4:5], v31, v1, s[4:5]
	global_load_dwordx2 v[0:1], v[0:1], off
.LBB121_11:                             ;   in Loop: Header=BB121_9 Depth=1
	s_or_b64 exec, exec, s[6:7]
	v_add_co_u32_e64 v2, s[4:5], s33, v22
	v_addc_co_u32_e64 v3, s[4:5], v21, v23, s[4:5]
	v_cmp_gt_u64_e64 s[26:27], s[40:41], v[2:3]
	v_mov_b32_e32 v24, 0
	v_mov_b32_e32 v26, 0
	;; [unrolled: 1-line block ×3, first 2 shown]
	s_and_saveexec_b64 s[6:7], s[26:27]
	s_cbranch_execz .LBB121_13
; %bb.12:                               ;   in Loop: Header=BB121_9 Depth=1
	v_mov_b32_e32 v3, s37
	v_add_co_u32_e64 v2, s[4:5], s36, v44
	v_addc_co_u32_e64 v3, s[4:5], v45, v3, s[4:5]
	global_load_dwordx2 v[26:27], v[2:3], off
.LBB121_13:                             ;   in Loop: Header=BB121_9 Depth=1
	s_or_b64 exec, exec, s[6:7]
	v_mov_b32_e32 v3, s49
	v_add_co_u32_e64 v2, s[4:5], s48, v22
	v_addc_co_u32_e64 v3, s[4:5], v3, v23, s[4:5]
	v_cmp_gt_u64_e64 s[28:29], s[40:41], v[2:3]
	v_mov_b32_e32 v25, 0
	s_and_saveexec_b64 s[6:7], s[28:29]
	s_cbranch_execz .LBB121_15
; %bb.14:                               ;   in Loop: Header=BB121_9 Depth=1
	v_mov_b32_e32 v3, s37
	v_add_co_u32_e64 v2, s[4:5], s36, v38
	v_addc_co_u32_e64 v3, s[4:5], v39, v3, s[4:5]
	global_load_dwordx2 v[24:25], v[2:3], off
.LBB121_15:                             ;   in Loop: Header=BB121_9 Depth=1
	s_or_b64 exec, exec, s[6:7]
	v_mov_b32_e32 v3, s51
	v_add_co_u32_e64 v2, s[4:5], s50, v22
	v_addc_co_u32_e64 v3, s[4:5], v3, v23, s[4:5]
	v_cmp_gt_u64_e64 s[34:35], s[40:41], v[2:3]
	v_mov_b32_e32 v28, 0
	v_mov_b32_e32 v29, 0
	s_and_saveexec_b64 s[6:7], s[34:35]
	s_cbranch_execnz .LBB121_20
; %bb.16:                               ;   in Loop: Header=BB121_9 Depth=1
	s_or_b64 exec, exec, s[6:7]
	s_and_saveexec_b64 s[46:47], vcc
	s_cbranch_execnz .LBB121_21
.LBB121_17:                             ;   in Loop: Header=BB121_9 Depth=1
	s_or_b64 exec, exec, s[46:47]
	s_and_saveexec_b64 s[46:47], s[26:27]
	s_cbranch_execnz .LBB121_22
.LBB121_18:                             ;   in Loop: Header=BB121_9 Depth=1
	s_or_b64 exec, exec, s[46:47]
	s_and_saveexec_b64 s[26:27], s[28:29]
	s_cbranch_execnz .LBB121_23
.LBB121_19:                             ;   in Loop: Header=BB121_9 Depth=1
	s_or_b64 exec, exec, s[26:27]
	s_and_saveexec_b64 s[26:27], s[34:35]
	s_cbranch_execz .LBB121_8
	s_branch .LBB121_24
.LBB121_20:                             ;   in Loop: Header=BB121_9 Depth=1
	v_mov_b32_e32 v3, s37
	v_add_co_u32_e64 v2, s[4:5], s36, v34
	v_addc_co_u32_e64 v3, s[4:5], v35, v3, s[4:5]
	global_load_dwordx2 v[28:29], v[2:3], off
	s_or_b64 exec, exec, s[6:7]
	s_and_saveexec_b64 s[46:47], vcc
	s_cbranch_execz .LBB121_17
.LBB121_21:                             ;   in Loop: Header=BB121_9 Depth=1
	s_getpc_b64 s[4:5]
	s_add_u32 s4, s4, _ZN6thrust23THRUST_200600_302600_NS6detail7complex6csinhfERKNS0_7complexIfEE@rel32@lo+4
	s_addc_u32 s5, s5, _ZN6thrust23THRUST_200600_302600_NS6detail7complex6csinhfERKNS0_7complexIfEE@rel32@hi+12
	s_swappc_b64 s[30:31], s[4:5]
	v_mov_b32_e32 v3, s37
	v_add_co_u32_e32 v2, vcc, s36, v32
	v_addc_co_u32_e32 v3, vcc, v33, v3, vcc
	global_store_dwordx2 v[2:3], v[0:1], off offset:-4
	s_or_b64 exec, exec, s[46:47]
	s_and_saveexec_b64 s[46:47], s[26:27]
	s_cbranch_execz .LBB121_18
.LBB121_22:                             ;   in Loop: Header=BB121_9 Depth=1
	s_waitcnt vmcnt(0)
	v_mov_b32_e32 v0, v26
	v_mov_b32_e32 v1, v27
	s_getpc_b64 s[4:5]
	s_add_u32 s4, s4, _ZN6thrust23THRUST_200600_302600_NS6detail7complex6csinhfERKNS0_7complexIfEE@rel32@lo+4
	s_addc_u32 s5, s5, _ZN6thrust23THRUST_200600_302600_NS6detail7complex6csinhfERKNS0_7complexIfEE@rel32@hi+12
	s_swappc_b64 s[30:31], s[4:5]
	v_mov_b32_e32 v3, s37
	v_add_co_u32_e32 v2, vcc, s36, v40
	v_addc_co_u32_e32 v3, vcc, v41, v3, vcc
	global_store_dwordx2 v[2:3], v[0:1], off
	s_or_b64 exec, exec, s[46:47]
	s_and_saveexec_b64 s[26:27], s[28:29]
	s_cbranch_execz .LBB121_19
.LBB121_23:                             ;   in Loop: Header=BB121_9 Depth=1
	s_waitcnt vmcnt(0)
	v_mov_b32_e32 v0, v24
	v_mov_b32_e32 v1, v25
	s_getpc_b64 s[4:5]
	s_add_u32 s4, s4, _ZN6thrust23THRUST_200600_302600_NS6detail7complex6csinhfERKNS0_7complexIfEE@rel32@lo+4
	s_addc_u32 s5, s5, _ZN6thrust23THRUST_200600_302600_NS6detail7complex6csinhfERKNS0_7complexIfEE@rel32@hi+12
	s_swappc_b64 s[30:31], s[4:5]
	v_mov_b32_e32 v3, s37
	v_add_co_u32_e32 v2, vcc, s36, v42
	v_addc_co_u32_e32 v3, vcc, v43, v3, vcc
	global_store_dwordx2 v[2:3], v[0:1], off offset:-4
	s_or_b64 exec, exec, s[26:27]
	s_and_saveexec_b64 s[26:27], s[34:35]
	s_cbranch_execz .LBB121_8
.LBB121_24:                             ;   in Loop: Header=BB121_9 Depth=1
	s_waitcnt vmcnt(0)
	v_mov_b32_e32 v0, v28
	v_mov_b32_e32 v1, v29
	s_getpc_b64 s[4:5]
	s_add_u32 s4, s4, _ZN6thrust23THRUST_200600_302600_NS6detail7complex6csinhfERKNS0_7complexIfEE@rel32@lo+4
	s_addc_u32 s5, s5, _ZN6thrust23THRUST_200600_302600_NS6detail7complex6csinhfERKNS0_7complexIfEE@rel32@hi+12
	s_swappc_b64 s[30:31], s[4:5]
	v_mov_b32_e32 v3, s37
	v_add_co_u32_e32 v2, vcc, s36, v36
	v_addc_co_u32_e32 v3, vcc, v37, v3, vcc
	global_store_dwordx2 v[2:3], v[0:1], off offset:-4
	s_branch .LBB121_8
.LBB121_25:
	s_endpgm
	.section	.rodata,"a",@progbits
	.p2align	6, 0x0
	.amdhsa_kernel _ZN2at6native12_GLOBAL__N_125multi_tensor_apply_kernelINS1_18TensorListMetadataILi2EEENS1_14UnaryOpFunctorIN3c107complexIfEELi2ELi1ELi1EEEJNS0_4SinhIS8_EEEEEvT_T0_DpT1_
		.amdhsa_group_segment_fixed_size 0
		.amdhsa_private_segment_fixed_size 0
		.amdhsa_kernarg_size 3408
		.amdhsa_user_sgpr_count 8
		.amdhsa_user_sgpr_private_segment_buffer 1
		.amdhsa_user_sgpr_dispatch_ptr 0
		.amdhsa_user_sgpr_queue_ptr 0
		.amdhsa_user_sgpr_kernarg_segment_ptr 1
		.amdhsa_user_sgpr_dispatch_id 0
		.amdhsa_user_sgpr_flat_scratch_init 1
		.amdhsa_user_sgpr_kernarg_preload_length 0
		.amdhsa_user_sgpr_kernarg_preload_offset 0
		.amdhsa_user_sgpr_private_segment_size 0
		.amdhsa_uses_dynamic_stack 0
		.amdhsa_system_sgpr_private_segment_wavefront_offset 0
		.amdhsa_system_sgpr_workgroup_id_x 1
		.amdhsa_system_sgpr_workgroup_id_y 0
		.amdhsa_system_sgpr_workgroup_id_z 0
		.amdhsa_system_sgpr_workgroup_info 0
		.amdhsa_system_vgpr_workitem_id 0
		.amdhsa_next_free_vgpr 46
		.amdhsa_next_free_sgpr 54
		.amdhsa_accum_offset 48
		.amdhsa_reserve_vcc 1
		.amdhsa_reserve_flat_scratch 1
		.amdhsa_float_round_mode_32 0
		.amdhsa_float_round_mode_16_64 0
		.amdhsa_float_denorm_mode_32 3
		.amdhsa_float_denorm_mode_16_64 3
		.amdhsa_dx10_clamp 1
		.amdhsa_ieee_mode 1
		.amdhsa_fp16_overflow 0
		.amdhsa_tg_split 0
		.amdhsa_exception_fp_ieee_invalid_op 0
		.amdhsa_exception_fp_denorm_src 0
		.amdhsa_exception_fp_ieee_div_zero 0
		.amdhsa_exception_fp_ieee_overflow 0
		.amdhsa_exception_fp_ieee_underflow 0
		.amdhsa_exception_fp_ieee_inexact 0
		.amdhsa_exception_int_div_zero 0
	.end_amdhsa_kernel
	.section	.text._ZN2at6native12_GLOBAL__N_125multi_tensor_apply_kernelINS1_18TensorListMetadataILi2EEENS1_14UnaryOpFunctorIN3c107complexIfEELi2ELi1ELi1EEEJNS0_4SinhIS8_EEEEEvT_T0_DpT1_,"axG",@progbits,_ZN2at6native12_GLOBAL__N_125multi_tensor_apply_kernelINS1_18TensorListMetadataILi2EEENS1_14UnaryOpFunctorIN3c107complexIfEELi2ELi1ELi1EEEJNS0_4SinhIS8_EEEEEvT_T0_DpT1_,comdat
.Lfunc_end121:
	.size	_ZN2at6native12_GLOBAL__N_125multi_tensor_apply_kernelINS1_18TensorListMetadataILi2EEENS1_14UnaryOpFunctorIN3c107complexIfEELi2ELi1ELi1EEEJNS0_4SinhIS8_EEEEEvT_T0_DpT1_, .Lfunc_end121-_ZN2at6native12_GLOBAL__N_125multi_tensor_apply_kernelINS1_18TensorListMetadataILi2EEENS1_14UnaryOpFunctorIN3c107complexIfEELi2ELi1ELi1EEEJNS0_4SinhIS8_EEEEEvT_T0_DpT1_
                                        ; -- End function
	.section	.AMDGPU.csdata,"",@progbits
; Kernel info:
; codeLenInByte = 1512
; NumSgprs: 60
; NumVgprs: 46
; NumAgprs: 0
; TotalNumVgprs: 46
; ScratchSize: 0
; MemoryBound: 0
; FloatMode: 240
; IeeeMode: 1
; LDSByteSize: 0 bytes/workgroup (compile time only)
; SGPRBlocks: 7
; VGPRBlocks: 5
; NumSGPRsForWavesPerEU: 60
; NumVGPRsForWavesPerEU: 46
; AccumOffset: 48
; Occupancy: 8
; WaveLimiterHint : 0
; COMPUTE_PGM_RSRC2:SCRATCH_EN: 0
; COMPUTE_PGM_RSRC2:USER_SGPR: 8
; COMPUTE_PGM_RSRC2:TRAP_HANDLER: 0
; COMPUTE_PGM_RSRC2:TGID_X_EN: 1
; COMPUTE_PGM_RSRC2:TGID_Y_EN: 0
; COMPUTE_PGM_RSRC2:TGID_Z_EN: 0
; COMPUTE_PGM_RSRC2:TIDIG_COMP_CNT: 0
; COMPUTE_PGM_RSRC3_GFX90A:ACCUM_OFFSET: 11
; COMPUTE_PGM_RSRC3_GFX90A:TG_SPLIT: 0
	.section	.text._ZN2at6native12_GLOBAL__N_125multi_tensor_apply_kernelINS1_18TensorListMetadataILi2EEENS1_14UnaryOpFunctorIN3c104HalfELi2ELi1ELi1EEEJNS0_4SinhIfEEEEEvT_T0_DpT1_,"axG",@progbits,_ZN2at6native12_GLOBAL__N_125multi_tensor_apply_kernelINS1_18TensorListMetadataILi2EEENS1_14UnaryOpFunctorIN3c104HalfELi2ELi1ELi1EEEJNS0_4SinhIfEEEEEvT_T0_DpT1_,comdat
	.globl	_ZN2at6native12_GLOBAL__N_125multi_tensor_apply_kernelINS1_18TensorListMetadataILi2EEENS1_14UnaryOpFunctorIN3c104HalfELi2ELi1ELi1EEEJNS0_4SinhIfEEEEEvT_T0_DpT1_ ; -- Begin function _ZN2at6native12_GLOBAL__N_125multi_tensor_apply_kernelINS1_18TensorListMetadataILi2EEENS1_14UnaryOpFunctorIN3c104HalfELi2ELi1ELi1EEEJNS0_4SinhIfEEEEEvT_T0_DpT1_
	.p2align	8
	.type	_ZN2at6native12_GLOBAL__N_125multi_tensor_apply_kernelINS1_18TensorListMetadataILi2EEENS1_14UnaryOpFunctorIN3c104HalfELi2ELi1ELi1EEEJNS0_4SinhIfEEEEEvT_T0_DpT1_,@function
_ZN2at6native12_GLOBAL__N_125multi_tensor_apply_kernelINS1_18TensorListMetadataILi2EEENS1_14UnaryOpFunctorIN3c104HalfELi2ELi1ELi1EEEJNS0_4SinhIfEEEEEvT_T0_DpT1_: ; @_ZN2at6native12_GLOBAL__N_125multi_tensor_apply_kernelINS1_18TensorListMetadataILi2EEENS1_14UnaryOpFunctorIN3c104HalfELi2ELi1ELi1EEEJNS0_4SinhIfEEEEEvT_T0_DpT1_
; %bb.0:
	v_mov_b32_e32 v1, s6
	global_load_ubyte v1, v1, s[4:5] offset:1536
	s_add_u32 s0, s4, s6
	s_mul_hi_u32 s2, s6, 3
	s_mul_i32 s6, s6, 3
	s_addc_u32 s7, s5, 0
	s_add_u32 s8, s0, s6
	s_addc_u32 s9, s7, s2
	s_mov_b32 s1, 0
	s_mov_b32 s17, s1
	;; [unrolled: 1-line block ×3, first 2 shown]
	s_waitcnt vmcnt(0)
	v_readfirstlane_b32 s0, v1
	s_lshl_b32 s0, s0, 3
	s_load_dword s10, s[8:9], 0x740
	s_load_dwordx2 s[12:13], s[4:5], s0 offset:0x0
	s_load_dwordx2 s[14:15], s[4:5], s0 offset:0x400
	;; [unrolled: 1-line block ×3, first 2 shown]
	s_waitcnt lgkmcnt(0)
	s_ashr_i32 s11, s10, 31
	s_and_b32 s0, s12, 7
	s_and_b32 s16, s14, 3
	;; [unrolled: 1-line block ×3, first 2 shown]
	s_or_b64 s[16:17], s[0:1], s[16:17]
	s_lshl_b64 s[8:9], s[10:11], 17
	s_or_b64 s[2:3], s[2:3], s[16:17]
	s_lshl_b64 s[10:11], s[10:11], 16
	s_sub_u32 s10, s14, s10
	s_subb_u32 s11, s15, s11
	s_cmp_eq_u64 s[2:3], 0
	s_mov_b64 s[2:3], -1
	s_cbranch_scc0 .LBB122_5
; %bb.1:
	v_mov_b32_e32 v3, 0
	v_lshlrev_b32_e32 v2, 2, v0
	v_cmp_gt_i64_e32 vcc, s[10:11], v[2:3]
	s_and_saveexec_b64 s[14:15], vcc
	s_cbranch_execz .LBB122_4
; %bb.2:
	s_load_dword s0, s[4:5], 0xc5c
	v_lshlrev_b32_e32 v1, 3, v0
	v_mov_b32_e32 v2, s9
	v_add_co_u32_e32 v4, vcc, s8, v1
	s_waitcnt lgkmcnt(0)
	s_and_b32 s0, s0, 0xffff
	v_addc_co_u32_e32 v1, vcc, 0, v2, vcc
	s_lshl_b32 s18, s0, 3
	v_add_lshl_u32 v2, v0, s0, 2
	s_lshl_b32 s22, s0, 2
	s_mov_b64 s[16:17], 0
	v_mov_b32_e32 v5, s13
	v_mov_b32_e32 v20, s7
	s_mov_b32 s23, 0xbf317218
	v_mov_b32_e32 v21, 0x3d2aadcc
	v_mov_b32_e32 v22, 0x3e2aaa47
	;; [unrolled: 1-line block ×3, first 2 shown]
	s_mov_b32 s19, -1.0
	s_mov_b32 s24, 0x42b2d4fc
	v_mov_b32_e32 v24, 0x7f800000
	s_mov_b32 s25, 0x39800000
	s_movk_i32 s26, 0x7fff
	s_mov_b64 s[20:21], 0xffff
	v_mov_b32_e32 v25, s1
	v_mov_b32_e32 v26, s1
	;; [unrolled: 1-line block ×3, first 2 shown]
	v_mov_b32_e32 v9, -1.0
	v_mov_b32_e32 v11, 1.0
.LBB122_3:                              ; =>This Inner Loop Header: Depth=1
	v_add_co_u32_e32 v14, vcc, s12, v4
	v_addc_co_u32_e32 v15, vcc, v5, v1, vcc
	global_load_dwordx2 v[14:15], v[14:15], off
	v_mov_b32_e32 v19, v7
	v_mov_b32_e32 v17, v7
	;; [unrolled: 1-line block ×7, first 2 shown]
	v_add_co_u32_e32 v12, vcc, s6, v4
	v_add_co_u32_e64 v4, s[2:3], s18, v4
	v_addc_co_u32_e32 v13, vcc, v20, v1, vcc
	v_addc_co_u32_e64 v1, s[2:3], v1, v25, s[2:3]
	v_cmp_le_i64_e32 vcc, s[10:11], v[2:3]
	v_cmp_lt_u64_e64 s[0:1], s[20:21], v[2:3]
	v_add_co_u32_e64 v2, s[2:3], s22, v2
	v_addc_co_u32_e64 v3, s[2:3], v3, v26, s[2:3]
	s_or_b64 s[0:1], vcc, s[0:1]
	s_and_b64 s[0:1], exec, s[0:1]
	s_or_b64 s[16:17], s[0:1], s[16:17]
	s_waitcnt vmcnt(0)
	v_cvt_f32_f16_e32 v43, v14
	v_lshrrev_b32_e32 v44, 16, v14
	v_cvt_f32_f16_e32 v45, v15
	v_lshrrev_b32_e32 v46, 16, v15
	v_cvt_f32_f16_e32 v47, v44
	v_cvt_f32_f16_e32 v48, v46
	v_add_f32_e64 v38, |v43|, s23
	v_add_f32_e64 v39, |v45|, s23
	v_sub_f32_e64 v31, v38, |v43|
	v_and_b32_e32 v6, 0x7fffffff, v43
	v_add_f32_e64 v40, |v47|, s23
	v_sub_f32_e64 v33, v39, |v45|
	v_add_f32_e64 v41, |v48|, s23
	v_sub_f32_e32 v30, v31, v38
	v_and_b32_e32 v18, 0x7fffffff, v45
	v_sub_f32_e64 v35, v40, |v47|
	v_sub_f32_e32 v32, v33, v39
	v_sub_f32_e64 v37, v41, |v48|
	v_pk_add_f32 v[30:31], v[6:7], v[30:31]
	v_and_b32_e32 v28, 0x7fffffff, v48
	v_and_b32_e32 v16, 0x7fffffff, v47
	v_sub_f32_e32 v34, v35, v40
	v_pk_add_f32 v[18:19], v[18:19], v[32:33]
	v_sub_f32_e32 v36, v37, v41
	v_sub_f32_e32 v6, v30, v31
	v_pk_add_f32 v[16:17], v[16:17], v[34:35]
	v_sub_f32_e32 v30, v18, v19
	v_pk_add_f32 v[18:19], v[28:29], v[36:37]
	v_add_f32_e32 v6, 0x3102e308, v6
	v_sub_f32_e32 v16, v16, v17
	v_add_f32_e32 v17, 0x3102e308, v30
	v_sub_f32_e32 v18, v18, v19
	v_add_f32_e32 v28, v38, v6
	v_add_f32_e32 v16, 0x3102e308, v16
	;; [unrolled: 1-line block ×4, first 2 shown]
	v_sub_f32_e32 v19, v38, v28
	v_mul_f32_e32 v29, 0x3fb8aa3b, v28
	v_add_f32_e32 v33, v40, v16
	v_sub_f32_e32 v30, v39, v31
	v_mul_f32_e32 v32, 0x3fb8aa3b, v31
	v_add_f32_e32 v34, v41, v18
	v_add_f32_e32 v6, v6, v19
	v_rndne_f32_e32 v19, v29
	v_mul_f32_e32 v35, 0x3fb8aa3b, v33
	v_add_f32_e32 v36, v17, v30
	v_rndne_f32_e32 v30, v32
	v_sub_f32_e32 v32, v41, v34
	v_fmac_f32_e32 v28, 0xbf317200, v19
	v_sub_f32_e32 v29, v40, v33
	v_rndne_f32_e32 v35, v35
	v_add_f32_e32 v18, v18, v32
	v_add_f32_e32 v32, v6, v28
	v_mul_f32_e32 v37, 0x3fb8aa3b, v34
	v_add_f32_e32 v16, v16, v29
	v_fmac_f32_e32 v33, 0xbf317200, v35
	v_sub_f32_e32 v28, v28, v32
	v_mul_f32_e32 v38, 0x35bfbc00, v19
	v_fmac_f32_e32 v31, 0xbf317200, v30
	v_rndne_f32_e32 v37, v37
	v_add_f32_e32 v6, v6, v28
	v_add_f32_e32 v28, v16, v33
	v_mul_f32_e32 v17, 0x2ea39ef3, v19
	v_cvt_i32_f32_e32 v49, v19
	v_mul_f32_e32 v39, 0x35bfbc00, v30
	v_mul_f32_e32 v19, 0x2ea39ef3, v30
	v_cvt_i32_f32_e32 v50, v30
	v_mul_f32_e32 v40, 0x35bfbc00, v35
	v_mul_f32_e32 v29, 0x2ea39ef3, v35
	v_cvt_i32_f32_e32 v51, v35
	v_add_f32_e32 v35, v36, v31
	v_fmac_f32_e32 v34, 0xbf317200, v37
	v_sub_f32_e32 v30, v32, v38
	v_sub_f32_e32 v33, v33, v28
	;; [unrolled: 1-line block ×4, first 2 shown]
	v_add_f32_e32 v16, v16, v33
	v_add_f32_e32 v33, v18, v34
	;; [unrolled: 1-line block ×3, first 2 shown]
	v_sub_f32_e32 v36, v32, v38
	v_sub_f32_e32 v32, v35, v39
	;; [unrolled: 1-line block ×3, first 2 shown]
	v_mul_f32_e32 v41, 0x35bfbc00, v37
	v_sub_f32_e32 v35, v35, v32
	v_add_f32_e32 v18, v18, v34
	v_sub_f32_e32 v34, v28, v40
	v_sub_f32_e32 v35, v35, v39
	;; [unrolled: 1-line block ×3, first 2 shown]
	v_add_f32_e32 v6, v6, v36
	v_sub_f32_e32 v36, v33, v41
	v_sub_f32_e32 v28, v28, v40
	;; [unrolled: 1-line block ×3, first 2 shown]
	v_add_f32_e32 v52, v31, v35
	v_add_f32_e32 v31, v30, v6
	v_sub_f32_e32 v35, v33, v41
	v_add_f32_e32 v53, v16, v28
	v_add_f32_e32 v33, v32, v52
	v_mov_b32_e32 v16, v31
	v_add_f32_e32 v54, v18, v35
	v_mov_b32_e32 v18, v33
	v_pk_add_f32 v[38:39], v[30:31], v[16:17] neg_lo:[0,1] neg_hi:[0,1]
	v_pk_add_f32 v[40:41], v[32:33], v[18:19] neg_lo:[0,1] neg_hi:[0,1]
	v_sub_f32_e32 v16, v31, v39
	v_mul_f32_e32 v31, 0x2ea39ef3, v37
	v_cvt_i32_f32_e32 v55, v37
	v_add_f32_e32 v35, v34, v53
	v_add_f32_e32 v37, v36, v54
	v_sub_f32_e32 v18, v33, v41
	v_mov_b32_e32 v28, v35
	v_mov_b32_e32 v30, v37
	v_add_f32_e32 v6, v6, v38
	v_sub_f32_e32 v32, v16, v17
	v_pk_add_f32 v[16:17], v[34:35], v[28:29] neg_lo:[0,1] neg_hi:[0,1]
	v_sub_f32_e32 v33, v18, v19
	v_pk_add_f32 v[18:19], v[36:37], v[30:31] neg_lo:[0,1] neg_hi:[0,1]
	v_add_f32_e32 v28, v52, v40
	v_sub_f32_e32 v30, v35, v17
	v_sub_f32_e32 v34, v37, v19
	v_add_f32_e32 v6, v6, v32
	v_add_f32_e32 v16, v53, v16
	;; [unrolled: 1-line block ×3, first 2 shown]
	v_sub_f32_e32 v29, v30, v29
	v_add_f32_e32 v28, v28, v33
	v_sub_f32_e32 v30, v34, v31
	v_add_f32_e32 v31, v39, v6
	v_add_f32_e32 v16, v16, v29
	;; [unrolled: 1-line block ×4, first 2 shown]
	v_sub_f32_e32 v29, v39, v31
	v_fmac_f32_e32 v8, 0x3ab42872, v31
	v_mul_f32_e32 v30, v31, v31
	v_add_f32_e32 v32, v17, v16
	v_sub_f32_e32 v33, v41, v34
	v_add_f32_e32 v40, v19, v18
	v_add_f32_e32 v6, v6, v29
	v_fmac_f32_e32 v27, 0x3ab42872, v34
	v_mul_f32_e32 v35, v34, v34
	v_fma_f32 v8, v31, v8, v21
	v_fma_f32 v29, v31, v31, -v30
	v_sub_f32_e32 v17, v17, v32
	v_add_f32_e32 v28, v28, v33
	v_fmac_f32_e32 v42, 0x3ab42872, v40
	v_sub_f32_e32 v19, v19, v40
	v_add_f32_e32 v38, v6, v6
	v_fmac_f32_e32 v10, 0x3ab42872, v32
	v_mul_f32_e32 v36, v32, v32
	v_fma_f32 v27, v34, v27, v21
	v_fma_f32 v33, v34, v34, -v35
	v_mul_f32_e32 v37, v40, v40
	v_fma_f32 v8, v31, v8, v22
	v_add_f32_e32 v17, v16, v17
	v_add_f32_e32 v39, v28, v28
	v_fma_f32 v41, v40, v42, v21
	v_add_f32_e32 v18, v18, v19
	v_fmac_f32_e32 v29, v31, v38
	v_fma_f32 v10, v32, v10, v21
	v_fma_f32 v16, v32, v32, -v36
	v_fma_f32 v27, v34, v27, v22
	v_fma_f32 v19, v40, v40, -v37
	v_fma_f32 v8, v31, v8, v23
	v_add_f32_e32 v38, v17, v17
	v_fmac_f32_e32 v33, v34, v39
	v_fma_f32 v39, v40, v41, v22
	v_add_f32_e32 v41, v18, v18
	v_add_f32_e32 v42, v30, v29
	v_fma_f32 v10, v32, v10, v22
	v_fma_f32 v27, v34, v27, v23
	v_fmac_f32_e32 v16, v32, v38
	v_add_f32_e32 v38, v35, v33
	v_fmac_f32_e32 v19, v40, v41
	v_sub_f32_e32 v30, v42, v30
	v_mul_f32_e32 v41, v8, v42
	v_fma_f32 v10, v32, v10, v23
	v_fma_f32 v39, v40, v39, v23
	v_add_f32_e32 v52, v36, v16
	v_sub_f32_e32 v35, v38, v35
	v_mul_f32_e32 v53, v27, v38
	v_add_f32_e32 v54, v37, v19
	v_sub_f32_e32 v29, v29, v30
	v_fma_f32 v30, v42, v8, -v41
	v_sub_f32_e32 v36, v52, v36
	v_mul_f32_e32 v42, v10, v52
	v_sub_f32_e32 v33, v33, v35
	v_fma_f32 v35, v38, v27, -v53
	v_sub_f32_e32 v37, v54, v37
	v_mul_f32_e32 v38, v39, v54
	v_fmac_f32_e32 v30, v29, v8
	v_sub_f32_e32 v8, v16, v36
	v_fma_f32 v16, v52, v10, -v42
	v_fmac_f32_e32 v35, v33, v27
	v_sub_f32_e32 v19, v19, v37
	v_fma_f32 v27, v54, v39, -v38
	v_add_f32_e32 v29, v41, v30
	v_fmac_f32_e32 v16, v8, v10
	v_add_f32_e32 v10, v53, v35
	v_fmac_f32_e32 v27, v19, v39
	v_sub_f32_e32 v19, v29, v41
	v_add_f32_e32 v8, v31, v29
	v_add_f32_e32 v33, v42, v16
	v_sub_f32_e32 v36, v10, v53
	v_add_f32_e32 v41, v38, v27
	v_sub_f32_e32 v19, v30, v19
	v_sub_f32_e32 v30, v8, v31
	;; [unrolled: 1-line block ×6, first 2 shown]
	v_add_f32_e32 v6, v6, v19
	v_sub_f32_e32 v19, v16, v31
	v_sub_f32_e32 v27, v27, v36
	v_add_f32_e32 v16, v6, v29
	v_add_f32_e32 v27, v18, v27
	;; [unrolled: 1-line block ×4, first 2 shown]
	v_add_f32_e32 v19, 1.0, v18
	v_add_f32_e32 v35, v28, v35
	v_pk_add_f32 v[28:29], v[18:19], v[8:9] neg_lo:[0,1] neg_hi:[0,1]
	v_pk_add_f32 v[30:31], v[18:19], s[18:19]
	v_mov_b32_e32 v17, v18
	v_add_f32_e32 v8, v32, v33
	v_mov_b32_e32 v29, v31
	v_sub_f32_e32 v18, v8, v32
	v_pk_add_f32 v[16:17], v[16:17], v[28:29] neg_lo:[0,1] neg_hi:[0,1]
	v_sub_f32_e32 v18, v33, v18
	v_add_f32_e32 v29, v16, v17
	v_add_f32_e32 v16, v6, v18
	;; [unrolled: 1-line block ×4, first 2 shown]
	v_ldexp_f32 v28, v6, v49
	v_sub_f32_e32 v30, v6, v19
	v_add_f32_e32 v19, 1.0, v18
	v_rcp_f32_e32 v42, v28
	v_sub_f32_e32 v6, v29, v30
	v_pk_add_f32 v[30:31], v[18:19], v[8:9] neg_lo:[0,1] neg_hi:[0,1]
	v_pk_add_f32 v[32:33], v[18:19], s[18:19]
	v_add_f32_e32 v8, v34, v10
	v_mov_b32_e32 v17, v18
	v_ldexp_f32 v18, v6, v49
	v_mov_b32_e32 v31, v33
	v_sub_f32_e32 v6, v8, v34
	v_pk_add_f32 v[16:17], v[16:17], v[30:31] neg_lo:[0,1] neg_hi:[0,1]
	v_sub_f32_e32 v6, v10, v6
	v_add_f32_e32 v10, v16, v17
	v_add_f32_e32 v16, v35, v6
	v_mul_f32_e32 v30, v28, v42
	v_add_f32_e32 v6, v19, v10
	v_add_f32_e32 v32, v8, v16
	v_fma_f32 v34, v42, v28, -v30
	v_sub_f32_e32 v19, v6, v19
	v_ldexp_f32 v29, v6, v51
	v_add_f32_e32 v33, 1.0, v32
	v_fmac_f32_e32 v34, v42, v18
	v_sub_f32_e32 v6, v10, v19
	v_rcp_f32_e32 v49, v29
	v_pk_add_f32 v[36:37], v[32:33], v[8:9] neg_lo:[0,1] neg_hi:[0,1]
	v_pk_add_f32 v[38:39], v[32:33], s[18:19]
	v_add_f32_e32 v8, v40, v41
	v_add_f32_e32 v10, v30, v34
	v_mov_b32_e32 v17, v32
	v_ldexp_f32 v19, v6, v51
	v_mov_b32_e32 v37, v39
	v_sub_f32_e32 v6, v8, v40
	v_sub_f32_e32 v31, 1.0, v10
	v_mov_b32_e32 v35, v10
	v_pk_add_f32 v[16:17], v[16:17], v[36:37] neg_lo:[0,1] neg_hi:[0,1]
	v_sub_f32_e32 v6, v41, v6
	v_pk_add_f32 v[36:37], v[10:11], v[30:31] neg_lo:[0,1] neg_hi:[0,1]
	v_add_f32_e32 v10, v16, v17
	v_add_f32_e32 v16, v27, v6
	v_pk_add_f32 v[34:35], v[36:37], v[34:35] neg_lo:[0,1] neg_hi:[0,1]
	v_mul_f32_e32 v30, v29, v49
	v_add_f32_e32 v6, v33, v10
	v_add_f32_e32 v32, v8, v16
	;; [unrolled: 1-line block ×3, first 2 shown]
	v_fma_f32 v34, v49, v29, -v30
	v_sub_f32_e32 v35, v6, v33
	v_ldexp_f32 v6, v6, v50
	v_add_f32_e32 v33, 1.0, v32
	v_add_f32_e32 v37, v31, v27
	v_fmac_f32_e32 v34, v49, v19
	v_rcp_f32_e32 v51, v6
	v_pk_add_f32 v[38:39], v[32:33], v[8:9] neg_lo:[0,1] neg_hi:[0,1]
	v_pk_add_f32 v[40:41], v[32:33], s[18:19]
	v_mul_f32_e32 v8, v42, v37
	v_mov_b32_e32 v17, v32
	v_sub_f32_e32 v35, v10, v35
	v_sub_f32_e32 v31, v31, v37
	v_add_f32_e32 v10, v30, v34
	v_mov_b32_e32 v39, v41
	v_mul_f32_e32 v32, v28, v8
	v_add_f32_e32 v27, v27, v31
	v_add_f32_e32 v52, v42, v8
	v_sub_f32_e32 v31, 1.0, v10
	v_pk_add_f32 v[16:17], v[16:17], v[38:39] neg_lo:[0,1] neg_hi:[0,1]
	v_fma_f32 v38, v8, v28, -v32
	v_ldexp_f32 v50, v35, v50
	v_mov_b32_e32 v35, v10
	v_sub_f32_e32 v36, v52, v42
	v_pk_add_f32 v[40:41], v[10:11], v[30:31] neg_lo:[0,1] neg_hi:[0,1]
	v_add_f32_e32 v10, v16, v17
	v_fmac_f32_e32 v38, v8, v18
	v_sub_f32_e32 v8, v8, v36
	v_pk_add_f32 v[16:17], v[40:41], v[34:35] neg_lo:[0,1] neg_hi:[0,1]
	v_mul_f32_e32 v30, v6, v51
	v_add_f32_e32 v34, v33, v10
	v_add_f32_e32 v36, v32, v38
	v_add_f32_e32 v17, v16, v17
	v_fma_f32 v16, v51, v6, -v30
	v_sub_f32_e32 v35, v34, v33
	v_sub_f32_e32 v33, v37, v36
	v_ldexp_f32 v40, v34, v55
	v_mov_b32_e32 v39, v36
	v_sub_f32_e32 v34, v10, v35
	v_add_f32_e32 v35, v31, v17
	v_fmac_f32_e32 v16, v51, v50
	v_pk_add_f32 v[36:37], v[36:37], v[32:33] neg_lo:[0,1] neg_hi:[0,1]
	v_sub_f32_e32 v31, v31, v35
	v_add_f32_e32 v10, v30, v16
	v_pk_add_f32 v[36:37], v[36:37], v[38:39] neg_lo:[0,1] neg_hi:[0,1]
	v_mul_f32_e32 v41, v49, v35
	v_add_f32_e32 v38, v17, v31
	v_sub_f32_e32 v31, 1.0, v10
	v_add_f32_e32 v27, v27, v37
	v_rcp_f32_e32 v54, v40
	v_mul_f32_e32 v32, v29, v41
	v_mov_b32_e32 v17, v10
	v_add_f32_e32 v27, v36, v27
	v_pk_add_f32 v[36:37], v[10:11], v[30:31] neg_lo:[0,1] neg_hi:[0,1]
	v_pk_add_f32 v[16:17], v[36:37], v[16:17] neg_lo:[0,1] neg_hi:[0,1]
	v_fma_f32 v36, v41, v29, -v32
	v_add_f32_e32 v39, v49, v41
	v_fmac_f32_e32 v36, v41, v19
	v_ldexp_f32 v53, v34, v55
	v_sub_f32_e32 v10, v39, v49
	v_mul_f32_e32 v30, v40, v54
	v_add_f32_e32 v34, v32, v36
	v_sub_f32_e32 v41, v41, v10
	v_add_f32_e32 v10, v33, v27
	v_add_f32_e32 v27, v16, v17
	v_fma_f32 v16, v54, v40, -v30
	v_sub_f32_e32 v33, v35, v34
	v_mul_f32_e32 v10, v42, v10
	v_mov_b32_e32 v37, v34
	v_pk_add_f32 v[34:35], v[34:35], v[32:33] neg_lo:[0,1] neg_hi:[0,1]
	v_fmac_f32_e32 v16, v54, v53
	v_pk_add_f32 v[34:35], v[34:35], v[36:37] neg_lo:[0,1] neg_hi:[0,1]
	v_add_f32_e32 v37, v31, v27
	v_add_f32_e32 v8, v8, v10
	v_add_f32_e32 v10, v30, v16
	v_mul_f32_e32 v36, v51, v37
	v_sub_f32_e32 v42, v31, v37
	v_sub_f32_e32 v31, 1.0, v10
	v_add_f32_e32 v32, v38, v35
	v_add_f32_e32 v55, v52, v8
	v_mov_b32_e32 v17, v10
	v_add_f32_e32 v38, v34, v32
	v_pk_add_f32 v[34:35], v[10:11], v[30:31] neg_lo:[0,1] neg_hi:[0,1]
	v_mul_f32_e32 v32, v6, v36
	v_pk_add_f32 v[16:17], v[34:35], v[16:17] neg_lo:[0,1] neg_hi:[0,1]
	v_add_f32_e32 v10, v27, v42
	v_add_f32_e32 v27, v51, v36
	v_sub_f32_e32 v30, v55, v52
	v_fma_f32 v34, v36, v6, -v32
	v_sub_f32_e32 v8, v8, v30
	v_sub_f32_e32 v30, v27, v51
	v_fmac_f32_e32 v34, v36, v50
	v_add_f32_e32 v33, v33, v38
	v_sub_f32_e32 v38, v36, v30
	v_add_f32_e32 v36, v32, v34
	v_add_f32_e32 v16, v16, v17
	v_mul_f32_e32 v42, v49, v33
	v_sub_f32_e32 v33, v37, v36
	v_mov_b32_e32 v35, v36
	v_add_f32_e32 v17, v31, v16
	v_pk_add_f32 v[36:37], v[36:37], v[32:33] neg_lo:[0,1] neg_hi:[0,1]
	v_add_f32_e32 v41, v41, v42
	v_mul_f32_e32 v42, v54, v17
	v_pk_add_f32 v[34:35], v[36:37], v[34:35] neg_lo:[0,1] neg_hi:[0,1]
	v_sub_f32_e32 v31, v31, v17
	v_add_f32_e32 v49, v39, v41
	v_mul_f32_e32 v32, v40, v42
	v_add_f32_e32 v10, v10, v35
	v_add_f32_e32 v52, v16, v31
	v_sub_f32_e32 v16, v49, v39
	v_add_f32_e32 v10, v34, v10
	v_fma_f32 v34, v42, v40, -v32
	v_ldexp_f32 v30, v55, -2
	v_ldexp_f32 v31, v49, -2
	v_sub_f32_e32 v16, v41, v16
	v_fmac_f32_e32 v34, v42, v53
	v_add_f32_e32 v55, v54, v42
	v_pk_add_f32 v[36:37], v[28:29], v[30:31] neg_lo:[0,1] neg_hi:[0,1]
	v_ldexp_f32 v41, v16, -2
	v_add_f32_e32 v10, v33, v10
	v_add_f32_e32 v16, v32, v34
	v_sub_f32_e32 v35, v55, v54
	v_pk_add_f32 v[28:29], v[28:29], v[36:37] neg_lo:[0,1] neg_hi:[0,1]
	v_mul_f32_e32 v10, v51, v10
	v_sub_f32_e32 v33, v17, v16
	v_sub_f32_e32 v39, v42, v35
	v_pk_add_f32 v[28:29], v[28:29], v[30:31] neg_lo:[0,1] neg_hi:[0,1]
	v_mov_b32_e32 v35, v16
	v_add_f32_e32 v10, v38, v10
	v_pk_add_f32 v[16:17], v[16:17], v[32:33] neg_lo:[0,1] neg_hi:[0,1]
	v_ldexp_f32 v8, v8, -2
	v_pk_add_f32 v[18:19], v[18:19], v[28:29]
	v_add_f32_e32 v28, v27, v10
	v_pk_add_f32 v[16:17], v[16:17], v[34:35] neg_lo:[0,1] neg_hi:[0,1]
	v_sub_f32_e32 v19, v19, v41
	v_sub_f32_e32 v18, v18, v8
	;; [unrolled: 1-line block ×3, first 2 shown]
	v_add_f32_e32 v17, v52, v17
	v_ldexp_f32 v27, v28, -2
	v_pk_add_f32 v[18:19], v[18:19], v[36:37]
	v_cmp_ngt_f32_e64 vcc, |v47|, s24
	v_sub_f32_e32 v8, v10, v8
	v_add_f32_e32 v10, v16, v17
	v_sub_f32_e32 v28, v6, v27
	v_cndmask_b32_e32 v17, v24, v19, vcc
	v_cmp_lt_f32_e64 s[2:3], |v47|, s25
	v_add_f32_e32 v10, v33, v10
	v_cmp_ngt_f32_e64 s[0:1], |v43|, s24
	v_sub_f32_e32 v6, v6, v28
	v_cndmask_b32_e64 v17, v17, |v47|, s[2:3]
	v_mul_f32_e32 v10, v54, v10
	v_cndmask_b32_e64 v16, v24, v18, s[0:1]
	v_cmp_lt_f32_e64 s[0:1], |v43|, s25
	v_sub_f32_e32 v6, v6, v27
	v_cvt_f16_f32_e32 v19, v17
	v_add_f32_e32 v10, v39, v10
	v_ldexp_f32 v8, v8, -2
	v_cndmask_b32_e64 v16, v16, |v43|, s[0:1]
	v_add_f32_e32 v6, v50, v6
	v_add_f32_e32 v17, v55, v10
	v_cvt_f16_f32_e32 v18, v16
	v_sub_f32_e32 v16, v6, v8
	v_ldexp_f32 v8, v17, -2
	v_sub_f32_e32 v6, v17, v55
	v_sub_f32_e32 v17, v40, v8
	;; [unrolled: 1-line block ×3, first 2 shown]
	v_bfi_b32 v10, s26, v19, v44
	v_sub_f32_e32 v19, v40, v17
	v_sub_f32_e32 v8, v19, v8
	v_ldexp_f32 v6, v6, -2
	v_add_f32_e32 v8, v53, v8
	v_sub_f32_e32 v29, v8, v6
	v_pk_add_f32 v[16:17], v[16:17], v[28:29]
	v_cmp_ngt_f32_e64 vcc, |v48|, s24
	v_cmp_ngt_f32_e64 s[0:1], |v45|, s24
	v_cndmask_b32_e64 v6, v24, v16, s[0:1]
	v_cndmask_b32_e32 v8, v24, v17, vcc
	v_cmp_lt_f32_e64 s[0:1], |v45|, s25
	v_cmp_lt_f32_e64 s[2:3], |v48|, s25
	v_cndmask_b32_e64 v8, v8, |v48|, s[2:3]
	v_cndmask_b32_e64 v6, v6, |v45|, s[0:1]
	v_cvt_f16_f32_e32 v8, v8
	v_cvt_f16_f32_e32 v6, v6
	v_bfi_b32 v14, s26, v18, v14
	v_pack_b32_f16 v14, v14, v10
	v_bfi_b32 v8, s26, v8, v46
	v_bfi_b32 v6, s26, v6, v15
	v_pack_b32_f16 v15, v6, v8
	global_store_dwordx2 v[12:13], v[14:15], off
	s_andn2_b64 exec, exec, s[16:17]
	s_cbranch_execnz .LBB122_3
.LBB122_4:
	s_or_b64 exec, exec, s[14:15]
	s_mov_b64 s[2:3], 0
.LBB122_5:
	s_andn2_b64 vcc, exec, s[2:3]
	s_cbranch_vccnz .LBB122_25
; %bb.6:
	v_cmp_lt_i64_e64 s[0:1], s[10:11], 1
	s_and_b64 vcc, exec, s[0:1]
	s_cbranch_vccnz .LBB122_25
; %bb.7:
	s_load_dword s0, s[4:5], 0xc5c
	v_mov_b32_e32 v2, 0x10000
	v_mov_b32_e32 v3, 0
	v_cmp_lt_u64_e32 vcc, s[10:11], v[2:3]
	v_lshlrev_b32_e32 v10, 1, v0
	s_waitcnt lgkmcnt(0)
	s_and_b32 s2, s0, 0xffff
	s_and_b64 s[0:1], vcc, exec
	v_mov_b32_e32 v13, s13
	v_add_co_u32_e32 v2, vcc, s12, v10
	v_addc_co_u32_e32 v1, vcc, 0, v13, vcc
	v_mov_b32_e32 v11, 0
	v_mov_b32_e32 v15, s7
	v_add_co_u32_e32 v4, vcc, s6, v10
	v_addc_co_u32_e32 v3, vcc, 0, v15, vcc
	v_mad_u64_u32 v[8:9], s[0:1], s2, 6, v[10:11]
	v_add_co_u32_e32 v6, vcc, s12, v8
	v_addc_co_u32_e32 v5, vcc, v13, v9, vcc
	v_add_co_u32_e32 v8, vcc, s6, v8
	s_mul_i32 s4, s2, 3
	v_addc_co_u32_e32 v7, vcc, v15, v9, vcc
	s_cselect_b32 s15, s11, 0
	s_cselect_b32 s14, s10, 0x10000
	s_lshl_b32 s20, s2, 2
	v_add_co_u32_e32 v17, vcc, s4, v0
	v_addc_co_u32_e64 v24, s[0:1], 0, 0, vcc
	v_add_co_u32_e32 v11, vcc, s20, v10
	v_addc_co_u32_e64 v14, s[0:1], 0, 0, vcc
	v_add_co_u32_e32 v10, vcc, s12, v11
	v_addc_co_u32_e32 v9, vcc, v13, v14, vcc
	v_add_co_u32_e32 v12, vcc, s6, v11
	s_lshl_b32 s3, s2, 1
	v_addc_co_u32_e32 v11, vcc, v15, v14, vcc
	v_add_co_u32_e32 v25, vcc, s3, v0
	v_addc_co_u32_e64 v26, s[0:1], 0, 0, vcc
	v_add_co_u32_e32 v27, vcc, s2, v0
	v_lshlrev_b32_e32 v16, 1, v27
	v_addc_co_u32_e64 v28, s[0:1], 0, 0, vcc
	v_add_co_u32_e32 v14, vcc, s12, v16
	v_addc_co_u32_e32 v13, vcc, 0, v13, vcc
	v_add_co_u32_e32 v16, vcc, s6, v16
	s_mov_b32 s16, 0
	s_lshl_b32 s21, s2, 3
	v_addc_co_u32_e32 v15, vcc, 0, v15, vcc
	s_mov_b64 s[12:13], 0
	s_mov_b32 s22, 0x39800000
	s_mov_b32 s23, 0xbf317218
	v_mov_b32_e32 v19, 0x3f317218
	v_mov_b32_e32 v29, 0x3d2aadcc
	;; [unrolled: 1-line block ×4, first 2 shown]
	s_mov_b32 s17, -1.0
	s_mov_b32 s24, 0x42b2d4fc
	s_movk_i32 s25, 0x7fff
	v_mov_b32_e32 v21, -1.0
	v_mov_b32_e32 v23, 1.0
	v_mov_b32_e32 v32, 0x7f800000
	s_branch .LBB122_9
.LBB122_8:                              ;   in Loop: Header=BB122_9 Depth=1
	s_or_b64 exec, exec, s[0:1]
	s_add_u32 s12, s12, s20
	s_addc_u32 s13, s13, 0
	s_waitcnt vmcnt(0)
	v_pk_mov_b32 v[34:35], s[10:11], s[10:11] op_sel:[0,1]
	v_cmp_ge_i64_e32 vcc, s[12:13], v[34:35]
	v_mov_b32_e32 v34, 0xffff
	v_mov_b32_e32 v35, 0
	v_cmp_gt_u64_e64 s[0:1], s[12:13], v[34:35]
	s_or_b64 s[0:1], vcc, s[0:1]
	v_mov_b32_e32 v18, s16
	v_add_co_u32_e32 v2, vcc, s21, v2
	v_addc_co_u32_e32 v1, vcc, v1, v18, vcc
	v_add_co_u32_e32 v4, vcc, s21, v4
	v_addc_co_u32_e32 v3, vcc, v3, v18, vcc
	;; [unrolled: 2-line block ×8, first 2 shown]
	s_and_b64 vcc, exec, s[0:1]
	s_cbranch_vccnz .LBB122_25
.LBB122_9:                              ; =>This Inner Loop Header: Depth=1
	v_mov_b32_e32 v18, s13
	v_add_co_u32_e32 v34, vcc, s12, v0
	v_addc_co_u32_e32 v35, vcc, 0, v18, vcc
	v_cmp_gt_u64_e64 s[4:5], s[14:15], v[34:35]
	v_mov_b32_e32 v36, 0
	s_and_saveexec_b64 s[0:1], s[4:5]
	s_cbranch_execz .LBB122_11
; %bb.10:                               ;   in Loop: Header=BB122_9 Depth=1
	v_mov_b32_e32 v18, s9
	v_add_co_u32_e32 v34, vcc, s8, v2
	v_addc_co_u32_e32 v35, vcc, v1, v18, vcc
	global_load_ushort v36, v[34:35], off
.LBB122_11:                             ;   in Loop: Header=BB122_9 Depth=1
	s_or_b64 exec, exec, s[0:1]
	v_mov_b32_e32 v18, s13
	v_add_co_u32_e32 v34, vcc, s12, v27
	v_addc_co_u32_e32 v35, vcc, v28, v18, vcc
	v_cmp_gt_u64_e64 s[2:3], s[14:15], v[34:35]
	v_mov_b32_e32 v35, 0
	s_and_saveexec_b64 s[0:1], s[2:3]
	s_cbranch_execz .LBB122_13
; %bb.12:                               ;   in Loop: Header=BB122_9 Depth=1
	v_mov_b32_e32 v18, s9
	v_add_co_u32_e32 v34, vcc, s8, v14
	v_addc_co_u32_e32 v35, vcc, v13, v18, vcc
	global_load_ushort v35, v[34:35], off
.LBB122_13:                             ;   in Loop: Header=BB122_9 Depth=1
	s_or_b64 exec, exec, s[0:1]
	v_mov_b32_e32 v18, s13
	v_add_co_u32_e32 v38, vcc, s12, v25
	v_addc_co_u32_e32 v39, vcc, v26, v18, vcc
	v_cmp_gt_u64_e64 s[0:1], s[14:15], v[38:39]
	v_mov_b32_e32 v33, 0
	v_mov_b32_e32 v34, 0
	s_and_saveexec_b64 s[6:7], s[0:1]
	s_cbranch_execz .LBB122_15
; %bb.14:                               ;   in Loop: Header=BB122_9 Depth=1
	v_mov_b32_e32 v18, s9
	v_add_co_u32_e32 v38, vcc, s8, v10
	v_addc_co_u32_e32 v39, vcc, v9, v18, vcc
	global_load_ushort v34, v[38:39], off
.LBB122_15:                             ;   in Loop: Header=BB122_9 Depth=1
	s_or_b64 exec, exec, s[6:7]
	v_mov_b32_e32 v18, s13
	v_add_co_u32_e32 v38, vcc, s12, v17
	v_addc_co_u32_e32 v39, vcc, v24, v18, vcc
	v_cmp_gt_u64_e32 vcc, s[14:15], v[38:39]
	s_and_saveexec_b64 s[18:19], vcc
	s_cbranch_execnz .LBB122_20
; %bb.16:                               ;   in Loop: Header=BB122_9 Depth=1
	s_or_b64 exec, exec, s[18:19]
	s_and_saveexec_b64 s[6:7], s[4:5]
	s_cbranch_execnz .LBB122_21
.LBB122_17:                             ;   in Loop: Header=BB122_9 Depth=1
	s_or_b64 exec, exec, s[6:7]
	s_and_saveexec_b64 s[4:5], s[2:3]
	s_cbranch_execnz .LBB122_22
.LBB122_18:                             ;   in Loop: Header=BB122_9 Depth=1
	s_or_b64 exec, exec, s[4:5]
	s_and_saveexec_b64 s[2:3], s[0:1]
	s_cbranch_execnz .LBB122_23
.LBB122_19:                             ;   in Loop: Header=BB122_9 Depth=1
	s_or_b64 exec, exec, s[2:3]
	s_and_saveexec_b64 s[0:1], vcc
	s_cbranch_execz .LBB122_8
	s_branch .LBB122_24
.LBB122_20:                             ;   in Loop: Header=BB122_9 Depth=1
	v_mov_b32_e32 v18, s9
	v_add_co_u32_e64 v38, s[6:7], s8, v6
	v_addc_co_u32_e64 v39, s[6:7], v5, v18, s[6:7]
	global_load_ushort v33, v[38:39], off
	s_or_b64 exec, exec, s[18:19]
	s_and_saveexec_b64 s[6:7], s[4:5]
	s_cbranch_execz .LBB122_17
.LBB122_21:                             ;   in Loop: Header=BB122_9 Depth=1
	s_waitcnt vmcnt(0)
	v_cvt_f32_f16_e32 v37, v36
	v_add_f32_e64 v20, |v37|, s23
	v_sub_f32_e64 v39, v20, |v37|
	v_and_b32_e32 v18, 0x7fffffff, v37
	v_sub_f32_e32 v38, v39, v20
	v_pk_add_f32 v[38:39], v[18:19], v[38:39]
	v_sub_f32_e32 v18, v38, v39
	v_add_f32_e32 v18, 0x3102e308, v18
	v_add_f32_e32 v22, v20, v18
	v_mul_f32_e32 v38, 0x3fb8aa3b, v22
	v_sub_f32_e32 v20, v20, v22
	v_rndne_f32_e32 v46, v38
	v_add_f32_e32 v18, v18, v20
	v_fmac_f32_e32 v22, 0xbf317200, v46
	v_add_f32_e32 v20, v18, v22
	v_mul_f32_e32 v38, 0x35bfbc00, v46
	v_sub_f32_e32 v40, v20, v38
	v_sub_f32_e32 v22, v22, v20
	;; [unrolled: 1-line block ×3, first 2 shown]
	v_add_f32_e32 v18, v18, v22
	v_sub_f32_e32 v20, v20, v38
	v_add_f32_e32 v18, v18, v20
	v_add_f32_e32 v41, v40, v18
	v_mul_f32_e32 v39, 0x2ea39ef3, v46
	v_mov_b32_e32 v38, v41
	v_pk_add_f32 v[42:43], v[40:41], v[38:39] neg_lo:[0,1] neg_hi:[0,1]
	v_sub_f32_e32 v20, v41, v43
	v_sub_f32_e32 v20, v20, v39
	v_add_f32_e32 v18, v18, v42
	v_add_f32_e32 v18, v18, v20
	;; [unrolled: 1-line block ×3, first 2 shown]
	v_mov_b32_e32 v20, 0x3c091de6
	v_sub_f32_e32 v39, v43, v22
	v_fmac_f32_e32 v20, 0x3ab42872, v22
	v_mul_f32_e32 v38, v22, v22
	v_add_f32_e32 v18, v18, v39
	v_fma_f32 v20, v22, v20, v29
	v_add_f32_e32 v39, v18, v18
	v_fma_f32 v40, v22, v22, -v38
	v_fma_f32 v20, v22, v20, v30
	v_fmac_f32_e32 v40, v22, v39
	v_fma_f32 v20, v22, v20, v31
	v_add_f32_e32 v39, v38, v40
	v_mul_f32_e32 v41, v20, v39
	v_sub_f32_e32 v38, v39, v38
	v_sub_f32_e32 v38, v40, v38
	v_fma_f32 v39, v39, v20, -v41
	v_fmac_f32_e32 v39, v38, v20
	v_add_f32_e32 v38, v41, v39
	v_add_f32_e32 v20, v22, v38
	v_sub_f32_e32 v40, v38, v41
	v_sub_f32_e32 v39, v39, v40
	;; [unrolled: 1-line block ×3, first 2 shown]
	v_add_f32_e32 v18, v18, v39
	v_sub_f32_e32 v22, v38, v22
	v_add_f32_e32 v38, v18, v22
	v_add_f32_e32 v40, v20, v38
	v_add_f32_e32 v41, 1.0, v40
	v_pk_add_f32 v[42:43], v[40:41], v[20:21] neg_lo:[0,1] neg_hi:[0,1]
	v_pk_add_f32 v[44:45], v[40:41], s[16:17]
	v_mov_b32_e32 v43, v45
	v_mov_b32_e32 v39, v40
	v_cvt_i32_f32_e32 v18, v46
	v_pk_add_f32 v[38:39], v[38:39], v[42:43] neg_lo:[0,1] neg_hi:[0,1]
	v_add_f32_e32 v20, v38, v39
	v_add_f32_e32 v22, v41, v20
	v_ldexp_f32 v46, v22, v18
	v_rcp_f32_e32 v47, v46
	v_sub_f32_e32 v22, v22, v41
	v_sub_f32_e32 v20, v20, v22
	v_ldexp_f32 v18, v20, v18
	v_mul_f32_e32 v38, v46, v47
	v_fma_f32 v40, v47, v46, -v38
	v_fmac_f32_e32 v40, v47, v18
	v_add_f32_e32 v22, v38, v40
	v_sub_f32_e32 v39, 1.0, v22
	v_pk_add_f32 v[42:43], v[22:23], v[38:39] neg_lo:[0,1] neg_hi:[0,1]
	v_mov_b32_e32 v41, v22
	v_pk_add_f32 v[40:41], v[42:43], v[40:41] neg_lo:[0,1] neg_hi:[0,1]
	v_add_f32_e32 v20, v40, v41
	v_add_f32_e32 v41, v39, v20
	v_mul_f32_e32 v22, v47, v41
	v_add_f32_e32 v48, v47, v22
	v_sub_f32_e32 v38, v48, v47
	v_mul_f32_e32 v42, v46, v22
	v_sub_f32_e32 v49, v22, v38
	v_fma_f32 v38, v22, v46, -v42
	v_fmac_f32_e32 v38, v22, v18
	v_add_f32_e32 v40, v42, v38
	v_sub_f32_e32 v43, v41, v40
	v_sub_f32_e32 v22, v39, v41
	v_pk_add_f32 v[44:45], v[40:41], v[42:43] neg_lo:[0,1] neg_hi:[0,1]
	v_mov_b32_e32 v39, v40
	v_add_f32_e32 v20, v20, v22
	v_pk_add_f32 v[38:39], v[44:45], v[38:39] neg_lo:[0,1] neg_hi:[0,1]
	v_add_f32_e32 v20, v20, v39
	v_add_f32_e32 v20, v38, v20
	;; [unrolled: 1-line block ×3, first 2 shown]
	v_mul_f32_e32 v20, v47, v20
	v_add_f32_e32 v20, v49, v20
	v_add_f32_e32 v22, v48, v20
	v_ldexp_f32 v38, v22, -2
	v_sub_f32_e32 v39, v46, v38
	v_sub_f32_e32 v40, v46, v39
	v_sub_f32_e32 v22, v22, v48
	v_sub_f32_e32 v38, v40, v38
	v_sub_f32_e32 v20, v20, v22
	v_add_f32_e32 v18, v18, v38
	v_ldexp_f32 v20, v20, -2
	v_sub_f32_e32 v18, v18, v20
	v_add_f32_e32 v18, v39, v18
	v_cmp_ngt_f32_e64 s[4:5], |v37|, s24
	v_cndmask_b32_e64 v18, v32, v18, s[4:5]
	v_cmp_lt_f32_e64 s[4:5], |v37|, s22
	v_cndmask_b32_e64 v18, v18, |v37|, s[4:5]
	v_cvt_f16_f32_e32 v18, v18
	v_mov_b32_e32 v20, s9
	v_bfi_b32 v18, s25, v18, v36
	v_add_co_u32_e64 v36, s[4:5], s8, v4
	v_addc_co_u32_e64 v37, s[4:5], v3, v20, s[4:5]
	global_store_short v[36:37], v18, off
	s_or_b64 exec, exec, s[6:7]
	s_and_saveexec_b64 s[4:5], s[2:3]
	s_cbranch_execz .LBB122_18
.LBB122_22:                             ;   in Loop: Header=BB122_9 Depth=1
	s_waitcnt vmcnt(0)
	v_cvt_f32_f16_e32 v18, v35
	v_add_f32_e64 v20, |v18|, s23
	v_sub_f32_e64 v22, v20, |v18|
	v_sub_f32_e32 v36, v22, v20
	v_add_f32_e32 v22, 0x3f317218, v22
	v_add_f32_e64 v36, |v18|, v36
	v_sub_f32_e32 v22, v36, v22
	v_add_f32_e32 v22, 0x3102e308, v22
	v_add_f32_e32 v36, v20, v22
	v_sub_f32_e32 v20, v20, v36
	v_mul_f32_e32 v37, 0x3fb8aa3b, v36
	v_add_f32_e32 v20, v22, v20
	v_rndne_f32_e32 v22, v37
	v_fmac_f32_e32 v36, 0xbf317200, v22
	v_add_f32_e32 v37, v20, v36
	v_sub_f32_e32 v36, v36, v37
	v_add_f32_e32 v20, v20, v36
	v_mul_f32_e32 v36, 0x35bfbc00, v22
	v_sub_f32_e32 v38, v37, v36
	v_sub_f32_e32 v37, v37, v38
	;; [unrolled: 1-line block ×3, first 2 shown]
	v_add_f32_e32 v20, v20, v36
	v_add_f32_e32 v36, v38, v20
	v_sub_f32_e32 v37, v38, v36
	v_add_f32_e32 v20, v20, v37
	v_mul_f32_e32 v37, 0x2ea39ef3, v22
	v_sub_f32_e32 v38, v36, v37
	v_sub_f32_e32 v36, v36, v38
	;; [unrolled: 1-line block ×3, first 2 shown]
	v_add_f32_e32 v20, v20, v36
	v_add_f32_e32 v36, v38, v20
	v_sub_f32_e32 v38, v38, v36
	v_mov_b32_e32 v37, 0x3c091de6
	v_add_f32_e32 v20, v20, v38
	v_mul_f32_e32 v39, v36, v36
	v_fmac_f32_e32 v37, 0x3ab42872, v36
	v_add_f32_e32 v38, v20, v20
	v_fma_f32 v40, v36, v36, -v39
	v_fma_f32 v37, v36, v37, v29
	v_fmac_f32_e32 v40, v36, v38
	v_fma_f32 v37, v36, v37, v30
	v_add_f32_e32 v38, v39, v40
	v_fma_f32 v37, v36, v37, v31
	v_sub_f32_e32 v39, v38, v39
	v_sub_f32_e32 v39, v40, v39
	v_mul_f32_e32 v40, v37, v38
	v_fma_f32 v38, v38, v37, -v40
	v_fmac_f32_e32 v38, v39, v37
	v_add_f32_e32 v37, v40, v38
	v_sub_f32_e32 v39, v37, v40
	v_sub_f32_e32 v38, v38, v39
	v_add_f32_e32 v39, v36, v37
	v_sub_f32_e32 v36, v39, v36
	v_sub_f32_e32 v36, v37, v36
	v_add_f32_e32 v20, v20, v38
	v_add_f32_e32 v20, v20, v36
	;; [unrolled: 1-line block ×3, first 2 shown]
	v_sub_f32_e32 v37, v36, v39
	v_sub_f32_e32 v20, v20, v37
	v_add_f32_e32 v37, 1.0, v36
	v_add_f32_e32 v38, -1.0, v37
	v_cvt_i32_f32_e32 v22, v22
	v_sub_f32_e32 v36, v36, v38
	v_add_f32_e32 v20, v20, v36
	v_add_f32_e32 v36, v37, v20
	v_ldexp_f32 v38, v36, v22
	v_rcp_f32_e32 v39, v38
	v_sub_f32_e32 v36, v36, v37
	v_sub_f32_e32 v20, v20, v36
	v_ldexp_f32 v20, v20, v22
	v_mul_f32_e32 v22, v38, v39
	v_fma_f32 v36, v39, v38, -v22
	v_fmac_f32_e32 v36, v39, v20
	v_add_f32_e32 v37, v22, v36
	v_sub_f32_e32 v40, 1.0, v37
	v_sub_f32_e32 v41, 1.0, v40
	v_sub_f32_e32 v22, v37, v22
	v_sub_f32_e32 v41, v41, v37
	;; [unrolled: 1-line block ×3, first 2 shown]
	v_add_f32_e32 v22, v22, v41
	v_add_f32_e32 v36, v40, v22
	v_mul_f32_e32 v37, v39, v36
	v_mul_f32_e32 v41, v38, v37
	v_fma_f32 v42, v37, v38, -v41
	v_fmac_f32_e32 v42, v37, v20
	v_sub_f32_e32 v40, v40, v36
	v_add_f32_e32 v22, v22, v40
	v_add_f32_e32 v40, v41, v42
	v_sub_f32_e32 v43, v36, v40
	v_sub_f32_e32 v36, v36, v43
	;; [unrolled: 1-line block ×4, first 2 shown]
	v_add_f32_e32 v22, v22, v36
	v_sub_f32_e32 v36, v41, v42
	v_add_f32_e32 v22, v36, v22
	v_add_f32_e32 v22, v43, v22
	v_add_f32_e32 v36, v39, v37
	v_mul_f32_e32 v22, v39, v22
	v_sub_f32_e32 v39, v36, v39
	v_sub_f32_e32 v37, v37, v39
	v_add_f32_e32 v22, v37, v22
	v_add_f32_e32 v37, v36, v22
	v_sub_f32_e32 v36, v37, v36
	v_sub_f32_e32 v22, v22, v36
	v_ldexp_f32 v36, v37, -2
	v_sub_f32_e32 v37, v38, v36
	v_sub_f32_e32 v38, v38, v37
	;; [unrolled: 1-line block ×3, first 2 shown]
	v_ldexp_f32 v22, v22, -2
	v_add_f32_e32 v20, v20, v36
	v_sub_f32_e32 v20, v20, v22
	v_add_f32_e32 v20, v37, v20
	v_cmp_ngt_f32_e64 s[2:3], |v18|, s24
	v_cndmask_b32_e64 v20, v32, v20, s[2:3]
	v_cmp_lt_f32_e64 s[2:3], |v18|, s22
	v_cndmask_b32_e64 v18, v20, |v18|, s[2:3]
	v_cvt_f16_f32_e32 v18, v18
	v_mov_b32_e32 v20, s9
	v_add_co_u32_e64 v36, s[2:3], s8, v16
	v_bfi_b32 v18, s25, v18, v35
	v_addc_co_u32_e64 v37, s[2:3], v15, v20, s[2:3]
	global_store_short v[36:37], v18, off
	s_or_b64 exec, exec, s[4:5]
	s_and_saveexec_b64 s[2:3], s[0:1]
	s_cbranch_execz .LBB122_19
.LBB122_23:                             ;   in Loop: Header=BB122_9 Depth=1
	s_waitcnt vmcnt(0)
	v_cvt_f32_f16_e32 v18, v34
	v_add_f32_e64 v20, |v18|, s23
	v_sub_f32_e64 v22, v20, |v18|
	v_sub_f32_e32 v35, v22, v20
	v_add_f32_e32 v22, 0x3f317218, v22
	v_add_f32_e64 v35, |v18|, v35
	v_sub_f32_e32 v22, v35, v22
	v_add_f32_e32 v22, 0x3102e308, v22
	v_add_f32_e32 v35, v20, v22
	v_sub_f32_e32 v20, v20, v35
	v_mul_f32_e32 v36, 0x3fb8aa3b, v35
	v_add_f32_e32 v20, v22, v20
	v_rndne_f32_e32 v22, v36
	v_fmac_f32_e32 v35, 0xbf317200, v22
	v_add_f32_e32 v36, v20, v35
	v_sub_f32_e32 v35, v35, v36
	v_add_f32_e32 v20, v20, v35
	v_mul_f32_e32 v35, 0x35bfbc00, v22
	v_sub_f32_e32 v37, v36, v35
	v_sub_f32_e32 v36, v36, v37
	v_sub_f32_e32 v35, v36, v35
	v_add_f32_e32 v20, v20, v35
	v_add_f32_e32 v35, v37, v20
	v_sub_f32_e32 v36, v37, v35
	v_add_f32_e32 v20, v20, v36
	v_mul_f32_e32 v36, 0x2ea39ef3, v22
	v_sub_f32_e32 v37, v35, v36
	v_sub_f32_e32 v35, v35, v37
	;; [unrolled: 1-line block ×3, first 2 shown]
	v_add_f32_e32 v20, v20, v35
	v_add_f32_e32 v35, v37, v20
	v_sub_f32_e32 v37, v37, v35
	v_mov_b32_e32 v36, 0x3c091de6
	v_add_f32_e32 v20, v20, v37
	v_mul_f32_e32 v38, v35, v35
	v_fmac_f32_e32 v36, 0x3ab42872, v35
	v_add_f32_e32 v37, v20, v20
	v_fma_f32 v39, v35, v35, -v38
	v_fma_f32 v36, v35, v36, v29
	v_fmac_f32_e32 v39, v35, v37
	v_fma_f32 v36, v35, v36, v30
	v_add_f32_e32 v37, v38, v39
	v_fma_f32 v36, v35, v36, v31
	v_sub_f32_e32 v38, v37, v38
	v_sub_f32_e32 v38, v39, v38
	v_mul_f32_e32 v39, v36, v37
	v_fma_f32 v37, v37, v36, -v39
	v_fmac_f32_e32 v37, v38, v36
	v_add_f32_e32 v36, v39, v37
	v_sub_f32_e32 v38, v36, v39
	v_sub_f32_e32 v37, v37, v38
	v_add_f32_e32 v38, v35, v36
	v_sub_f32_e32 v35, v38, v35
	v_sub_f32_e32 v35, v36, v35
	v_add_f32_e32 v20, v20, v37
	v_add_f32_e32 v20, v20, v35
	;; [unrolled: 1-line block ×3, first 2 shown]
	v_sub_f32_e32 v36, v35, v38
	v_sub_f32_e32 v20, v20, v36
	v_add_f32_e32 v36, 1.0, v35
	v_add_f32_e32 v37, -1.0, v36
	v_cvt_i32_f32_e32 v22, v22
	v_sub_f32_e32 v35, v35, v37
	v_add_f32_e32 v20, v20, v35
	v_add_f32_e32 v35, v36, v20
	v_ldexp_f32 v37, v35, v22
	v_rcp_f32_e32 v38, v37
	v_sub_f32_e32 v35, v35, v36
	v_sub_f32_e32 v20, v20, v35
	v_ldexp_f32 v20, v20, v22
	v_mul_f32_e32 v22, v37, v38
	v_fma_f32 v35, v38, v37, -v22
	v_fmac_f32_e32 v35, v38, v20
	v_add_f32_e32 v36, v22, v35
	v_sub_f32_e32 v39, 1.0, v36
	v_sub_f32_e32 v40, 1.0, v39
	v_sub_f32_e32 v22, v36, v22
	v_sub_f32_e32 v40, v40, v36
	;; [unrolled: 1-line block ×3, first 2 shown]
	v_add_f32_e32 v22, v22, v40
	v_add_f32_e32 v35, v39, v22
	v_mul_f32_e32 v36, v38, v35
	v_mul_f32_e32 v40, v37, v36
	v_fma_f32 v41, v36, v37, -v40
	v_fmac_f32_e32 v41, v36, v20
	v_sub_f32_e32 v39, v39, v35
	v_add_f32_e32 v22, v22, v39
	v_add_f32_e32 v39, v40, v41
	v_sub_f32_e32 v42, v35, v39
	v_sub_f32_e32 v35, v35, v42
	;; [unrolled: 1-line block ×4, first 2 shown]
	v_add_f32_e32 v22, v22, v35
	v_sub_f32_e32 v35, v40, v41
	v_add_f32_e32 v22, v35, v22
	v_add_f32_e32 v22, v42, v22
	;; [unrolled: 1-line block ×3, first 2 shown]
	v_mul_f32_e32 v22, v38, v22
	v_sub_f32_e32 v38, v35, v38
	v_sub_f32_e32 v36, v36, v38
	v_add_f32_e32 v22, v36, v22
	v_add_f32_e32 v36, v35, v22
	v_sub_f32_e32 v35, v36, v35
	v_sub_f32_e32 v22, v22, v35
	v_ldexp_f32 v35, v36, -2
	v_sub_f32_e32 v36, v37, v35
	v_sub_f32_e32 v37, v37, v36
	;; [unrolled: 1-line block ×3, first 2 shown]
	v_ldexp_f32 v22, v22, -2
	v_add_f32_e32 v20, v20, v35
	v_sub_f32_e32 v20, v20, v22
	v_add_f32_e32 v20, v36, v20
	v_cmp_ngt_f32_e64 s[0:1], |v18|, s24
	v_cndmask_b32_e64 v20, v32, v20, s[0:1]
	v_cmp_lt_f32_e64 s[0:1], |v18|, s22
	v_cndmask_b32_e64 v18, v20, |v18|, s[0:1]
	v_cvt_f16_f32_e32 v18, v18
	v_mov_b32_e32 v20, s9
	v_bfi_b32 v18, s25, v18, v34
	v_add_co_u32_e64 v34, s[0:1], s8, v12
	v_addc_co_u32_e64 v35, s[0:1], v11, v20, s[0:1]
	global_store_short v[34:35], v18, off
	s_or_b64 exec, exec, s[2:3]
	s_and_saveexec_b64 s[0:1], vcc
	s_cbranch_execz .LBB122_8
.LBB122_24:                             ;   in Loop: Header=BB122_9 Depth=1
	s_waitcnt vmcnt(0)
	v_cvt_f32_f16_e32 v18, v33
	v_add_f32_e64 v20, |v18|, s23
	v_sub_f32_e64 v22, v20, |v18|
	v_sub_f32_e32 v34, v22, v20
	v_add_f32_e32 v22, 0x3f317218, v22
	v_add_f32_e64 v34, |v18|, v34
	v_sub_f32_e32 v22, v34, v22
	v_add_f32_e32 v22, 0x3102e308, v22
	v_add_f32_e32 v34, v20, v22
	v_sub_f32_e32 v20, v20, v34
	v_mul_f32_e32 v35, 0x3fb8aa3b, v34
	v_add_f32_e32 v20, v22, v20
	v_rndne_f32_e32 v22, v35
	v_fmac_f32_e32 v34, 0xbf317200, v22
	v_add_f32_e32 v35, v20, v34
	v_sub_f32_e32 v34, v34, v35
	v_add_f32_e32 v20, v20, v34
	v_mul_f32_e32 v34, 0x35bfbc00, v22
	v_sub_f32_e32 v36, v35, v34
	v_sub_f32_e32 v35, v35, v36
	;; [unrolled: 1-line block ×3, first 2 shown]
	v_add_f32_e32 v20, v20, v34
	v_add_f32_e32 v34, v36, v20
	v_sub_f32_e32 v35, v36, v34
	v_add_f32_e32 v20, v20, v35
	v_mul_f32_e32 v35, 0x2ea39ef3, v22
	v_sub_f32_e32 v36, v34, v35
	v_sub_f32_e32 v34, v34, v36
	;; [unrolled: 1-line block ×3, first 2 shown]
	v_add_f32_e32 v20, v20, v34
	v_add_f32_e32 v34, v36, v20
	v_sub_f32_e32 v36, v36, v34
	v_mov_b32_e32 v35, 0x3c091de6
	v_add_f32_e32 v20, v20, v36
	v_mul_f32_e32 v37, v34, v34
	v_fmac_f32_e32 v35, 0x3ab42872, v34
	v_add_f32_e32 v36, v20, v20
	v_fma_f32 v38, v34, v34, -v37
	v_fma_f32 v35, v34, v35, v29
	v_fmac_f32_e32 v38, v34, v36
	v_fma_f32 v35, v34, v35, v30
	v_add_f32_e32 v36, v37, v38
	v_fma_f32 v35, v34, v35, v31
	v_sub_f32_e32 v37, v36, v37
	v_sub_f32_e32 v37, v38, v37
	v_mul_f32_e32 v38, v35, v36
	v_fma_f32 v36, v36, v35, -v38
	v_fmac_f32_e32 v36, v37, v35
	v_add_f32_e32 v35, v38, v36
	v_sub_f32_e32 v37, v35, v38
	v_sub_f32_e32 v36, v36, v37
	v_add_f32_e32 v37, v34, v35
	v_sub_f32_e32 v34, v37, v34
	v_sub_f32_e32 v34, v35, v34
	v_add_f32_e32 v20, v20, v36
	v_add_f32_e32 v20, v20, v34
	;; [unrolled: 1-line block ×3, first 2 shown]
	v_sub_f32_e32 v35, v34, v37
	v_sub_f32_e32 v20, v20, v35
	v_add_f32_e32 v35, 1.0, v34
	v_add_f32_e32 v36, -1.0, v35
	v_cvt_i32_f32_e32 v22, v22
	v_sub_f32_e32 v34, v34, v36
	v_add_f32_e32 v20, v20, v34
	v_add_f32_e32 v34, v35, v20
	v_ldexp_f32 v36, v34, v22
	v_rcp_f32_e32 v37, v36
	v_sub_f32_e32 v34, v34, v35
	v_sub_f32_e32 v20, v20, v34
	v_ldexp_f32 v20, v20, v22
	v_mul_f32_e32 v22, v36, v37
	v_fma_f32 v34, v37, v36, -v22
	v_fmac_f32_e32 v34, v37, v20
	v_add_f32_e32 v35, v22, v34
	v_sub_f32_e32 v38, 1.0, v35
	v_sub_f32_e32 v39, 1.0, v38
	v_sub_f32_e32 v22, v35, v22
	v_sub_f32_e32 v39, v39, v35
	;; [unrolled: 1-line block ×3, first 2 shown]
	v_add_f32_e32 v22, v22, v39
	v_add_f32_e32 v34, v38, v22
	v_mul_f32_e32 v35, v37, v34
	v_mul_f32_e32 v39, v36, v35
	v_fma_f32 v40, v35, v36, -v39
	v_fmac_f32_e32 v40, v35, v20
	v_sub_f32_e32 v38, v38, v34
	v_add_f32_e32 v22, v22, v38
	v_add_f32_e32 v38, v39, v40
	v_sub_f32_e32 v41, v34, v38
	v_sub_f32_e32 v34, v34, v41
	;; [unrolled: 1-line block ×4, first 2 shown]
	v_add_f32_e32 v22, v22, v34
	v_sub_f32_e32 v34, v39, v40
	v_add_f32_e32 v22, v34, v22
	v_add_f32_e32 v22, v41, v22
	v_add_f32_e32 v34, v37, v35
	v_mul_f32_e32 v22, v37, v22
	v_sub_f32_e32 v37, v34, v37
	v_sub_f32_e32 v35, v35, v37
	v_add_f32_e32 v22, v35, v22
	v_add_f32_e32 v35, v34, v22
	v_sub_f32_e32 v34, v35, v34
	v_sub_f32_e32 v22, v22, v34
	v_ldexp_f32 v34, v35, -2
	v_sub_f32_e32 v35, v36, v34
	v_sub_f32_e32 v36, v36, v35
	;; [unrolled: 1-line block ×3, first 2 shown]
	v_ldexp_f32 v22, v22, -2
	v_add_f32_e32 v20, v20, v34
	v_sub_f32_e32 v20, v20, v22
	v_add_f32_e32 v20, v35, v20
	v_cmp_ngt_f32_e64 vcc, |v18|, s24
	v_cndmask_b32_e32 v20, v32, v20, vcc
	v_cmp_lt_f32_e64 s[2:3], |v18|, s22
	v_cndmask_b32_e64 v18, v20, |v18|, s[2:3]
	v_cvt_f16_f32_e32 v18, v18
	v_mov_b32_e32 v20, s9
	v_add_co_u32_e32 v34, vcc, s8, v8
	v_bfi_b32 v18, s25, v18, v33
	v_addc_co_u32_e32 v35, vcc, v7, v20, vcc
	global_store_short v[34:35], v18, off
	s_branch .LBB122_8
.LBB122_25:
	s_endpgm
	.section	.rodata,"a",@progbits
	.p2align	6, 0x0
	.amdhsa_kernel _ZN2at6native12_GLOBAL__N_125multi_tensor_apply_kernelINS1_18TensorListMetadataILi2EEENS1_14UnaryOpFunctorIN3c104HalfELi2ELi1ELi1EEEJNS0_4SinhIfEEEEEvT_T0_DpT1_
		.amdhsa_group_segment_fixed_size 0
		.amdhsa_private_segment_fixed_size 0
		.amdhsa_kernarg_size 3408
		.amdhsa_user_sgpr_count 6
		.amdhsa_user_sgpr_private_segment_buffer 1
		.amdhsa_user_sgpr_dispatch_ptr 0
		.amdhsa_user_sgpr_queue_ptr 0
		.amdhsa_user_sgpr_kernarg_segment_ptr 1
		.amdhsa_user_sgpr_dispatch_id 0
		.amdhsa_user_sgpr_flat_scratch_init 0
		.amdhsa_user_sgpr_kernarg_preload_length 0
		.amdhsa_user_sgpr_kernarg_preload_offset 0
		.amdhsa_user_sgpr_private_segment_size 0
		.amdhsa_uses_dynamic_stack 0
		.amdhsa_system_sgpr_private_segment_wavefront_offset 0
		.amdhsa_system_sgpr_workgroup_id_x 1
		.amdhsa_system_sgpr_workgroup_id_y 0
		.amdhsa_system_sgpr_workgroup_id_z 0
		.amdhsa_system_sgpr_workgroup_info 0
		.amdhsa_system_vgpr_workitem_id 0
		.amdhsa_next_free_vgpr 56
		.amdhsa_next_free_sgpr 27
		.amdhsa_accum_offset 56
		.amdhsa_reserve_vcc 1
		.amdhsa_reserve_flat_scratch 0
		.amdhsa_float_round_mode_32 0
		.amdhsa_float_round_mode_16_64 0
		.amdhsa_float_denorm_mode_32 3
		.amdhsa_float_denorm_mode_16_64 3
		.amdhsa_dx10_clamp 1
		.amdhsa_ieee_mode 1
		.amdhsa_fp16_overflow 0
		.amdhsa_tg_split 0
		.amdhsa_exception_fp_ieee_invalid_op 0
		.amdhsa_exception_fp_denorm_src 0
		.amdhsa_exception_fp_ieee_div_zero 0
		.amdhsa_exception_fp_ieee_overflow 0
		.amdhsa_exception_fp_ieee_underflow 0
		.amdhsa_exception_fp_ieee_inexact 0
		.amdhsa_exception_int_div_zero 0
	.end_amdhsa_kernel
	.section	.text._ZN2at6native12_GLOBAL__N_125multi_tensor_apply_kernelINS1_18TensorListMetadataILi2EEENS1_14UnaryOpFunctorIN3c104HalfELi2ELi1ELi1EEEJNS0_4SinhIfEEEEEvT_T0_DpT1_,"axG",@progbits,_ZN2at6native12_GLOBAL__N_125multi_tensor_apply_kernelINS1_18TensorListMetadataILi2EEENS1_14UnaryOpFunctorIN3c104HalfELi2ELi1ELi1EEEJNS0_4SinhIfEEEEEvT_T0_DpT1_,comdat
.Lfunc_end122:
	.size	_ZN2at6native12_GLOBAL__N_125multi_tensor_apply_kernelINS1_18TensorListMetadataILi2EEENS1_14UnaryOpFunctorIN3c104HalfELi2ELi1ELi1EEEJNS0_4SinhIfEEEEEvT_T0_DpT1_, .Lfunc_end122-_ZN2at6native12_GLOBAL__N_125multi_tensor_apply_kernelINS1_18TensorListMetadataILi2EEENS1_14UnaryOpFunctorIN3c104HalfELi2ELi1ELi1EEEJNS0_4SinhIfEEEEEvT_T0_DpT1_
                                        ; -- End function
	.section	.AMDGPU.csdata,"",@progbits
; Kernel info:
; codeLenInByte = 6144
; NumSgprs: 31
; NumVgprs: 56
; NumAgprs: 0
; TotalNumVgprs: 56
; ScratchSize: 0
; MemoryBound: 0
; FloatMode: 240
; IeeeMode: 1
; LDSByteSize: 0 bytes/workgroup (compile time only)
; SGPRBlocks: 3
; VGPRBlocks: 6
; NumSGPRsForWavesPerEU: 31
; NumVGPRsForWavesPerEU: 56
; AccumOffset: 56
; Occupancy: 8
; WaveLimiterHint : 0
; COMPUTE_PGM_RSRC2:SCRATCH_EN: 0
; COMPUTE_PGM_RSRC2:USER_SGPR: 6
; COMPUTE_PGM_RSRC2:TRAP_HANDLER: 0
; COMPUTE_PGM_RSRC2:TGID_X_EN: 1
; COMPUTE_PGM_RSRC2:TGID_Y_EN: 0
; COMPUTE_PGM_RSRC2:TGID_Z_EN: 0
; COMPUTE_PGM_RSRC2:TIDIG_COMP_CNT: 0
; COMPUTE_PGM_RSRC3_GFX90A:ACCUM_OFFSET: 13
; COMPUTE_PGM_RSRC3_GFX90A:TG_SPLIT: 0
	.section	.text._ZN2at6native12_GLOBAL__N_125multi_tensor_apply_kernelINS1_18TensorListMetadataILi2EEENS1_14UnaryOpFunctorIN3c108BFloat16ELi2ELi1ELi1EEEJNS0_4SinhIfEEEEEvT_T0_DpT1_,"axG",@progbits,_ZN2at6native12_GLOBAL__N_125multi_tensor_apply_kernelINS1_18TensorListMetadataILi2EEENS1_14UnaryOpFunctorIN3c108BFloat16ELi2ELi1ELi1EEEJNS0_4SinhIfEEEEEvT_T0_DpT1_,comdat
	.globl	_ZN2at6native12_GLOBAL__N_125multi_tensor_apply_kernelINS1_18TensorListMetadataILi2EEENS1_14UnaryOpFunctorIN3c108BFloat16ELi2ELi1ELi1EEEJNS0_4SinhIfEEEEEvT_T0_DpT1_ ; -- Begin function _ZN2at6native12_GLOBAL__N_125multi_tensor_apply_kernelINS1_18TensorListMetadataILi2EEENS1_14UnaryOpFunctorIN3c108BFloat16ELi2ELi1ELi1EEEJNS0_4SinhIfEEEEEvT_T0_DpT1_
	.p2align	8
	.type	_ZN2at6native12_GLOBAL__N_125multi_tensor_apply_kernelINS1_18TensorListMetadataILi2EEENS1_14UnaryOpFunctorIN3c108BFloat16ELi2ELi1ELi1EEEJNS0_4SinhIfEEEEEvT_T0_DpT1_,@function
_ZN2at6native12_GLOBAL__N_125multi_tensor_apply_kernelINS1_18TensorListMetadataILi2EEENS1_14UnaryOpFunctorIN3c108BFloat16ELi2ELi1ELi1EEEJNS0_4SinhIfEEEEEvT_T0_DpT1_: ; @_ZN2at6native12_GLOBAL__N_125multi_tensor_apply_kernelINS1_18TensorListMetadataILi2EEENS1_14UnaryOpFunctorIN3c108BFloat16ELi2ELi1ELi1EEEJNS0_4SinhIfEEEEEvT_T0_DpT1_
; %bb.0:
	v_mov_b32_e32 v1, s6
	global_load_ubyte v1, v1, s[4:5] offset:1536
	s_add_u32 s0, s4, s6
	s_mul_hi_u32 s2, s6, 3
	s_mul_i32 s6, s6, 3
	s_addc_u32 s7, s5, 0
	s_add_u32 s8, s0, s6
	s_addc_u32 s9, s7, s2
	s_mov_b32 s1, 0
	s_mov_b32 s17, s1
	;; [unrolled: 1-line block ×3, first 2 shown]
	s_waitcnt vmcnt(0)
	v_readfirstlane_b32 s0, v1
	s_lshl_b32 s0, s0, 3
	s_load_dword s10, s[8:9], 0x740
	s_load_dwordx2 s[12:13], s[4:5], s0 offset:0x0
	s_load_dwordx2 s[14:15], s[4:5], s0 offset:0x400
	;; [unrolled: 1-line block ×3, first 2 shown]
	s_waitcnt lgkmcnt(0)
	s_ashr_i32 s11, s10, 31
	s_and_b32 s0, s12, 7
	s_and_b32 s16, s14, 3
	;; [unrolled: 1-line block ×3, first 2 shown]
	s_or_b64 s[16:17], s[0:1], s[16:17]
	s_lshl_b64 s[8:9], s[10:11], 17
	s_or_b64 s[2:3], s[2:3], s[16:17]
	s_lshl_b64 s[10:11], s[10:11], 16
	s_sub_u32 s10, s14, s10
	s_subb_u32 s11, s15, s11
	s_cmp_eq_u64 s[2:3], 0
	s_mov_b64 s[2:3], -1
	s_cbranch_scc0 .LBB123_5
; %bb.1:
	v_mov_b32_e32 v3, 0
	v_lshlrev_b32_e32 v2, 2, v0
	v_cmp_gt_i64_e32 vcc, s[10:11], v[2:3]
	s_and_saveexec_b64 s[14:15], vcc
	s_cbranch_execz .LBB123_4
; %bb.2:
	s_load_dword s0, s[4:5], 0xc5c
	v_lshlrev_b32_e32 v1, 3, v0
	v_mov_b32_e32 v2, s9
	v_add_co_u32_e32 v4, vcc, s8, v1
	s_waitcnt lgkmcnt(0)
	s_and_b32 s0, s0, 0xffff
	v_addc_co_u32_e32 v1, vcc, 0, v2, vcc
	s_lshl_b32 s18, s0, 3
	v_add_lshl_u32 v2, v0, s0, 2
	s_lshl_b32 s22, s0, 2
	s_mov_b64 s[16:17], 0
	v_mov_b32_e32 v5, s13
	s_brev_b32 s23, -2
	s_mov_b32 s24, 0xbf317218
	v_mov_b32_e32 v16, 0x3d2aadcc
	v_mov_b32_e32 v17, 0x3e2aaa47
	;; [unrolled: 1-line block ×3, first 2 shown]
	s_mov_b32 s19, -1.0
	s_mov_b32 s25, 0x42b2d4fc
	v_mov_b32_e32 v19, 0x7f800000
	s_mov_b32 s26, 0x39800000
	s_movk_i32 s27, 0x7fff
	v_mov_b32_e32 v20, s7
	v_mov_b32_e32 v21, 0x7fc00000
	;; [unrolled: 1-line block ×3, first 2 shown]
	s_mov_b64 s[20:21], 0xffff
	v_mov_b32_e32 v23, s1
	v_mov_b32_e32 v24, s1
	;; [unrolled: 1-line block ×3, first 2 shown]
	v_mov_b32_e32 v9, -1.0
	v_mov_b32_e32 v11, 1.0
.LBB123_3:                              ; =>This Inner Loop Header: Depth=1
	v_add_co_u32_e32 v12, vcc, s12, v4
	v_addc_co_u32_e32 v13, vcc, v5, v1, vcc
	global_load_dwordx2 v[12:13], v[12:13], off
	v_mov_b32_e32 v8, 0x3c091de6
	v_mov_b32_e32 v10, 0x3c091de6
	;; [unrolled: 1-line block ×4, first 2 shown]
	v_add_co_u32_e32 v14, vcc, s6, v4
	v_addc_co_u32_e32 v15, vcc, v20, v1, vcc
	v_cmp_le_i64_e32 vcc, s[10:11], v[2:3]
	v_cmp_lt_u64_e64 s[0:1], s[20:21], v[2:3]
	s_or_b64 s[0:1], vcc, s[0:1]
	s_and_b64 s[0:1], exec, s[0:1]
	s_or_b64 s[16:17], s[0:1], s[16:17]
	v_add_co_u32_e64 v4, s[2:3], s18, v4
	v_addc_co_u32_e64 v1, s[2:3], v1, v23, s[2:3]
	v_add_co_u32_e64 v2, s[2:3], s22, v2
	v_addc_co_u32_e64 v3, s[2:3], v3, v24, s[2:3]
	s_waitcnt vmcnt(0)
	v_lshlrev_b32_e32 v44, 16, v12
	v_and_b32_e32 v43, 0xffff0000, v12
	v_alignbit_b32 v12, v13, v12, 16
	v_add_f32_e64 v32, |v44|, s24
	v_and_b32_e32 v45, 0xffff0000, v13
	v_add_f32_e64 v33, |v43|, s24
	v_and_b32_e32 v46, 0xffff0000, v12
	v_sub_f32_e64 v13, v32, |v44|
	v_and_b32_e32 v6, 0x7fffffff, v44
	v_sub_f32_e64 v27, v33, |v43|
	v_add_f32_e64 v35, |v46|, s24
	v_sub_f32_e32 v12, v13, v32
	v_sub_f32_e32 v26, v27, v33
	v_sub_f32_e64 v31, v35, |v46|
	v_pk_add_f32 v[12:13], v[6:7], v[12:13]
	v_and_b32_e32 v6, 0x7fffffff, v43
	v_add_f32_e64 v34, |v45|, s24
	v_sub_f32_e32 v30, v31, v35
	v_sub_f32_e32 v36, v12, v13
	v_pk_add_f32 v[12:13], v[6:7], v[26:27]
	v_and_b32_e32 v6, 0x7fffffff, v46
	v_sub_f32_e64 v29, v34, |v45|
	v_add_f32_e32 v26, 0x3102e308, v36
	v_sub_f32_e32 v27, v12, v13
	v_pk_add_f32 v[12:13], v[6:7], v[30:31]
	v_sub_f32_e32 v28, v29, v34
	v_and_b32_e32 v6, 0x7fffffff, v45
	v_add_f32_e32 v30, v32, v26
	v_add_f32_e32 v27, 0x3102e308, v27
	v_sub_f32_e32 v31, v12, v13
	v_pk_add_f32 v[12:13], v[6:7], v[28:29]
	v_sub_f32_e32 v6, v32, v30
	v_mul_f32_e32 v28, 0x3fb8aa3b, v30
	v_add_f32_e32 v29, v33, v27
	v_add_f32_e32 v31, 0x3102e308, v31
	v_sub_f32_e32 v12, v12, v13
	v_add_f32_e32 v6, v26, v6
	v_rndne_f32_e32 v26, v28
	v_sub_f32_e32 v28, v33, v29
	v_mul_f32_e32 v32, 0x3fb8aa3b, v29
	v_add_f32_e32 v33, v35, v31
	v_add_f32_e32 v12, 0x3102e308, v12
	v_fmac_f32_e32 v30, 0xbf317200, v26
	v_mul_f32_e32 v36, 0x35bfbc00, v26
	v_mul_f32_e32 v13, 0x2ea39ef3, v26
	v_cvt_i32_f32_e32 v47, v26
	v_add_f32_e32 v26, v27, v28
	v_rndne_f32_e32 v28, v32
	v_sub_f32_e32 v32, v35, v33
	v_mul_f32_e32 v35, 0x3fb8aa3b, v33
	v_add_f32_e32 v37, v34, v12
	v_add_f32_e32 v38, v6, v30
	v_fmac_f32_e32 v29, 0xbf317200, v28
	v_add_f32_e32 v40, v31, v32
	v_rndne_f32_e32 v32, v35
	v_mul_f32_e32 v39, 0x35bfbc00, v28
	v_mul_f32_e32 v27, 0x2ea39ef3, v28
	v_cvt_i32_f32_e32 v48, v28
	v_sub_f32_e32 v34, v34, v37
	v_mul_f32_e32 v35, 0x3fb8aa3b, v37
	v_sub_f32_e32 v30, v30, v38
	v_sub_f32_e32 v28, v38, v36
	v_add_f32_e32 v41, v26, v29
	v_fmac_f32_e32 v33, 0xbf317200, v32
	v_mul_f32_e32 v49, 0x35bfbc00, v32
	v_mul_f32_e32 v31, 0x2ea39ef3, v32
	v_cvt_i32_f32_e32 v50, v32
	v_add_f32_e32 v12, v12, v34
	v_rndne_f32_e32 v34, v35
	v_add_f32_e32 v6, v6, v30
	v_sub_f32_e32 v30, v38, v28
	v_sub_f32_e32 v29, v29, v41
	;; [unrolled: 1-line block ×3, first 2 shown]
	v_add_f32_e32 v38, v40, v33
	v_fmac_f32_e32 v37, 0xbf317200, v34
	v_sub_f32_e32 v30, v30, v36
	v_add_f32_e32 v26, v26, v29
	v_sub_f32_e32 v29, v41, v32
	v_sub_f32_e32 v33, v33, v38
	v_mul_f32_e32 v51, 0x35bfbc00, v34
	v_add_f32_e32 v6, v6, v30
	v_sub_f32_e32 v29, v29, v39
	v_sub_f32_e32 v36, v38, v49
	v_add_f32_e32 v30, v40, v33
	v_add_f32_e32 v33, v12, v37
	v_mul_f32_e32 v35, 0x2ea39ef3, v34
	v_cvt_i32_f32_e32 v52, v34
	v_sub_f32_e32 v34, v38, v36
	v_sub_f32_e32 v37, v37, v33
	v_add_f32_e32 v53, v26, v29
	v_sub_f32_e32 v38, v33, v51
	v_add_f32_e32 v29, v28, v6
	v_sub_f32_e32 v26, v34, v49
	v_add_f32_e32 v34, v12, v37
	v_sub_f32_e32 v37, v33, v38
	v_mov_b32_e32 v12, v29
	v_add_f32_e32 v33, v32, v53
	v_add_f32_e32 v49, v30, v26
	v_sub_f32_e32 v30, v37, v51
	v_pk_add_f32 v[40:41], v[28:29], v[12:13] neg_lo:[0,1] neg_hi:[0,1]
	v_mov_b32_e32 v26, v33
	v_add_f32_e32 v37, v36, v49
	v_add_f32_e32 v51, v34, v30
	v_sub_f32_e32 v12, v29, v41
	v_add_f32_e32 v6, v6, v40
	v_pk_add_f32 v[28:29], v[32:33], v[26:27] neg_lo:[0,1] neg_hi:[0,1]
	v_mov_b32_e32 v30, v37
	v_add_f32_e32 v39, v38, v51
	v_sub_f32_e32 v26, v12, v13
	v_sub_f32_e32 v32, v33, v29
	v_pk_add_f32 v[12:13], v[36:37], v[30:31] neg_lo:[0,1] neg_hi:[0,1]
	v_mov_b32_e32 v34, v39
	v_add_f32_e32 v6, v6, v26
	v_add_f32_e32 v28, v53, v28
	v_sub_f32_e32 v30, v32, v27
	v_sub_f32_e32 v32, v37, v13
	v_pk_add_f32 v[26:27], v[38:39], v[34:35] neg_lo:[0,1] neg_hi:[0,1]
	v_add_f32_e32 v33, v41, v6
	v_add_f32_e32 v12, v49, v12
	;; [unrolled: 1-line block ×3, first 2 shown]
	v_sub_f32_e32 v30, v32, v31
	v_sub_f32_e32 v31, v39, v27
	;; [unrolled: 1-line block ×3, first 2 shown]
	v_add_f32_e32 v26, v51, v26
	v_fmac_f32_e32 v8, 0x3ab42872, v33
	v_mul_f32_e32 v34, v33, v33
	v_add_f32_e32 v36, v29, v28
	v_add_f32_e32 v12, v12, v30
	v_sub_f32_e32 v30, v31, v35
	v_add_f32_e32 v6, v6, v32
	v_fma_f32 v8, v33, v8, v16
	v_fma_f32 v31, v33, v33, -v34
	v_sub_f32_e32 v29, v29, v36
	v_add_f32_e32 v35, v13, v12
	v_add_f32_e32 v26, v26, v30
	;; [unrolled: 1-line block ×3, first 2 shown]
	v_fmac_f32_e32 v10, 0x3ab42872, v36
	v_mul_f32_e32 v32, v36, v36
	v_fma_f32 v8, v33, v8, v17
	v_add_f32_e32 v28, v28, v29
	v_sub_f32_e32 v13, v13, v35
	v_add_f32_e32 v38, v27, v26
	v_fmac_f32_e32 v31, v33, v30
	v_fma_f32 v10, v36, v10, v16
	v_fma_f32 v29, v36, v36, -v32
	v_fmac_f32_e32 v25, 0x3ab42872, v35
	v_mul_f32_e32 v37, v35, v35
	v_fma_f32 v8, v33, v8, v18
	v_add_f32_e32 v30, v28, v28
	v_add_f32_e32 v13, v12, v13
	v_fmac_f32_e32 v42, 0x3ab42872, v38
	v_sub_f32_e32 v27, v27, v38
	v_add_f32_e32 v40, v34, v31
	v_fma_f32 v10, v36, v10, v17
	v_fma_f32 v25, v35, v25, v16
	v_fma_f32 v12, v35, v35, -v37
	v_mul_f32_e32 v39, v38, v38
	v_fmac_f32_e32 v29, v36, v30
	v_add_f32_e32 v30, v13, v13
	v_fma_f32 v41, v38, v42, v16
	v_add_f32_e32 v42, v26, v27
	v_sub_f32_e32 v27, v40, v34
	v_mul_f32_e32 v34, v8, v40
	v_fma_f32 v10, v36, v10, v18
	v_fma_f32 v25, v35, v25, v17
	v_fma_f32 v26, v38, v38, -v39
	v_add_f32_e32 v49, v32, v29
	v_fmac_f32_e32 v12, v35, v30
	v_fma_f32 v30, v38, v41, v17
	v_add_f32_e32 v41, v42, v42
	v_sub_f32_e32 v27, v31, v27
	v_fma_f32 v31, v40, v8, -v34
	v_fma_f32 v25, v35, v25, v18
	v_sub_f32_e32 v32, v49, v32
	v_mul_f32_e32 v40, v10, v49
	v_add_f32_e32 v51, v37, v12
	v_fmac_f32_e32 v26, v38, v41
	v_fmac_f32_e32 v31, v27, v8
	v_fma_f32 v30, v38, v30, v18
	v_sub_f32_e32 v8, v29, v32
	v_fma_f32 v27, v49, v10, -v40
	v_sub_f32_e32 v29, v51, v37
	v_mul_f32_e32 v32, v25, v51
	v_add_f32_e32 v37, v39, v26
	v_add_f32_e32 v41, v34, v31
	v_fmac_f32_e32 v27, v8, v10
	v_sub_f32_e32 v10, v12, v29
	v_fma_f32 v29, v51, v25, -v32
	v_sub_f32_e32 v12, v37, v39
	v_mul_f32_e32 v39, v30, v37
	v_sub_f32_e32 v34, v41, v34
	v_add_f32_e32 v8, v33, v41
	v_add_f32_e32 v49, v40, v27
	v_fmac_f32_e32 v29, v10, v25
	v_sub_f32_e32 v10, v26, v12
	v_fma_f32 v25, v37, v30, -v39
	v_sub_f32_e32 v12, v31, v34
	v_sub_f32_e32 v26, v8, v33
	;; [unrolled: 1-line block ×3, first 2 shown]
	v_add_f32_e32 v33, v32, v29
	v_fmac_f32_e32 v25, v10, v30
	v_sub_f32_e32 v10, v41, v26
	v_add_f32_e32 v6, v6, v12
	v_sub_f32_e32 v26, v27, v31
	v_sub_f32_e32 v27, v33, v32
	v_add_f32_e32 v37, v39, v25
	v_add_f32_e32 v12, v6, v10
	;; [unrolled: 1-line block ×3, first 2 shown]
	v_sub_f32_e32 v10, v29, v27
	v_sub_f32_e32 v27, v37, v39
	v_add_f32_e32 v26, v8, v12
	v_sub_f32_e32 v25, v25, v27
	v_add_f32_e32 v27, 1.0, v26
	v_pk_add_f32 v[28:29], v[26:27], v[8:9] neg_lo:[0,1] neg_hi:[0,1]
	v_pk_add_f32 v[30:31], v[26:27], s[18:19]
	v_add_f32_e32 v8, v36, v49
	v_add_f32_e32 v10, v13, v10
	v_mov_b32_e32 v13, v26
	v_mov_b32_e32 v29, v31
	v_sub_f32_e32 v26, v8, v36
	v_pk_add_f32 v[12:13], v[12:13], v[28:29] neg_lo:[0,1] neg_hi:[0,1]
	v_sub_f32_e32 v26, v49, v26
	v_add_f32_e32 v28, v12, v13
	v_add_f32_e32 v12, v6, v26
	;; [unrolled: 1-line block ×4, first 2 shown]
	v_sub_f32_e32 v29, v6, v27
	v_ldexp_f32 v6, v6, v47
	v_add_f32_e32 v27, 1.0, v26
	v_sub_f32_e32 v32, v28, v29
	v_rcp_f32_e32 v39, v6
	v_pk_add_f32 v[28:29], v[26:27], v[8:9] neg_lo:[0,1] neg_hi:[0,1]
	v_pk_add_f32 v[30:31], v[26:27], s[18:19]
	v_mov_b32_e32 v13, v26
	v_add_f32_e32 v8, v35, v33
	v_mov_b32_e32 v29, v31
	v_sub_f32_e32 v26, v8, v35
	v_pk_add_f32 v[12:13], v[12:13], v[28:29] neg_lo:[0,1] neg_hi:[0,1]
	v_sub_f32_e32 v26, v33, v26
	v_add_f32_e32 v31, v12, v13
	v_add_f32_e32 v12, v10, v26
	v_mul_f32_e32 v26, v6, v39
	v_add_f32_e32 v10, v27, v31
	v_ldexp_f32 v40, v32, v47
	v_add_f32_e32 v28, v8, v12
	v_fma_f32 v30, v39, v6, -v26
	v_ldexp_f32 v41, v10, v48
	v_add_f32_e32 v25, v42, v25
	v_sub_f32_e32 v27, v10, v27
	v_add_f32_e32 v29, 1.0, v28
	v_fmac_f32_e32 v30, v39, v40
	v_rcp_f32_e32 v42, v41
	v_sub_f32_e32 v27, v31, v27
	v_pk_add_f32 v[32:33], v[28:29], v[8:9] neg_lo:[0,1] neg_hi:[0,1]
	v_pk_add_f32 v[34:35], v[28:29], s[18:19]
	v_add_f32_e32 v8, v38, v37
	v_add_f32_e32 v10, v26, v30
	v_mov_b32_e32 v13, v28
	v_ldexp_f32 v47, v27, v48
	v_mov_b32_e32 v33, v35
	v_sub_f32_e32 v28, v8, v38
	v_sub_f32_e32 v27, 1.0, v10
	v_mov_b32_e32 v31, v10
	v_pk_add_f32 v[12:13], v[12:13], v[32:33] neg_lo:[0,1] neg_hi:[0,1]
	v_sub_f32_e32 v28, v37, v28
	v_pk_add_f32 v[32:33], v[10:11], v[26:27] neg_lo:[0,1] neg_hi:[0,1]
	v_add_f32_e32 v10, v12, v13
	v_add_f32_e32 v12, v25, v28
	v_pk_add_f32 v[30:31], v[32:33], v[30:31] neg_lo:[0,1] neg_hi:[0,1]
	v_mul_f32_e32 v26, v41, v42
	v_add_f32_e32 v13, v29, v10
	v_add_f32_e32 v28, v8, v12
	;; [unrolled: 1-line block ×3, first 2 shown]
	v_fma_f32 v30, v42, v41, -v26
	v_sub_f32_e32 v31, v13, v29
	v_ldexp_f32 v38, v13, v50
	v_add_f32_e32 v29, 1.0, v28
	v_add_f32_e32 v33, v27, v25
	v_fmac_f32_e32 v30, v42, v47
	v_sub_f32_e32 v31, v10, v31
	v_rcp_f32_e32 v48, v38
	v_pk_add_f32 v[34:35], v[28:29], v[8:9] neg_lo:[0,1] neg_hi:[0,1]
	v_pk_add_f32 v[36:37], v[28:29], s[18:19]
	v_mul_f32_e32 v8, v39, v33
	v_sub_f32_e32 v27, v27, v33
	v_add_f32_e32 v10, v26, v30
	v_mov_b32_e32 v13, v28
	v_mov_b32_e32 v35, v37
	v_mul_f32_e32 v28, v6, v8
	v_add_f32_e32 v25, v25, v27
	v_sub_f32_e32 v27, 1.0, v10
	v_ldexp_f32 v49, v31, v50
	v_add_f32_e32 v50, v39, v8
	v_mov_b32_e32 v31, v10
	v_pk_add_f32 v[12:13], v[12:13], v[34:35] neg_lo:[0,1] neg_hi:[0,1]
	v_fma_f32 v34, v8, v6, -v28
	v_pk_add_f32 v[36:37], v[10:11], v[26:27] neg_lo:[0,1] neg_hi:[0,1]
	v_sub_f32_e32 v32, v50, v39
	v_add_f32_e32 v10, v12, v13
	v_fmac_f32_e32 v34, v8, v40
	v_pk_add_f32 v[12:13], v[36:37], v[30:31] neg_lo:[0,1] neg_hi:[0,1]
	v_sub_f32_e32 v8, v8, v32
	v_mul_f32_e32 v26, v38, v48
	v_add_f32_e32 v30, v29, v10
	v_add_f32_e32 v32, v28, v34
	;; [unrolled: 1-line block ×3, first 2 shown]
	v_fma_f32 v12, v48, v38, -v26
	v_sub_f32_e32 v36, v30, v29
	v_ldexp_f32 v37, v30, v52
	v_sub_f32_e32 v29, v33, v32
	v_add_f32_e32 v31, v27, v13
	v_mov_b32_e32 v35, v32
	v_fmac_f32_e32 v12, v48, v49
	v_sub_f32_e32 v30, v10, v36
	v_rcp_f32_e32 v36, v37
	v_pk_add_f32 v[32:33], v[32:33], v[28:29] neg_lo:[0,1] neg_hi:[0,1]
	v_mul_f32_e32 v51, v42, v31
	v_sub_f32_e32 v27, v27, v31
	v_add_f32_e32 v10, v26, v12
	v_pk_add_f32 v[32:33], v[32:33], v[34:35] neg_lo:[0,1] neg_hi:[0,1]
	v_mul_f32_e32 v28, v41, v51
	v_add_f32_e32 v53, v13, v27
	v_add_f32_e32 v54, v42, v51
	v_sub_f32_e32 v27, 1.0, v10
	v_add_f32_e32 v25, v25, v33
	v_fma_f32 v34, v51, v41, -v28
	v_ldexp_f32 v52, v30, v52
	v_mov_b32_e32 v13, v10
	v_add_f32_e32 v25, v32, v25
	v_sub_f32_e32 v30, v54, v42
	v_fmac_f32_e32 v34, v51, v47
	v_pk_add_f32 v[32:33], v[10:11], v[26:27] neg_lo:[0,1] neg_hi:[0,1]
	v_sub_f32_e32 v51, v51, v30
	v_pk_add_f32 v[12:13], v[32:33], v[12:13] neg_lo:[0,1] neg_hi:[0,1]
	v_mul_f32_e32 v26, v37, v36
	v_add_f32_e32 v30, v28, v34
	v_add_f32_e32 v10, v29, v25
	;; [unrolled: 1-line block ×3, first 2 shown]
	v_fma_f32 v12, v36, v37, -v26
	v_sub_f32_e32 v29, v31, v30
	v_mul_f32_e32 v10, v39, v10
	v_mov_b32_e32 v35, v30
	v_add_f32_e32 v33, v27, v13
	v_fmac_f32_e32 v12, v36, v52
	v_pk_add_f32 v[30:31], v[30:31], v[28:29] neg_lo:[0,1] neg_hi:[0,1]
	v_add_f32_e32 v8, v8, v10
	v_sub_f32_e32 v27, v27, v33
	v_add_f32_e32 v10, v26, v12
	v_pk_add_f32 v[30:31], v[30:31], v[34:35] neg_lo:[0,1] neg_hi:[0,1]
	v_mul_f32_e32 v25, v48, v33
	v_add_f32_e32 v32, v50, v8
	v_add_f32_e32 v34, v13, v27
	v_sub_f32_e32 v27, 1.0, v10
	v_add_f32_e32 v31, v53, v31
	v_mul_f32_e32 v28, v38, v25
	v_add_f32_e32 v35, v48, v25
	v_mov_b32_e32 v13, v10
	v_sub_f32_e32 v39, v32, v50
	v_ldexp_f32 v50, v32, -2
	v_add_f32_e32 v32, v30, v31
	v_pk_add_f32 v[30:31], v[10:11], v[26:27] neg_lo:[0,1] neg_hi:[0,1]
	v_pk_add_f32 v[12:13], v[30:31], v[12:13] neg_lo:[0,1] neg_hi:[0,1]
	v_fma_f32 v30, v25, v38, -v28
	v_sub_f32_e32 v10, v35, v48
	v_fmac_f32_e32 v30, v25, v49
	v_sub_f32_e32 v10, v25, v10
	v_sub_f32_e32 v25, v6, v50
	;; [unrolled: 1-line block ×3, first 2 shown]
	v_add_f32_e32 v26, v29, v32
	v_add_f32_e32 v32, v28, v30
	;; [unrolled: 1-line block ×3, first 2 shown]
	v_sub_f32_e32 v8, v8, v39
	v_sub_f32_e32 v6, v6, v50
	v_mul_f32_e32 v26, v42, v26
	v_sub_f32_e32 v29, v33, v32
	v_add_f32_e32 v13, v27, v12
	v_ldexp_f32 v8, v8, -2
	v_mov_b32_e32 v31, v32
	v_add_f32_e32 v6, v40, v6
	v_add_f32_e32 v39, v51, v26
	v_pk_add_f32 v[32:33], v[32:33], v[28:29] neg_lo:[0,1] neg_hi:[0,1]
	v_mul_f32_e32 v40, v36, v13
	v_sub_f32_e32 v42, v27, v13
	v_sub_f32_e32 v6, v6, v8
	v_add_f32_e32 v8, v54, v39
	v_pk_add_f32 v[26:27], v[32:33], v[30:31] neg_lo:[0,1] neg_hi:[0,1]
	v_mul_f32_e32 v28, v37, v40
	v_add_f32_e32 v32, v12, v42
	v_add_f32_e32 v33, v36, v40
	;; [unrolled: 1-line block ×3, first 2 shown]
	v_sub_f32_e32 v12, v8, v54
	v_ldexp_f32 v8, v8, -2
	v_add_f32_e32 v25, v34, v27
	v_fma_f32 v30, v40, v37, -v28
	v_sub_f32_e32 v27, v33, v36
	v_cmp_ngt_f32_e64 vcc, |v44|, s25
	v_sub_f32_e32 v12, v39, v12
	v_sub_f32_e32 v34, v41, v8
	v_add_f32_e32 v25, v26, v25
	v_fmac_f32_e32 v30, v40, v52
	v_cndmask_b32_e32 v6, v19, v6, vcc
	v_sub_f32_e32 v26, v40, v27
	v_cmp_lt_f32_e64 s[0:1], |v44|, s26
	v_ldexp_f32 v27, v12, -2
	v_sub_f32_e32 v31, v41, v34
	v_add_f32_e32 v25, v29, v25
	v_add_f32_e32 v12, v28, v30
	v_cndmask_b32_e64 v6, v6, |v44|, s[0:1]
	v_sub_f32_e32 v8, v31, v8
	v_mul_f32_e32 v25, v48, v25
	v_sub_f32_e32 v29, v13, v12
	v_bfi_b32 v6, s23, v6, v44
	v_mov_b32_e32 v31, v12
	v_add_f32_e32 v8, v47, v8
	v_add_f32_e32 v10, v10, v25
	v_pk_add_f32 v[12:13], v[12:13], v[28:29] neg_lo:[0,1] neg_hi:[0,1]
	v_bfe_u32 v39, v6, 16, 1
	v_sub_f32_e32 v8, v8, v27
	v_add_f32_e32 v27, v35, v10
	v_pk_add_f32 v[12:13], v[12:13], v[30:31] neg_lo:[0,1] neg_hi:[0,1]
	v_add3_u32 v25, v6, v39, s27
	v_add_f32_e32 v8, v34, v8
	v_sub_f32_e32 v28, v27, v35
	v_ldexp_f32 v27, v27, -2
	v_add_f32_e32 v13, v32, v13
	v_cmp_ngt_f32_e64 s[0:1], |v43|, s25
	v_lshrrev_b32_e32 v25, 16, v25
	v_cmp_o_f32_e32 vcc, v6, v6
	v_cndmask_b32_e64 v6, v19, v8, s[0:1]
	v_sub_f32_e32 v8, v10, v28
	v_sub_f32_e32 v10, v38, v27
	v_add_f32_e32 v12, v12, v13
	v_cndmask_b32_e32 v13, v22, v25, vcc
	v_cmp_lt_f32_e64 s[0:1], |v43|, s26
	v_sub_f32_e32 v25, v38, v10
	v_add_f32_e32 v12, v29, v12
	v_cndmask_b32_e64 v6, v6, |v43|, s[0:1]
	v_sub_f32_e32 v25, v25, v27
	v_mul_f32_e32 v12, v36, v12
	v_ldexp_f32 v8, v8, -2
	v_bfi_b32 v6, s23, v6, v43
	v_add_f32_e32 v25, v49, v25
	v_add_f32_e32 v12, v26, v12
	v_bfe_u32 v27, v6, 16, 1
	v_sub_f32_e32 v8, v25, v8
	v_add_f32_e32 v25, v33, v12
	v_add3_u32 v26, v6, v27, s27
	v_add_f32_e32 v8, v10, v8
	v_sub_f32_e32 v10, v25, v33
	v_ldexp_f32 v25, v25, -2
	v_cmp_ngt_f32_e64 s[0:1], |v46|, s25
	v_and_b32_e32 v26, 0xffff0000, v26
	v_cmp_o_f32_e32 vcc, v6, v6
	v_cndmask_b32_e64 v6, v19, v8, s[0:1]
	v_sub_f32_e32 v8, v12, v10
	v_sub_f32_e32 v10, v37, v25
	v_cndmask_b32_e32 v12, v21, v26, vcc
	v_sub_f32_e32 v26, v37, v10
	v_cmp_lt_f32_e64 s[0:1], |v46|, s26
	v_or_b32_e32 v12, v13, v12
	v_sub_f32_e32 v13, v26, v25
	v_cndmask_b32_e64 v6, v6, |v46|, s[0:1]
	v_ldexp_f32 v8, v8, -2
	v_add_f32_e32 v13, v52, v13
	v_bfi_b32 v6, s23, v6, v46
	v_sub_f32_e32 v8, v13, v8
	v_bfe_u32 v25, v6, 16, 1
	v_add_f32_e32 v8, v10, v8
	v_cmp_ngt_f32_e64 s[0:1], |v45|, s25
	v_add3_u32 v25, v6, v25, s27
	v_cmp_o_f32_e32 vcc, v6, v6
	v_cndmask_b32_e64 v6, v19, v8, s[0:1]
	v_cmp_lt_f32_e64 s[0:1], |v45|, s26
	v_cndmask_b32_e64 v6, v6, |v45|, s[0:1]
	v_bfi_b32 v6, s23, v6, v45
	v_bfe_u32 v10, v6, 16, 1
	v_lshrrev_b32_e32 v13, 16, v25
	v_add3_u32 v10, v6, v10, s27
	v_cndmask_b32_e32 v8, v22, v13, vcc
	v_and_b32_e32 v10, 0xffff0000, v10
	v_cmp_o_f32_e32 vcc, v6, v6
	v_cndmask_b32_e32 v6, v21, v10, vcc
	v_or3_b32 v12, v12, 0, 0
	v_or3_b32 v13, 0, v8, v6
	global_store_dwordx2 v[14:15], v[12:13], off
	s_andn2_b64 exec, exec, s[16:17]
	s_cbranch_execnz .LBB123_3
.LBB123_4:
	s_or_b64 exec, exec, s[14:15]
	s_mov_b64 s[2:3], 0
.LBB123_5:
	s_andn2_b64 vcc, exec, s[2:3]
	s_cbranch_vccnz .LBB123_25
; %bb.6:
	v_cmp_lt_i64_e64 s[0:1], s[10:11], 1
	s_and_b64 vcc, exec, s[0:1]
	s_cbranch_vccnz .LBB123_25
; %bb.7:
	s_load_dword s0, s[4:5], 0xc5c
	v_mov_b32_e32 v2, 0x10000
	v_mov_b32_e32 v3, 0
	v_cmp_lt_u64_e32 vcc, s[10:11], v[2:3]
	v_lshlrev_b32_e32 v10, 1, v0
	s_waitcnt lgkmcnt(0)
	s_and_b32 s2, s0, 0xffff
	s_and_b64 s[0:1], vcc, exec
	v_mov_b32_e32 v13, s13
	v_add_co_u32_e32 v2, vcc, s12, v10
	v_addc_co_u32_e32 v1, vcc, 0, v13, vcc
	v_mov_b32_e32 v11, 0
	v_mov_b32_e32 v15, s7
	v_add_co_u32_e32 v4, vcc, s6, v10
	v_addc_co_u32_e32 v3, vcc, 0, v15, vcc
	v_mad_u64_u32 v[8:9], s[0:1], s2, 6, v[10:11]
	v_add_co_u32_e32 v6, vcc, s12, v8
	v_addc_co_u32_e32 v5, vcc, v13, v9, vcc
	v_add_co_u32_e32 v8, vcc, s6, v8
	s_mul_i32 s4, s2, 3
	v_addc_co_u32_e32 v7, vcc, v15, v9, vcc
	s_cselect_b32 s15, s11, 0
	s_cselect_b32 s14, s10, 0x10000
	s_lshl_b32 s20, s2, 2
	v_add_co_u32_e32 v17, vcc, s4, v0
	v_addc_co_u32_e64 v24, s[0:1], 0, 0, vcc
	v_add_co_u32_e32 v11, vcc, s20, v10
	v_addc_co_u32_e64 v14, s[0:1], 0, 0, vcc
	v_add_co_u32_e32 v10, vcc, s12, v11
	v_addc_co_u32_e32 v9, vcc, v13, v14, vcc
	v_add_co_u32_e32 v12, vcc, s6, v11
	s_lshl_b32 s3, s2, 1
	v_addc_co_u32_e32 v11, vcc, v15, v14, vcc
	v_add_co_u32_e32 v25, vcc, s3, v0
	v_addc_co_u32_e64 v26, s[0:1], 0, 0, vcc
	v_add_co_u32_e32 v27, vcc, s2, v0
	v_lshlrev_b32_e32 v16, 1, v27
	v_addc_co_u32_e64 v28, s[0:1], 0, 0, vcc
	v_add_co_u32_e32 v14, vcc, s12, v16
	v_addc_co_u32_e32 v13, vcc, 0, v13, vcc
	v_add_co_u32_e32 v16, vcc, s6, v16
	s_mov_b32 s16, 0
	s_lshl_b32 s21, s2, 3
	v_addc_co_u32_e32 v15, vcc, 0, v15, vcc
	s_mov_b64 s[12:13], 0
	s_brev_b32 s22, -2
	s_mov_b32 s23, 0x39800000
	s_mov_b32 s24, 0xbf317218
	v_mov_b32_e32 v19, 0x3f317218
	v_mov_b32_e32 v29, 0x3d2aadcc
	;; [unrolled: 1-line block ×4, first 2 shown]
	s_mov_b32 s17, -1.0
	s_mov_b32 s25, 0x42b2d4fc
	s_movk_i32 s26, 0x7fff
	v_mov_b32_e32 v21, -1.0
	v_mov_b32_e32 v23, 1.0
	v_mov_b32_e32 v32, 0x7f800000
	v_mov_b32_e32 v33, 0x7fc0
	s_branch .LBB123_9
.LBB123_8:                              ;   in Loop: Header=BB123_9 Depth=1
	s_or_b64 exec, exec, s[0:1]
	s_add_u32 s12, s12, s20
	s_addc_u32 s13, s13, 0
	s_waitcnt vmcnt(0)
	v_pk_mov_b32 v[34:35], s[10:11], s[10:11] op_sel:[0,1]
	v_cmp_ge_i64_e32 vcc, s[12:13], v[34:35]
	v_mov_b32_e32 v34, 0xffff
	v_mov_b32_e32 v35, 0
	v_cmp_gt_u64_e64 s[0:1], s[12:13], v[34:35]
	s_or_b64 s[0:1], vcc, s[0:1]
	v_mov_b32_e32 v18, s16
	v_add_co_u32_e32 v2, vcc, s21, v2
	v_addc_co_u32_e32 v1, vcc, v1, v18, vcc
	v_add_co_u32_e32 v4, vcc, s21, v4
	v_addc_co_u32_e32 v3, vcc, v3, v18, vcc
	;; [unrolled: 2-line block ×8, first 2 shown]
	s_and_b64 vcc, exec, s[0:1]
	s_cbranch_vccnz .LBB123_25
.LBB123_9:                              ; =>This Inner Loop Header: Depth=1
	v_mov_b32_e32 v18, s13
	v_add_co_u32_e32 v34, vcc, s12, v0
	v_addc_co_u32_e32 v35, vcc, 0, v18, vcc
	v_cmp_gt_u64_e64 s[4:5], s[14:15], v[34:35]
	v_mov_b32_e32 v18, 0
	s_and_saveexec_b64 s[0:1], s[4:5]
	s_cbranch_execz .LBB123_11
; %bb.10:                               ;   in Loop: Header=BB123_9 Depth=1
	v_mov_b32_e32 v18, s9
	v_add_co_u32_e32 v34, vcc, s8, v2
	v_addc_co_u32_e32 v35, vcc, v1, v18, vcc
	global_load_ushort v18, v[34:35], off
.LBB123_11:                             ;   in Loop: Header=BB123_9 Depth=1
	s_or_b64 exec, exec, s[0:1]
	v_mov_b32_e32 v20, s13
	v_add_co_u32_e32 v34, vcc, s12, v27
	v_addc_co_u32_e32 v35, vcc, v28, v20, vcc
	v_cmp_gt_u64_e64 s[2:3], s[14:15], v[34:35]
	v_mov_b32_e32 v36, 0
	s_and_saveexec_b64 s[0:1], s[2:3]
	s_cbranch_execz .LBB123_13
; %bb.12:                               ;   in Loop: Header=BB123_9 Depth=1
	v_mov_b32_e32 v20, s9
	v_add_co_u32_e32 v34, vcc, s8, v14
	v_addc_co_u32_e32 v35, vcc, v13, v20, vcc
	global_load_ushort v36, v[34:35], off
.LBB123_13:                             ;   in Loop: Header=BB123_9 Depth=1
	s_or_b64 exec, exec, s[0:1]
	v_mov_b32_e32 v20, s13
	v_add_co_u32_e32 v34, vcc, s12, v25
	v_addc_co_u32_e32 v35, vcc, v26, v20, vcc
	v_cmp_gt_u64_e64 s[0:1], s[14:15], v[34:35]
	v_mov_b32_e32 v34, 0
	v_mov_b32_e32 v35, 0
	s_and_saveexec_b64 s[6:7], s[0:1]
	s_cbranch_execz .LBB123_15
; %bb.14:                               ;   in Loop: Header=BB123_9 Depth=1
	v_mov_b32_e32 v20, s9
	v_add_co_u32_e32 v38, vcc, s8, v10
	v_addc_co_u32_e32 v39, vcc, v9, v20, vcc
	global_load_ushort v35, v[38:39], off
.LBB123_15:                             ;   in Loop: Header=BB123_9 Depth=1
	s_or_b64 exec, exec, s[6:7]
	v_mov_b32_e32 v20, s13
	v_add_co_u32_e32 v38, vcc, s12, v17
	v_addc_co_u32_e32 v39, vcc, v24, v20, vcc
	v_cmp_gt_u64_e32 vcc, s[14:15], v[38:39]
	s_and_saveexec_b64 s[18:19], vcc
	s_cbranch_execnz .LBB123_20
; %bb.16:                               ;   in Loop: Header=BB123_9 Depth=1
	s_or_b64 exec, exec, s[18:19]
	s_and_saveexec_b64 s[6:7], s[4:5]
	s_cbranch_execnz .LBB123_21
.LBB123_17:                             ;   in Loop: Header=BB123_9 Depth=1
	s_or_b64 exec, exec, s[6:7]
	s_and_saveexec_b64 s[4:5], s[2:3]
	s_cbranch_execnz .LBB123_22
.LBB123_18:                             ;   in Loop: Header=BB123_9 Depth=1
	s_or_b64 exec, exec, s[4:5]
	s_and_saveexec_b64 s[2:3], s[0:1]
	s_cbranch_execnz .LBB123_23
.LBB123_19:                             ;   in Loop: Header=BB123_9 Depth=1
	s_or_b64 exec, exec, s[2:3]
	s_and_saveexec_b64 s[0:1], vcc
	s_cbranch_execz .LBB123_8
	s_branch .LBB123_24
.LBB123_20:                             ;   in Loop: Header=BB123_9 Depth=1
	v_mov_b32_e32 v20, s9
	v_add_co_u32_e64 v38, s[6:7], s8, v6
	v_addc_co_u32_e64 v39, s[6:7], v5, v20, s[6:7]
	global_load_ushort v34, v[38:39], off
	s_or_b64 exec, exec, s[18:19]
	s_and_saveexec_b64 s[6:7], s[4:5]
	s_cbranch_execz .LBB123_17
.LBB123_21:                             ;   in Loop: Header=BB123_9 Depth=1
	s_waitcnt vmcnt(0)
	v_lshlrev_b32_e32 v37, 16, v18
	v_add_f32_e64 v20, |v37|, s24
	v_sub_f32_e64 v39, v20, |v37|
	v_and_b32_e32 v18, 0x7fffffff, v37
	v_sub_f32_e32 v38, v39, v20
	v_pk_add_f32 v[38:39], v[18:19], v[38:39]
	v_sub_f32_e32 v18, v38, v39
	v_add_f32_e32 v18, 0x3102e308, v18
	v_add_f32_e32 v22, v20, v18
	v_sub_f32_e32 v20, v20, v22
	v_add_f32_e32 v18, v18, v20
	v_mul_f32_e32 v20, 0x3fb8aa3b, v22
	v_rndne_f32_e32 v46, v20
	v_fmac_f32_e32 v22, 0xbf317200, v46
	v_add_f32_e32 v20, v18, v22
	v_mul_f32_e32 v38, 0x35bfbc00, v46
	v_sub_f32_e32 v40, v20, v38
	v_sub_f32_e32 v22, v22, v20
	;; [unrolled: 1-line block ×3, first 2 shown]
	v_add_f32_e32 v18, v18, v22
	v_sub_f32_e32 v20, v20, v38
	v_add_f32_e32 v18, v18, v20
	v_add_f32_e32 v41, v40, v18
	v_mul_f32_e32 v39, 0x2ea39ef3, v46
	v_mov_b32_e32 v38, v41
	v_pk_add_f32 v[42:43], v[40:41], v[38:39] neg_lo:[0,1] neg_hi:[0,1]
	v_sub_f32_e32 v20, v41, v43
	v_sub_f32_e32 v20, v20, v39
	v_add_f32_e32 v18, v18, v42
	v_add_f32_e32 v18, v18, v20
	v_add_f32_e32 v22, v43, v18
	v_mov_b32_e32 v20, 0x3c091de6
	v_sub_f32_e32 v39, v43, v22
	v_fmac_f32_e32 v20, 0x3ab42872, v22
	v_mul_f32_e32 v38, v22, v22
	v_add_f32_e32 v18, v18, v39
	v_fma_f32 v20, v22, v20, v29
	v_add_f32_e32 v39, v18, v18
	v_fma_f32 v40, v22, v22, -v38
	v_fma_f32 v20, v22, v20, v30
	v_fmac_f32_e32 v40, v22, v39
	v_fma_f32 v20, v22, v20, v31
	v_add_f32_e32 v39, v38, v40
	v_mul_f32_e32 v41, v20, v39
	v_sub_f32_e32 v38, v39, v38
	v_sub_f32_e32 v38, v40, v38
	v_fma_f32 v39, v39, v20, -v41
	v_fmac_f32_e32 v39, v38, v20
	v_add_f32_e32 v38, v41, v39
	v_add_f32_e32 v20, v22, v38
	v_sub_f32_e32 v40, v38, v41
	v_sub_f32_e32 v39, v39, v40
	;; [unrolled: 1-line block ×3, first 2 shown]
	v_add_f32_e32 v18, v18, v39
	v_sub_f32_e32 v22, v38, v22
	v_add_f32_e32 v38, v18, v22
	v_add_f32_e32 v40, v20, v38
	v_add_f32_e32 v41, 1.0, v40
	v_pk_add_f32 v[42:43], v[40:41], v[20:21] neg_lo:[0,1] neg_hi:[0,1]
	v_pk_add_f32 v[44:45], v[40:41], s[16:17]
	v_mov_b32_e32 v43, v45
	v_mov_b32_e32 v39, v40
	v_cvt_i32_f32_e32 v18, v46
	v_pk_add_f32 v[38:39], v[38:39], v[42:43] neg_lo:[0,1] neg_hi:[0,1]
	v_add_f32_e32 v20, v38, v39
	v_add_f32_e32 v22, v41, v20
	v_ldexp_f32 v46, v22, v18
	v_rcp_f32_e32 v47, v46
	v_sub_f32_e32 v22, v22, v41
	v_sub_f32_e32 v20, v20, v22
	v_ldexp_f32 v18, v20, v18
	v_mul_f32_e32 v38, v46, v47
	v_fma_f32 v40, v47, v46, -v38
	v_fmac_f32_e32 v40, v47, v18
	v_add_f32_e32 v22, v38, v40
	v_sub_f32_e32 v39, 1.0, v22
	v_pk_add_f32 v[42:43], v[22:23], v[38:39] neg_lo:[0,1] neg_hi:[0,1]
	v_mov_b32_e32 v41, v22
	v_pk_add_f32 v[40:41], v[42:43], v[40:41] neg_lo:[0,1] neg_hi:[0,1]
	v_add_f32_e32 v20, v40, v41
	v_add_f32_e32 v41, v39, v20
	v_mul_f32_e32 v22, v47, v41
	v_add_f32_e32 v48, v47, v22
	v_sub_f32_e32 v38, v48, v47
	v_mul_f32_e32 v42, v46, v22
	v_sub_f32_e32 v49, v22, v38
	v_fma_f32 v38, v22, v46, -v42
	v_fmac_f32_e32 v38, v22, v18
	v_add_f32_e32 v40, v42, v38
	v_sub_f32_e32 v43, v41, v40
	v_sub_f32_e32 v22, v39, v41
	v_pk_add_f32 v[44:45], v[40:41], v[42:43] neg_lo:[0,1] neg_hi:[0,1]
	v_mov_b32_e32 v39, v40
	v_add_f32_e32 v20, v20, v22
	v_pk_add_f32 v[38:39], v[44:45], v[38:39] neg_lo:[0,1] neg_hi:[0,1]
	v_add_f32_e32 v20, v20, v39
	v_add_f32_e32 v20, v38, v20
	;; [unrolled: 1-line block ×3, first 2 shown]
	v_mul_f32_e32 v20, v47, v20
	v_add_f32_e32 v20, v49, v20
	v_add_f32_e32 v22, v48, v20
	v_ldexp_f32 v38, v22, -2
	v_sub_f32_e32 v39, v46, v38
	v_sub_f32_e32 v40, v46, v39
	;; [unrolled: 1-line block ×5, first 2 shown]
	v_add_f32_e32 v18, v18, v38
	v_ldexp_f32 v20, v20, -2
	v_sub_f32_e32 v18, v18, v20
	v_add_f32_e32 v18, v39, v18
	v_cmp_ngt_f32_e64 s[4:5], |v37|, s25
	v_cndmask_b32_e64 v18, v32, v18, s[4:5]
	v_cmp_lt_f32_e64 s[4:5], |v37|, s23
	v_cndmask_b32_e64 v18, v18, |v37|, s[4:5]
	v_bfi_b32 v18, s22, v18, v37
	v_bfe_u32 v20, v18, 16, 1
	v_add3_u32 v20, v18, v20, s26
	v_lshrrev_b32_e32 v20, 16, v20
	v_cmp_o_f32_e64 s[4:5], v18, v18
	v_cndmask_b32_e64 v18, v33, v20, s[4:5]
	v_mov_b32_e32 v20, s9
	v_add_co_u32_e64 v38, s[4:5], s8, v4
	v_addc_co_u32_e64 v39, s[4:5], v3, v20, s[4:5]
	global_store_short v[38:39], v18, off
	s_or_b64 exec, exec, s[6:7]
	s_and_saveexec_b64 s[4:5], s[2:3]
	s_cbranch_execz .LBB123_18
.LBB123_22:                             ;   in Loop: Header=BB123_9 Depth=1
	s_waitcnt vmcnt(0)
	v_lshlrev_b32_e32 v44, 16, v36
	v_add_f32_e64 v20, |v44|, s24
	v_sub_f32_e64 v37, v20, |v44|
	v_and_b32_e32 v18, 0x7fffffff, v44
	v_sub_f32_e32 v36, v37, v20
	v_pk_add_f32 v[36:37], v[18:19], v[36:37]
	v_sub_f32_e32 v18, v36, v37
	v_add_f32_e32 v18, 0x3102e308, v18
	v_add_f32_e32 v22, v20, v18
	v_sub_f32_e32 v20, v20, v22
	v_add_f32_e32 v18, v18, v20
	v_mul_f32_e32 v20, 0x3fb8aa3b, v22
	v_rndne_f32_e32 v45, v20
	v_fmac_f32_e32 v22, 0xbf317200, v45
	v_add_f32_e32 v20, v18, v22
	v_sub_f32_e32 v22, v22, v20
	v_add_f32_e32 v18, v18, v22
	v_mul_f32_e32 v22, 0x35bfbc00, v45
	v_sub_f32_e32 v38, v20, v22
	v_sub_f32_e32 v20, v20, v38
	;; [unrolled: 1-line block ×3, first 2 shown]
	v_add_f32_e32 v18, v18, v20
	v_add_f32_e32 v39, v38, v18
	v_mul_f32_e32 v37, 0x2ea39ef3, v45
	v_mov_b32_e32 v36, v39
	v_pk_add_f32 v[40:41], v[38:39], v[36:37] neg_lo:[0,1] neg_hi:[0,1]
	v_sub_f32_e32 v20, v39, v41
	v_sub_f32_e32 v20, v20, v37
	v_add_f32_e32 v18, v18, v40
	v_add_f32_e32 v18, v18, v20
	;; [unrolled: 1-line block ×3, first 2 shown]
	v_sub_f32_e32 v36, v41, v22
	v_mov_b32_e32 v20, 0x3c091de6
	v_add_f32_e32 v18, v18, v36
	v_mul_f32_e32 v37, v22, v22
	v_fmac_f32_e32 v20, 0x3ab42872, v22
	v_add_f32_e32 v36, v18, v18
	v_fma_f32 v38, v22, v22, -v37
	v_fma_f32 v20, v22, v20, v29
	v_fmac_f32_e32 v38, v22, v36
	v_fma_f32 v20, v22, v20, v30
	v_add_f32_e32 v36, v37, v38
	v_fma_f32 v20, v22, v20, v31
	v_sub_f32_e32 v37, v36, v37
	v_sub_f32_e32 v37, v38, v37
	v_mul_f32_e32 v38, v20, v36
	v_fma_f32 v36, v36, v20, -v38
	v_fmac_f32_e32 v36, v37, v20
	v_add_f32_e32 v37, v38, v36
	v_sub_f32_e32 v20, v37, v38
	v_sub_f32_e32 v36, v36, v20
	v_add_f32_e32 v20, v22, v37
	v_sub_f32_e32 v22, v20, v22
	v_sub_f32_e32 v22, v37, v22
	v_add_f32_e32 v18, v18, v36
	v_add_f32_e32 v36, v18, v22
	;; [unrolled: 1-line block ×3, first 2 shown]
	v_add_f32_e32 v39, 1.0, v38
	v_pk_add_f32 v[40:41], v[38:39], v[20:21] neg_lo:[0,1] neg_hi:[0,1]
	v_pk_add_f32 v[42:43], v[38:39], s[16:17]
	v_mov_b32_e32 v41, v43
	v_mov_b32_e32 v37, v38
	v_cvt_i32_f32_e32 v18, v45
	v_pk_add_f32 v[36:37], v[36:37], v[40:41] neg_lo:[0,1] neg_hi:[0,1]
	v_add_f32_e32 v20, v36, v37
	v_add_f32_e32 v22, v39, v20
	v_ldexp_f32 v45, v22, v18
	v_rcp_f32_e32 v46, v45
	v_sub_f32_e32 v22, v22, v39
	v_sub_f32_e32 v20, v20, v22
	v_ldexp_f32 v18, v20, v18
	v_mul_f32_e32 v36, v45, v46
	v_fma_f32 v38, v46, v45, -v36
	v_fmac_f32_e32 v38, v46, v18
	v_add_f32_e32 v22, v36, v38
	v_sub_f32_e32 v37, 1.0, v22
	v_pk_add_f32 v[40:41], v[22:23], v[36:37] neg_lo:[0,1] neg_hi:[0,1]
	v_mov_b32_e32 v39, v22
	v_pk_add_f32 v[38:39], v[40:41], v[38:39] neg_lo:[0,1] neg_hi:[0,1]
	v_add_f32_e32 v20, v38, v39
	v_add_f32_e32 v39, v37, v20
	v_mul_f32_e32 v22, v46, v39
	v_mul_f32_e32 v36, v45, v22
	v_fma_f32 v40, v22, v45, -v36
	v_fmac_f32_e32 v40, v22, v18
	v_sub_f32_e32 v37, v37, v39
	v_add_f32_e32 v38, v36, v40
	v_add_f32_e32 v20, v20, v37
	v_sub_f32_e32 v37, v39, v38
	v_pk_add_f32 v[42:43], v[38:39], v[36:37] neg_lo:[0,1] neg_hi:[0,1]
	v_mov_b32_e32 v41, v38
	v_pk_add_f32 v[38:39], v[42:43], v[40:41] neg_lo:[0,1] neg_hi:[0,1]
	v_add_f32_e32 v20, v20, v39
	v_add_f32_e32 v20, v38, v20
	;; [unrolled: 1-line block ×4, first 2 shown]
	v_sub_f32_e32 v37, v36, v46
	v_mul_f32_e32 v20, v46, v20
	v_sub_f32_e32 v22, v22, v37
	v_add_f32_e32 v20, v22, v20
	v_add_f32_e32 v22, v36, v20
	v_sub_f32_e32 v36, v22, v36
	v_ldexp_f32 v22, v22, -2
	v_sub_f32_e32 v20, v20, v36
	v_sub_f32_e32 v36, v45, v22
	;; [unrolled: 1-line block ×4, first 2 shown]
	v_ldexp_f32 v20, v20, -2
	v_add_f32_e32 v18, v18, v22
	v_sub_f32_e32 v18, v18, v20
	v_add_f32_e32 v18, v36, v18
	v_cmp_ngt_f32_e64 s[2:3], |v44|, s25
	v_cndmask_b32_e64 v18, v32, v18, s[2:3]
	v_cmp_lt_f32_e64 s[2:3], |v44|, s23
	v_cndmask_b32_e64 v18, v18, |v44|, s[2:3]
	v_bfi_b32 v18, s22, v18, v44
	v_bfe_u32 v20, v18, 16, 1
	v_add3_u32 v20, v18, v20, s26
	v_lshrrev_b32_e32 v20, 16, v20
	v_cmp_o_f32_e64 s[2:3], v18, v18
	v_cndmask_b32_e64 v18, v33, v20, s[2:3]
	v_mov_b32_e32 v20, s9
	v_add_co_u32_e64 v36, s[2:3], s8, v16
	v_addc_co_u32_e64 v37, s[2:3], v15, v20, s[2:3]
	global_store_short v[36:37], v18, off
	s_or_b64 exec, exec, s[4:5]
	s_and_saveexec_b64 s[2:3], s[0:1]
	s_cbranch_execz .LBB123_19
.LBB123_23:                             ;   in Loop: Header=BB123_9 Depth=1
	s_waitcnt vmcnt(0)
	v_lshlrev_b32_e32 v35, 16, v35
	v_add_f32_e64 v20, |v35|, s24
	v_sub_f32_e64 v37, v20, |v35|
	v_and_b32_e32 v18, 0x7fffffff, v35
	v_sub_f32_e32 v36, v37, v20
	v_pk_add_f32 v[36:37], v[18:19], v[36:37]
	v_sub_f32_e32 v18, v36, v37
	v_add_f32_e32 v18, 0x3102e308, v18
	v_add_f32_e32 v22, v20, v18
	v_sub_f32_e32 v20, v20, v22
	v_add_f32_e32 v18, v18, v20
	v_mul_f32_e32 v20, 0x3fb8aa3b, v22
	v_rndne_f32_e32 v44, v20
	v_fmac_f32_e32 v22, 0xbf317200, v44
	v_add_f32_e32 v20, v18, v22
	v_sub_f32_e32 v22, v22, v20
	v_add_f32_e32 v18, v18, v22
	v_mul_f32_e32 v22, 0x35bfbc00, v44
	v_sub_f32_e32 v38, v20, v22
	v_sub_f32_e32 v20, v20, v38
	;; [unrolled: 1-line block ×3, first 2 shown]
	v_add_f32_e32 v18, v18, v20
	v_add_f32_e32 v39, v38, v18
	v_mul_f32_e32 v37, 0x2ea39ef3, v44
	v_mov_b32_e32 v36, v39
	v_pk_add_f32 v[40:41], v[38:39], v[36:37] neg_lo:[0,1] neg_hi:[0,1]
	v_sub_f32_e32 v20, v39, v41
	v_sub_f32_e32 v20, v20, v37
	v_add_f32_e32 v18, v18, v40
	v_add_f32_e32 v18, v18, v20
	;; [unrolled: 1-line block ×3, first 2 shown]
	v_sub_f32_e32 v36, v41, v22
	v_mov_b32_e32 v20, 0x3c091de6
	v_add_f32_e32 v18, v18, v36
	v_mul_f32_e32 v37, v22, v22
	v_fmac_f32_e32 v20, 0x3ab42872, v22
	v_add_f32_e32 v36, v18, v18
	v_fma_f32 v38, v22, v22, -v37
	v_fma_f32 v20, v22, v20, v29
	v_fmac_f32_e32 v38, v22, v36
	v_fma_f32 v20, v22, v20, v30
	v_add_f32_e32 v36, v37, v38
	v_fma_f32 v20, v22, v20, v31
	v_sub_f32_e32 v37, v36, v37
	v_sub_f32_e32 v37, v38, v37
	v_mul_f32_e32 v38, v20, v36
	v_fma_f32 v36, v36, v20, -v38
	v_fmac_f32_e32 v36, v37, v20
	v_add_f32_e32 v37, v38, v36
	v_sub_f32_e32 v20, v37, v38
	v_sub_f32_e32 v36, v36, v20
	v_add_f32_e32 v20, v22, v37
	v_sub_f32_e32 v22, v20, v22
	v_sub_f32_e32 v22, v37, v22
	v_add_f32_e32 v18, v18, v36
	v_add_f32_e32 v36, v18, v22
	;; [unrolled: 1-line block ×3, first 2 shown]
	v_add_f32_e32 v39, 1.0, v38
	v_pk_add_f32 v[40:41], v[38:39], v[20:21] neg_lo:[0,1] neg_hi:[0,1]
	v_pk_add_f32 v[42:43], v[38:39], s[16:17]
	v_mov_b32_e32 v41, v43
	v_mov_b32_e32 v37, v38
	v_cvt_i32_f32_e32 v18, v44
	v_pk_add_f32 v[36:37], v[36:37], v[40:41] neg_lo:[0,1] neg_hi:[0,1]
	v_add_f32_e32 v20, v36, v37
	v_add_f32_e32 v22, v39, v20
	v_ldexp_f32 v44, v22, v18
	v_rcp_f32_e32 v45, v44
	v_sub_f32_e32 v22, v22, v39
	v_sub_f32_e32 v20, v20, v22
	v_ldexp_f32 v18, v20, v18
	v_mul_f32_e32 v36, v44, v45
	v_fma_f32 v38, v45, v44, -v36
	v_fmac_f32_e32 v38, v45, v18
	v_add_f32_e32 v22, v36, v38
	v_sub_f32_e32 v37, 1.0, v22
	v_pk_add_f32 v[40:41], v[22:23], v[36:37] neg_lo:[0,1] neg_hi:[0,1]
	v_mov_b32_e32 v39, v22
	v_pk_add_f32 v[38:39], v[40:41], v[38:39] neg_lo:[0,1] neg_hi:[0,1]
	v_add_f32_e32 v20, v38, v39
	v_add_f32_e32 v39, v37, v20
	v_mul_f32_e32 v22, v45, v39
	v_mul_f32_e32 v36, v44, v22
	v_fma_f32 v40, v22, v44, -v36
	v_fmac_f32_e32 v40, v22, v18
	v_sub_f32_e32 v37, v37, v39
	v_add_f32_e32 v38, v36, v40
	v_add_f32_e32 v20, v20, v37
	v_sub_f32_e32 v37, v39, v38
	v_pk_add_f32 v[42:43], v[38:39], v[36:37] neg_lo:[0,1] neg_hi:[0,1]
	v_mov_b32_e32 v41, v38
	v_pk_add_f32 v[38:39], v[42:43], v[40:41] neg_lo:[0,1] neg_hi:[0,1]
	v_add_f32_e32 v20, v20, v39
	v_add_f32_e32 v20, v38, v20
	;; [unrolled: 1-line block ×4, first 2 shown]
	v_sub_f32_e32 v37, v36, v45
	v_mul_f32_e32 v20, v45, v20
	v_sub_f32_e32 v22, v22, v37
	v_add_f32_e32 v20, v22, v20
	v_add_f32_e32 v22, v36, v20
	v_sub_f32_e32 v36, v22, v36
	v_ldexp_f32 v22, v22, -2
	v_sub_f32_e32 v20, v20, v36
	v_sub_f32_e32 v36, v44, v22
	v_sub_f32_e32 v37, v44, v36
	v_sub_f32_e32 v22, v37, v22
	v_ldexp_f32 v20, v20, -2
	v_add_f32_e32 v18, v18, v22
	v_sub_f32_e32 v18, v18, v20
	v_add_f32_e32 v18, v36, v18
	v_cmp_ngt_f32_e64 s[0:1], |v35|, s25
	v_cndmask_b32_e64 v18, v32, v18, s[0:1]
	v_cmp_lt_f32_e64 s[0:1], |v35|, s23
	v_cndmask_b32_e64 v18, v18, |v35|, s[0:1]
	v_bfi_b32 v18, s22, v18, v35
	v_bfe_u32 v20, v18, 16, 1
	v_add3_u32 v20, v18, v20, s26
	v_lshrrev_b32_e32 v20, 16, v20
	v_cmp_o_f32_e64 s[0:1], v18, v18
	v_cndmask_b32_e64 v18, v33, v20, s[0:1]
	v_mov_b32_e32 v20, s9
	v_add_co_u32_e64 v36, s[0:1], s8, v12
	v_addc_co_u32_e64 v37, s[0:1], v11, v20, s[0:1]
	global_store_short v[36:37], v18, off
	s_or_b64 exec, exec, s[2:3]
	s_and_saveexec_b64 s[0:1], vcc
	s_cbranch_execz .LBB123_8
.LBB123_24:                             ;   in Loop: Header=BB123_9 Depth=1
	s_waitcnt vmcnt(0)
	v_lshlrev_b32_e32 v42, 16, v34
	v_add_f32_e64 v20, |v42|, s24
	v_sub_f32_e64 v35, v20, |v42|
	v_and_b32_e32 v18, 0x7fffffff, v42
	v_sub_f32_e32 v34, v35, v20
	v_pk_add_f32 v[34:35], v[18:19], v[34:35]
	v_sub_f32_e32 v18, v34, v35
	v_add_f32_e32 v18, 0x3102e308, v18
	v_add_f32_e32 v22, v20, v18
	v_sub_f32_e32 v20, v20, v22
	v_add_f32_e32 v18, v18, v20
	v_mul_f32_e32 v20, 0x3fb8aa3b, v22
	v_rndne_f32_e32 v43, v20
	v_fmac_f32_e32 v22, 0xbf317200, v43
	v_add_f32_e32 v20, v18, v22
	v_sub_f32_e32 v22, v22, v20
	v_add_f32_e32 v18, v18, v22
	v_mul_f32_e32 v22, 0x35bfbc00, v43
	v_sub_f32_e32 v36, v20, v22
	v_sub_f32_e32 v20, v20, v36
	;; [unrolled: 1-line block ×3, first 2 shown]
	v_add_f32_e32 v18, v18, v20
	v_add_f32_e32 v37, v36, v18
	v_mul_f32_e32 v35, 0x2ea39ef3, v43
	v_mov_b32_e32 v34, v37
	v_pk_add_f32 v[38:39], v[36:37], v[34:35] neg_lo:[0,1] neg_hi:[0,1]
	v_sub_f32_e32 v20, v37, v39
	v_sub_f32_e32 v20, v20, v35
	v_add_f32_e32 v18, v18, v38
	v_add_f32_e32 v18, v18, v20
	;; [unrolled: 1-line block ×3, first 2 shown]
	v_sub_f32_e32 v34, v39, v22
	v_mov_b32_e32 v20, 0x3c091de6
	v_add_f32_e32 v18, v18, v34
	v_mul_f32_e32 v35, v22, v22
	v_fmac_f32_e32 v20, 0x3ab42872, v22
	v_add_f32_e32 v34, v18, v18
	v_fma_f32 v36, v22, v22, -v35
	v_fma_f32 v20, v22, v20, v29
	v_fmac_f32_e32 v36, v22, v34
	v_fma_f32 v20, v22, v20, v30
	v_add_f32_e32 v34, v35, v36
	v_fma_f32 v20, v22, v20, v31
	v_sub_f32_e32 v35, v34, v35
	v_sub_f32_e32 v35, v36, v35
	v_mul_f32_e32 v36, v20, v34
	v_fma_f32 v34, v34, v20, -v36
	v_fmac_f32_e32 v34, v35, v20
	v_add_f32_e32 v35, v36, v34
	v_sub_f32_e32 v20, v35, v36
	v_sub_f32_e32 v34, v34, v20
	v_add_f32_e32 v20, v22, v35
	v_sub_f32_e32 v22, v20, v22
	v_sub_f32_e32 v22, v35, v22
	v_add_f32_e32 v18, v18, v34
	v_add_f32_e32 v34, v18, v22
	;; [unrolled: 1-line block ×3, first 2 shown]
	v_add_f32_e32 v37, 1.0, v36
	v_pk_add_f32 v[38:39], v[36:37], v[20:21] neg_lo:[0,1] neg_hi:[0,1]
	v_pk_add_f32 v[40:41], v[36:37], s[16:17]
	v_mov_b32_e32 v39, v41
	v_mov_b32_e32 v35, v36
	v_cvt_i32_f32_e32 v18, v43
	v_pk_add_f32 v[34:35], v[34:35], v[38:39] neg_lo:[0,1] neg_hi:[0,1]
	v_add_f32_e32 v20, v34, v35
	v_add_f32_e32 v22, v37, v20
	v_ldexp_f32 v43, v22, v18
	v_rcp_f32_e32 v44, v43
	v_sub_f32_e32 v22, v22, v37
	v_sub_f32_e32 v20, v20, v22
	v_ldexp_f32 v18, v20, v18
	v_mul_f32_e32 v34, v43, v44
	v_fma_f32 v36, v44, v43, -v34
	v_fmac_f32_e32 v36, v44, v18
	v_add_f32_e32 v22, v34, v36
	v_sub_f32_e32 v35, 1.0, v22
	v_pk_add_f32 v[38:39], v[22:23], v[34:35] neg_lo:[0,1] neg_hi:[0,1]
	v_mov_b32_e32 v37, v22
	v_pk_add_f32 v[36:37], v[38:39], v[36:37] neg_lo:[0,1] neg_hi:[0,1]
	v_add_f32_e32 v20, v36, v37
	v_add_f32_e32 v37, v35, v20
	v_mul_f32_e32 v22, v44, v37
	v_mul_f32_e32 v34, v43, v22
	v_fma_f32 v38, v22, v43, -v34
	v_fmac_f32_e32 v38, v22, v18
	v_sub_f32_e32 v35, v35, v37
	v_add_f32_e32 v36, v34, v38
	v_add_f32_e32 v20, v20, v35
	v_sub_f32_e32 v35, v37, v36
	v_pk_add_f32 v[40:41], v[36:37], v[34:35] neg_lo:[0,1] neg_hi:[0,1]
	v_mov_b32_e32 v39, v36
	v_pk_add_f32 v[36:37], v[40:41], v[38:39] neg_lo:[0,1] neg_hi:[0,1]
	v_add_f32_e32 v20, v20, v37
	v_add_f32_e32 v20, v36, v20
	;; [unrolled: 1-line block ×4, first 2 shown]
	v_sub_f32_e32 v35, v34, v44
	v_mul_f32_e32 v20, v44, v20
	v_sub_f32_e32 v22, v22, v35
	v_add_f32_e32 v20, v22, v20
	v_add_f32_e32 v22, v34, v20
	v_sub_f32_e32 v34, v22, v34
	v_ldexp_f32 v22, v22, -2
	v_sub_f32_e32 v20, v20, v34
	v_sub_f32_e32 v34, v43, v22
	;; [unrolled: 1-line block ×4, first 2 shown]
	v_ldexp_f32 v20, v20, -2
	v_add_f32_e32 v18, v18, v22
	v_sub_f32_e32 v18, v18, v20
	v_add_f32_e32 v18, v34, v18
	v_cmp_ngt_f32_e64 vcc, |v42|, s25
	v_cndmask_b32_e32 v18, v32, v18, vcc
	v_cmp_lt_f32_e64 s[2:3], |v42|, s23
	v_cndmask_b32_e64 v18, v18, |v42|, s[2:3]
	v_bfi_b32 v18, s22, v18, v42
	v_bfe_u32 v20, v18, 16, 1
	v_add3_u32 v20, v18, v20, s26
	v_lshrrev_b32_e32 v20, 16, v20
	v_cmp_o_f32_e32 vcc, v18, v18
	v_cndmask_b32_e32 v18, v33, v20, vcc
	v_mov_b32_e32 v20, s9
	v_add_co_u32_e32 v34, vcc, s8, v8
	v_addc_co_u32_e32 v35, vcc, v7, v20, vcc
	global_store_short v[34:35], v18, off
	s_branch .LBB123_8
.LBB123_25:
	s_endpgm
	.section	.rodata,"a",@progbits
	.p2align	6, 0x0
	.amdhsa_kernel _ZN2at6native12_GLOBAL__N_125multi_tensor_apply_kernelINS1_18TensorListMetadataILi2EEENS1_14UnaryOpFunctorIN3c108BFloat16ELi2ELi1ELi1EEEJNS0_4SinhIfEEEEEvT_T0_DpT1_
		.amdhsa_group_segment_fixed_size 0
		.amdhsa_private_segment_fixed_size 0
		.amdhsa_kernarg_size 3408
		.amdhsa_user_sgpr_count 6
		.amdhsa_user_sgpr_private_segment_buffer 1
		.amdhsa_user_sgpr_dispatch_ptr 0
		.amdhsa_user_sgpr_queue_ptr 0
		.amdhsa_user_sgpr_kernarg_segment_ptr 1
		.amdhsa_user_sgpr_dispatch_id 0
		.amdhsa_user_sgpr_flat_scratch_init 0
		.amdhsa_user_sgpr_kernarg_preload_length 0
		.amdhsa_user_sgpr_kernarg_preload_offset 0
		.amdhsa_user_sgpr_private_segment_size 0
		.amdhsa_uses_dynamic_stack 0
		.amdhsa_system_sgpr_private_segment_wavefront_offset 0
		.amdhsa_system_sgpr_workgroup_id_x 1
		.amdhsa_system_sgpr_workgroup_id_y 0
		.amdhsa_system_sgpr_workgroup_id_z 0
		.amdhsa_system_sgpr_workgroup_info 0
		.amdhsa_system_vgpr_workitem_id 0
		.amdhsa_next_free_vgpr 55
		.amdhsa_next_free_sgpr 28
		.amdhsa_accum_offset 56
		.amdhsa_reserve_vcc 1
		.amdhsa_reserve_flat_scratch 0
		.amdhsa_float_round_mode_32 0
		.amdhsa_float_round_mode_16_64 0
		.amdhsa_float_denorm_mode_32 3
		.amdhsa_float_denorm_mode_16_64 3
		.amdhsa_dx10_clamp 1
		.amdhsa_ieee_mode 1
		.amdhsa_fp16_overflow 0
		.amdhsa_tg_split 0
		.amdhsa_exception_fp_ieee_invalid_op 0
		.amdhsa_exception_fp_denorm_src 0
		.amdhsa_exception_fp_ieee_div_zero 0
		.amdhsa_exception_fp_ieee_overflow 0
		.amdhsa_exception_fp_ieee_underflow 0
		.amdhsa_exception_fp_ieee_inexact 0
		.amdhsa_exception_int_div_zero 0
	.end_amdhsa_kernel
	.section	.text._ZN2at6native12_GLOBAL__N_125multi_tensor_apply_kernelINS1_18TensorListMetadataILi2EEENS1_14UnaryOpFunctorIN3c108BFloat16ELi2ELi1ELi1EEEJNS0_4SinhIfEEEEEvT_T0_DpT1_,"axG",@progbits,_ZN2at6native12_GLOBAL__N_125multi_tensor_apply_kernelINS1_18TensorListMetadataILi2EEENS1_14UnaryOpFunctorIN3c108BFloat16ELi2ELi1ELi1EEEJNS0_4SinhIfEEEEEvT_T0_DpT1_,comdat
.Lfunc_end123:
	.size	_ZN2at6native12_GLOBAL__N_125multi_tensor_apply_kernelINS1_18TensorListMetadataILi2EEENS1_14UnaryOpFunctorIN3c108BFloat16ELi2ELi1ELi1EEEJNS0_4SinhIfEEEEEvT_T0_DpT1_, .Lfunc_end123-_ZN2at6native12_GLOBAL__N_125multi_tensor_apply_kernelINS1_18TensorListMetadataILi2EEENS1_14UnaryOpFunctorIN3c108BFloat16ELi2ELi1ELi1EEEJNS0_4SinhIfEEEEEvT_T0_DpT1_
                                        ; -- End function
	.section	.AMDGPU.csdata,"",@progbits
; Kernel info:
; codeLenInByte = 6492
; NumSgprs: 32
; NumVgprs: 55
; NumAgprs: 0
; TotalNumVgprs: 55
; ScratchSize: 0
; MemoryBound: 0
; FloatMode: 240
; IeeeMode: 1
; LDSByteSize: 0 bytes/workgroup (compile time only)
; SGPRBlocks: 3
; VGPRBlocks: 6
; NumSGPRsForWavesPerEU: 32
; NumVGPRsForWavesPerEU: 55
; AccumOffset: 56
; Occupancy: 8
; WaveLimiterHint : 0
; COMPUTE_PGM_RSRC2:SCRATCH_EN: 0
; COMPUTE_PGM_RSRC2:USER_SGPR: 6
; COMPUTE_PGM_RSRC2:TRAP_HANDLER: 0
; COMPUTE_PGM_RSRC2:TGID_X_EN: 1
; COMPUTE_PGM_RSRC2:TGID_Y_EN: 0
; COMPUTE_PGM_RSRC2:TGID_Z_EN: 0
; COMPUTE_PGM_RSRC2:TIDIG_COMP_CNT: 0
; COMPUTE_PGM_RSRC3_GFX90A:ACCUM_OFFSET: 13
; COMPUTE_PGM_RSRC3_GFX90A:TG_SPLIT: 0
	.section	.text._ZN2at6native12_GLOBAL__N_125multi_tensor_apply_kernelINS1_18TensorListMetadataILi1EEENS1_14UnaryOpFunctorIdLi1ELi1ELi0EEEJNS0_4SinhIdEEEEEvT_T0_DpT1_,"axG",@progbits,_ZN2at6native12_GLOBAL__N_125multi_tensor_apply_kernelINS1_18TensorListMetadataILi1EEENS1_14UnaryOpFunctorIdLi1ELi1ELi0EEEJNS0_4SinhIdEEEEEvT_T0_DpT1_,comdat
	.globl	_ZN2at6native12_GLOBAL__N_125multi_tensor_apply_kernelINS1_18TensorListMetadataILi1EEENS1_14UnaryOpFunctorIdLi1ELi1ELi0EEEJNS0_4SinhIdEEEEEvT_T0_DpT1_ ; -- Begin function _ZN2at6native12_GLOBAL__N_125multi_tensor_apply_kernelINS1_18TensorListMetadataILi1EEENS1_14UnaryOpFunctorIdLi1ELi1ELi0EEEJNS0_4SinhIdEEEEEvT_T0_DpT1_
	.p2align	8
	.type	_ZN2at6native12_GLOBAL__N_125multi_tensor_apply_kernelINS1_18TensorListMetadataILi1EEENS1_14UnaryOpFunctorIdLi1ELi1ELi0EEEJNS0_4SinhIdEEEEEvT_T0_DpT1_,@function
_ZN2at6native12_GLOBAL__N_125multi_tensor_apply_kernelINS1_18TensorListMetadataILi1EEENS1_14UnaryOpFunctorIdLi1ELi1ELi0EEEJNS0_4SinhIdEEEEEvT_T0_DpT1_: ; @_ZN2at6native12_GLOBAL__N_125multi_tensor_apply_kernelINS1_18TensorListMetadataILi1EEENS1_14UnaryOpFunctorIdLi1ELi1ELi0EEEJNS0_4SinhIdEEEEEvT_T0_DpT1_
; %bb.0:
	v_mov_b32_e32 v1, s6
	global_load_ubyte v1, v1, s[4:5] offset:1760
	s_add_u32 s0, s4, s6
	s_mul_hi_u32 s1, s6, 3
	s_mul_i32 s6, s6, 3
	s_addc_u32 s2, s5, 0
	s_add_u32 s0, s0, s6
	s_addc_u32 s1, s2, s1
	s_load_dword s0, s[0:1], 0x820
	s_mov_b32 s7, 0
	s_waitcnt vmcnt(0)
	v_readfirstlane_b32 s2, v1
	s_lshl_b32 s1, s2, 3
	s_load_dwordx2 s[2:3], s[4:5], s1 offset:0x370
	s_load_dwordx2 s[12:13], s[4:5], s1 offset:0x0
	s_waitcnt lgkmcnt(0)
	s_ashr_i32 s1, s0, 31
	s_lshl_b64 s[14:15], s[0:1], 19
	s_lshl_b64 s[0:1], s[0:1], 16
	s_and_b32 s6, s12, 31
	s_sub_u32 s10, s2, s0
	s_subb_u32 s11, s3, s1
	s_and_b32 s0, s2, 3
	s_mov_b32 s1, s7
	s_or_b64 s[0:1], s[6:7], s[0:1]
	s_cmp_eq_u64 s[0:1], 0
	s_cbranch_scc1 .LBB124_21
; %bb.1:
	v_cmp_lt_i64_e64 s[0:1], s[10:11], 1
	s_and_b64 vcc, exec, s[0:1]
	s_cbranch_vccnz .LBB124_20
; %bb.2:
	s_load_dword s0, s[4:5], 0xd3c
	v_mov_b32_e32 v2, 0x10000
	v_mov_b32_e32 v3, 0
	v_cmp_lt_u64_e32 vcc, s[10:11], v[2:3]
	v_lshlrev_b32_e32 v1, 3, v0
	s_waitcnt lgkmcnt(0)
	s_and_b32 s2, s0, 0xffff
	s_and_b64 s[0:1], vcc, exec
	s_cselect_b32 s17, s11, 0
	s_cselect_b32 s16, s10, 0x10000
	s_lshl_b32 s3, s2, 1
	s_lshl_b32 s44, s2, 2
	s_add_u32 s6, s12, s14
	s_addc_u32 s7, s13, s15
	v_mov_b32_e32 v3, s7
	v_add_co_u32_e32 v2, vcc, s6, v1
	s_mul_i32 s0, s2, 3
	v_addc_co_u32_e32 v3, vcc, 0, v3, vcc
	v_add_co_u32_e32 v1, vcc, s0, v0
	v_addc_co_u32_e64 v32, s[0:1], 0, 0, vcc
	v_add_co_u32_e32 v33, vcc, s3, v0
	v_addc_co_u32_e64 v34, s[0:1], 0, 0, vcc
	v_add_co_u32_e32 v35, vcc, s2, v0
	v_lshlrev_b32_e32 v4, 3, v35
	s_mov_b32 s33, 0
	v_addc_co_u32_e64 v36, s[0:1], 0, 0, vcc
	v_mov_b32_e32 v5, s7
	v_add_co_u32_e32 v4, vcc, s6, v4
	s_mov_b32 s20, 0
	s_mov_b32 s22, 0xfefa39ef
	;; [unrolled: 1-line block ×8, first 2 shown]
	s_lshl_b32 s45, s2, 5
	s_mul_i32 s46, s2, 24
	s_mov_b32 s47, s33
	s_lshl_b32 s48, s2, 4
	s_mov_b32 s49, s33
	v_addc_co_u32_e32 v5, vcc, 0, v5, vcc
	s_mov_b64 s[18:19], 0
	s_brev_b32 s50, -2
	s_mov_b32 s21, 0x3e400000
	s_mov_b32 s23, 0xbfe62e42
	;; [unrolled: 1-line block ×10, first 2 shown]
	v_mov_b32_e32 v6, 0xfca7ab0c
	v_mov_b32_e32 v7, 0x3e928af3
	;; [unrolled: 1-line block ×19, first 2 shown]
	s_branch .LBB124_4
.LBB124_3:                              ;   in Loop: Header=BB124_4 Depth=1
	s_or_b64 exec, exec, s[0:1]
	s_add_u32 s18, s18, s44
	s_addc_u32 s19, s19, 0
	s_waitcnt vmcnt(0)
	v_pk_mov_b32 v[24:25], s[10:11], s[10:11] op_sel:[0,1]
	v_cmp_lt_i64_e32 vcc, s[18:19], v[24:25]
	v_mov_b32_e32 v24, 0x10000
	v_mov_b32_e32 v25, 0
	v_cmp_lt_u64_e64 s[0:1], s[18:19], v[24:25]
	s_and_b64 s[0:1], vcc, s[0:1]
	v_mov_b32_e32 v24, s33
	v_add_co_u32_e32 v2, vcc, s45, v2
	v_addc_co_u32_e32 v3, vcc, v3, v24, vcc
	v_add_co_u32_e32 v4, vcc, s45, v4
	v_addc_co_u32_e32 v5, vcc, v5, v24, vcc
	s_and_b64 vcc, exec, s[0:1]
	s_cbranch_vccz .LBB124_20
.LBB124_4:                              ; =>This Inner Loop Header: Depth=1
	v_mov_b32_e32 v25, s19
	v_add_co_u32_e32 v24, vcc, s18, v0
	v_addc_co_u32_e32 v25, vcc, 0, v25, vcc
	v_pk_mov_b32 v[28:29], 0, 0
	v_cmp_gt_u64_e64 s[6:7], s[16:17], v[24:25]
	v_pk_mov_b32 v[30:31], v[28:29], v[28:29] op_sel:[0,1]
	s_and_saveexec_b64 s[0:1], s[6:7]
	s_cbranch_execz .LBB124_6
; %bb.5:                                ;   in Loop: Header=BB124_4 Depth=1
	global_load_dwordx2 v[30:31], v[2:3], off
.LBB124_6:                              ;   in Loop: Header=BB124_4 Depth=1
	s_or_b64 exec, exec, s[0:1]
	v_mov_b32_e32 v25, s19
	v_add_co_u32_e32 v24, vcc, s18, v35
	v_addc_co_u32_e32 v25, vcc, v36, v25, vcc
	v_cmp_gt_u64_e64 s[2:3], s[16:17], v[24:25]
	s_and_saveexec_b64 s[0:1], s[2:3]
	s_cbranch_execz .LBB124_8
; %bb.7:                                ;   in Loop: Header=BB124_4 Depth=1
	global_load_dwordx2 v[28:29], v[4:5], off
.LBB124_8:                              ;   in Loop: Header=BB124_4 Depth=1
	s_or_b64 exec, exec, s[0:1]
	v_mov_b32_e32 v25, s19
	v_add_co_u32_e32 v24, vcc, s18, v33
	v_addc_co_u32_e32 v25, vcc, v34, v25, vcc
	v_cmp_gt_u64_e64 s[0:1], s[16:17], v[24:25]
	v_pk_mov_b32 v[24:25], 0, 0
	v_pk_mov_b32 v[26:27], v[24:25], v[24:25] op_sel:[0,1]
	s_and_saveexec_b64 s[8:9], s[0:1]
	s_cbranch_execz .LBB124_10
; %bb.9:                                ;   in Loop: Header=BB124_4 Depth=1
	v_mov_b32_e32 v27, s49
	v_add_co_u32_e32 v26, vcc, s48, v2
	v_addc_co_u32_e32 v27, vcc, v3, v27, vcc
	global_load_dwordx2 v[26:27], v[26:27], off
.LBB124_10:                             ;   in Loop: Header=BB124_4 Depth=1
	s_or_b64 exec, exec, s[8:9]
	v_mov_b32_e32 v39, s19
	v_add_co_u32_e32 v38, vcc, s18, v1
	v_addc_co_u32_e32 v39, vcc, v32, v39, vcc
	v_cmp_gt_u64_e32 vcc, s[16:17], v[38:39]
	s_and_saveexec_b64 s[42:43], vcc
	s_cbranch_execnz .LBB124_15
; %bb.11:                               ;   in Loop: Header=BB124_4 Depth=1
	s_or_b64 exec, exec, s[42:43]
	s_and_saveexec_b64 s[8:9], s[6:7]
	s_cbranch_execnz .LBB124_16
.LBB124_12:                             ;   in Loop: Header=BB124_4 Depth=1
	s_or_b64 exec, exec, s[8:9]
	s_and_saveexec_b64 s[6:7], s[2:3]
	s_cbranch_execnz .LBB124_17
.LBB124_13:                             ;   in Loop: Header=BB124_4 Depth=1
	s_or_b64 exec, exec, s[6:7]
	s_and_saveexec_b64 s[2:3], s[0:1]
	s_cbranch_execnz .LBB124_18
.LBB124_14:                             ;   in Loop: Header=BB124_4 Depth=1
	s_or_b64 exec, exec, s[2:3]
	s_and_saveexec_b64 s[0:1], vcc
	s_cbranch_execz .LBB124_3
	s_branch .LBB124_19
.LBB124_15:                             ;   in Loop: Header=BB124_4 Depth=1
	v_mov_b32_e32 v25, s47
	v_add_co_u32_e64 v24, s[8:9], s46, v2
	v_addc_co_u32_e64 v25, s[8:9], v3, v25, s[8:9]
	global_load_dwordx2 v[24:25], v[24:25], off
	s_or_b64 exec, exec, s[42:43]
	s_and_saveexec_b64 s[8:9], s[6:7]
	s_cbranch_execz .LBB124_12
.LBB124_16:                             ;   in Loop: Header=BB124_4 Depth=1
	s_waitcnt vmcnt(0)
	v_add_f64 v[38:39], |v[30:31]|, s[22:23]
	v_add_f64 v[40:41], v[38:39], -|v[30:31]|
	v_add_f64 v[42:43], v[40:41], -v[38:39]
	s_mov_b32 s24, s22
	v_add_f64 v[42:43], |v[30:31]|, v[42:43]
	v_add_f64 v[40:41], v[40:41], s[24:25]
	v_add_f64 v[40:41], v[42:43], -v[40:41]
	v_add_f64 v[40:41], v[40:41], s[26:27]
	v_add_f64 v[42:43], v[38:39], v[40:41]
	v_add_f64 v[38:39], v[38:39], -v[42:43]
	v_add_f64 v[38:39], v[40:41], v[38:39]
	v_mul_f64 v[40:41], v[42:43], s[28:29]
	v_rndne_f64_e32 v[40:41], v[40:41]
	s_mov_b32 s31, s23
	v_fmac_f64_e32 v[42:43], s[30:31], v[40:41]
	v_add_f64 v[44:45], v[38:39], v[42:43]
	v_mul_f64 v[46:47], v[40:41], s[34:35]
	v_add_f64 v[48:49], v[44:45], v[46:47]
	v_add_f64 v[42:43], v[42:43], -v[44:45]
	v_add_f64 v[38:39], v[38:39], v[42:43]
	v_add_f64 v[42:43], v[44:45], -v[48:49]
	v_add_f64 v[42:43], v[42:43], v[46:47]
	v_add_f64 v[38:39], v[38:39], v[42:43]
	v_add_f64 v[42:43], v[48:49], v[38:39]
	v_mul_f64 v[44:45], v[40:41], s[36:37]
	v_add_f64 v[46:47], v[42:43], v[44:45]
	v_add_f64 v[48:49], v[48:49], -v[42:43]
	v_add_f64 v[42:43], v[42:43], -v[46:47]
	v_add_f64 v[38:39], v[38:39], v[48:49]
	v_add_f64 v[42:43], v[42:43], v[44:45]
	;; [unrolled: 1-line block ×4, first 2 shown]
	v_pk_mov_b32 v[50:51], v[6:7], v[6:7] op_sel:[0,1]
	v_fmac_f64_e32 v[50:51], s[38:39], v[42:43]
	v_pk_mov_b32 v[52:53], v[8:9], v[8:9] op_sel:[0,1]
	v_fmac_f64_e32 v[52:53], v[42:43], v[50:51]
	;; [unrolled: 2-line block ×4, first 2 shown]
	v_pk_mov_b32 v[50:51], v[14:15], v[14:15] op_sel:[0,1]
	v_add_f64 v[46:47], v[46:47], -v[42:43]
	v_fmac_f64_e32 v[50:51], v[42:43], v[52:53]
	v_pk_mov_b32 v[52:53], v[16:17], v[16:17] op_sel:[0,1]
	v_mul_f64 v[44:45], v[42:43], v[42:43]
	v_add_f64 v[38:39], v[38:39], v[46:47]
	v_fmac_f64_e32 v[52:53], v[42:43], v[50:51]
	v_pk_mov_b32 v[50:51], v[18:19], v[18:19] op_sel:[0,1]
	v_add_f64 v[46:47], v[38:39], v[38:39]
	v_fma_f64 v[48:49], v[42:43], v[42:43], -v[44:45]
	v_fmac_f64_e32 v[50:51], v[42:43], v[52:53]
	v_pk_mov_b32 v[52:53], v[20:21], v[20:21] op_sel:[0,1]
	v_fmac_f64_e32 v[48:49], v[42:43], v[46:47]
	v_fmac_f64_e32 v[52:53], v[42:43], v[50:51]
	v_pk_mov_b32 v[50:51], v[22:23], v[22:23] op_sel:[0,1]
	v_add_f64 v[46:47], v[44:45], v[48:49]
	v_fmac_f64_e32 v[50:51], v[42:43], v[52:53]
	v_mul_f64 v[52:53], v[46:47], v[50:51]
	v_add_f64 v[44:45], v[46:47], -v[44:45]
	v_add_f64 v[44:45], v[48:49], -v[44:45]
	v_fma_f64 v[46:47], v[46:47], v[50:51], -v[52:53]
	v_fmac_f64_e32 v[46:47], v[44:45], v[50:51]
	v_add_f64 v[44:45], v[52:53], v[46:47]
	v_add_f64 v[48:49], v[42:43], v[44:45]
	v_add_f64 v[50:51], v[44:45], -v[52:53]
	v_add_f64 v[46:47], v[46:47], -v[50:51]
	;; [unrolled: 1-line block ×3, first 2 shown]
	v_add_f64 v[38:39], v[38:39], v[46:47]
	v_add_f64 v[42:43], v[44:45], -v[42:43]
	v_add_f64 v[38:39], v[38:39], v[42:43]
	v_add_f64 v[42:43], v[48:49], v[38:39]
	v_add_f64 v[44:45], v[42:43], 1.0
	v_add_f64 v[46:47], v[42:43], -v[48:49]
	v_add_f64 v[38:39], v[38:39], -v[46:47]
	v_add_f64 v[46:47], v[44:45], -1.0
	v_add_f64 v[42:43], v[42:43], -v[46:47]
	v_add_f64 v[38:39], v[38:39], v[42:43]
	v_add_f64 v[42:43], v[44:45], v[38:39]
	v_cvt_i32_f64_e32 v50, v[40:41]
	v_ldexp_f64 v[40:41], v[42:43], v50
	v_rcp_f64_e32 v[46:47], v[40:41]
	v_add_f64 v[42:43], v[42:43], -v[44:45]
	v_add_f64 v[38:39], v[38:39], -v[42:43]
	v_ldexp_f64 v[38:39], v[38:39], v50
	v_fma_f64 v[48:49], -v[40:41], v[46:47], 1.0
	v_fmac_f64_e32 v[46:47], v[48:49], v[46:47]
	v_fma_f64 v[48:49], -v[40:41], v[46:47], 1.0
	v_fmac_f64_e32 v[46:47], v[48:49], v[46:47]
	v_mul_f64 v[48:49], v[40:41], v[46:47]
	v_fma_f64 v[42:43], v[46:47], v[40:41], -v[48:49]
	v_fmac_f64_e32 v[42:43], v[46:47], v[38:39]
	v_add_f64 v[44:45], v[48:49], v[42:43]
	v_add_f64 v[50:51], -v[44:45], 1.0
	v_add_f64 v[48:49], v[44:45], -v[48:49]
	v_add_f64 v[42:43], v[48:49], -v[42:43]
	v_add_f64 v[48:49], -v[50:51], 1.0
	v_add_f64 v[44:45], v[48:49], -v[44:45]
	v_add_f64 v[42:43], v[42:43], v[44:45]
	v_add_f64 v[44:45], v[50:51], v[42:43]
	v_mul_f64 v[48:49], v[46:47], v[44:45]
	v_mul_f64 v[56:57], v[40:41], v[48:49]
	v_add_f64 v[52:53], v[46:47], v[48:49]
	v_fma_f64 v[58:59], v[48:49], v[40:41], -v[56:57]
	v_add_f64 v[54:55], v[52:53], -v[46:47]
	v_fmac_f64_e32 v[58:59], v[48:49], v[38:39]
	v_add_f64 v[54:55], v[48:49], -v[54:55]
	v_add_f64 v[48:49], v[56:57], v[58:59]
	v_add_f64 v[60:61], v[44:45], -v[48:49]
	v_add_f64 v[50:51], v[50:51], -v[44:45]
	;; [unrolled: 1-line block ×4, first 2 shown]
	v_add_f64 v[42:43], v[42:43], v[50:51]
	v_add_f64 v[44:45], v[44:45], -v[48:49]
	v_add_f64 v[56:57], v[56:57], -v[58:59]
	v_add_f64 v[42:43], v[42:43], v[44:45]
	v_add_f64 v[42:43], v[56:57], v[42:43]
	;; [unrolled: 1-line block ×3, first 2 shown]
	v_mul_f64 v[42:43], v[46:47], v[42:43]
	v_add_f64 v[42:43], v[54:55], v[42:43]
	v_add_f64 v[44:45], v[52:53], v[42:43]
	v_ldexp_f64 v[46:47], v[44:45], -2
	v_add_f64 v[48:49], v[40:41], -v[46:47]
	v_add_f64 v[40:41], v[40:41], -v[48:49]
	;; [unrolled: 1-line block ×3, first 2 shown]
	v_add_f64 v[38:39], v[38:39], v[40:41]
	v_add_f64 v[40:41], v[44:45], -v[52:53]
	v_add_f64 v[40:41], v[42:43], -v[40:41]
	v_ldexp_f64 v[40:41], v[40:41], -2
	v_add_f64 v[38:39], v[38:39], -v[40:41]
	v_add_f64 v[38:39], v[48:49], v[38:39]
	v_cmp_nge_f64_e64 s[6:7], |v[30:31]|, s[40:41]
	v_and_b32_e32 v62, 0x7fffffff, v31
	v_cndmask_b32_e64 v39, v37, v39, s[6:7]
	v_cndmask_b32_e64 v38, 0, v38, s[6:7]
	v_cmp_lt_f64_e64 s[6:7], |v[30:31]|, s[20:21]
	v_cndmask_b32_e64 v30, v38, v30, s[6:7]
	v_cndmask_b32_e64 v38, v39, v62, s[6:7]
	v_bfi_b32 v31, s50, v38, v31
	global_store_dwordx2 v[2:3], v[30:31], off
	s_or_b64 exec, exec, s[8:9]
	s_and_saveexec_b64 s[6:7], s[2:3]
	s_cbranch_execz .LBB124_13
.LBB124_17:                             ;   in Loop: Header=BB124_4 Depth=1
	s_waitcnt vmcnt(0)
	v_add_f64 v[30:31], |v[28:29]|, s[22:23]
	v_add_f64 v[38:39], v[30:31], -|v[28:29]|
	v_add_f64 v[40:41], v[38:39], -v[30:31]
	s_mov_b32 s24, s22
	v_add_f64 v[40:41], |v[28:29]|, v[40:41]
	v_add_f64 v[38:39], v[38:39], s[24:25]
	v_add_f64 v[38:39], v[40:41], -v[38:39]
	v_add_f64 v[38:39], v[38:39], s[26:27]
	v_add_f64 v[40:41], v[30:31], v[38:39]
	v_add_f64 v[30:31], v[30:31], -v[40:41]
	v_add_f64 v[30:31], v[38:39], v[30:31]
	v_mul_f64 v[38:39], v[40:41], s[28:29]
	v_rndne_f64_e32 v[38:39], v[38:39]
	s_mov_b32 s31, s23
	v_fmac_f64_e32 v[40:41], s[30:31], v[38:39]
	v_add_f64 v[42:43], v[30:31], v[40:41]
	v_add_f64 v[40:41], v[40:41], -v[42:43]
	v_add_f64 v[30:31], v[30:31], v[40:41]
	v_mul_f64 v[40:41], v[38:39], s[34:35]
	v_add_f64 v[44:45], v[42:43], v[40:41]
	v_add_f64 v[42:43], v[42:43], -v[44:45]
	v_add_f64 v[40:41], v[42:43], v[40:41]
	v_add_f64 v[30:31], v[30:31], v[40:41]
	;; [unrolled: 1-line block ×3, first 2 shown]
	v_add_f64 v[42:43], v[44:45], -v[40:41]
	v_add_f64 v[30:31], v[30:31], v[42:43]
	v_mul_f64 v[42:43], v[38:39], s[36:37]
	v_add_f64 v[44:45], v[40:41], v[42:43]
	v_add_f64 v[40:41], v[40:41], -v[44:45]
	v_add_f64 v[40:41], v[40:41], v[42:43]
	v_add_f64 v[30:31], v[30:31], v[40:41]
	v_add_f64 v[40:41], v[44:45], v[30:31]
	v_add_f64 v[42:43], v[44:45], -v[40:41]
	v_add_f64 v[30:31], v[30:31], v[42:43]
	v_pk_mov_b32 v[42:43], v[6:7], v[6:7] op_sel:[0,1]
	v_fmac_f64_e32 v[42:43], s[38:39], v[40:41]
	v_pk_mov_b32 v[44:45], v[8:9], v[8:9] op_sel:[0,1]
	v_fmac_f64_e32 v[44:45], v[40:41], v[42:43]
	;; [unrolled: 2-line block ×9, first 2 shown]
	v_mul_f64 v[44:45], v[40:41], v[40:41]
	v_fma_f64 v[46:47], v[40:41], v[40:41], -v[44:45]
	v_add_f64 v[48:49], v[30:31], v[30:31]
	v_fmac_f64_e32 v[46:47], v[40:41], v[48:49]
	v_add_f64 v[48:49], v[44:45], v[46:47]
	v_add_f64 v[44:45], v[48:49], -v[44:45]
	v_add_f64 v[44:45], v[46:47], -v[44:45]
	v_mul_f64 v[46:47], v[48:49], v[42:43]
	v_fma_f64 v[48:49], v[48:49], v[42:43], -v[46:47]
	v_fmac_f64_e32 v[48:49], v[44:45], v[42:43]
	v_add_f64 v[42:43], v[46:47], v[48:49]
	v_add_f64 v[44:45], v[42:43], -v[46:47]
	v_add_f64 v[46:47], v[40:41], v[42:43]
	v_add_f64 v[44:45], v[48:49], -v[44:45]
	v_add_f64 v[40:41], v[46:47], -v[40:41]
	;; [unrolled: 1-line block ×3, first 2 shown]
	v_add_f64 v[30:31], v[30:31], v[44:45]
	v_add_f64 v[30:31], v[30:31], v[40:41]
	;; [unrolled: 1-line block ×3, first 2 shown]
	v_add_f64 v[42:43], v[40:41], -v[46:47]
	v_add_f64 v[30:31], v[30:31], -v[42:43]
	v_add_f64 v[42:43], v[40:41], 1.0
	v_add_f64 v[44:45], v[42:43], -1.0
	v_add_f64 v[40:41], v[40:41], -v[44:45]
	v_add_f64 v[30:31], v[30:31], v[40:41]
	v_add_f64 v[40:41], v[42:43], v[30:31]
	v_cvt_i32_f64_e32 v46, v[38:39]
	v_ldexp_f64 v[38:39], v[40:41], v46
	v_rcp_f64_e32 v[44:45], v[38:39]
	v_add_f64 v[40:41], v[40:41], -v[42:43]
	v_add_f64 v[30:31], v[30:31], -v[40:41]
	v_ldexp_f64 v[30:31], v[30:31], v46
	v_fma_f64 v[40:41], -v[38:39], v[44:45], 1.0
	v_fmac_f64_e32 v[44:45], v[40:41], v[44:45]
	v_fma_f64 v[40:41], -v[38:39], v[44:45], 1.0
	v_fmac_f64_e32 v[44:45], v[40:41], v[44:45]
	v_mul_f64 v[40:41], v[38:39], v[44:45]
	v_fma_f64 v[42:43], v[44:45], v[38:39], -v[40:41]
	v_fmac_f64_e32 v[42:43], v[44:45], v[30:31]
	v_add_f64 v[46:47], v[40:41], v[42:43]
	v_add_f64 v[48:49], -v[46:47], 1.0
	v_add_f64 v[40:41], v[46:47], -v[40:41]
	v_add_f64 v[50:51], -v[48:49], 1.0
	v_add_f64 v[46:47], v[50:51], -v[46:47]
	v_add_f64 v[40:41], v[40:41], -v[42:43]
	v_add_f64 v[40:41], v[40:41], v[46:47]
	v_add_f64 v[42:43], v[48:49], v[40:41]
	v_add_f64 v[46:47], v[48:49], -v[42:43]
	v_add_f64 v[40:41], v[40:41], v[46:47]
	v_mul_f64 v[46:47], v[44:45], v[42:43]
	v_mul_f64 v[48:49], v[38:39], v[46:47]
	v_fma_f64 v[50:51], v[46:47], v[38:39], -v[48:49]
	v_fmac_f64_e32 v[50:51], v[46:47], v[30:31]
	v_add_f64 v[52:53], v[48:49], v[50:51]
	v_add_f64 v[54:55], v[42:43], -v[52:53]
	v_add_f64 v[42:43], v[42:43], -v[54:55]
	;; [unrolled: 1-line block ×4, first 2 shown]
	v_add_f64 v[40:41], v[40:41], v[42:43]
	v_add_f64 v[42:43], v[48:49], -v[50:51]
	v_add_f64 v[40:41], v[42:43], v[40:41]
	v_add_f64 v[40:41], v[54:55], v[40:41]
	;; [unrolled: 1-line block ×3, first 2 shown]
	v_mul_f64 v[40:41], v[44:45], v[40:41]
	v_add_f64 v[44:45], v[42:43], -v[44:45]
	v_add_f64 v[44:45], v[46:47], -v[44:45]
	v_add_f64 v[40:41], v[44:45], v[40:41]
	v_add_f64 v[44:45], v[42:43], v[40:41]
	v_add_f64 v[42:43], v[44:45], -v[42:43]
	v_add_f64 v[40:41], v[40:41], -v[42:43]
	v_ldexp_f64 v[42:43], v[44:45], -2
	v_add_f64 v[44:45], v[38:39], -v[42:43]
	v_add_f64 v[38:39], v[38:39], -v[44:45]
	;; [unrolled: 1-line block ×3, first 2 shown]
	v_ldexp_f64 v[40:41], v[40:41], -2
	v_add_f64 v[30:31], v[30:31], v[38:39]
	v_add_f64 v[30:31], v[30:31], -v[40:41]
	v_add_f64 v[30:31], v[44:45], v[30:31]
	v_cmp_nge_f64_e64 s[2:3], |v[28:29]|, s[40:41]
	v_and_b32_e32 v56, 0x7fffffff, v29
	v_cndmask_b32_e64 v31, v37, v31, s[2:3]
	v_cndmask_b32_e64 v30, 0, v30, s[2:3]
	v_cmp_lt_f64_e64 s[2:3], |v[28:29]|, s[20:21]
	v_cndmask_b32_e64 v28, v30, v28, s[2:3]
	v_cndmask_b32_e64 v30, v31, v56, s[2:3]
	v_bfi_b32 v29, s50, v30, v29
	global_store_dwordx2 v[4:5], v[28:29], off
	s_or_b64 exec, exec, s[6:7]
	s_and_saveexec_b64 s[2:3], s[0:1]
	s_cbranch_execz .LBB124_14
.LBB124_18:                             ;   in Loop: Header=BB124_4 Depth=1
	s_waitcnt vmcnt(0)
	v_add_f64 v[28:29], |v[26:27]|, s[22:23]
	v_add_f64 v[30:31], v[28:29], -|v[26:27]|
	v_add_f64 v[38:39], v[30:31], -v[28:29]
	s_mov_b32 s24, s22
	v_add_f64 v[38:39], |v[26:27]|, v[38:39]
	v_add_f64 v[30:31], v[30:31], s[24:25]
	v_add_f64 v[30:31], v[38:39], -v[30:31]
	v_add_f64 v[30:31], v[30:31], s[26:27]
	v_add_f64 v[38:39], v[28:29], v[30:31]
	v_add_f64 v[28:29], v[28:29], -v[38:39]
	v_add_f64 v[28:29], v[30:31], v[28:29]
	v_mul_f64 v[30:31], v[38:39], s[28:29]
	v_rndne_f64_e32 v[30:31], v[30:31]
	s_mov_b32 s31, s23
	v_fmac_f64_e32 v[38:39], s[30:31], v[30:31]
	v_add_f64 v[40:41], v[28:29], v[38:39]
	v_add_f64 v[38:39], v[38:39], -v[40:41]
	v_add_f64 v[28:29], v[28:29], v[38:39]
	v_mul_f64 v[38:39], v[30:31], s[34:35]
	v_add_f64 v[42:43], v[40:41], v[38:39]
	v_add_f64 v[40:41], v[40:41], -v[42:43]
	v_add_f64 v[38:39], v[40:41], v[38:39]
	v_add_f64 v[28:29], v[28:29], v[38:39]
	;; [unrolled: 1-line block ×3, first 2 shown]
	v_add_f64 v[40:41], v[42:43], -v[38:39]
	v_add_f64 v[28:29], v[28:29], v[40:41]
	v_mul_f64 v[40:41], v[30:31], s[36:37]
	v_add_f64 v[42:43], v[38:39], v[40:41]
	v_add_f64 v[38:39], v[38:39], -v[42:43]
	v_add_f64 v[38:39], v[38:39], v[40:41]
	v_add_f64 v[28:29], v[28:29], v[38:39]
	;; [unrolled: 1-line block ×3, first 2 shown]
	v_add_f64 v[40:41], v[42:43], -v[38:39]
	v_add_f64 v[28:29], v[28:29], v[40:41]
	v_pk_mov_b32 v[40:41], v[6:7], v[6:7] op_sel:[0,1]
	v_fmac_f64_e32 v[40:41], s[38:39], v[38:39]
	v_pk_mov_b32 v[42:43], v[8:9], v[8:9] op_sel:[0,1]
	v_fmac_f64_e32 v[42:43], v[38:39], v[40:41]
	;; [unrolled: 2-line block ×9, first 2 shown]
	v_mul_f64 v[42:43], v[38:39], v[38:39]
	v_fma_f64 v[44:45], v[38:39], v[38:39], -v[42:43]
	v_add_f64 v[46:47], v[28:29], v[28:29]
	v_fmac_f64_e32 v[44:45], v[38:39], v[46:47]
	v_add_f64 v[46:47], v[42:43], v[44:45]
	v_add_f64 v[42:43], v[46:47], -v[42:43]
	v_add_f64 v[42:43], v[44:45], -v[42:43]
	v_mul_f64 v[44:45], v[46:47], v[40:41]
	v_fma_f64 v[46:47], v[46:47], v[40:41], -v[44:45]
	v_fmac_f64_e32 v[46:47], v[42:43], v[40:41]
	v_add_f64 v[40:41], v[44:45], v[46:47]
	v_add_f64 v[42:43], v[40:41], -v[44:45]
	v_add_f64 v[44:45], v[38:39], v[40:41]
	v_add_f64 v[42:43], v[46:47], -v[42:43]
	v_add_f64 v[38:39], v[44:45], -v[38:39]
	;; [unrolled: 1-line block ×3, first 2 shown]
	v_add_f64 v[28:29], v[28:29], v[42:43]
	v_add_f64 v[28:29], v[28:29], v[38:39]
	;; [unrolled: 1-line block ×3, first 2 shown]
	v_add_f64 v[40:41], v[38:39], -v[44:45]
	v_add_f64 v[28:29], v[28:29], -v[40:41]
	v_add_f64 v[40:41], v[38:39], 1.0
	v_add_f64 v[42:43], v[40:41], -1.0
	v_add_f64 v[38:39], v[38:39], -v[42:43]
	v_add_f64 v[28:29], v[28:29], v[38:39]
	v_add_f64 v[38:39], v[40:41], v[28:29]
	v_cvt_i32_f64_e32 v44, v[30:31]
	v_ldexp_f64 v[30:31], v[38:39], v44
	v_rcp_f64_e32 v[42:43], v[30:31]
	v_add_f64 v[38:39], v[38:39], -v[40:41]
	v_add_f64 v[28:29], v[28:29], -v[38:39]
	v_ldexp_f64 v[28:29], v[28:29], v44
	v_fma_f64 v[38:39], -v[30:31], v[42:43], 1.0
	v_fmac_f64_e32 v[42:43], v[38:39], v[42:43]
	v_fma_f64 v[38:39], -v[30:31], v[42:43], 1.0
	v_fmac_f64_e32 v[42:43], v[38:39], v[42:43]
	v_mul_f64 v[38:39], v[30:31], v[42:43]
	v_fma_f64 v[40:41], v[42:43], v[30:31], -v[38:39]
	v_fmac_f64_e32 v[40:41], v[42:43], v[28:29]
	v_add_f64 v[44:45], v[38:39], v[40:41]
	v_add_f64 v[46:47], -v[44:45], 1.0
	v_add_f64 v[38:39], v[44:45], -v[38:39]
	v_add_f64 v[48:49], -v[46:47], 1.0
	v_add_f64 v[44:45], v[48:49], -v[44:45]
	v_add_f64 v[38:39], v[38:39], -v[40:41]
	v_add_f64 v[38:39], v[38:39], v[44:45]
	v_add_f64 v[40:41], v[46:47], v[38:39]
	v_add_f64 v[44:45], v[46:47], -v[40:41]
	v_add_f64 v[38:39], v[38:39], v[44:45]
	v_mul_f64 v[44:45], v[42:43], v[40:41]
	v_mul_f64 v[46:47], v[30:31], v[44:45]
	v_fma_f64 v[48:49], v[44:45], v[30:31], -v[46:47]
	v_fmac_f64_e32 v[48:49], v[44:45], v[28:29]
	v_add_f64 v[50:51], v[46:47], v[48:49]
	v_add_f64 v[52:53], v[40:41], -v[50:51]
	v_add_f64 v[40:41], v[40:41], -v[52:53]
	;; [unrolled: 1-line block ×4, first 2 shown]
	v_add_f64 v[38:39], v[38:39], v[40:41]
	v_add_f64 v[40:41], v[46:47], -v[48:49]
	v_add_f64 v[38:39], v[40:41], v[38:39]
	v_add_f64 v[38:39], v[52:53], v[38:39]
	;; [unrolled: 1-line block ×3, first 2 shown]
	v_mul_f64 v[38:39], v[42:43], v[38:39]
	v_add_f64 v[42:43], v[40:41], -v[42:43]
	v_add_f64 v[42:43], v[44:45], -v[42:43]
	v_add_f64 v[38:39], v[42:43], v[38:39]
	v_add_f64 v[42:43], v[40:41], v[38:39]
	v_add_f64 v[40:41], v[42:43], -v[40:41]
	v_add_f64 v[38:39], v[38:39], -v[40:41]
	v_ldexp_f64 v[40:41], v[42:43], -2
	v_add_f64 v[42:43], v[30:31], -v[40:41]
	v_add_f64 v[30:31], v[30:31], -v[42:43]
	;; [unrolled: 1-line block ×3, first 2 shown]
	v_ldexp_f64 v[38:39], v[38:39], -2
	v_add_f64 v[28:29], v[28:29], v[30:31]
	v_add_f64 v[28:29], v[28:29], -v[38:39]
	v_add_f64 v[28:29], v[42:43], v[28:29]
	v_cmp_nge_f64_e64 s[0:1], |v[26:27]|, s[40:41]
	v_and_b32_e32 v54, 0x7fffffff, v27
	v_cndmask_b32_e64 v29, v37, v29, s[0:1]
	v_cndmask_b32_e64 v28, 0, v28, s[0:1]
	v_cmp_lt_f64_e64 s[0:1], |v[26:27]|, s[20:21]
	v_cndmask_b32_e64 v26, v28, v26, s[0:1]
	v_cndmask_b32_e64 v28, v29, v54, s[0:1]
	v_bfi_b32 v27, s50, v28, v27
	v_mov_b32_e32 v29, s49
	v_add_co_u32_e64 v28, s[0:1], s48, v2
	v_addc_co_u32_e64 v29, s[0:1], v3, v29, s[0:1]
	global_store_dwordx2 v[28:29], v[26:27], off
	s_or_b64 exec, exec, s[2:3]
	s_and_saveexec_b64 s[0:1], vcc
	s_cbranch_execz .LBB124_3
.LBB124_19:                             ;   in Loop: Header=BB124_4 Depth=1
	s_waitcnt vmcnt(0)
	v_add_f64 v[26:27], |v[24:25]|, s[22:23]
	v_add_f64 v[28:29], v[26:27], -|v[24:25]|
	v_add_f64 v[30:31], v[28:29], -v[26:27]
	s_mov_b32 s24, s22
	v_add_f64 v[30:31], |v[24:25]|, v[30:31]
	v_add_f64 v[28:29], v[28:29], s[24:25]
	v_add_f64 v[28:29], v[30:31], -v[28:29]
	v_add_f64 v[28:29], v[28:29], s[26:27]
	v_add_f64 v[30:31], v[26:27], v[28:29]
	v_add_f64 v[26:27], v[26:27], -v[30:31]
	v_add_f64 v[26:27], v[28:29], v[26:27]
	v_mul_f64 v[28:29], v[30:31], s[28:29]
	v_rndne_f64_e32 v[28:29], v[28:29]
	s_mov_b32 s31, s23
	v_fmac_f64_e32 v[30:31], s[30:31], v[28:29]
	v_add_f64 v[38:39], v[26:27], v[30:31]
	v_add_f64 v[30:31], v[30:31], -v[38:39]
	v_add_f64 v[26:27], v[26:27], v[30:31]
	v_mul_f64 v[30:31], v[28:29], s[34:35]
	v_add_f64 v[40:41], v[38:39], v[30:31]
	v_add_f64 v[38:39], v[38:39], -v[40:41]
	v_add_f64 v[30:31], v[38:39], v[30:31]
	v_add_f64 v[26:27], v[26:27], v[30:31]
	;; [unrolled: 1-line block ×3, first 2 shown]
	v_add_f64 v[38:39], v[40:41], -v[30:31]
	v_add_f64 v[26:27], v[26:27], v[38:39]
	v_mul_f64 v[38:39], v[28:29], s[36:37]
	v_add_f64 v[40:41], v[30:31], v[38:39]
	v_add_f64 v[30:31], v[30:31], -v[40:41]
	v_add_f64 v[30:31], v[30:31], v[38:39]
	v_add_f64 v[26:27], v[26:27], v[30:31]
	;; [unrolled: 1-line block ×3, first 2 shown]
	v_add_f64 v[38:39], v[40:41], -v[30:31]
	v_add_f64 v[26:27], v[26:27], v[38:39]
	v_pk_mov_b32 v[38:39], v[6:7], v[6:7] op_sel:[0,1]
	v_fmac_f64_e32 v[38:39], s[38:39], v[30:31]
	v_pk_mov_b32 v[40:41], v[8:9], v[8:9] op_sel:[0,1]
	v_fmac_f64_e32 v[40:41], v[30:31], v[38:39]
	;; [unrolled: 2-line block ×9, first 2 shown]
	v_mul_f64 v[40:41], v[30:31], v[30:31]
	v_fma_f64 v[42:43], v[30:31], v[30:31], -v[40:41]
	v_add_f64 v[44:45], v[26:27], v[26:27]
	v_fmac_f64_e32 v[42:43], v[30:31], v[44:45]
	v_add_f64 v[44:45], v[40:41], v[42:43]
	v_add_f64 v[40:41], v[44:45], -v[40:41]
	v_add_f64 v[40:41], v[42:43], -v[40:41]
	v_mul_f64 v[42:43], v[44:45], v[38:39]
	v_fma_f64 v[44:45], v[44:45], v[38:39], -v[42:43]
	v_fmac_f64_e32 v[44:45], v[40:41], v[38:39]
	v_add_f64 v[38:39], v[42:43], v[44:45]
	v_add_f64 v[40:41], v[38:39], -v[42:43]
	v_add_f64 v[42:43], v[30:31], v[38:39]
	v_add_f64 v[40:41], v[44:45], -v[40:41]
	v_add_f64 v[30:31], v[42:43], -v[30:31]
	;; [unrolled: 1-line block ×3, first 2 shown]
	v_add_f64 v[26:27], v[26:27], v[40:41]
	v_add_f64 v[26:27], v[26:27], v[30:31]
	;; [unrolled: 1-line block ×3, first 2 shown]
	v_add_f64 v[38:39], v[30:31], -v[42:43]
	v_add_f64 v[26:27], v[26:27], -v[38:39]
	v_add_f64 v[38:39], v[30:31], 1.0
	v_add_f64 v[40:41], v[38:39], -1.0
	v_add_f64 v[30:31], v[30:31], -v[40:41]
	v_add_f64 v[26:27], v[26:27], v[30:31]
	v_add_f64 v[30:31], v[38:39], v[26:27]
	v_cvt_i32_f64_e32 v42, v[28:29]
	v_ldexp_f64 v[28:29], v[30:31], v42
	v_rcp_f64_e32 v[40:41], v[28:29]
	v_add_f64 v[30:31], v[30:31], -v[38:39]
	v_add_f64 v[26:27], v[26:27], -v[30:31]
	v_ldexp_f64 v[26:27], v[26:27], v42
	v_fma_f64 v[30:31], -v[28:29], v[40:41], 1.0
	v_fmac_f64_e32 v[40:41], v[30:31], v[40:41]
	v_fma_f64 v[30:31], -v[28:29], v[40:41], 1.0
	v_fmac_f64_e32 v[40:41], v[30:31], v[40:41]
	v_mul_f64 v[30:31], v[28:29], v[40:41]
	v_fma_f64 v[38:39], v[40:41], v[28:29], -v[30:31]
	v_fmac_f64_e32 v[38:39], v[40:41], v[26:27]
	v_add_f64 v[42:43], v[30:31], v[38:39]
	v_add_f64 v[44:45], -v[42:43], 1.0
	v_add_f64 v[30:31], v[42:43], -v[30:31]
	v_add_f64 v[46:47], -v[44:45], 1.0
	v_add_f64 v[42:43], v[46:47], -v[42:43]
	v_add_f64 v[30:31], v[30:31], -v[38:39]
	v_add_f64 v[30:31], v[30:31], v[42:43]
	v_add_f64 v[38:39], v[44:45], v[30:31]
	v_add_f64 v[42:43], v[44:45], -v[38:39]
	v_add_f64 v[30:31], v[30:31], v[42:43]
	v_mul_f64 v[42:43], v[40:41], v[38:39]
	v_mul_f64 v[44:45], v[28:29], v[42:43]
	v_fma_f64 v[46:47], v[42:43], v[28:29], -v[44:45]
	v_fmac_f64_e32 v[46:47], v[42:43], v[26:27]
	v_add_f64 v[48:49], v[44:45], v[46:47]
	v_add_f64 v[50:51], v[38:39], -v[48:49]
	v_add_f64 v[38:39], v[38:39], -v[50:51]
	;; [unrolled: 1-line block ×4, first 2 shown]
	v_add_f64 v[30:31], v[30:31], v[38:39]
	v_add_f64 v[38:39], v[44:45], -v[46:47]
	v_add_f64 v[30:31], v[38:39], v[30:31]
	v_add_f64 v[30:31], v[50:51], v[30:31]
	v_add_f64 v[38:39], v[40:41], v[42:43]
	v_mul_f64 v[30:31], v[40:41], v[30:31]
	v_add_f64 v[40:41], v[38:39], -v[40:41]
	v_add_f64 v[40:41], v[42:43], -v[40:41]
	v_add_f64 v[30:31], v[40:41], v[30:31]
	v_add_f64 v[40:41], v[38:39], v[30:31]
	v_add_f64 v[38:39], v[40:41], -v[38:39]
	v_add_f64 v[30:31], v[30:31], -v[38:39]
	v_ldexp_f64 v[38:39], v[40:41], -2
	v_add_f64 v[40:41], v[28:29], -v[38:39]
	v_add_f64 v[28:29], v[28:29], -v[40:41]
	;; [unrolled: 1-line block ×3, first 2 shown]
	v_ldexp_f64 v[30:31], v[30:31], -2
	v_add_f64 v[26:27], v[26:27], v[28:29]
	v_add_f64 v[26:27], v[26:27], -v[30:31]
	v_add_f64 v[26:27], v[40:41], v[26:27]
	v_cmp_nge_f64_e64 vcc, |v[24:25]|, s[40:41]
	v_and_b32_e32 v52, 0x7fffffff, v25
	v_cndmask_b32_e32 v27, v37, v27, vcc
	v_cndmask_b32_e32 v26, 0, v26, vcc
	v_cmp_lt_f64_e64 vcc, |v[24:25]|, s[20:21]
	v_cndmask_b32_e32 v24, v26, v24, vcc
	v_cndmask_b32_e32 v26, v27, v52, vcc
	v_bfi_b32 v25, s50, v26, v25
	v_mov_b32_e32 v27, s47
	v_add_co_u32_e32 v26, vcc, s46, v2
	v_addc_co_u32_e32 v27, vcc, v3, v27, vcc
	global_store_dwordx2 v[26:27], v[24:25], off
	s_branch .LBB124_3
.LBB124_20:
	s_cbranch_execz .LBB124_22
	s_branch .LBB124_25
.LBB124_21:
.LBB124_22:
	v_mov_b32_e32 v9, 0
	v_lshlrev_b32_e32 v8, 2, v0
	s_mov_b32 s0, 0
	v_cmp_gt_i64_e32 vcc, s[10:11], v[8:9]
	s_and_saveexec_b64 s[2:3], vcc
	s_cbranch_execz .LBB124_25
; %bb.23:
	s_load_dword s1, s[4:5], 0xd3c
	v_lshlrev_b32_e32 v1, 5, v0
	s_mov_b32 s22, 0xfca7ab0c
	s_mov_b32 s4, 0xfefa39ef
	;; [unrolled: 1-line block ×3, first 2 shown]
	s_waitcnt lgkmcnt(0)
	s_and_b32 s1, s1, 0xffff
	s_lshl_b32 s33, s1, 2
	s_add_u32 s2, s12, s14
	s_addc_u32 s3, s13, s15
	v_add_lshl_u32 v8, v0, s1, 2
	v_mov_b32_e32 v0, s3
	v_add_co_u32_e32 v1, vcc, s2, v1
	v_addc_co_u32_e32 v0, vcc, 0, v0, vcc
	v_add_co_u32_e32 v10, vcc, 16, v1
	s_mov_b32 s5, 0xbfe62e42
	s_mov_b32 s8, 0x3b39803f
	;; [unrolled: 1-line block ×6, first 2 shown]
	v_pk_mov_b32 v[12:13], s[22:23], s[22:23] op_sel:[0,1]
	s_mov_b32 s22, 0x623fde64
	s_mov_b32 s24, 0x7c89e6b0
	;; [unrolled: 1-line block ×10, first 2 shown]
	v_addc_co_u32_e32 v11, vcc, 0, v0, vcc
	s_lshl_b32 s46, s1, 5
	s_mov_b64 s[2:3], 0
	s_brev_b32 s47, -2
	s_mov_b32 s7, 0x3fe62e42
	s_mov_b32 s6, s4
	;; [unrolled: 1-line block ×18, first 2 shown]
	v_mov_b32_e32 v14, 0x7ff00000
	s_mov_b32 s43, 0x3e400000
	s_mov_b64 s[44:45], 0xffff
	v_mov_b32_e32 v15, s0
	v_mov_b32_e32 v16, s0
.LBB124_24:                             ; =>This Inner Loop Header: Depth=1
	global_load_dwordx4 v[4:7], v[10:11], off offset:-16
	global_load_dwordx4 v[0:3], v[10:11], off
	v_cmp_lt_u64_e64 s[0:1], s[44:45], v[8:9]
	s_waitcnt vmcnt(1)
	v_add_f64 v[18:19], |v[4:5]|, s[4:5]
	v_add_f64 v[20:21], |v[6:7]|, s[4:5]
	v_add_f64 v[22:23], v[18:19], -|v[4:5]|
	v_add_f64 v[24:25], v[20:21], -|v[6:7]|
	v_add_f64 v[26:27], v[22:23], -v[18:19]
	v_add_f64 v[22:23], v[22:23], s[6:7]
	v_add_f64 v[28:29], v[24:25], -v[20:21]
	v_add_f64 v[26:27], |v[4:5]|, v[26:27]
	v_add_f64 v[24:25], v[24:25], s[6:7]
	v_add_f64 v[28:29], |v[6:7]|, v[28:29]
	v_add_f64 v[22:23], v[26:27], -v[22:23]
	v_add_f64 v[24:25], v[28:29], -v[24:25]
	v_add_f64 v[22:23], v[22:23], s[8:9]
	v_add_f64 v[24:25], v[24:25], s[8:9]
	;; [unrolled: 1-line block ×4, first 2 shown]
	v_add_f64 v[18:19], v[18:19], -v[26:27]
	v_mul_f64 v[30:31], v[26:27], s[12:13]
	v_add_f64 v[20:21], v[20:21], -v[28:29]
	v_mul_f64 v[32:33], v[28:29], s[12:13]
	v_add_f64 v[18:19], v[22:23], v[18:19]
	v_rndne_f64_e32 v[22:23], v[30:31]
	v_add_f64 v[20:21], v[24:25], v[20:21]
	v_rndne_f64_e32 v[24:25], v[32:33]
	v_fmac_f64_e32 v[26:27], s[14:15], v[22:23]
	v_mul_f64 v[30:31], v[22:23], s[16:17]
	v_fmac_f64_e32 v[28:29], s[14:15], v[24:25]
	v_add_f64 v[36:37], v[18:19], v[26:27]
	v_mul_f64 v[32:33], v[22:23], s[18:19]
	v_cvt_i32_f64_e32 v44, v[22:23]
	v_mul_f64 v[22:23], v[24:25], s[16:17]
	v_add_f64 v[38:39], v[20:21], v[28:29]
	v_add_f64 v[26:27], v[26:27], -v[36:37]
	v_add_f64 v[40:41], v[36:37], -v[30:31]
	;; [unrolled: 1-line block ×4, first 2 shown]
	v_add_f64 v[18:19], v[18:19], v[26:27]
	v_add_f64 v[26:27], v[36:37], -v[40:41]
	v_add_f64 v[20:21], v[20:21], v[28:29]
	v_add_f64 v[28:29], v[38:39], -v[42:43]
	v_add_f64 v[26:27], v[26:27], -v[30:31]
	v_add_f64 v[22:23], v[28:29], -v[22:23]
	v_add_f64 v[18:19], v[18:19], v[26:27]
	v_add_f64 v[20:21], v[20:21], v[22:23]
	v_add_f64 v[22:23], v[40:41], v[18:19]
	v_add_f64 v[30:31], v[22:23], -v[32:33]
	v_add_f64 v[28:29], v[40:41], -v[22:23]
	;; [unrolled: 1-line block ×3, first 2 shown]
	v_add_f64 v[18:19], v[18:19], v[28:29]
	v_add_f64 v[22:23], v[22:23], -v[32:33]
	v_mul_f64 v[34:35], v[24:25], s[18:19]
	v_add_f64 v[26:27], v[42:43], v[20:21]
	v_add_f64 v[18:19], v[18:19], v[22:23]
	v_add_f64 v[38:39], v[26:27], -v[34:35]
	v_add_f64 v[22:23], v[30:31], v[18:19]
	v_add_f64 v[36:37], v[42:43], -v[26:27]
	v_add_f64 v[26:27], v[26:27], -v[38:39]
	v_add_f64 v[28:29], v[30:31], -v[22:23]
	v_fma_f64 v[30:31], s[20:21], v[22:23], v[12:13]
	v_add_f64 v[20:21], v[20:21], v[36:37]
	v_add_f64 v[26:27], v[26:27], -v[34:35]
	v_add_f64 v[18:19], v[18:19], v[28:29]
	v_fma_f64 v[28:29], v[22:23], v[30:31], s[22:23]
	v_add_f64 v[20:21], v[20:21], v[26:27]
	v_fma_f64 v[28:29], v[22:23], v[28:29], s[24:25]
	;; [unrolled: 2-line block ×3, first 2 shown]
	v_mul_f64 v[32:33], v[22:23], v[22:23]
	v_add_f64 v[34:35], v[38:39], -v[26:27]
	v_fma_f64 v[36:37], s[20:21], v[26:27], v[12:13]
	v_fma_f64 v[28:29], v[22:23], v[28:29], s[28:29]
	v_fma_f64 v[30:31], v[22:23], v[22:23], -v[32:33]
	v_add_f64 v[20:21], v[20:21], v[34:35]
	v_fma_f64 v[34:35], v[26:27], v[36:37], s[22:23]
	v_add_f64 v[36:37], v[18:19], v[18:19]
	v_fma_f64 v[28:29], v[22:23], v[28:29], s[30:31]
	v_fmac_f64_e32 v[30:31], v[22:23], v[36:37]
	v_fma_f64 v[28:29], v[22:23], v[28:29], s[34:35]
	v_add_f64 v[36:37], v[32:33], v[30:31]
	v_fma_f64 v[28:29], v[22:23], v[28:29], s[36:37]
	v_add_f64 v[32:33], v[36:37], -v[32:33]
	v_fma_f64 v[28:29], v[22:23], v[28:29], s[38:39]
	v_add_f64 v[30:31], v[30:31], -v[32:33]
	v_mul_f64 v[32:33], v[36:37], v[28:29]
	v_fma_f64 v[36:37], v[36:37], v[28:29], -v[32:33]
	v_fmac_f64_e32 v[36:37], v[30:31], v[28:29]
	v_add_f64 v[28:29], v[32:33], v[36:37]
	v_add_f64 v[30:31], v[28:29], -v[32:33]
	v_add_f64 v[32:33], v[22:23], v[28:29]
	v_add_f64 v[30:31], v[36:37], -v[30:31]
	v_add_f64 v[22:23], v[32:33], -v[22:23]
	;; [unrolled: 1-line block ×3, first 2 shown]
	v_add_f64 v[18:19], v[18:19], v[30:31]
	v_add_f64 v[18:19], v[18:19], v[22:23]
	;; [unrolled: 1-line block ×3, first 2 shown]
	v_add_f64 v[28:29], v[22:23], -v[32:33]
	v_add_f64 v[30:31], v[22:23], 1.0
	v_add_f64 v[18:19], v[18:19], -v[28:29]
	v_add_f64 v[28:29], v[30:31], -1.0
	v_add_f64 v[22:23], v[22:23], -v[28:29]
	v_add_f64 v[18:19], v[18:19], v[22:23]
	v_add_f64 v[22:23], v[30:31], v[18:19]
	v_ldexp_f64 v[28:29], v[22:23], v44
	v_rcp_f64_e32 v[32:33], v[28:29]
	v_add_f64 v[22:23], v[22:23], -v[30:31]
	v_add_f64 v[18:19], v[18:19], -v[22:23]
	v_ldexp_f64 v[18:19], v[18:19], v44
	v_fma_f64 v[22:23], -v[28:29], v[32:33], 1.0
	v_fmac_f64_e32 v[32:33], v[22:23], v[32:33]
	v_fma_f64 v[22:23], -v[28:29], v[32:33], 1.0
	v_fmac_f64_e32 v[32:33], v[22:23], v[32:33]
	v_mul_f64 v[22:23], v[28:29], v[32:33]
	v_fma_f64 v[30:31], v[32:33], v[28:29], -v[22:23]
	v_fmac_f64_e32 v[30:31], v[32:33], v[18:19]
	v_add_f64 v[36:37], v[22:23], v[30:31]
	v_add_f64 v[38:39], -v[36:37], 1.0
	v_add_f64 v[22:23], v[36:37], -v[22:23]
	v_add_f64 v[40:41], -v[38:39], 1.0
	v_add_f64 v[22:23], v[22:23], -v[30:31]
	v_add_f64 v[30:31], v[40:41], -v[36:37]
	v_add_f64 v[22:23], v[22:23], v[30:31]
	v_add_f64 v[30:31], v[38:39], v[22:23]
	v_add_f64 v[36:37], v[38:39], -v[30:31]
	v_mul_f64 v[38:39], v[32:33], v[30:31]
	v_add_f64 v[22:23], v[22:23], v[36:37]
	v_mul_f64 v[36:37], v[28:29], v[38:39]
	v_add_f64 v[40:41], v[32:33], v[38:39]
	v_fma_f64 v[42:43], v[38:39], v[28:29], -v[36:37]
	v_add_f64 v[44:45], v[40:41], -v[32:33]
	v_fmac_f64_e32 v[42:43], v[38:39], v[18:19]
	v_add_f64 v[38:39], v[38:39], -v[44:45]
	v_add_f64 v[44:45], v[36:37], v[42:43]
	v_add_f64 v[46:47], v[30:31], -v[44:45]
	v_add_f64 v[30:31], v[30:31], -v[46:47]
	;; [unrolled: 1-line block ×5, first 2 shown]
	v_add_f64 v[22:23], v[22:23], v[30:31]
	v_add_f64 v[22:23], v[36:37], v[22:23]
	;; [unrolled: 1-line block ×3, first 2 shown]
	v_mul_f64 v[22:23], v[32:33], v[22:23]
	v_add_f64 v[22:23], v[38:39], v[22:23]
	v_add_f64 v[30:31], v[40:41], v[22:23]
	v_add_f64 v[32:33], v[30:31], -v[40:41]
	v_ldexp_f64 v[30:31], v[30:31], -2
	v_add_f64 v[22:23], v[22:23], -v[32:33]
	v_add_f64 v[32:33], v[28:29], -v[30:31]
	;; [unrolled: 1-line block ×4, first 2 shown]
	v_ldexp_f64 v[22:23], v[22:23], -2
	v_add_f64 v[18:19], v[18:19], v[28:29]
	v_add_f64 v[18:19], v[18:19], -v[22:23]
	v_fma_f64 v[34:35], v[26:27], v[34:35], s[24:25]
	v_add_f64 v[18:19], v[32:33], v[18:19]
	v_cmp_nge_f64_e64 vcc, |v[4:5]|, s[40:41]
	v_and_b32_e32 v17, 0x7fffffff, v5
	v_fma_f64 v[34:35], v[26:27], v[34:35], s[26:27]
	v_cndmask_b32_e32 v19, v14, v19, vcc
	v_cndmask_b32_e32 v18, 0, v18, vcc
	v_cmp_lt_f64_e64 vcc, |v[4:5]|, s[42:43]
	v_cndmask_b32_e32 v4, v18, v4, vcc
	v_cndmask_b32_e32 v17, v19, v17, vcc
	v_fma_f64 v[18:19], v[26:27], v[34:35], s[28:29]
	v_mul_f64 v[22:23], v[26:27], v[26:27]
	v_fma_f64 v[18:19], v[26:27], v[18:19], s[30:31]
	v_fma_f64 v[28:29], v[26:27], v[26:27], -v[22:23]
	v_add_f64 v[30:31], v[20:21], v[20:21]
	v_fma_f64 v[18:19], v[26:27], v[18:19], s[34:35]
	v_fmac_f64_e32 v[28:29], v[26:27], v[30:31]
	v_fma_f64 v[18:19], v[26:27], v[18:19], s[36:37]
	v_add_f64 v[30:31], v[22:23], v[28:29]
	v_fma_f64 v[18:19], v[26:27], v[18:19], s[38:39]
	v_add_f64 v[22:23], v[30:31], -v[22:23]
	v_add_f64 v[22:23], v[28:29], -v[22:23]
	v_mul_f64 v[28:29], v[30:31], v[18:19]
	v_fma_f64 v[30:31], v[30:31], v[18:19], -v[28:29]
	v_fmac_f64_e32 v[30:31], v[22:23], v[18:19]
	v_add_f64 v[18:19], v[28:29], v[30:31]
	v_add_f64 v[22:23], v[18:19], -v[28:29]
	v_add_f64 v[28:29], v[26:27], v[18:19]
	v_add_f64 v[22:23], v[30:31], -v[22:23]
	v_add_f64 v[26:27], v[28:29], -v[26:27]
	v_add_f64 v[18:19], v[18:19], -v[26:27]
	v_add_f64 v[20:21], v[20:21], v[22:23]
	v_add_f64 v[18:19], v[20:21], v[18:19]
	;; [unrolled: 1-line block ×3, first 2 shown]
	v_add_f64 v[22:23], v[20:21], -v[28:29]
	v_add_f64 v[18:19], v[18:19], -v[22:23]
	v_add_f64 v[22:23], v[20:21], 1.0
	v_add_f64 v[26:27], v[22:23], -1.0
	v_add_f64 v[20:21], v[20:21], -v[26:27]
	v_add_f64 v[18:19], v[18:19], v[20:21]
	v_bfi_b32 v5, s47, v17, v5
	v_add_f64 v[20:21], v[22:23], v[18:19]
	v_cvt_i32_f64_e32 v17, v[24:25]
	v_ldexp_f64 v[24:25], v[20:21], v17
	v_rcp_f64_e32 v[26:27], v[24:25]
	v_add_f64 v[20:21], v[20:21], -v[22:23]
	v_add_f64 v[18:19], v[18:19], -v[20:21]
	v_ldexp_f64 v[18:19], v[18:19], v17
	v_fma_f64 v[20:21], -v[24:25], v[26:27], 1.0
	v_fmac_f64_e32 v[26:27], v[20:21], v[26:27]
	v_fma_f64 v[20:21], -v[24:25], v[26:27], 1.0
	v_fmac_f64_e32 v[26:27], v[20:21], v[26:27]
	v_mul_f64 v[20:21], v[24:25], v[26:27]
	v_fma_f64 v[22:23], v[26:27], v[24:25], -v[20:21]
	v_fmac_f64_e32 v[22:23], v[26:27], v[18:19]
	v_add_f64 v[28:29], v[20:21], v[22:23]
	v_add_f64 v[30:31], -v[28:29], 1.0
	v_add_f64 v[20:21], v[28:29], -v[20:21]
	v_add_f64 v[32:33], -v[30:31], 1.0
	v_add_f64 v[28:29], v[32:33], -v[28:29]
	v_add_f64 v[20:21], v[20:21], -v[22:23]
	v_add_f64 v[20:21], v[20:21], v[28:29]
	v_add_f64 v[22:23], v[30:31], v[20:21]
	v_add_f64 v[28:29], v[30:31], -v[22:23]
	v_add_f64 v[20:21], v[20:21], v[28:29]
	v_mul_f64 v[28:29], v[26:27], v[22:23]
	v_mul_f64 v[30:31], v[24:25], v[28:29]
	v_fma_f64 v[32:33], v[28:29], v[24:25], -v[30:31]
	v_fmac_f64_e32 v[32:33], v[28:29], v[18:19]
	v_add_f64 v[34:35], v[30:31], v[32:33]
	v_add_f64 v[36:37], v[22:23], -v[34:35]
	v_add_f64 v[22:23], v[22:23], -v[36:37]
	;; [unrolled: 1-line block ×4, first 2 shown]
	v_add_f64 v[20:21], v[20:21], v[22:23]
	v_add_f64 v[22:23], v[30:31], -v[32:33]
	v_add_f64 v[20:21], v[22:23], v[20:21]
	v_add_f64 v[20:21], v[36:37], v[20:21]
	;; [unrolled: 1-line block ×3, first 2 shown]
	v_mul_f64 v[20:21], v[26:27], v[20:21]
	v_add_f64 v[26:27], v[22:23], -v[26:27]
	v_add_f64 v[26:27], v[28:29], -v[26:27]
	v_add_f64 v[20:21], v[26:27], v[20:21]
	v_add_f64 v[26:27], v[22:23], v[20:21]
	v_add_f64 v[22:23], v[26:27], -v[22:23]
	v_add_f64 v[20:21], v[20:21], -v[22:23]
	v_ldexp_f64 v[22:23], v[26:27], -2
	v_add_f64 v[26:27], v[24:25], -v[22:23]
	v_add_f64 v[24:25], v[24:25], -v[26:27]
	;; [unrolled: 1-line block ×3, first 2 shown]
	v_ldexp_f64 v[20:21], v[20:21], -2
	v_add_f64 v[18:19], v[18:19], v[22:23]
	v_add_f64 v[18:19], v[18:19], -v[20:21]
	v_add_f64 v[18:19], v[26:27], v[18:19]
	v_cmp_nge_f64_e64 vcc, |v[6:7]|, s[40:41]
	v_cndmask_b32_e32 v17, v14, v19, vcc
	v_cndmask_b32_e32 v18, 0, v18, vcc
	v_cmp_lt_f64_e64 vcc, |v[6:7]|, s[42:43]
	v_cndmask_b32_e32 v6, v18, v6, vcc
	s_waitcnt vmcnt(0)
	v_add_f64 v[18:19], |v[0:1]|, s[4:5]
	v_add_f64 v[20:21], v[18:19], -|v[0:1]|
	v_add_f64 v[22:23], v[20:21], -v[18:19]
	v_add_f64 v[22:23], |v[0:1]|, v[22:23]
	v_add_f64 v[20:21], v[20:21], s[6:7]
	v_add_f64 v[20:21], v[22:23], -v[20:21]
	v_add_f64 v[20:21], v[20:21], s[8:9]
	v_add_f64 v[22:23], v[18:19], v[20:21]
	v_add_f64 v[18:19], v[18:19], -v[22:23]
	v_add_f64 v[18:19], v[20:21], v[18:19]
	v_mul_f64 v[20:21], v[22:23], s[12:13]
	v_rndne_f64_e32 v[20:21], v[20:21]
	v_fmac_f64_e32 v[22:23], s[14:15], v[20:21]
	v_add_f64 v[24:25], v[18:19], v[22:23]
	v_add_f64 v[22:23], v[22:23], -v[24:25]
	v_add_f64 v[18:19], v[18:19], v[22:23]
	v_mul_f64 v[22:23], v[20:21], s[16:17]
	v_add_f64 v[26:27], v[24:25], -v[22:23]
	v_add_f64 v[24:25], v[24:25], -v[26:27]
	;; [unrolled: 1-line block ×3, first 2 shown]
	v_add_f64 v[18:19], v[18:19], v[22:23]
	v_add_f64 v[22:23], v[26:27], v[18:19]
	v_add_f64 v[24:25], v[26:27], -v[22:23]
	v_add_f64 v[18:19], v[18:19], v[24:25]
	v_mul_f64 v[24:25], v[20:21], s[18:19]
	v_add_f64 v[26:27], v[22:23], -v[24:25]
	v_add_f64 v[22:23], v[22:23], -v[26:27]
	v_add_f64 v[22:23], v[22:23], -v[24:25]
	v_add_f64 v[18:19], v[18:19], v[22:23]
	v_add_f64 v[22:23], v[26:27], v[18:19]
	v_add_f64 v[24:25], v[26:27], -v[22:23]
	v_add_f64 v[18:19], v[18:19], v[24:25]
	v_fma_f64 v[24:25], s[20:21], v[22:23], v[12:13]
	v_fma_f64 v[24:25], v[22:23], v[24:25], s[22:23]
	;; [unrolled: 1-line block ×5, first 2 shown]
	v_mul_f64 v[26:27], v[22:23], v[22:23]
	v_fma_f64 v[24:25], v[22:23], v[24:25], s[30:31]
	v_fma_f64 v[28:29], v[22:23], v[22:23], -v[26:27]
	v_add_f64 v[30:31], v[18:19], v[18:19]
	v_fma_f64 v[24:25], v[22:23], v[24:25], s[34:35]
	v_fmac_f64_e32 v[28:29], v[22:23], v[30:31]
	v_fma_f64 v[24:25], v[22:23], v[24:25], s[36:37]
	v_add_f64 v[30:31], v[26:27], v[28:29]
	v_fma_f64 v[24:25], v[22:23], v[24:25], s[38:39]
	v_add_f64 v[26:27], v[30:31], -v[26:27]
	v_add_f64 v[26:27], v[28:29], -v[26:27]
	v_mul_f64 v[28:29], v[30:31], v[24:25]
	v_fma_f64 v[30:31], v[30:31], v[24:25], -v[28:29]
	v_fmac_f64_e32 v[30:31], v[26:27], v[24:25]
	v_add_f64 v[24:25], v[28:29], v[30:31]
	v_add_f64 v[26:27], v[24:25], -v[28:29]
	v_add_f64 v[28:29], v[22:23], v[24:25]
	v_add_f64 v[26:27], v[30:31], -v[26:27]
	v_add_f64 v[22:23], v[28:29], -v[22:23]
	;; [unrolled: 1-line block ×3, first 2 shown]
	v_add_f64 v[18:19], v[18:19], v[26:27]
	v_add_f64 v[18:19], v[18:19], v[22:23]
	;; [unrolled: 1-line block ×3, first 2 shown]
	v_add_f64 v[24:25], v[22:23], -v[28:29]
	v_add_f64 v[18:19], v[18:19], -v[24:25]
	v_add_f64 v[24:25], v[22:23], 1.0
	v_add_f64 v[26:27], v[24:25], -1.0
	v_add_f64 v[22:23], v[22:23], -v[26:27]
	v_add_f64 v[18:19], v[18:19], v[22:23]
	v_add_f64 v[22:23], v[24:25], v[18:19]
	v_cvt_i32_f64_e32 v28, v[20:21]
	v_ldexp_f64 v[20:21], v[22:23], v28
	v_rcp_f64_e32 v[26:27], v[20:21]
	v_add_f64 v[22:23], v[22:23], -v[24:25]
	v_add_f64 v[18:19], v[18:19], -v[22:23]
	v_ldexp_f64 v[18:19], v[18:19], v28
	v_fma_f64 v[22:23], -v[20:21], v[26:27], 1.0
	v_fmac_f64_e32 v[26:27], v[22:23], v[26:27]
	v_fma_f64 v[22:23], -v[20:21], v[26:27], 1.0
	v_fmac_f64_e32 v[26:27], v[22:23], v[26:27]
	v_mul_f64 v[22:23], v[20:21], v[26:27]
	v_fma_f64 v[24:25], v[26:27], v[20:21], -v[22:23]
	v_fmac_f64_e32 v[24:25], v[26:27], v[18:19]
	v_add_f64 v[28:29], v[22:23], v[24:25]
	v_add_f64 v[30:31], -v[28:29], 1.0
	v_add_f64 v[22:23], v[28:29], -v[22:23]
	v_add_f64 v[32:33], -v[30:31], 1.0
	v_add_f64 v[28:29], v[32:33], -v[28:29]
	v_add_f64 v[22:23], v[22:23], -v[24:25]
	v_add_f64 v[22:23], v[22:23], v[28:29]
	v_add_f64 v[24:25], v[30:31], v[22:23]
	v_add_f64 v[28:29], v[30:31], -v[24:25]
	v_add_f64 v[22:23], v[22:23], v[28:29]
	v_mul_f64 v[28:29], v[26:27], v[24:25]
	v_mul_f64 v[30:31], v[20:21], v[28:29]
	v_fma_f64 v[32:33], v[28:29], v[20:21], -v[30:31]
	v_fmac_f64_e32 v[32:33], v[28:29], v[18:19]
	v_add_f64 v[34:35], v[30:31], v[32:33]
	v_add_f64 v[36:37], v[24:25], -v[34:35]
	v_add_f64 v[24:25], v[24:25], -v[36:37]
	;; [unrolled: 1-line block ×4, first 2 shown]
	v_add_f64 v[22:23], v[22:23], v[24:25]
	v_add_f64 v[24:25], v[30:31], -v[32:33]
	v_add_f64 v[22:23], v[24:25], v[22:23]
	v_add_f64 v[22:23], v[36:37], v[22:23]
	;; [unrolled: 1-line block ×3, first 2 shown]
	v_mul_f64 v[22:23], v[26:27], v[22:23]
	v_add_f64 v[26:27], v[24:25], -v[26:27]
	v_add_f64 v[26:27], v[28:29], -v[26:27]
	v_add_f64 v[22:23], v[26:27], v[22:23]
	v_add_f64 v[26:27], v[24:25], v[22:23]
	v_add_f64 v[24:25], v[26:27], -v[24:25]
	v_add_f64 v[22:23], v[22:23], -v[24:25]
	v_ldexp_f64 v[24:25], v[26:27], -2
	v_add_f64 v[26:27], v[20:21], -v[24:25]
	v_add_f64 v[20:21], v[20:21], -v[26:27]
	v_add_f64 v[20:21], v[20:21], -v[24:25]
	v_ldexp_f64 v[22:23], v[22:23], -2
	v_add_f64 v[18:19], v[18:19], v[20:21]
	v_and_b32_e32 v48, 0x7fffffff, v7
	v_add_f64 v[18:19], v[18:19], -v[22:23]
	v_cndmask_b32_e32 v17, v17, v48, vcc
	v_add_f64 v[18:19], v[26:27], v[18:19]
	v_cmp_nge_f64_e64 vcc, |v[0:1]|, s[40:41]
	v_bfi_b32 v7, s47, v17, v7
	v_and_b32_e32 v17, 0x7fffffff, v1
	v_cndmask_b32_e32 v19, v14, v19, vcc
	v_cndmask_b32_e32 v18, 0, v18, vcc
	v_cmp_lt_f64_e64 vcc, |v[0:1]|, s[42:43]
	v_cndmask_b32_e32 v0, v18, v0, vcc
	v_cndmask_b32_e32 v17, v19, v17, vcc
	v_add_f64 v[18:19], |v[2:3]|, s[4:5]
	v_add_f64 v[20:21], v[18:19], -|v[2:3]|
	v_add_f64 v[22:23], v[20:21], -v[18:19]
	v_add_f64 v[22:23], |v[2:3]|, v[22:23]
	v_add_f64 v[20:21], v[20:21], s[6:7]
	v_add_f64 v[20:21], v[22:23], -v[20:21]
	v_add_f64 v[20:21], v[20:21], s[8:9]
	v_add_f64 v[22:23], v[18:19], v[20:21]
	v_add_f64 v[18:19], v[18:19], -v[22:23]
	v_add_f64 v[18:19], v[20:21], v[18:19]
	v_mul_f64 v[20:21], v[22:23], s[12:13]
	v_rndne_f64_e32 v[20:21], v[20:21]
	v_fmac_f64_e32 v[22:23], s[14:15], v[20:21]
	v_add_f64 v[24:25], v[18:19], v[22:23]
	v_add_f64 v[22:23], v[22:23], -v[24:25]
	v_add_f64 v[18:19], v[18:19], v[22:23]
	v_mul_f64 v[22:23], v[20:21], s[16:17]
	v_add_f64 v[26:27], v[24:25], -v[22:23]
	v_add_f64 v[24:25], v[24:25], -v[26:27]
	;; [unrolled: 1-line block ×3, first 2 shown]
	v_add_f64 v[18:19], v[18:19], v[22:23]
	v_add_f64 v[22:23], v[26:27], v[18:19]
	v_add_f64 v[24:25], v[26:27], -v[22:23]
	v_add_f64 v[18:19], v[18:19], v[24:25]
	v_mul_f64 v[24:25], v[20:21], s[18:19]
	v_add_f64 v[26:27], v[22:23], -v[24:25]
	v_add_f64 v[22:23], v[22:23], -v[26:27]
	;; [unrolled: 1-line block ×3, first 2 shown]
	v_add_f64 v[18:19], v[18:19], v[22:23]
	v_add_f64 v[22:23], v[26:27], v[18:19]
	v_add_f64 v[24:25], v[26:27], -v[22:23]
	v_add_f64 v[18:19], v[18:19], v[24:25]
	v_fma_f64 v[24:25], s[20:21], v[22:23], v[12:13]
	v_fma_f64 v[24:25], v[22:23], v[24:25], s[22:23]
	;; [unrolled: 1-line block ×5, first 2 shown]
	v_mul_f64 v[26:27], v[22:23], v[22:23]
	v_fma_f64 v[24:25], v[22:23], v[24:25], s[30:31]
	v_fma_f64 v[28:29], v[22:23], v[22:23], -v[26:27]
	v_add_f64 v[30:31], v[18:19], v[18:19]
	v_fma_f64 v[24:25], v[22:23], v[24:25], s[34:35]
	v_fmac_f64_e32 v[28:29], v[22:23], v[30:31]
	v_fma_f64 v[24:25], v[22:23], v[24:25], s[36:37]
	v_add_f64 v[30:31], v[26:27], v[28:29]
	v_fma_f64 v[24:25], v[22:23], v[24:25], s[38:39]
	v_add_f64 v[26:27], v[30:31], -v[26:27]
	v_add_f64 v[26:27], v[28:29], -v[26:27]
	v_mul_f64 v[28:29], v[30:31], v[24:25]
	v_fma_f64 v[30:31], v[30:31], v[24:25], -v[28:29]
	v_fmac_f64_e32 v[30:31], v[26:27], v[24:25]
	v_add_f64 v[24:25], v[28:29], v[30:31]
	v_add_f64 v[26:27], v[24:25], -v[28:29]
	v_add_f64 v[28:29], v[22:23], v[24:25]
	v_add_f64 v[26:27], v[30:31], -v[26:27]
	v_add_f64 v[22:23], v[28:29], -v[22:23]
	;; [unrolled: 1-line block ×3, first 2 shown]
	v_add_f64 v[18:19], v[18:19], v[26:27]
	v_add_f64 v[18:19], v[18:19], v[22:23]
	;; [unrolled: 1-line block ×3, first 2 shown]
	v_add_f64 v[24:25], v[22:23], -v[28:29]
	v_add_f64 v[18:19], v[18:19], -v[24:25]
	v_add_f64 v[24:25], v[22:23], 1.0
	v_add_f64 v[26:27], v[24:25], -1.0
	v_add_f64 v[22:23], v[22:23], -v[26:27]
	v_add_f64 v[18:19], v[18:19], v[22:23]
	v_add_f64 v[22:23], v[24:25], v[18:19]
	v_cvt_i32_f64_e32 v28, v[20:21]
	v_ldexp_f64 v[20:21], v[22:23], v28
	v_rcp_f64_e32 v[26:27], v[20:21]
	v_add_f64 v[22:23], v[22:23], -v[24:25]
	v_add_f64 v[18:19], v[18:19], -v[22:23]
	v_ldexp_f64 v[18:19], v[18:19], v28
	v_fma_f64 v[22:23], -v[20:21], v[26:27], 1.0
	v_fmac_f64_e32 v[26:27], v[22:23], v[26:27]
	v_fma_f64 v[22:23], -v[20:21], v[26:27], 1.0
	v_fmac_f64_e32 v[26:27], v[22:23], v[26:27]
	v_mul_f64 v[22:23], v[20:21], v[26:27]
	v_fma_f64 v[24:25], v[26:27], v[20:21], -v[22:23]
	v_fmac_f64_e32 v[24:25], v[26:27], v[18:19]
	v_add_f64 v[28:29], v[22:23], v[24:25]
	v_add_f64 v[30:31], -v[28:29], 1.0
	v_add_f64 v[22:23], v[28:29], -v[22:23]
	v_add_f64 v[32:33], -v[30:31], 1.0
	v_add_f64 v[28:29], v[32:33], -v[28:29]
	v_add_f64 v[22:23], v[22:23], -v[24:25]
	v_add_f64 v[22:23], v[22:23], v[28:29]
	v_add_f64 v[24:25], v[30:31], v[22:23]
	v_add_f64 v[28:29], v[30:31], -v[24:25]
	v_add_f64 v[22:23], v[22:23], v[28:29]
	v_mul_f64 v[28:29], v[26:27], v[24:25]
	v_mul_f64 v[30:31], v[20:21], v[28:29]
	v_fma_f64 v[32:33], v[28:29], v[20:21], -v[30:31]
	v_fmac_f64_e32 v[32:33], v[28:29], v[18:19]
	v_add_f64 v[34:35], v[30:31], v[32:33]
	v_add_f64 v[36:37], v[24:25], -v[34:35]
	v_add_f64 v[24:25], v[24:25], -v[36:37]
	;; [unrolled: 1-line block ×4, first 2 shown]
	v_add_f64 v[22:23], v[22:23], v[24:25]
	v_add_f64 v[24:25], v[30:31], -v[32:33]
	v_add_f64 v[22:23], v[24:25], v[22:23]
	v_add_f64 v[22:23], v[36:37], v[22:23]
	v_add_f64 v[24:25], v[26:27], v[28:29]
	v_mul_f64 v[22:23], v[26:27], v[22:23]
	v_add_f64 v[26:27], v[24:25], -v[26:27]
	v_add_f64 v[26:27], v[28:29], -v[26:27]
	v_add_f64 v[22:23], v[26:27], v[22:23]
	v_add_f64 v[26:27], v[24:25], v[22:23]
	v_add_f64 v[24:25], v[26:27], -v[24:25]
	v_add_f64 v[22:23], v[22:23], -v[24:25]
	v_ldexp_f64 v[24:25], v[26:27], -2
	v_add_f64 v[26:27], v[20:21], -v[24:25]
	v_add_f64 v[20:21], v[20:21], -v[26:27]
	;; [unrolled: 1-line block ×3, first 2 shown]
	v_ldexp_f64 v[22:23], v[22:23], -2
	v_add_f64 v[18:19], v[18:19], v[20:21]
	v_add_f64 v[18:19], v[18:19], -v[22:23]
	v_add_f64 v[18:19], v[26:27], v[18:19]
	v_cmp_nge_f64_e64 vcc, |v[2:3]|, s[40:41]
	v_bfi_b32 v1, s47, v17, v1
	v_and_b32_e32 v17, 0x7fffffff, v3
	v_cndmask_b32_e32 v19, v14, v19, vcc
	v_cndmask_b32_e32 v18, 0, v18, vcc
	v_cmp_lt_f64_e64 vcc, |v[2:3]|, s[42:43]
	v_cndmask_b32_e32 v2, v18, v2, vcc
	v_cndmask_b32_e32 v17, v19, v17, vcc
	v_cmp_le_i64_e32 vcc, s[10:11], v[8:9]
	s_or_b64 s[0:1], vcc, s[0:1]
	v_add_co_u32_e32 v8, vcc, s33, v8
	v_addc_co_u32_e32 v9, vcc, v9, v15, vcc
	v_bfi_b32 v3, s47, v17, v3
	global_store_dwordx4 v[10:11], v[4:7], off offset:-16
	global_store_dwordx4 v[10:11], v[0:3], off
	s_and_b64 s[0:1], exec, s[0:1]
	v_add_co_u32_e32 v10, vcc, s46, v10
	s_or_b64 s[2:3], s[0:1], s[2:3]
	v_addc_co_u32_e32 v11, vcc, v11, v16, vcc
	s_andn2_b64 exec, exec, s[2:3]
	s_cbranch_execnz .LBB124_24
.LBB124_25:
	s_endpgm
	.section	.rodata,"a",@progbits
	.p2align	6, 0x0
	.amdhsa_kernel _ZN2at6native12_GLOBAL__N_125multi_tensor_apply_kernelINS1_18TensorListMetadataILi1EEENS1_14UnaryOpFunctorIdLi1ELi1ELi0EEEJNS0_4SinhIdEEEEEvT_T0_DpT1_
		.amdhsa_group_segment_fixed_size 0
		.amdhsa_private_segment_fixed_size 0
		.amdhsa_kernarg_size 3632
		.amdhsa_user_sgpr_count 6
		.amdhsa_user_sgpr_private_segment_buffer 1
		.amdhsa_user_sgpr_dispatch_ptr 0
		.amdhsa_user_sgpr_queue_ptr 0
		.amdhsa_user_sgpr_kernarg_segment_ptr 1
		.amdhsa_user_sgpr_dispatch_id 0
		.amdhsa_user_sgpr_flat_scratch_init 0
		.amdhsa_user_sgpr_kernarg_preload_length 0
		.amdhsa_user_sgpr_kernarg_preload_offset 0
		.amdhsa_user_sgpr_private_segment_size 0
		.amdhsa_uses_dynamic_stack 0
		.amdhsa_system_sgpr_private_segment_wavefront_offset 0
		.amdhsa_system_sgpr_workgroup_id_x 1
		.amdhsa_system_sgpr_workgroup_id_y 0
		.amdhsa_system_sgpr_workgroup_id_z 0
		.amdhsa_system_sgpr_workgroup_info 0
		.amdhsa_system_vgpr_workitem_id 0
		.amdhsa_next_free_vgpr 63
		.amdhsa_next_free_sgpr 51
		.amdhsa_accum_offset 64
		.amdhsa_reserve_vcc 1
		.amdhsa_reserve_flat_scratch 0
		.amdhsa_float_round_mode_32 0
		.amdhsa_float_round_mode_16_64 0
		.amdhsa_float_denorm_mode_32 3
		.amdhsa_float_denorm_mode_16_64 3
		.amdhsa_dx10_clamp 1
		.amdhsa_ieee_mode 1
		.amdhsa_fp16_overflow 0
		.amdhsa_tg_split 0
		.amdhsa_exception_fp_ieee_invalid_op 0
		.amdhsa_exception_fp_denorm_src 0
		.amdhsa_exception_fp_ieee_div_zero 0
		.amdhsa_exception_fp_ieee_overflow 0
		.amdhsa_exception_fp_ieee_underflow 0
		.amdhsa_exception_fp_ieee_inexact 0
		.amdhsa_exception_int_div_zero 0
	.end_amdhsa_kernel
	.section	.text._ZN2at6native12_GLOBAL__N_125multi_tensor_apply_kernelINS1_18TensorListMetadataILi1EEENS1_14UnaryOpFunctorIdLi1ELi1ELi0EEEJNS0_4SinhIdEEEEEvT_T0_DpT1_,"axG",@progbits,_ZN2at6native12_GLOBAL__N_125multi_tensor_apply_kernelINS1_18TensorListMetadataILi1EEENS1_14UnaryOpFunctorIdLi1ELi1ELi0EEEJNS0_4SinhIdEEEEEvT_T0_DpT1_,comdat
.Lfunc_end124:
	.size	_ZN2at6native12_GLOBAL__N_125multi_tensor_apply_kernelINS1_18TensorListMetadataILi1EEENS1_14UnaryOpFunctorIdLi1ELi1ELi0EEEJNS0_4SinhIdEEEEEvT_T0_DpT1_, .Lfunc_end124-_ZN2at6native12_GLOBAL__N_125multi_tensor_apply_kernelINS1_18TensorListMetadataILi1EEENS1_14UnaryOpFunctorIdLi1ELi1ELi0EEEJNS0_4SinhIdEEEEEvT_T0_DpT1_
                                        ; -- End function
	.section	.AMDGPU.csdata,"",@progbits
; Kernel info:
; codeLenInByte = 9508
; NumSgprs: 55
; NumVgprs: 63
; NumAgprs: 0
; TotalNumVgprs: 63
; ScratchSize: 0
; MemoryBound: 0
; FloatMode: 240
; IeeeMode: 1
; LDSByteSize: 0 bytes/workgroup (compile time only)
; SGPRBlocks: 6
; VGPRBlocks: 7
; NumSGPRsForWavesPerEU: 55
; NumVGPRsForWavesPerEU: 63
; AccumOffset: 64
; Occupancy: 8
; WaveLimiterHint : 0
; COMPUTE_PGM_RSRC2:SCRATCH_EN: 0
; COMPUTE_PGM_RSRC2:USER_SGPR: 6
; COMPUTE_PGM_RSRC2:TRAP_HANDLER: 0
; COMPUTE_PGM_RSRC2:TGID_X_EN: 1
; COMPUTE_PGM_RSRC2:TGID_Y_EN: 0
; COMPUTE_PGM_RSRC2:TGID_Z_EN: 0
; COMPUTE_PGM_RSRC2:TIDIG_COMP_CNT: 0
; COMPUTE_PGM_RSRC3_GFX90A:ACCUM_OFFSET: 15
; COMPUTE_PGM_RSRC3_GFX90A:TG_SPLIT: 0
	.section	.text._ZN2at6native12_GLOBAL__N_125multi_tensor_apply_kernelINS1_18TensorListMetadataILi1EEENS1_14UnaryOpFunctorIfLi1ELi1ELi0EEEJNS0_4SinhIfEEEEEvT_T0_DpT1_,"axG",@progbits,_ZN2at6native12_GLOBAL__N_125multi_tensor_apply_kernelINS1_18TensorListMetadataILi1EEENS1_14UnaryOpFunctorIfLi1ELi1ELi0EEEJNS0_4SinhIfEEEEEvT_T0_DpT1_,comdat
	.globl	_ZN2at6native12_GLOBAL__N_125multi_tensor_apply_kernelINS1_18TensorListMetadataILi1EEENS1_14UnaryOpFunctorIfLi1ELi1ELi0EEEJNS0_4SinhIfEEEEEvT_T0_DpT1_ ; -- Begin function _ZN2at6native12_GLOBAL__N_125multi_tensor_apply_kernelINS1_18TensorListMetadataILi1EEENS1_14UnaryOpFunctorIfLi1ELi1ELi0EEEJNS0_4SinhIfEEEEEvT_T0_DpT1_
	.p2align	8
	.type	_ZN2at6native12_GLOBAL__N_125multi_tensor_apply_kernelINS1_18TensorListMetadataILi1EEENS1_14UnaryOpFunctorIfLi1ELi1ELi0EEEJNS0_4SinhIfEEEEEvT_T0_DpT1_,@function
_ZN2at6native12_GLOBAL__N_125multi_tensor_apply_kernelINS1_18TensorListMetadataILi1EEENS1_14UnaryOpFunctorIfLi1ELi1ELi0EEEJNS0_4SinhIfEEEEEvT_T0_DpT1_: ; @_ZN2at6native12_GLOBAL__N_125multi_tensor_apply_kernelINS1_18TensorListMetadataILi1EEENS1_14UnaryOpFunctorIfLi1ELi1ELi0EEEJNS0_4SinhIfEEEEEvT_T0_DpT1_
; %bb.0:
	v_mov_b32_e32 v1, s6
	global_load_ubyte v1, v1, s[4:5] offset:1760
	s_add_u32 s0, s4, s6
	s_mul_hi_u32 s1, s6, 3
	s_mul_i32 s6, s6, 3
	s_addc_u32 s2, s5, 0
	s_add_u32 s0, s0, s6
	s_addc_u32 s1, s2, s1
	s_load_dword s0, s[0:1], 0x820
	s_mov_b32 s7, 0
	s_waitcnt vmcnt(0)
	v_readfirstlane_b32 s2, v1
	s_lshl_b32 s1, s2, 3
	s_load_dwordx2 s[2:3], s[4:5], s1 offset:0x370
	s_load_dwordx2 s[12:13], s[4:5], s1 offset:0x0
	s_waitcnt lgkmcnt(0)
	s_ashr_i32 s1, s0, 31
	s_lshl_b64 s[14:15], s[0:1], 18
	s_lshl_b64 s[0:1], s[0:1], 16
	s_and_b32 s6, s12, 15
	s_sub_u32 s10, s2, s0
	s_subb_u32 s11, s3, s1
	s_and_b32 s0, s2, 3
	s_mov_b32 s1, s7
	s_or_b64 s[0:1], s[6:7], s[0:1]
	s_cmp_eq_u64 s[0:1], 0
	s_cbranch_scc1 .LBB125_21
; %bb.1:
	v_cmp_lt_i64_e64 s[0:1], s[10:11], 1
	s_and_b64 vcc, exec, s[0:1]
	s_cbranch_vccnz .LBB125_20
; %bb.2:
	s_load_dword s0, s[4:5], 0xd3c
	v_mov_b32_e32 v2, 0x10000
	v_mov_b32_e32 v3, 0
	v_cmp_lt_u64_e32 vcc, s[10:11], v[2:3]
	v_lshlrev_b32_e32 v1, 2, v0
	s_waitcnt lgkmcnt(0)
	s_and_b32 s2, s0, 0xffff
	s_and_b64 s[0:1], vcc, exec
	s_cselect_b32 s17, s11, 0
	s_cselect_b32 s16, s10, 0x10000
	s_lshl_b32 s3, s2, 1
	s_lshl_b32 s24, s2, 2
	s_add_u32 s6, s12, s14
	s_addc_u32 s7, s13, s15
	v_mov_b32_e32 v3, s7
	v_add_co_u32_e32 v2, vcc, s6, v1
	s_mul_i32 s0, s2, 3
	v_addc_co_u32_e32 v3, vcc, 0, v3, vcc
	v_add_co_u32_e32 v1, vcc, s0, v0
	v_addc_co_u32_e64 v12, s[0:1], 0, 0, vcc
	v_add_co_u32_e32 v13, vcc, s3, v0
	v_addc_co_u32_e64 v14, s[0:1], 0, 0, vcc
	v_add_co_u32_e32 v15, vcc, s2, v0
	v_lshlrev_b32_e32 v4, 2, v15
	s_mov_b32 s20, 0
	v_addc_co_u32_e64 v16, s[0:1], 0, 0, vcc
	v_mov_b32_e32 v5, s7
	v_add_co_u32_e32 v4, vcc, s6, v4
	s_lshl_b32 s25, s2, 4
	s_mul_i32 s26, s2, 12
	s_mov_b32 s27, s20
	s_lshl_b32 s28, s2, 3
	s_mov_b32 s29, s20
	v_addc_co_u32_e32 v5, vcc, 0, v5, vcc
	s_mov_b64 s[18:19], 0
	s_brev_b32 s30, -2
	s_mov_b32 s31, 0x39800000
	s_mov_b32 s33, 0xbf317218
	v_mov_b32_e32 v7, 0x3f317218
	v_mov_b32_e32 v17, 0x3d2aadcc
	;; [unrolled: 1-line block ×4, first 2 shown]
	s_mov_b32 s21, -1.0
	s_mov_b32 s34, 0x42b2d4fc
	v_mov_b32_e32 v9, -1.0
	v_mov_b32_e32 v11, 1.0
	v_mov_b32_e32 v20, 0x7f800000
	s_branch .LBB125_4
.LBB125_3:                              ;   in Loop: Header=BB125_4 Depth=1
	s_or_b64 exec, exec, s[0:1]
	s_add_u32 s18, s18, s24
	s_addc_u32 s19, s19, 0
	s_waitcnt vmcnt(0)
	v_pk_mov_b32 v[22:23], s[10:11], s[10:11] op_sel:[0,1]
	v_cmp_lt_i64_e32 vcc, s[18:19], v[22:23]
	v_mov_b32_e32 v22, 0x10000
	v_mov_b32_e32 v23, 0
	v_cmp_lt_u64_e64 s[0:1], s[18:19], v[22:23]
	s_and_b64 s[0:1], vcc, s[0:1]
	v_mov_b32_e32 v6, s20
	v_add_co_u32_e32 v2, vcc, s25, v2
	v_addc_co_u32_e32 v3, vcc, v3, v6, vcc
	v_add_co_u32_e32 v4, vcc, s25, v4
	v_addc_co_u32_e32 v5, vcc, v5, v6, vcc
	s_and_b64 vcc, exec, s[0:1]
	s_cbranch_vccz .LBB125_20
.LBB125_4:                              ; =>This Inner Loop Header: Depth=1
	v_mov_b32_e32 v6, s19
	v_add_co_u32_e32 v22, vcc, s18, v0
	v_addc_co_u32_e32 v23, vcc, 0, v6, vcc
	v_cmp_gt_u64_e64 s[6:7], s[16:17], v[22:23]
	v_mov_b32_e32 v24, 0
	s_and_saveexec_b64 s[0:1], s[6:7]
	s_cbranch_execz .LBB125_6
; %bb.5:                                ;   in Loop: Header=BB125_4 Depth=1
	global_load_dword v24, v[2:3], off
.LBB125_6:                              ;   in Loop: Header=BB125_4 Depth=1
	s_or_b64 exec, exec, s[0:1]
	v_mov_b32_e32 v6, s19
	v_add_co_u32_e32 v22, vcc, s18, v15
	v_addc_co_u32_e32 v23, vcc, v16, v6, vcc
	v_cmp_gt_u64_e64 s[2:3], s[16:17], v[22:23]
	v_mov_b32_e32 v23, 0
	s_and_saveexec_b64 s[0:1], s[2:3]
	s_cbranch_execz .LBB125_8
; %bb.7:                                ;   in Loop: Header=BB125_4 Depth=1
	global_load_dword v23, v[4:5], off
.LBB125_8:                              ;   in Loop: Header=BB125_4 Depth=1
	s_or_b64 exec, exec, s[0:1]
	v_mov_b32_e32 v6, s19
	v_add_co_u32_e32 v26, vcc, s18, v13
	v_addc_co_u32_e32 v27, vcc, v14, v6, vcc
	v_cmp_gt_u64_e64 s[0:1], s[16:17], v[26:27]
	v_mov_b32_e32 v21, 0
	v_mov_b32_e32 v22, 0
	s_and_saveexec_b64 s[8:9], s[0:1]
	s_cbranch_execz .LBB125_10
; %bb.9:                                ;   in Loop: Header=BB125_4 Depth=1
	v_mov_b32_e32 v6, s29
	v_add_co_u32_e32 v26, vcc, s28, v2
	v_addc_co_u32_e32 v27, vcc, v3, v6, vcc
	global_load_dword v22, v[26:27], off
.LBB125_10:                             ;   in Loop: Header=BB125_4 Depth=1
	s_or_b64 exec, exec, s[8:9]
	v_mov_b32_e32 v6, s19
	v_add_co_u32_e32 v26, vcc, s18, v1
	v_addc_co_u32_e32 v27, vcc, v12, v6, vcc
	v_cmp_gt_u64_e32 vcc, s[16:17], v[26:27]
	s_and_saveexec_b64 s[22:23], vcc
	s_cbranch_execnz .LBB125_15
; %bb.11:                               ;   in Loop: Header=BB125_4 Depth=1
	s_or_b64 exec, exec, s[22:23]
	s_and_saveexec_b64 s[8:9], s[6:7]
	s_cbranch_execnz .LBB125_16
.LBB125_12:                             ;   in Loop: Header=BB125_4 Depth=1
	s_or_b64 exec, exec, s[8:9]
	s_and_saveexec_b64 s[6:7], s[2:3]
	s_cbranch_execnz .LBB125_17
.LBB125_13:                             ;   in Loop: Header=BB125_4 Depth=1
	s_or_b64 exec, exec, s[6:7]
	s_and_saveexec_b64 s[2:3], s[0:1]
	s_cbranch_execnz .LBB125_18
.LBB125_14:                             ;   in Loop: Header=BB125_4 Depth=1
	s_or_b64 exec, exec, s[2:3]
	s_and_saveexec_b64 s[0:1], vcc
	s_cbranch_execz .LBB125_3
	s_branch .LBB125_19
.LBB125_15:                             ;   in Loop: Header=BB125_4 Depth=1
	v_mov_b32_e32 v6, s27
	v_add_co_u32_e64 v26, s[8:9], s26, v2
	v_addc_co_u32_e64 v27, s[8:9], v3, v6, s[8:9]
	global_load_dword v21, v[26:27], off
	s_or_b64 exec, exec, s[22:23]
	s_and_saveexec_b64 s[8:9], s[6:7]
	s_cbranch_execz .LBB125_12
.LBB125_16:                             ;   in Loop: Header=BB125_4 Depth=1
	s_waitcnt vmcnt(0)
	v_add_f32_e64 v8, |v24|, s33
	v_sub_f32_e64 v27, v8, |v24|
	v_and_b32_e32 v6, 0x7fffffff, v24
	v_sub_f32_e32 v26, v27, v8
	v_pk_add_f32 v[26:27], v[6:7], v[26:27]
	v_sub_f32_e32 v6, v26, v27
	v_add_f32_e32 v6, 0x3102e308, v6
	v_add_f32_e32 v10, v8, v6
	v_sub_f32_e32 v8, v8, v10
	v_add_f32_e32 v6, v6, v8
	v_mul_f32_e32 v8, 0x3fb8aa3b, v10
	v_rndne_f32_e32 v25, v8
	v_fmac_f32_e32 v10, 0xbf317200, v25
	v_add_f32_e32 v8, v6, v10
	v_mul_f32_e32 v26, 0x35bfbc00, v25
	v_sub_f32_e32 v28, v8, v26
	v_sub_f32_e32 v10, v10, v8
	;; [unrolled: 1-line block ×3, first 2 shown]
	v_add_f32_e32 v6, v6, v10
	v_sub_f32_e32 v8, v8, v26
	v_add_f32_e32 v6, v6, v8
	v_add_f32_e32 v29, v28, v6
	v_mul_f32_e32 v27, 0x2ea39ef3, v25
	v_mov_b32_e32 v26, v29
	v_pk_add_f32 v[30:31], v[28:29], v[26:27] neg_lo:[0,1] neg_hi:[0,1]
	v_sub_f32_e32 v8, v29, v31
	v_sub_f32_e32 v8, v8, v27
	v_add_f32_e32 v6, v6, v30
	v_add_f32_e32 v6, v6, v8
	v_add_f32_e32 v10, v31, v6
	v_mov_b32_e32 v8, 0x3c091de6
	v_sub_f32_e32 v27, v31, v10
	v_fmac_f32_e32 v8, 0x3ab42872, v10
	v_mul_f32_e32 v26, v10, v10
	v_add_f32_e32 v6, v6, v27
	v_fma_f32 v8, v10, v8, v17
	v_add_f32_e32 v27, v6, v6
	v_fma_f32 v28, v10, v10, -v26
	v_fma_f32 v8, v10, v8, v18
	v_fmac_f32_e32 v28, v10, v27
	v_fma_f32 v8, v10, v8, v19
	v_add_f32_e32 v27, v26, v28
	v_mul_f32_e32 v29, v8, v27
	v_sub_f32_e32 v26, v27, v26
	v_sub_f32_e32 v26, v28, v26
	v_fma_f32 v27, v27, v8, -v29
	v_fmac_f32_e32 v27, v26, v8
	v_add_f32_e32 v26, v29, v27
	v_add_f32_e32 v8, v10, v26
	v_sub_f32_e32 v28, v26, v29
	v_sub_f32_e32 v27, v27, v28
	;; [unrolled: 1-line block ×3, first 2 shown]
	v_add_f32_e32 v6, v6, v27
	v_sub_f32_e32 v10, v26, v10
	v_add_f32_e32 v26, v6, v10
	v_add_f32_e32 v28, v8, v26
	v_add_f32_e32 v29, 1.0, v28
	v_pk_add_f32 v[30:31], v[28:29], v[8:9] neg_lo:[0,1] neg_hi:[0,1]
	v_pk_add_f32 v[32:33], v[28:29], s[20:21]
	v_mov_b32_e32 v31, v33
	v_mov_b32_e32 v27, v28
	v_cvt_i32_f32_e32 v6, v25
	v_pk_add_f32 v[26:27], v[26:27], v[30:31] neg_lo:[0,1] neg_hi:[0,1]
	v_add_f32_e32 v8, v26, v27
	v_add_f32_e32 v10, v29, v8
	v_ldexp_f32 v25, v10, v6
	v_rcp_f32_e32 v34, v25
	v_sub_f32_e32 v10, v10, v29
	v_sub_f32_e32 v8, v8, v10
	v_ldexp_f32 v6, v8, v6
	v_mul_f32_e32 v26, v25, v34
	v_fma_f32 v28, v34, v25, -v26
	v_fmac_f32_e32 v28, v34, v6
	v_add_f32_e32 v10, v26, v28
	v_sub_f32_e32 v27, 1.0, v10
	v_pk_add_f32 v[30:31], v[10:11], v[26:27] neg_lo:[0,1] neg_hi:[0,1]
	v_mov_b32_e32 v29, v10
	v_pk_add_f32 v[28:29], v[30:31], v[28:29] neg_lo:[0,1] neg_hi:[0,1]
	v_add_f32_e32 v8, v28, v29
	v_add_f32_e32 v29, v27, v8
	v_mul_f32_e32 v10, v34, v29
	v_add_f32_e32 v35, v34, v10
	v_sub_f32_e32 v26, v35, v34
	v_mul_f32_e32 v30, v25, v10
	v_sub_f32_e32 v36, v10, v26
	v_fma_f32 v26, v10, v25, -v30
	v_fmac_f32_e32 v26, v10, v6
	v_add_f32_e32 v28, v30, v26
	v_sub_f32_e32 v31, v29, v28
	v_sub_f32_e32 v10, v27, v29
	v_pk_add_f32 v[32:33], v[28:29], v[30:31] neg_lo:[0,1] neg_hi:[0,1]
	v_mov_b32_e32 v27, v28
	v_add_f32_e32 v8, v8, v10
	v_pk_add_f32 v[26:27], v[32:33], v[26:27] neg_lo:[0,1] neg_hi:[0,1]
	v_add_f32_e32 v8, v8, v27
	v_add_f32_e32 v8, v26, v8
	;; [unrolled: 1-line block ×3, first 2 shown]
	v_mul_f32_e32 v8, v34, v8
	v_add_f32_e32 v8, v36, v8
	v_add_f32_e32 v10, v35, v8
	v_ldexp_f32 v26, v10, -2
	v_sub_f32_e32 v27, v25, v26
	v_sub_f32_e32 v25, v25, v27
	;; [unrolled: 1-line block ×5, first 2 shown]
	v_add_f32_e32 v6, v6, v25
	v_ldexp_f32 v8, v8, -2
	v_sub_f32_e32 v6, v6, v8
	v_add_f32_e32 v6, v27, v6
	v_cmp_ngt_f32_e64 s[6:7], |v24|, s34
	v_cndmask_b32_e64 v6, v20, v6, s[6:7]
	v_cmp_lt_f32_e64 s[6:7], |v24|, s31
	v_cndmask_b32_e64 v6, v6, |v24|, s[6:7]
	v_bfi_b32 v6, s30, v6, v24
	global_store_dword v[2:3], v6, off
	s_or_b64 exec, exec, s[8:9]
	s_and_saveexec_b64 s[6:7], s[2:3]
	s_cbranch_execz .LBB125_13
.LBB125_17:                             ;   in Loop: Header=BB125_4 Depth=1
	s_waitcnt vmcnt(0)
	v_add_f32_e64 v6, |v23|, s33
	v_sub_f32_e64 v8, v6, |v23|
	v_sub_f32_e32 v10, v8, v6
	v_add_f32_e64 v10, |v23|, v10
	v_add_f32_e32 v8, 0x3f317218, v8
	v_sub_f32_e32 v8, v10, v8
	v_add_f32_e32 v8, 0x3102e308, v8
	v_add_f32_e32 v10, v6, v8
	v_sub_f32_e32 v6, v6, v10
	v_add_f32_e32 v6, v8, v6
	v_mul_f32_e32 v8, 0x3fb8aa3b, v10
	v_rndne_f32_e32 v8, v8
	v_fmac_f32_e32 v10, 0xbf317200, v8
	v_add_f32_e32 v24, v6, v10
	v_sub_f32_e32 v10, v10, v24
	v_add_f32_e32 v6, v6, v10
	v_mul_f32_e32 v10, 0x35bfbc00, v8
	v_sub_f32_e32 v25, v24, v10
	v_sub_f32_e32 v24, v24, v25
	;; [unrolled: 1-line block ×3, first 2 shown]
	v_add_f32_e32 v6, v6, v10
	v_add_f32_e32 v10, v25, v6
	v_sub_f32_e32 v24, v25, v10
	v_add_f32_e32 v6, v6, v24
	v_mul_f32_e32 v24, 0x2ea39ef3, v8
	v_sub_f32_e32 v25, v10, v24
	v_sub_f32_e32 v10, v10, v25
	;; [unrolled: 1-line block ×3, first 2 shown]
	v_add_f32_e32 v6, v6, v10
	v_add_f32_e32 v10, v25, v6
	v_sub_f32_e32 v25, v25, v10
	v_mov_b32_e32 v24, 0x3c091de6
	v_add_f32_e32 v6, v6, v25
	v_mul_f32_e32 v26, v10, v10
	v_fmac_f32_e32 v24, 0x3ab42872, v10
	v_add_f32_e32 v25, v6, v6
	v_fma_f32 v27, v10, v10, -v26
	v_fma_f32 v24, v10, v24, v17
	v_fmac_f32_e32 v27, v10, v25
	v_fma_f32 v24, v10, v24, v18
	v_add_f32_e32 v25, v26, v27
	v_fma_f32 v24, v10, v24, v19
	v_sub_f32_e32 v26, v25, v26
	v_sub_f32_e32 v26, v27, v26
	v_mul_f32_e32 v27, v24, v25
	v_fma_f32 v25, v25, v24, -v27
	v_fmac_f32_e32 v25, v26, v24
	v_add_f32_e32 v24, v27, v25
	v_sub_f32_e32 v26, v24, v27
	v_sub_f32_e32 v25, v25, v26
	v_add_f32_e32 v26, v10, v24
	v_sub_f32_e32 v10, v26, v10
	v_sub_f32_e32 v10, v24, v10
	v_add_f32_e32 v6, v6, v25
	v_add_f32_e32 v6, v6, v10
	;; [unrolled: 1-line block ×3, first 2 shown]
	v_sub_f32_e32 v24, v10, v26
	v_sub_f32_e32 v6, v6, v24
	v_add_f32_e32 v24, 1.0, v10
	v_add_f32_e32 v25, -1.0, v24
	v_cvt_i32_f32_e32 v8, v8
	v_sub_f32_e32 v10, v10, v25
	v_add_f32_e32 v6, v6, v10
	v_add_f32_e32 v10, v24, v6
	v_ldexp_f32 v25, v10, v8
	v_rcp_f32_e32 v26, v25
	v_sub_f32_e32 v10, v10, v24
	v_sub_f32_e32 v6, v6, v10
	v_ldexp_f32 v6, v6, v8
	v_mul_f32_e32 v8, v25, v26
	v_fma_f32 v10, v26, v25, -v8
	v_fmac_f32_e32 v10, v26, v6
	v_add_f32_e32 v24, v8, v10
	v_sub_f32_e32 v27, 1.0, v24
	v_sub_f32_e32 v28, 1.0, v27
	v_sub_f32_e32 v8, v24, v8
	v_sub_f32_e32 v28, v28, v24
	;; [unrolled: 1-line block ×3, first 2 shown]
	v_add_f32_e32 v8, v8, v28
	v_add_f32_e32 v10, v27, v8
	v_mul_f32_e32 v24, v26, v10
	v_mul_f32_e32 v28, v25, v24
	v_fma_f32 v29, v24, v25, -v28
	v_fmac_f32_e32 v29, v24, v6
	v_sub_f32_e32 v27, v27, v10
	v_add_f32_e32 v8, v8, v27
	v_add_f32_e32 v27, v28, v29
	v_sub_f32_e32 v30, v10, v27
	v_sub_f32_e32 v10, v10, v30
	;; [unrolled: 1-line block ×4, first 2 shown]
	v_add_f32_e32 v8, v8, v10
	v_sub_f32_e32 v10, v28, v29
	v_add_f32_e32 v8, v10, v8
	v_add_f32_e32 v8, v30, v8
	;; [unrolled: 1-line block ×3, first 2 shown]
	v_mul_f32_e32 v8, v26, v8
	v_sub_f32_e32 v26, v10, v26
	v_sub_f32_e32 v24, v24, v26
	v_add_f32_e32 v8, v24, v8
	v_add_f32_e32 v24, v10, v8
	v_sub_f32_e32 v10, v24, v10
	v_sub_f32_e32 v8, v8, v10
	v_ldexp_f32 v10, v24, -2
	v_sub_f32_e32 v24, v25, v10
	v_sub_f32_e32 v25, v25, v24
	;; [unrolled: 1-line block ×3, first 2 shown]
	v_ldexp_f32 v8, v8, -2
	v_add_f32_e32 v6, v6, v10
	v_sub_f32_e32 v6, v6, v8
	v_add_f32_e32 v6, v24, v6
	v_cmp_ngt_f32_e64 s[2:3], |v23|, s34
	v_cndmask_b32_e64 v6, v20, v6, s[2:3]
	v_cmp_lt_f32_e64 s[2:3], |v23|, s31
	v_cndmask_b32_e64 v6, v6, |v23|, s[2:3]
	v_bfi_b32 v6, s30, v6, v23
	global_store_dword v[4:5], v6, off
	s_or_b64 exec, exec, s[6:7]
	s_and_saveexec_b64 s[2:3], s[0:1]
	s_cbranch_execz .LBB125_14
.LBB125_18:                             ;   in Loop: Header=BB125_4 Depth=1
	s_waitcnt vmcnt(0)
	v_add_f32_e64 v6, |v22|, s33
	v_sub_f32_e64 v8, v6, |v22|
	v_sub_f32_e32 v10, v8, v6
	v_add_f32_e64 v10, |v22|, v10
	v_add_f32_e32 v8, 0x3f317218, v8
	v_sub_f32_e32 v8, v10, v8
	v_add_f32_e32 v8, 0x3102e308, v8
	v_add_f32_e32 v10, v6, v8
	v_sub_f32_e32 v6, v6, v10
	v_add_f32_e32 v6, v8, v6
	v_mul_f32_e32 v8, 0x3fb8aa3b, v10
	v_rndne_f32_e32 v8, v8
	v_fmac_f32_e32 v10, 0xbf317200, v8
	v_add_f32_e32 v23, v6, v10
	v_sub_f32_e32 v10, v10, v23
	v_add_f32_e32 v6, v6, v10
	v_mul_f32_e32 v10, 0x35bfbc00, v8
	v_sub_f32_e32 v24, v23, v10
	v_sub_f32_e32 v23, v23, v24
	;; [unrolled: 1-line block ×3, first 2 shown]
	v_add_f32_e32 v6, v6, v10
	v_add_f32_e32 v10, v24, v6
	v_sub_f32_e32 v23, v24, v10
	v_add_f32_e32 v6, v6, v23
	v_mul_f32_e32 v23, 0x2ea39ef3, v8
	v_sub_f32_e32 v24, v10, v23
	v_sub_f32_e32 v10, v10, v24
	;; [unrolled: 1-line block ×3, first 2 shown]
	v_add_f32_e32 v6, v6, v10
	v_add_f32_e32 v10, v24, v6
	v_sub_f32_e32 v24, v24, v10
	v_mov_b32_e32 v23, 0x3c091de6
	v_add_f32_e32 v6, v6, v24
	v_mul_f32_e32 v25, v10, v10
	v_fmac_f32_e32 v23, 0x3ab42872, v10
	v_add_f32_e32 v24, v6, v6
	v_fma_f32 v26, v10, v10, -v25
	v_fma_f32 v23, v10, v23, v17
	v_fmac_f32_e32 v26, v10, v24
	v_fma_f32 v23, v10, v23, v18
	v_add_f32_e32 v24, v25, v26
	v_fma_f32 v23, v10, v23, v19
	v_sub_f32_e32 v25, v24, v25
	v_sub_f32_e32 v25, v26, v25
	v_mul_f32_e32 v26, v23, v24
	v_fma_f32 v24, v24, v23, -v26
	v_fmac_f32_e32 v24, v25, v23
	v_add_f32_e32 v23, v26, v24
	v_sub_f32_e32 v25, v23, v26
	v_sub_f32_e32 v24, v24, v25
	v_add_f32_e32 v25, v10, v23
	v_sub_f32_e32 v10, v25, v10
	v_sub_f32_e32 v10, v23, v10
	v_add_f32_e32 v6, v6, v24
	v_add_f32_e32 v6, v6, v10
	;; [unrolled: 1-line block ×3, first 2 shown]
	v_sub_f32_e32 v23, v10, v25
	v_sub_f32_e32 v6, v6, v23
	v_add_f32_e32 v23, 1.0, v10
	v_add_f32_e32 v24, -1.0, v23
	v_cvt_i32_f32_e32 v8, v8
	v_sub_f32_e32 v10, v10, v24
	v_add_f32_e32 v6, v6, v10
	v_add_f32_e32 v10, v23, v6
	v_ldexp_f32 v24, v10, v8
	v_rcp_f32_e32 v25, v24
	v_sub_f32_e32 v10, v10, v23
	v_sub_f32_e32 v6, v6, v10
	v_ldexp_f32 v6, v6, v8
	v_mul_f32_e32 v8, v24, v25
	v_fma_f32 v10, v25, v24, -v8
	v_fmac_f32_e32 v10, v25, v6
	v_add_f32_e32 v23, v8, v10
	v_sub_f32_e32 v26, 1.0, v23
	v_sub_f32_e32 v27, 1.0, v26
	v_sub_f32_e32 v8, v23, v8
	v_sub_f32_e32 v27, v27, v23
	;; [unrolled: 1-line block ×3, first 2 shown]
	v_add_f32_e32 v8, v8, v27
	v_add_f32_e32 v10, v26, v8
	v_mul_f32_e32 v23, v25, v10
	v_mul_f32_e32 v27, v24, v23
	v_fma_f32 v28, v23, v24, -v27
	v_fmac_f32_e32 v28, v23, v6
	v_sub_f32_e32 v26, v26, v10
	v_add_f32_e32 v8, v8, v26
	v_add_f32_e32 v26, v27, v28
	v_sub_f32_e32 v29, v10, v26
	v_sub_f32_e32 v10, v10, v29
	;; [unrolled: 1-line block ×4, first 2 shown]
	v_add_f32_e32 v8, v8, v10
	v_sub_f32_e32 v10, v27, v28
	v_add_f32_e32 v8, v10, v8
	v_add_f32_e32 v8, v29, v8
	;; [unrolled: 1-line block ×3, first 2 shown]
	v_mul_f32_e32 v8, v25, v8
	v_sub_f32_e32 v25, v10, v25
	v_sub_f32_e32 v23, v23, v25
	v_add_f32_e32 v8, v23, v8
	v_add_f32_e32 v23, v10, v8
	v_sub_f32_e32 v10, v23, v10
	v_sub_f32_e32 v8, v8, v10
	v_ldexp_f32 v10, v23, -2
	v_sub_f32_e32 v23, v24, v10
	v_sub_f32_e32 v24, v24, v23
	v_sub_f32_e32 v10, v24, v10
	v_ldexp_f32 v8, v8, -2
	v_add_f32_e32 v6, v6, v10
	v_sub_f32_e32 v6, v6, v8
	v_add_f32_e32 v6, v23, v6
	v_cmp_ngt_f32_e64 s[0:1], |v22|, s34
	v_cndmask_b32_e64 v6, v20, v6, s[0:1]
	v_cmp_lt_f32_e64 s[0:1], |v22|, s31
	v_cndmask_b32_e64 v6, v6, |v22|, s[0:1]
	v_bfi_b32 v6, s30, v6, v22
	v_mov_b32_e32 v8, s29
	v_add_co_u32_e64 v22, s[0:1], s28, v2
	v_addc_co_u32_e64 v23, s[0:1], v3, v8, s[0:1]
	global_store_dword v[22:23], v6, off
	s_or_b64 exec, exec, s[2:3]
	s_and_saveexec_b64 s[0:1], vcc
	s_cbranch_execz .LBB125_3
.LBB125_19:                             ;   in Loop: Header=BB125_4 Depth=1
	s_waitcnt vmcnt(0)
	v_add_f32_e64 v6, |v21|, s33
	v_sub_f32_e64 v8, v6, |v21|
	v_sub_f32_e32 v10, v8, v6
	v_add_f32_e64 v10, |v21|, v10
	v_add_f32_e32 v8, 0x3f317218, v8
	v_sub_f32_e32 v8, v10, v8
	v_add_f32_e32 v8, 0x3102e308, v8
	v_add_f32_e32 v10, v6, v8
	v_sub_f32_e32 v6, v6, v10
	v_add_f32_e32 v6, v8, v6
	v_mul_f32_e32 v8, 0x3fb8aa3b, v10
	v_rndne_f32_e32 v8, v8
	v_fmac_f32_e32 v10, 0xbf317200, v8
	v_add_f32_e32 v22, v6, v10
	v_sub_f32_e32 v10, v10, v22
	v_add_f32_e32 v6, v6, v10
	v_mul_f32_e32 v10, 0x35bfbc00, v8
	v_sub_f32_e32 v23, v22, v10
	v_sub_f32_e32 v22, v22, v23
	;; [unrolled: 1-line block ×3, first 2 shown]
	v_add_f32_e32 v6, v6, v10
	v_add_f32_e32 v10, v23, v6
	v_sub_f32_e32 v22, v23, v10
	v_add_f32_e32 v6, v6, v22
	v_mul_f32_e32 v22, 0x2ea39ef3, v8
	v_sub_f32_e32 v23, v10, v22
	v_sub_f32_e32 v10, v10, v23
	;; [unrolled: 1-line block ×3, first 2 shown]
	v_add_f32_e32 v6, v6, v10
	v_add_f32_e32 v10, v23, v6
	v_sub_f32_e32 v23, v23, v10
	v_mov_b32_e32 v22, 0x3c091de6
	v_add_f32_e32 v6, v6, v23
	v_mul_f32_e32 v24, v10, v10
	v_fmac_f32_e32 v22, 0x3ab42872, v10
	v_add_f32_e32 v23, v6, v6
	v_fma_f32 v25, v10, v10, -v24
	v_fma_f32 v22, v10, v22, v17
	v_fmac_f32_e32 v25, v10, v23
	v_fma_f32 v22, v10, v22, v18
	v_add_f32_e32 v23, v24, v25
	v_fma_f32 v22, v10, v22, v19
	v_sub_f32_e32 v24, v23, v24
	v_sub_f32_e32 v24, v25, v24
	v_mul_f32_e32 v25, v22, v23
	v_fma_f32 v23, v23, v22, -v25
	v_fmac_f32_e32 v23, v24, v22
	v_add_f32_e32 v22, v25, v23
	v_sub_f32_e32 v24, v22, v25
	v_sub_f32_e32 v23, v23, v24
	v_add_f32_e32 v24, v10, v22
	v_sub_f32_e32 v10, v24, v10
	v_sub_f32_e32 v10, v22, v10
	v_add_f32_e32 v6, v6, v23
	v_add_f32_e32 v6, v6, v10
	;; [unrolled: 1-line block ×3, first 2 shown]
	v_sub_f32_e32 v22, v10, v24
	v_sub_f32_e32 v6, v6, v22
	v_add_f32_e32 v22, 1.0, v10
	v_add_f32_e32 v23, -1.0, v22
	v_cvt_i32_f32_e32 v8, v8
	v_sub_f32_e32 v10, v10, v23
	v_add_f32_e32 v6, v6, v10
	v_add_f32_e32 v10, v22, v6
	v_ldexp_f32 v23, v10, v8
	v_rcp_f32_e32 v24, v23
	v_sub_f32_e32 v10, v10, v22
	v_sub_f32_e32 v6, v6, v10
	v_ldexp_f32 v6, v6, v8
	v_mul_f32_e32 v8, v23, v24
	v_fma_f32 v10, v24, v23, -v8
	v_fmac_f32_e32 v10, v24, v6
	v_add_f32_e32 v22, v8, v10
	v_sub_f32_e32 v25, 1.0, v22
	v_sub_f32_e32 v26, 1.0, v25
	v_sub_f32_e32 v8, v22, v8
	v_sub_f32_e32 v26, v26, v22
	;; [unrolled: 1-line block ×3, first 2 shown]
	v_add_f32_e32 v8, v8, v26
	v_add_f32_e32 v10, v25, v8
	v_mul_f32_e32 v22, v24, v10
	v_mul_f32_e32 v26, v23, v22
	v_fma_f32 v27, v22, v23, -v26
	v_fmac_f32_e32 v27, v22, v6
	v_sub_f32_e32 v25, v25, v10
	v_add_f32_e32 v8, v8, v25
	v_add_f32_e32 v25, v26, v27
	v_sub_f32_e32 v28, v10, v25
	v_sub_f32_e32 v10, v10, v28
	;; [unrolled: 1-line block ×4, first 2 shown]
	v_add_f32_e32 v8, v8, v10
	v_sub_f32_e32 v10, v26, v27
	v_add_f32_e32 v8, v10, v8
	v_add_f32_e32 v8, v28, v8
	;; [unrolled: 1-line block ×3, first 2 shown]
	v_mul_f32_e32 v8, v24, v8
	v_sub_f32_e32 v24, v10, v24
	v_sub_f32_e32 v22, v22, v24
	v_add_f32_e32 v8, v22, v8
	v_add_f32_e32 v22, v10, v8
	v_sub_f32_e32 v10, v22, v10
	v_sub_f32_e32 v8, v8, v10
	v_ldexp_f32 v10, v22, -2
	v_sub_f32_e32 v22, v23, v10
	v_sub_f32_e32 v23, v23, v22
	;; [unrolled: 1-line block ×3, first 2 shown]
	v_ldexp_f32 v8, v8, -2
	v_add_f32_e32 v6, v6, v10
	v_sub_f32_e32 v6, v6, v8
	v_add_f32_e32 v6, v22, v6
	v_cmp_ngt_f32_e64 vcc, |v21|, s34
	v_cndmask_b32_e32 v6, v20, v6, vcc
	v_cmp_lt_f32_e64 s[2:3], |v21|, s31
	v_cndmask_b32_e64 v6, v6, |v21|, s[2:3]
	v_mov_b32_e32 v8, s27
	v_add_co_u32_e32 v22, vcc, s26, v2
	v_bfi_b32 v6, s30, v6, v21
	v_addc_co_u32_e32 v23, vcc, v3, v8, vcc
	global_store_dword v[22:23], v6, off
	s_branch .LBB125_3
.LBB125_20:
	s_cbranch_execz .LBB125_22
	s_branch .LBB125_25
.LBB125_21:
.LBB125_22:
	v_mov_b32_e32 v5, 0
	v_lshlrev_b32_e32 v4, 2, v0
	s_mov_b32 s0, 0
	v_cmp_gt_i64_e32 vcc, s[10:11], v[4:5]
	s_and_saveexec_b64 s[2:3], vcc
	s_cbranch_execz .LBB125_25
; %bb.23:
	s_load_dword s1, s[4:5], 0xd3c
	v_lshlrev_b32_e32 v1, 4, v0
	s_brev_b32 s9, -2
	v_mov_b32_e32 v14, 0x3d2aadcc
	v_mov_b32_e32 v15, 0x3e2aaa47
	s_waitcnt lgkmcnt(0)
	s_and_b32 s1, s1, 0xffff
	s_add_u32 s2, s12, s14
	s_addc_u32 s3, s13, s15
	v_mov_b32_e32 v2, s3
	v_add_co_u32_e32 v1, vcc, s2, v1
	v_addc_co_u32_e32 v2, vcc, 0, v2, vcc
	v_add_co_u32_e32 v6, vcc, 8, v1
	v_addc_co_u32_e32 v7, vcc, 0, v2, vcc
	s_lshl_b32 s4, s1, 4
	v_add_lshl_u32 v4, v0, s1, 2
	s_lshl_b32 s8, s1, 2
	s_mov_b64 s[2:3], 0
	s_mov_b32 s12, 0xbf317218
	v_mov_b32_e32 v16, 0x3efffffc
	s_mov_b32 s5, -1.0
	s_mov_b32 s13, 0x42b2d4fc
	v_mov_b32_e32 v17, 0x7f800000
	s_mov_b32 s14, 0x39800000
	s_mov_b64 s[6:7], 0xffff
	v_mov_b32_e32 v18, s0
	v_mov_b32_e32 v19, s0
	;; [unrolled: 1-line block ×3, first 2 shown]
	v_mov_b32_e32 v11, -1.0
	v_mov_b32_e32 v13, 1.0
.LBB125_24:                             ; =>This Inner Loop Header: Depth=1
	global_load_dwordx4 v[0:3], v[6:7], off offset:-8
	v_mov_b32_e32 v10, 0x3c091de6
	v_mov_b32_e32 v12, 0x3c091de6
	s_waitcnt vmcnt(0)
	v_add_f32_e64 v24, |v0|, s12
	v_sub_f32_e64 v21, v24, |v0|
	v_and_b32_e32 v8, 0x7fffffff, v0
	v_add_f32_e64 v25, |v1|, s12
	v_sub_f32_e32 v20, v21, v24
	v_sub_f32_e64 v23, v25, |v1|
	v_pk_add_f32 v[20:21], v[8:9], v[20:21]
	v_sub_f32_e32 v22, v23, v25
	v_and_b32_e32 v8, 0x7fffffff, v1
	v_sub_f32_e32 v26, v20, v21
	v_pk_add_f32 v[20:21], v[8:9], v[22:23]
	v_add_f32_e32 v8, 0x3102e308, v26
	v_sub_f32_e32 v20, v20, v21
	v_add_f32_e32 v22, v24, v8
	v_add_f32_e32 v20, 0x3102e308, v20
	v_mul_f32_e32 v23, 0x3fb8aa3b, v22
	v_sub_f32_e32 v21, v24, v22
	v_add_f32_e32 v26, v25, v20
	v_rndne_f32_e32 v23, v23
	v_add_f32_e32 v8, v8, v21
	v_sub_f32_e32 v24, v25, v26
	v_mul_f32_e32 v25, 0x3fb8aa3b, v26
	v_fmac_f32_e32 v22, 0xbf317200, v23
	v_mul_f32_e32 v27, 0x35bfbc00, v23
	v_rndne_f32_e32 v34, v25
	v_add_f32_e32 v25, v8, v22
	v_add_f32_e32 v20, v20, v24
	v_fmac_f32_e32 v26, 0xbf317200, v34
	v_sub_f32_e32 v22, v22, v25
	v_sub_f32_e32 v24, v25, v27
	v_mul_f32_e32 v28, 0x35bfbc00, v34
	v_add_f32_e32 v29, v20, v26
	v_add_f32_e32 v8, v8, v22
	v_sub_f32_e32 v22, v25, v24
	v_sub_f32_e32 v25, v26, v29
	;; [unrolled: 1-line block ×4, first 2 shown]
	v_add_f32_e32 v20, v20, v25
	v_sub_f32_e32 v25, v29, v26
	v_add_f32_e32 v8, v8, v22
	v_sub_f32_e32 v22, v25, v28
	v_add_f32_e32 v25, v24, v8
	v_mul_f32_e32 v21, 0x2ea39ef3, v23
	v_add_f32_e32 v31, v20, v22
	v_mov_b32_e32 v20, v25
	v_add_f32_e32 v27, v26, v31
	v_pk_add_f32 v[28:29], v[24:25], v[20:21] neg_lo:[0,1] neg_hi:[0,1]
	v_cvt_i32_f32_e32 v30, v23
	v_mul_f32_e32 v23, 0x2ea39ef3, v34
	v_mov_b32_e32 v22, v27
	v_sub_f32_e32 v20, v25, v29
	v_add_f32_e32 v8, v8, v28
	v_pk_add_f32 v[24:25], v[26:27], v[22:23] neg_lo:[0,1] neg_hi:[0,1]
	v_sub_f32_e32 v20, v20, v21
	v_sub_f32_e32 v21, v27, v25
	v_add_f32_e32 v8, v8, v20
	v_add_f32_e32 v22, v31, v24
	v_sub_f32_e32 v20, v21, v23
	v_add_f32_e32 v21, v29, v8
	v_add_f32_e32 v20, v22, v20
	v_sub_f32_e32 v22, v29, v21
	v_fmac_f32_e32 v10, 0x3ab42872, v21
	v_mul_f32_e32 v23, v21, v21
	v_add_f32_e32 v28, v25, v20
	v_add_f32_e32 v8, v8, v22
	v_fma_f32 v10, v21, v10, v14
	v_fma_f32 v22, v21, v21, -v23
	v_fmac_f32_e32 v12, 0x3ab42872, v28
	v_add_f32_e32 v26, v8, v8
	v_sub_f32_e32 v24, v25, v28
	v_fma_f32 v10, v21, v10, v15
	v_fma_f32 v12, v28, v12, v14
	v_fmac_f32_e32 v22, v21, v26
	v_mul_f32_e32 v25, v28, v28
	v_add_f32_e32 v29, v20, v24
	v_fma_f32 v10, v21, v10, v16
	v_fma_f32 v12, v28, v12, v15
	v_add_f32_e32 v26, v23, v22
	v_fma_f32 v20, v28, v28, -v25
	v_add_f32_e32 v24, v29, v29
	v_fma_f32 v31, v28, v12, v16
	v_sub_f32_e32 v12, v26, v23
	v_mul_f32_e32 v23, v10, v26
	v_fmac_f32_e32 v20, v28, v24
	v_sub_f32_e32 v12, v22, v12
	v_fma_f32 v22, v26, v10, -v23
	v_add_f32_e32 v24, v25, v20
	v_fmac_f32_e32 v22, v12, v10
	v_sub_f32_e32 v25, v24, v25
	v_add_f32_e32 v12, v23, v22
	v_sub_f32_e32 v33, v20, v25
	v_sub_f32_e32 v20, v12, v23
	v_add_f32_e32 v10, v21, v12
	v_sub_f32_e32 v20, v22, v20
	v_sub_f32_e32 v21, v10, v21
	;; [unrolled: 1-line block ×3, first 2 shown]
	v_add_f32_e32 v8, v8, v20
	v_add_f32_e32 v20, v8, v12
	;; [unrolled: 1-line block ×3, first 2 shown]
	v_mul_f32_e32 v32, v31, v24
	v_add_f32_e32 v23, 1.0, v22
	v_fma_f32 v35, v24, v31, -v32
	v_pk_add_f32 v[24:25], v[22:23], v[10:11] neg_lo:[0,1] neg_hi:[0,1]
	v_pk_add_f32 v[26:27], v[22:23], s[4:5]
	v_mov_b32_e32 v21, v22
	v_mov_b32_e32 v25, v27
	v_pk_add_f32 v[20:21], v[20:21], v[24:25] neg_lo:[0,1] neg_hi:[0,1]
	v_add_f32_e32 v8, v20, v21
	v_add_f32_e32 v10, v23, v8
	v_ldexp_f32 v26, v10, v30
	v_rcp_f32_e32 v27, v26
	v_sub_f32_e32 v10, v10, v23
	v_sub_f32_e32 v8, v8, v10
	v_ldexp_f32 v8, v8, v30
	v_mul_f32_e32 v20, v26, v27
	v_fma_f32 v22, v27, v26, -v20
	v_fmac_f32_e32 v22, v27, v8
	v_add_f32_e32 v12, v20, v22
	v_sub_f32_e32 v21, 1.0, v12
	v_mov_b32_e32 v23, v12
	v_pk_add_f32 v[24:25], v[12:13], v[20:21] neg_lo:[0,1] neg_hi:[0,1]
	v_pk_add_f32 v[22:23], v[24:25], v[22:23] neg_lo:[0,1] neg_hi:[0,1]
	v_add_f32_e32 v10, v22, v23
	v_add_f32_e32 v23, v21, v10
	v_mul_f32_e32 v12, v27, v23
	v_mul_f32_e32 v20, v26, v12
	v_fma_f32 v24, v12, v26, -v20
	v_sub_f32_e32 v21, v21, v23
	v_add_f32_e32 v30, v27, v12
	v_fmac_f32_e32 v24, v12, v8
	v_add_f32_e32 v10, v10, v21
	v_sub_f32_e32 v21, v30, v27
	v_add_f32_e32 v22, v20, v24
	v_sub_f32_e32 v12, v12, v21
	v_sub_f32_e32 v21, v23, v22
	v_mov_b32_e32 v25, v22
	v_pk_add_f32 v[22:23], v[22:23], v[20:21] neg_lo:[0,1] neg_hi:[0,1]
	v_pk_add_f32 v[22:23], v[22:23], v[24:25] neg_lo:[0,1] neg_hi:[0,1]
	v_add_f32_e32 v10, v10, v23
	v_add_f32_e32 v10, v22, v10
	;; [unrolled: 1-line block ×3, first 2 shown]
	v_mul_f32_e32 v10, v27, v10
	v_add_f32_e32 v10, v12, v10
	v_add_f32_e32 v12, v30, v10
	v_sub_f32_e32 v20, v12, v30
	v_ldexp_f32 v12, v12, -2
	v_sub_f32_e32 v10, v10, v20
	v_sub_f32_e32 v20, v26, v12
	v_ldexp_f32 v22, v10, -2
	v_sub_f32_e32 v10, v26, v20
	v_sub_f32_e32 v10, v10, v12
	v_fmac_f32_e32 v35, v33, v31
	v_add_f32_e32 v24, v8, v10
	v_add_f32_e32 v8, v32, v35
	v_sub_f32_e32 v10, v8, v32
	v_sub_f32_e32 v12, v35, v10
	v_add_f32_e32 v10, v28, v8
	v_sub_f32_e32 v21, v10, v28
	v_sub_f32_e32 v8, v8, v21
	v_add_f32_e32 v12, v29, v12
	v_add_f32_e32 v26, v12, v8
	;; [unrolled: 1-line block ×3, first 2 shown]
	v_add_f32_e32 v29, 1.0, v28
	v_pk_add_f32 v[30:31], v[28:29], v[10:11] neg_lo:[0,1] neg_hi:[0,1]
	v_pk_add_f32 v[32:33], v[28:29], s[4:5]
	v_mov_b32_e32 v31, v33
	v_mov_b32_e32 v27, v28
	v_cvt_i32_f32_e32 v8, v34
	v_pk_add_f32 v[26:27], v[26:27], v[30:31] neg_lo:[0,1] neg_hi:[0,1]
	v_add_f32_e32 v10, v26, v27
	v_add_f32_e32 v12, v29, v10
	v_ldexp_f32 v25, v12, v8
	v_rcp_f32_e32 v21, v25
	v_sub_f32_e32 v12, v12, v29
	v_sub_f32_e32 v10, v10, v12
	v_ldexp_f32 v8, v10, v8
	v_mul_f32_e32 v26, v25, v21
	v_fma_f32 v28, v21, v25, -v26
	v_fmac_f32_e32 v28, v21, v8
	v_add_f32_e32 v12, v26, v28
	v_sub_f32_e32 v27, 1.0, v12
	v_pk_add_f32 v[30:31], v[12:13], v[26:27] neg_lo:[0,1] neg_hi:[0,1]
	v_mov_b32_e32 v29, v12
	v_pk_add_f32 v[28:29], v[30:31], v[28:29] neg_lo:[0,1] neg_hi:[0,1]
	v_add_f32_e32 v10, v28, v29
	v_add_f32_e32 v29, v27, v10
	v_mul_f32_e32 v12, v21, v29
	v_mul_f32_e32 v26, v25, v12
	v_fma_f32 v30, v12, v25, -v26
	v_fmac_f32_e32 v30, v12, v8
	v_add_f32_e32 v28, v26, v30
	v_sub_f32_e32 v23, v27, v29
	v_sub_f32_e32 v27, v29, v28
	v_pk_add_f32 v[32:33], v[28:29], v[26:27] neg_lo:[0,1] neg_hi:[0,1]
	v_mov_b32_e32 v31, v28
	v_add_f32_e32 v10, v10, v23
	v_pk_add_f32 v[28:29], v[32:33], v[30:31] neg_lo:[0,1] neg_hi:[0,1]
	v_add_f32_e32 v10, v10, v29
	v_add_f32_e32 v10, v28, v10
	;; [unrolled: 1-line block ×4, first 2 shown]
	v_mul_f32_e32 v10, v21, v10
	v_sub_f32_e32 v21, v23, v21
	v_sub_f32_e32 v12, v12, v21
	v_add_f32_e32 v10, v12, v10
	v_add_f32_e32 v12, v23, v10
	v_sub_f32_e32 v21, v12, v23
	v_ldexp_f32 v23, v12, -2
	v_pk_add_f32 v[26:27], v[24:25], v[22:23] neg_lo:[0,1] neg_hi:[0,1]
	v_sub_f32_e32 v12, v25, v27
	v_sub_f32_e32 v10, v10, v21
	;; [unrolled: 1-line block ×3, first 2 shown]
	v_ldexp_f32 v10, v10, -2
	v_add_f32_e32 v8, v8, v12
	v_sub_f32_e32 v21, v8, v10
	v_pk_add_f32 v[20:21], v[26:27], v[20:21]
	v_cmp_ngt_f32_e64 vcc, |v1|, s13
	v_cndmask_b32_e32 v8, v17, v21, vcc
	v_cmp_ngt_f32_e64 vcc, |v0|, s13
	v_cndmask_b32_e32 v10, v17, v20, vcc
	v_cmp_lt_f32_e64 s[0:1], |v0|, s14
	v_cndmask_b32_e64 v10, v10, |v0|, s[0:1]
	v_cmp_lt_f32_e64 s[0:1], |v1|, s14
	v_bfi_b32 v0, s9, v10, v0
	v_add_f32_e64 v10, |v2|, s12
	v_cndmask_b32_e64 v8, v8, |v1|, s[0:1]
	v_sub_f32_e64 v21, v10, |v2|
	v_bfi_b32 v1, s9, v8, v1
	v_and_b32_e32 v8, 0x7fffffff, v2
	v_sub_f32_e32 v20, v21, v10
	v_pk_add_f32 v[20:21], v[8:9], v[20:21]
	v_sub_f32_e32 v8, v20, v21
	v_add_f32_e32 v8, 0x3102e308, v8
	v_add_f32_e32 v12, v10, v8
	v_sub_f32_e32 v10, v10, v12
	v_add_f32_e32 v8, v8, v10
	v_mul_f32_e32 v10, 0x3fb8aa3b, v12
	v_rndne_f32_e32 v28, v10
	v_fmac_f32_e32 v12, 0xbf317200, v28
	v_add_f32_e32 v10, v8, v12
	v_sub_f32_e32 v12, v12, v10
	v_add_f32_e32 v8, v8, v12
	v_mul_f32_e32 v12, 0x35bfbc00, v28
	v_sub_f32_e32 v22, v10, v12
	v_sub_f32_e32 v10, v10, v22
	;; [unrolled: 1-line block ×3, first 2 shown]
	v_add_f32_e32 v8, v8, v10
	v_add_f32_e32 v23, v22, v8
	v_mul_f32_e32 v21, 0x2ea39ef3, v28
	v_mov_b32_e32 v20, v23
	v_pk_add_f32 v[24:25], v[22:23], v[20:21] neg_lo:[0,1] neg_hi:[0,1]
	v_sub_f32_e32 v10, v23, v25
	v_sub_f32_e32 v10, v10, v21
	v_add_f32_e32 v8, v8, v24
	v_add_f32_e32 v8, v8, v10
	v_add_f32_e32 v12, v25, v8
	v_sub_f32_e32 v20, v25, v12
	v_mov_b32_e32 v10, 0x3c091de6
	v_add_f32_e32 v8, v8, v20
	v_mul_f32_e32 v21, v12, v12
	v_fmac_f32_e32 v10, 0x3ab42872, v12
	v_add_f32_e32 v20, v8, v8
	v_fma_f32 v22, v12, v12, -v21
	v_fma_f32 v10, v12, v10, v14
	v_fmac_f32_e32 v22, v12, v20
	v_fma_f32 v10, v12, v10, v15
	v_add_f32_e32 v20, v21, v22
	v_fma_f32 v10, v12, v10, v16
	v_sub_f32_e32 v21, v20, v21
	v_sub_f32_e32 v21, v22, v21
	v_mul_f32_e32 v22, v10, v20
	v_fma_f32 v20, v20, v10, -v22
	v_fmac_f32_e32 v20, v21, v10
	v_add_f32_e32 v21, v22, v20
	v_sub_f32_e32 v10, v21, v22
	v_sub_f32_e32 v20, v20, v10
	v_add_f32_e32 v10, v12, v21
	v_sub_f32_e32 v12, v10, v12
	v_sub_f32_e32 v12, v21, v12
	v_add_f32_e32 v8, v8, v20
	v_add_f32_e32 v20, v8, v12
	;; [unrolled: 1-line block ×3, first 2 shown]
	v_add_f32_e32 v23, 1.0, v22
	v_pk_add_f32 v[24:25], v[22:23], v[10:11] neg_lo:[0,1] neg_hi:[0,1]
	v_pk_add_f32 v[26:27], v[22:23], s[4:5]
	v_mov_b32_e32 v25, v27
	v_mov_b32_e32 v21, v22
	v_cvt_i32_f32_e32 v8, v28
	v_pk_add_f32 v[20:21], v[20:21], v[24:25] neg_lo:[0,1] neg_hi:[0,1]
	v_add_f32_e32 v10, v20, v21
	v_add_f32_e32 v12, v23, v10
	v_ldexp_f32 v28, v12, v8
	v_rcp_f32_e32 v29, v28
	v_sub_f32_e32 v12, v12, v23
	v_sub_f32_e32 v10, v10, v12
	v_ldexp_f32 v8, v10, v8
	v_mul_f32_e32 v20, v28, v29
	v_fma_f32 v22, v29, v28, -v20
	v_fmac_f32_e32 v22, v29, v8
	v_add_f32_e32 v12, v20, v22
	v_sub_f32_e32 v21, 1.0, v12
	v_pk_add_f32 v[24:25], v[12:13], v[20:21] neg_lo:[0,1] neg_hi:[0,1]
	v_mov_b32_e32 v23, v12
	v_pk_add_f32 v[22:23], v[24:25], v[22:23] neg_lo:[0,1] neg_hi:[0,1]
	v_add_f32_e32 v10, v22, v23
	v_add_f32_e32 v23, v21, v10
	v_mul_f32_e32 v12, v29, v23
	v_mul_f32_e32 v20, v28, v12
	v_fma_f32 v24, v12, v28, -v20
	v_fmac_f32_e32 v24, v12, v8
	v_sub_f32_e32 v21, v21, v23
	v_add_f32_e32 v22, v20, v24
	v_add_f32_e32 v10, v10, v21
	v_sub_f32_e32 v21, v23, v22
	v_pk_add_f32 v[26:27], v[22:23], v[20:21] neg_lo:[0,1] neg_hi:[0,1]
	v_mov_b32_e32 v25, v22
	v_pk_add_f32 v[22:23], v[26:27], v[24:25] neg_lo:[0,1] neg_hi:[0,1]
	v_add_f32_e32 v10, v10, v23
	v_add_f32_e32 v10, v22, v10
	;; [unrolled: 1-line block ×4, first 2 shown]
	v_sub_f32_e32 v21, v20, v29
	v_mul_f32_e32 v10, v29, v10
	v_sub_f32_e32 v12, v12, v21
	v_add_f32_e32 v10, v12, v10
	v_add_f32_e32 v12, v20, v10
	v_sub_f32_e32 v20, v12, v20
	v_ldexp_f32 v12, v12, -2
	v_sub_f32_e32 v10, v10, v20
	v_sub_f32_e32 v22, v28, v12
	v_ldexp_f32 v20, v10, -2
	v_sub_f32_e32 v10, v28, v22
	v_sub_f32_e32 v10, v10, v12
	v_add_f32_e32 v24, v8, v10
	v_add_f32_e64 v10, |v3|, s12
	v_sub_f32_e64 v27, v10, |v3|
	v_and_b32_e32 v8, 0x7fffffff, v3
	v_sub_f32_e32 v26, v27, v10
	v_pk_add_f32 v[26:27], v[8:9], v[26:27]
	v_sub_f32_e32 v8, v26, v27
	v_add_f32_e32 v8, 0x3102e308, v8
	v_add_f32_e32 v12, v10, v8
	v_sub_f32_e32 v10, v10, v12
	v_add_f32_e32 v8, v8, v10
	v_mul_f32_e32 v10, 0x3fb8aa3b, v12
	v_rndne_f32_e32 v21, v10
	v_fmac_f32_e32 v12, 0xbf317200, v21
	v_add_f32_e32 v10, v8, v12
	v_sub_f32_e32 v12, v12, v10
	v_add_f32_e32 v8, v8, v12
	v_mul_f32_e32 v12, 0x35bfbc00, v21
	v_sub_f32_e32 v28, v10, v12
	v_sub_f32_e32 v10, v10, v28
	;; [unrolled: 1-line block ×3, first 2 shown]
	v_add_f32_e32 v8, v8, v10
	v_add_f32_e32 v29, v28, v8
	v_mul_f32_e32 v27, 0x2ea39ef3, v21
	v_mov_b32_e32 v26, v29
	v_pk_add_f32 v[30:31], v[28:29], v[26:27] neg_lo:[0,1] neg_hi:[0,1]
	v_sub_f32_e32 v10, v29, v31
	v_sub_f32_e32 v10, v10, v27
	v_add_f32_e32 v8, v8, v30
	v_add_f32_e32 v8, v8, v10
	;; [unrolled: 1-line block ×3, first 2 shown]
	v_sub_f32_e32 v23, v31, v12
	v_mov_b32_e32 v10, 0x3c091de6
	v_add_f32_e32 v8, v8, v23
	v_mul_f32_e32 v25, v12, v12
	v_fmac_f32_e32 v10, 0x3ab42872, v12
	v_add_f32_e32 v23, v8, v8
	v_fma_f32 v26, v12, v12, -v25
	v_fma_f32 v10, v12, v10, v14
	v_fmac_f32_e32 v26, v12, v23
	v_fma_f32 v10, v12, v10, v15
	v_add_f32_e32 v23, v25, v26
	v_fma_f32 v10, v12, v10, v16
	v_sub_f32_e32 v25, v23, v25
	v_sub_f32_e32 v25, v26, v25
	v_mul_f32_e32 v26, v10, v23
	v_fma_f32 v23, v23, v10, -v26
	v_fmac_f32_e32 v23, v25, v10
	v_add_f32_e32 v25, v26, v23
	v_sub_f32_e32 v10, v25, v26
	v_sub_f32_e32 v23, v23, v10
	v_add_f32_e32 v10, v12, v25
	v_sub_f32_e32 v12, v10, v12
	v_sub_f32_e32 v12, v25, v12
	v_add_f32_e32 v8, v8, v23
	v_add_f32_e32 v26, v8, v12
	;; [unrolled: 1-line block ×3, first 2 shown]
	v_add_f32_e32 v29, 1.0, v28
	v_pk_add_f32 v[30:31], v[28:29], v[10:11] neg_lo:[0,1] neg_hi:[0,1]
	v_pk_add_f32 v[32:33], v[28:29], s[4:5]
	v_mov_b32_e32 v31, v33
	v_mov_b32_e32 v27, v28
	v_cvt_i32_f32_e32 v8, v21
	v_pk_add_f32 v[26:27], v[26:27], v[30:31] neg_lo:[0,1] neg_hi:[0,1]
	v_add_f32_e32 v10, v26, v27
	v_add_f32_e32 v12, v29, v10
	v_ldexp_f32 v25, v12, v8
	v_rcp_f32_e32 v21, v25
	v_sub_f32_e32 v12, v12, v29
	v_sub_f32_e32 v10, v10, v12
	v_ldexp_f32 v8, v10, v8
	v_mul_f32_e32 v26, v25, v21
	v_fma_f32 v28, v21, v25, -v26
	v_fmac_f32_e32 v28, v21, v8
	v_add_f32_e32 v12, v26, v28
	v_sub_f32_e32 v27, 1.0, v12
	v_pk_add_f32 v[30:31], v[12:13], v[26:27] neg_lo:[0,1] neg_hi:[0,1]
	v_mov_b32_e32 v29, v12
	v_pk_add_f32 v[28:29], v[30:31], v[28:29] neg_lo:[0,1] neg_hi:[0,1]
	v_add_f32_e32 v10, v28, v29
	v_add_f32_e32 v29, v27, v10
	v_mul_f32_e32 v12, v21, v29
	v_mul_f32_e32 v26, v25, v12
	v_fma_f32 v30, v12, v25, -v26
	v_fmac_f32_e32 v30, v12, v8
	v_add_f32_e32 v28, v26, v30
	v_sub_f32_e32 v23, v27, v29
	v_sub_f32_e32 v27, v29, v28
	v_pk_add_f32 v[32:33], v[28:29], v[26:27] neg_lo:[0,1] neg_hi:[0,1]
	v_mov_b32_e32 v31, v28
	v_add_f32_e32 v10, v10, v23
	v_pk_add_f32 v[28:29], v[32:33], v[30:31] neg_lo:[0,1] neg_hi:[0,1]
	v_add_f32_e32 v10, v10, v29
	v_add_f32_e32 v10, v28, v10
	;; [unrolled: 1-line block ×4, first 2 shown]
	v_mul_f32_e32 v10, v21, v10
	v_sub_f32_e32 v21, v23, v21
	v_sub_f32_e32 v12, v12, v21
	v_add_f32_e32 v10, v12, v10
	v_add_f32_e32 v12, v23, v10
	v_sub_f32_e32 v21, v12, v23
	v_sub_f32_e32 v10, v10, v21
	v_ldexp_f32 v21, v12, -2
	v_pk_add_f32 v[26:27], v[24:25], v[20:21] neg_lo:[0,1] neg_hi:[0,1]
	v_sub_f32_e32 v12, v25, v27
	v_sub_f32_e32 v12, v12, v21
	v_ldexp_f32 v10, v10, -2
	v_add_f32_e32 v8, v8, v12
	v_sub_f32_e32 v23, v8, v10
	v_pk_add_f32 v[20:21], v[26:27], v[22:23]
	v_cmp_ngt_f32_e64 vcc, |v3|, s13
	v_cndmask_b32_e32 v8, v17, v21, vcc
	v_cmp_ngt_f32_e64 vcc, |v2|, s13
	v_cndmask_b32_e32 v10, v17, v20, vcc
	v_cmp_lt_f32_e64 s[0:1], |v2|, s14
	v_cndmask_b32_e64 v10, v10, |v2|, s[0:1]
	v_cmp_lt_f32_e64 s[0:1], |v3|, s14
	v_cndmask_b32_e64 v8, v8, |v3|, s[0:1]
	v_bfi_b32 v3, s9, v8, v3
	v_bfi_b32 v2, s9, v10, v2
	v_cmp_le_i64_e32 vcc, s[10:11], v[4:5]
	v_cmp_lt_u64_e64 s[0:1], s[6:7], v[4:5]
	global_store_dwordx4 v[6:7], v[0:3], off offset:-8
	s_or_b64 s[0:1], vcc, s[0:1]
	v_add_co_u32_e32 v6, vcc, s4, v6
	v_addc_co_u32_e32 v7, vcc, v7, v18, vcc
	s_and_b64 s[0:1], exec, s[0:1]
	v_add_co_u32_e32 v4, vcc, s8, v4
	s_or_b64 s[2:3], s[0:1], s[2:3]
	v_addc_co_u32_e32 v5, vcc, v5, v19, vcc
	s_andn2_b64 exec, exec, s[2:3]
	s_cbranch_execnz .LBB125_24
.LBB125_25:
	s_endpgm
	.section	.rodata,"a",@progbits
	.p2align	6, 0x0
	.amdhsa_kernel _ZN2at6native12_GLOBAL__N_125multi_tensor_apply_kernelINS1_18TensorListMetadataILi1EEENS1_14UnaryOpFunctorIfLi1ELi1ELi0EEEJNS0_4SinhIfEEEEEvT_T0_DpT1_
		.amdhsa_group_segment_fixed_size 0
		.amdhsa_private_segment_fixed_size 0
		.amdhsa_kernarg_size 3632
		.amdhsa_user_sgpr_count 6
		.amdhsa_user_sgpr_private_segment_buffer 1
		.amdhsa_user_sgpr_dispatch_ptr 0
		.amdhsa_user_sgpr_queue_ptr 0
		.amdhsa_user_sgpr_kernarg_segment_ptr 1
		.amdhsa_user_sgpr_dispatch_id 0
		.amdhsa_user_sgpr_flat_scratch_init 0
		.amdhsa_user_sgpr_kernarg_preload_length 0
		.amdhsa_user_sgpr_kernarg_preload_offset 0
		.amdhsa_user_sgpr_private_segment_size 0
		.amdhsa_uses_dynamic_stack 0
		.amdhsa_system_sgpr_private_segment_wavefront_offset 0
		.amdhsa_system_sgpr_workgroup_id_x 1
		.amdhsa_system_sgpr_workgroup_id_y 0
		.amdhsa_system_sgpr_workgroup_id_z 0
		.amdhsa_system_sgpr_workgroup_info 0
		.amdhsa_system_vgpr_workitem_id 0
		.amdhsa_next_free_vgpr 37
		.amdhsa_next_free_sgpr 35
		.amdhsa_accum_offset 40
		.amdhsa_reserve_vcc 1
		.amdhsa_reserve_flat_scratch 0
		.amdhsa_float_round_mode_32 0
		.amdhsa_float_round_mode_16_64 0
		.amdhsa_float_denorm_mode_32 3
		.amdhsa_float_denorm_mode_16_64 3
		.amdhsa_dx10_clamp 1
		.amdhsa_ieee_mode 1
		.amdhsa_fp16_overflow 0
		.amdhsa_tg_split 0
		.amdhsa_exception_fp_ieee_invalid_op 0
		.amdhsa_exception_fp_denorm_src 0
		.amdhsa_exception_fp_ieee_div_zero 0
		.amdhsa_exception_fp_ieee_overflow 0
		.amdhsa_exception_fp_ieee_underflow 0
		.amdhsa_exception_fp_ieee_inexact 0
		.amdhsa_exception_int_div_zero 0
	.end_amdhsa_kernel
	.section	.text._ZN2at6native12_GLOBAL__N_125multi_tensor_apply_kernelINS1_18TensorListMetadataILi1EEENS1_14UnaryOpFunctorIfLi1ELi1ELi0EEEJNS0_4SinhIfEEEEEvT_T0_DpT1_,"axG",@progbits,_ZN2at6native12_GLOBAL__N_125multi_tensor_apply_kernelINS1_18TensorListMetadataILi1EEENS1_14UnaryOpFunctorIfLi1ELi1ELi0EEEJNS0_4SinhIfEEEEEvT_T0_DpT1_,comdat
.Lfunc_end125:
	.size	_ZN2at6native12_GLOBAL__N_125multi_tensor_apply_kernelINS1_18TensorListMetadataILi1EEENS1_14UnaryOpFunctorIfLi1ELi1ELi0EEEJNS0_4SinhIfEEEEEvT_T0_DpT1_, .Lfunc_end125-_ZN2at6native12_GLOBAL__N_125multi_tensor_apply_kernelINS1_18TensorListMetadataILi1EEENS1_14UnaryOpFunctorIfLi1ELi1ELi0EEEJNS0_4SinhIfEEEEEvT_T0_DpT1_
                                        ; -- End function
	.section	.AMDGPU.csdata,"",@progbits
; Kernel info:
; codeLenInByte = 5824
; NumSgprs: 39
; NumVgprs: 37
; NumAgprs: 0
; TotalNumVgprs: 37
; ScratchSize: 0
; MemoryBound: 0
; FloatMode: 240
; IeeeMode: 1
; LDSByteSize: 0 bytes/workgroup (compile time only)
; SGPRBlocks: 4
; VGPRBlocks: 4
; NumSGPRsForWavesPerEU: 39
; NumVGPRsForWavesPerEU: 37
; AccumOffset: 40
; Occupancy: 8
; WaveLimiterHint : 0
; COMPUTE_PGM_RSRC2:SCRATCH_EN: 0
; COMPUTE_PGM_RSRC2:USER_SGPR: 6
; COMPUTE_PGM_RSRC2:TRAP_HANDLER: 0
; COMPUTE_PGM_RSRC2:TGID_X_EN: 1
; COMPUTE_PGM_RSRC2:TGID_Y_EN: 0
; COMPUTE_PGM_RSRC2:TGID_Z_EN: 0
; COMPUTE_PGM_RSRC2:TIDIG_COMP_CNT: 0
; COMPUTE_PGM_RSRC3_GFX90A:ACCUM_OFFSET: 9
; COMPUTE_PGM_RSRC3_GFX90A:TG_SPLIT: 0
	.section	.text._ZN2at6native12_GLOBAL__N_125multi_tensor_apply_kernelINS1_18TensorListMetadataILi1EEENS1_14UnaryOpFunctorIN3c107complexIdEELi1ELi1ELi0EEEJNS0_4SinhIS8_EEEEEvT_T0_DpT1_,"axG",@progbits,_ZN2at6native12_GLOBAL__N_125multi_tensor_apply_kernelINS1_18TensorListMetadataILi1EEENS1_14UnaryOpFunctorIN3c107complexIdEELi1ELi1ELi0EEEJNS0_4SinhIS8_EEEEEvT_T0_DpT1_,comdat
	.globl	_ZN2at6native12_GLOBAL__N_125multi_tensor_apply_kernelINS1_18TensorListMetadataILi1EEENS1_14UnaryOpFunctorIN3c107complexIdEELi1ELi1ELi0EEEJNS0_4SinhIS8_EEEEEvT_T0_DpT1_ ; -- Begin function _ZN2at6native12_GLOBAL__N_125multi_tensor_apply_kernelINS1_18TensorListMetadataILi1EEENS1_14UnaryOpFunctorIN3c107complexIdEELi1ELi1ELi0EEEJNS0_4SinhIS8_EEEEEvT_T0_DpT1_
	.p2align	8
	.type	_ZN2at6native12_GLOBAL__N_125multi_tensor_apply_kernelINS1_18TensorListMetadataILi1EEENS1_14UnaryOpFunctorIN3c107complexIdEELi1ELi1ELi0EEEJNS0_4SinhIS8_EEEEEvT_T0_DpT1_,@function
_ZN2at6native12_GLOBAL__N_125multi_tensor_apply_kernelINS1_18TensorListMetadataILi1EEENS1_14UnaryOpFunctorIN3c107complexIdEELi1ELi1ELi0EEEJNS0_4SinhIS8_EEEEEvT_T0_DpT1_: ; @_ZN2at6native12_GLOBAL__N_125multi_tensor_apply_kernelINS1_18TensorListMetadataILi1EEENS1_14UnaryOpFunctorIN3c107complexIdEELi1ELi1ELi0EEEJNS0_4SinhIS8_EEEEEvT_T0_DpT1_
; %bb.0:
	v_mov_b32_e32 v50, v0
	v_mov_b32_e32 v0, s8
	global_load_ubyte v0, v0, s[4:5] offset:1760
	s_add_u32 flat_scratch_lo, s6, s9
	s_addc_u32 flat_scratch_hi, s7, 0
	s_add_u32 s0, s0, s9
	s_addc_u32 s1, s1, 0
	s_mov_b64 s[40:41], s[4:5]
	s_add_u32 s4, s40, s8
	s_mul_hi_u32 s5, s8, 3
	s_mul_i32 s8, s8, 3
	s_addc_u32 s6, s41, 0
	s_add_u32 s4, s4, s8
	s_addc_u32 s5, s6, s5
	s_load_dword s4, s[4:5], 0x820
	s_mov_b32 s9, 0
	s_mov_b32 s32, 0
	s_waitcnt vmcnt(0)
	v_readfirstlane_b32 s5, v0
	s_lshl_b32 s5, s5, 3
	s_load_dwordx2 s[50:51], s[40:41], s5 offset:0x0
	s_load_dwordx2 s[6:7], s[40:41], s5 offset:0x370
	s_waitcnt lgkmcnt(0)
	s_ashr_i32 s5, s4, 31
	s_lshl_b64 s[52:53], s[4:5], 20
	s_add_u32 s33, s50, s52
	s_addc_u32 s60, s51, s53
	s_lshl_b64 s[4:5], s[4:5], 16
	s_and_b32 s8, s33, 63
	s_sub_u32 s48, s6, s4
	s_subb_u32 s49, s7, s5
	s_and_b32 s4, s6, 3
	s_mov_b32 s5, s9
	s_or_b64 s[4:5], s[8:9], s[4:5]
	s_cmp_eq_u64 s[4:5], 0
	s_cbranch_scc1 .LBB126_21
; %bb.1:
	v_cmp_lt_i64_e64 s[4:5], s[48:49], 1
	s_and_b64 vcc, exec, s[4:5]
	s_cbranch_vccnz .LBB126_20
; %bb.2:
	s_load_dword s4, s[40:41], 0xd3c
	v_mov_b32_e32 v0, 0x10000
	v_mov_b32_e32 v1, 0
	v_cmp_lt_u64_e32 vcc, s[48:49], v[0:1]
	v_mov_b32_e32 v53, 0
	s_waitcnt lgkmcnt(0)
	s_and_b32 s6, s4, 0xffff
	s_and_b64 s[4:5], vcc, exec
	s_mul_i32 s8, s6, 3
	v_lshlrev_b32_e32 v52, 4, v50
	v_add_co_u32_e32 v57, vcc, s6, v50
	v_addc_co_u32_e64 v59, s[4:5], 0, 0, vcc
	v_mad_u64_u32 v[54:55], s[4:5], s6, 48, v[52:53]
	v_add_co_u32_e32 v53, vcc, s8, v50
	v_addc_co_u32_e64 v60, s[4:5], 0, 0, vcc
	s_cselect_b32 s55, s49, 0
	s_cselect_b32 s54, s48, 0x10000
	s_lshl_b32 s4, s6, 5
	s_lshl_b32 s7, s6, 1
	v_add_co_u32_e32 v0, vcc, s4, v52
	v_addc_co_u32_e64 v51, s[4:5], 0, 0, vcc
	v_add_co_u32_e32 v61, vcc, s7, v50
	s_lshl_b32 s61, s6, 2
	s_lshl_b32 s62, s6, 6
	v_or_b32_e32 v54, 8, v54
	v_lshlrev_b32_e32 v56, 4, v57
	v_or_b32_e32 v58, 8, v0
	v_addc_co_u32_e64 v62, s[4:5], 0, 0, vcc
	s_mov_b64 s[56:57], 0
	s_branch .LBB126_4
.LBB126_3:                              ;   in Loop: Header=BB126_4 Depth=1
	s_or_b64 exec, exec, s[42:43]
	s_add_u32 s56, s56, s61
	s_addc_u32 s57, s57, 0
	s_waitcnt vmcnt(0)
	v_pk_mov_b32 v[0:1], s[48:49], s[48:49] op_sel:[0,1]
	v_cmp_lt_i64_e32 vcc, s[56:57], v[0:1]
	v_mov_b32_e32 v0, 0x10000
	v_mov_b32_e32 v1, 0
	v_cmp_lt_u64_e64 s[4:5], s[56:57], v[0:1]
	s_and_b64 s[4:5], vcc, s[4:5]
	s_add_u32 s33, s33, s62
	s_addc_u32 s60, s60, 0
	s_and_b64 vcc, exec, s[4:5]
	s_cbranch_vccz .LBB126_20
.LBB126_4:                              ; =>This Inner Loop Header: Depth=1
	v_mov_b32_e32 v1, s57
	v_add_co_u32_e32 v0, vcc, s56, v50
	v_addc_co_u32_e32 v1, vcc, 0, v1, vcc
	v_pk_mov_b32 v[44:45], 0, 0
	v_cmp_gt_u64_e32 vcc, s[54:55], v[0:1]
	v_pk_mov_b32 v[2:3], v[44:45], v[44:45] op_sel:[0,1]
	v_pk_mov_b32 v[0:1], v[44:45], v[44:45] op_sel:[0,1]
	s_and_saveexec_b64 s[6:7], vcc
	s_cbranch_execz .LBB126_6
; %bb.5:                                ;   in Loop: Header=BB126_4 Depth=1
	v_mov_b32_e32 v1, s60
	v_add_co_u32_e64 v0, s[4:5], s33, v52
	v_addc_co_u32_e64 v1, s[4:5], 0, v1, s[4:5]
	global_load_dwordx4 v[0:3], v[0:1], off
.LBB126_6:                              ;   in Loop: Header=BB126_4 Depth=1
	s_or_b64 exec, exec, s[6:7]
	v_mov_b32_e32 v5, s57
	v_add_co_u32_e64 v4, s[4:5], s56, v57
	v_addc_co_u32_e64 v5, s[4:5], v59, v5, s[4:5]
	v_cmp_gt_u64_e64 s[46:47], s[54:55], v[4:5]
	v_pk_mov_b32 v[42:43], v[44:45], v[44:45] op_sel:[0,1]
	s_and_saveexec_b64 s[6:7], s[46:47]
	s_cbranch_execz .LBB126_8
; %bb.7:                                ;   in Loop: Header=BB126_4 Depth=1
	v_mov_b32_e32 v5, s60
	v_add_co_u32_e64 v4, s[4:5], s33, v56
	v_addc_co_u32_e64 v5, s[4:5], 0, v5, s[4:5]
	global_load_dwordx4 v[42:45], v[4:5], off
.LBB126_8:                              ;   in Loop: Header=BB126_4 Depth=1
	s_or_b64 exec, exec, s[6:7]
	v_mov_b32_e32 v5, s57
	v_add_co_u32_e64 v4, s[4:5], s56, v61
	v_addc_co_u32_e64 v5, s[4:5], v62, v5, s[4:5]
	v_pk_mov_b32 v[40:41], 0, 0
	v_cmp_gt_u64_e64 s[42:43], s[54:55], v[4:5]
	v_pk_mov_b32 v[48:49], v[40:41], v[40:41] op_sel:[0,1]
	v_pk_mov_b32 v[46:47], v[40:41], v[40:41] op_sel:[0,1]
	s_and_saveexec_b64 s[6:7], s[42:43]
	s_cbranch_execz .LBB126_10
; %bb.9:                                ;   in Loop: Header=BB126_4 Depth=1
	v_mov_b32_e32 v5, s60
	v_add_co_u32_e64 v4, s[4:5], s33, v58
	v_addc_co_u32_e64 v5, s[4:5], v5, v51, s[4:5]
	global_load_dwordx4 v[46:49], v[4:5], off offset:-8
.LBB126_10:                             ;   in Loop: Header=BB126_4 Depth=1
	s_or_b64 exec, exec, s[6:7]
	v_mov_b32_e32 v5, s57
	v_add_co_u32_e64 v4, s[4:5], s56, v53
	v_addc_co_u32_e64 v5, s[4:5], v60, v5, s[4:5]
	v_cmp_gt_u64_e64 s[44:45], s[54:55], v[4:5]
	v_pk_mov_b32 v[38:39], v[40:41], v[40:41] op_sel:[0,1]
	s_and_saveexec_b64 s[6:7], s[44:45]
	s_cbranch_execnz .LBB126_15
; %bb.11:                               ;   in Loop: Header=BB126_4 Depth=1
	s_or_b64 exec, exec, s[6:7]
	s_and_saveexec_b64 s[58:59], vcc
	s_cbranch_execnz .LBB126_16
.LBB126_12:                             ;   in Loop: Header=BB126_4 Depth=1
	s_or_b64 exec, exec, s[58:59]
	s_and_saveexec_b64 s[58:59], s[46:47]
	s_cbranch_execnz .LBB126_17
.LBB126_13:                             ;   in Loop: Header=BB126_4 Depth=1
	s_or_b64 exec, exec, s[58:59]
	s_and_saveexec_b64 s[46:47], s[42:43]
	s_cbranch_execnz .LBB126_18
.LBB126_14:                             ;   in Loop: Header=BB126_4 Depth=1
	s_or_b64 exec, exec, s[46:47]
	s_and_saveexec_b64 s[42:43], s[44:45]
	s_cbranch_execz .LBB126_3
	s_branch .LBB126_19
.LBB126_15:                             ;   in Loop: Header=BB126_4 Depth=1
	v_mov_b32_e32 v5, s60
	v_add_co_u32_e64 v4, s[4:5], s33, v54
	v_addc_co_u32_e64 v5, s[4:5], v5, v55, s[4:5]
	global_load_dwordx4 v[38:41], v[4:5], off offset:-8
	s_or_b64 exec, exec, s[6:7]
	s_and_saveexec_b64 s[58:59], vcc
	s_cbranch_execz .LBB126_12
.LBB126_16:                             ;   in Loop: Header=BB126_4 Depth=1
	s_getpc_b64 s[4:5]
	s_add_u32 s4, s4, _ZN6thrust23THRUST_200600_302600_NS6detail7complex5csinhERKNS0_7complexIdEE@rel32@lo+4
	s_addc_u32 s5, s5, _ZN6thrust23THRUST_200600_302600_NS6detail7complex5csinhERKNS0_7complexIdEE@rel32@hi+12
	s_swappc_b64 s[30:31], s[4:5]
	v_mov_b32_e32 v5, s60
	v_add_co_u32_e32 v4, vcc, s33, v52
	v_addc_co_u32_e32 v5, vcc, 0, v5, vcc
	global_store_dwordx4 v[4:5], v[0:3], off
	s_or_b64 exec, exec, s[58:59]
	s_and_saveexec_b64 s[58:59], s[46:47]
	s_cbranch_execz .LBB126_13
.LBB126_17:                             ;   in Loop: Header=BB126_4 Depth=1
	s_waitcnt vmcnt(0)
	v_mov_b32_e32 v0, v42
	v_mov_b32_e32 v1, v43
	v_mov_b32_e32 v2, v44
	v_mov_b32_e32 v3, v45
	s_getpc_b64 s[4:5]
	s_add_u32 s4, s4, _ZN6thrust23THRUST_200600_302600_NS6detail7complex5csinhERKNS0_7complexIdEE@rel32@lo+4
	s_addc_u32 s5, s5, _ZN6thrust23THRUST_200600_302600_NS6detail7complex5csinhERKNS0_7complexIdEE@rel32@hi+12
	s_swappc_b64 s[30:31], s[4:5]
	v_mov_b32_e32 v5, s60
	v_add_co_u32_e32 v4, vcc, s33, v56
	v_addc_co_u32_e32 v5, vcc, 0, v5, vcc
	global_store_dwordx4 v[4:5], v[0:3], off
	s_or_b64 exec, exec, s[58:59]
	s_and_saveexec_b64 s[46:47], s[42:43]
	s_cbranch_execz .LBB126_14
.LBB126_18:                             ;   in Loop: Header=BB126_4 Depth=1
	s_waitcnt vmcnt(0)
	v_mov_b32_e32 v0, v46
	v_mov_b32_e32 v1, v47
	v_mov_b32_e32 v2, v48
	v_mov_b32_e32 v3, v49
	s_getpc_b64 s[4:5]
	s_add_u32 s4, s4, _ZN6thrust23THRUST_200600_302600_NS6detail7complex5csinhERKNS0_7complexIdEE@rel32@lo+4
	s_addc_u32 s5, s5, _ZN6thrust23THRUST_200600_302600_NS6detail7complex5csinhERKNS0_7complexIdEE@rel32@hi+12
	s_swappc_b64 s[30:31], s[4:5]
	v_mov_b32_e32 v5, s60
	v_add_co_u32_e32 v4, vcc, s33, v58
	v_addc_co_u32_e32 v5, vcc, v5, v51, vcc
	global_store_dwordx4 v[4:5], v[0:3], off offset:-8
	s_or_b64 exec, exec, s[46:47]
	s_and_saveexec_b64 s[42:43], s[44:45]
	s_cbranch_execz .LBB126_3
.LBB126_19:                             ;   in Loop: Header=BB126_4 Depth=1
	s_waitcnt vmcnt(0)
	v_mov_b32_e32 v0, v38
	v_mov_b32_e32 v1, v39
	;; [unrolled: 1-line block ×4, first 2 shown]
	s_getpc_b64 s[4:5]
	s_add_u32 s4, s4, _ZN6thrust23THRUST_200600_302600_NS6detail7complex5csinhERKNS0_7complexIdEE@rel32@lo+4
	s_addc_u32 s5, s5, _ZN6thrust23THRUST_200600_302600_NS6detail7complex5csinhERKNS0_7complexIdEE@rel32@hi+12
	s_swappc_b64 s[30:31], s[4:5]
	v_mov_b32_e32 v5, s60
	v_add_co_u32_e32 v4, vcc, s33, v54
	v_addc_co_u32_e32 v5, vcc, v5, v55, vcc
	global_store_dwordx4 v[4:5], v[0:3], off offset:-8
	s_branch .LBB126_3
.LBB126_20:
	s_cbranch_execz .LBB126_22
	s_branch .LBB126_25
.LBB126_21:
.LBB126_22:
	v_mov_b32_e32 v55, 0
	v_lshlrev_b32_e32 v54, 2, v50
	s_mov_b32 s4, 0
	v_cmp_gt_i64_e32 vcc, s[48:49], v[54:55]
	s_and_saveexec_b64 s[6:7], vcc
	s_cbranch_execz .LBB126_25
; %bb.23:
	s_load_dword s5, s[40:41], 0xd3c
	v_lshlrev_b32_e32 v0, 6, v50
	s_mov_b64 s[40:41], 0
	s_mov_b64 s[42:43], 0xffff
	v_mov_b32_e32 v58, s4
	s_waitcnt lgkmcnt(0)
	s_and_b32 s5, s5, 0xffff
	s_lshl_b32 s33, s5, 2
	s_add_u32 s6, s50, s52
	s_addc_u32 s7, s51, s53
	v_mov_b32_e32 v1, s7
	v_add_co_u32_e32 v56, vcc, s6, v0
	v_add_lshl_u32 v54, v50, s5, 2
	v_addc_co_u32_e32 v57, vcc, 0, v1, vcc
	s_lshl_b32 s44, s5, 6
	v_mov_b32_e32 v59, s4
.LBB126_24:                             ; =>This Inner Loop Header: Depth=1
	global_load_dwordx4 v[0:3], v[56:57], off
	global_load_dwordx4 v[38:41], v[56:57], off offset:16
	global_load_dwordx4 v[42:45], v[56:57], off offset:48
	;; [unrolled: 1-line block ×3, first 2 shown]
	s_getpc_b64 s[46:47]
	s_add_u32 s46, s46, _ZN6thrust23THRUST_200600_302600_NS6detail7complex5csinhERKNS0_7complexIdEE@rel32@lo+4
	s_addc_u32 s47, s47, _ZN6thrust23THRUST_200600_302600_NS6detail7complex5csinhERKNS0_7complexIdEE@rel32@hi+12
	s_swappc_b64 s[30:31], s[46:47]
	v_mov_b32_e32 v50, v0
	v_mov_b32_e32 v51, v1
	v_mov_b32_e32 v52, v2
	v_mov_b32_e32 v53, v3
	v_mov_b32_e32 v0, v38
	v_mov_b32_e32 v1, v39
	v_mov_b32_e32 v2, v40
	v_mov_b32_e32 v3, v41
	s_swappc_b64 s[30:31], s[46:47]
	v_mov_b32_e32 v38, v0
	v_mov_b32_e32 v39, v1
	v_mov_b32_e32 v40, v2
	v_mov_b32_e32 v41, v3
	v_mov_b32_e32 v0, v46
	v_mov_b32_e32 v1, v47
	v_mov_b32_e32 v2, v48
	v_mov_b32_e32 v3, v49
	;; [unrolled: 9-line block ×3, first 2 shown]
	s_swappc_b64 s[30:31], s[46:47]
	v_cmp_le_i64_e32 vcc, s[48:49], v[54:55]
	v_cmp_lt_u64_e64 s[4:5], s[42:43], v[54:55]
	s_or_b64 s[4:5], vcc, s[4:5]
	global_store_dwordx4 v[56:57], v[50:53], off
	global_store_dwordx4 v[56:57], v[38:41], off offset:16
	global_store_dwordx4 v[56:57], v[46:49], off offset:32
	v_add_co_u32_e64 v54, s[6:7], s33, v54
	global_store_dwordx4 v[56:57], v[0:3], off offset:48
	v_add_co_u32_e32 v56, vcc, s44, v56
	s_and_b64 s[4:5], exec, s[4:5]
	v_addc_co_u32_e64 v55, s[6:7], v55, v58, s[6:7]
	s_or_b64 s[40:41], s[4:5], s[40:41]
	v_addc_co_u32_e32 v57, vcc, v57, v59, vcc
	s_andn2_b64 exec, exec, s[40:41]
	s_cbranch_execnz .LBB126_24
.LBB126_25:
	s_endpgm
	.section	.rodata,"a",@progbits
	.p2align	6, 0x0
	.amdhsa_kernel _ZN2at6native12_GLOBAL__N_125multi_tensor_apply_kernelINS1_18TensorListMetadataILi1EEENS1_14UnaryOpFunctorIN3c107complexIdEELi1ELi1ELi0EEEJNS0_4SinhIS8_EEEEEvT_T0_DpT1_
		.amdhsa_group_segment_fixed_size 0
		.amdhsa_private_segment_fixed_size 8
		.amdhsa_kernarg_size 3632
		.amdhsa_user_sgpr_count 8
		.amdhsa_user_sgpr_private_segment_buffer 1
		.amdhsa_user_sgpr_dispatch_ptr 0
		.amdhsa_user_sgpr_queue_ptr 0
		.amdhsa_user_sgpr_kernarg_segment_ptr 1
		.amdhsa_user_sgpr_dispatch_id 0
		.amdhsa_user_sgpr_flat_scratch_init 1
		.amdhsa_user_sgpr_kernarg_preload_length 0
		.amdhsa_user_sgpr_kernarg_preload_offset 0
		.amdhsa_user_sgpr_private_segment_size 0
		.amdhsa_uses_dynamic_stack 0
		.amdhsa_system_sgpr_private_segment_wavefront_offset 1
		.amdhsa_system_sgpr_workgroup_id_x 1
		.amdhsa_system_sgpr_workgroup_id_y 0
		.amdhsa_system_sgpr_workgroup_id_z 0
		.amdhsa_system_sgpr_workgroup_info 0
		.amdhsa_system_vgpr_workitem_id 0
		.amdhsa_next_free_vgpr 63
		.amdhsa_next_free_sgpr 63
		.amdhsa_accum_offset 64
		.amdhsa_reserve_vcc 1
		.amdhsa_reserve_flat_scratch 1
		.amdhsa_float_round_mode_32 0
		.amdhsa_float_round_mode_16_64 0
		.amdhsa_float_denorm_mode_32 3
		.amdhsa_float_denorm_mode_16_64 3
		.amdhsa_dx10_clamp 1
		.amdhsa_ieee_mode 1
		.amdhsa_fp16_overflow 0
		.amdhsa_tg_split 0
		.amdhsa_exception_fp_ieee_invalid_op 0
		.amdhsa_exception_fp_denorm_src 0
		.amdhsa_exception_fp_ieee_div_zero 0
		.amdhsa_exception_fp_ieee_overflow 0
		.amdhsa_exception_fp_ieee_underflow 0
		.amdhsa_exception_fp_ieee_inexact 0
		.amdhsa_exception_int_div_zero 0
	.end_amdhsa_kernel
	.section	.text._ZN2at6native12_GLOBAL__N_125multi_tensor_apply_kernelINS1_18TensorListMetadataILi1EEENS1_14UnaryOpFunctorIN3c107complexIdEELi1ELi1ELi0EEEJNS0_4SinhIS8_EEEEEvT_T0_DpT1_,"axG",@progbits,_ZN2at6native12_GLOBAL__N_125multi_tensor_apply_kernelINS1_18TensorListMetadataILi1EEENS1_14UnaryOpFunctorIN3c107complexIdEELi1ELi1ELi0EEEJNS0_4SinhIS8_EEEEEvT_T0_DpT1_,comdat
.Lfunc_end126:
	.size	_ZN2at6native12_GLOBAL__N_125multi_tensor_apply_kernelINS1_18TensorListMetadataILi1EEENS1_14UnaryOpFunctorIN3c107complexIdEELi1ELi1ELi0EEEJNS0_4SinhIS8_EEEEEvT_T0_DpT1_, .Lfunc_end126-_ZN2at6native12_GLOBAL__N_125multi_tensor_apply_kernelINS1_18TensorListMetadataILi1EEENS1_14UnaryOpFunctorIN3c107complexIdEELi1ELi1ELi0EEEJNS0_4SinhIS8_EEEEEvT_T0_DpT1_
                                        ; -- End function
	.section	.AMDGPU.csdata,"",@progbits
; Kernel info:
; codeLenInByte = 1428
; NumSgprs: 69
; NumVgprs: 63
; NumAgprs: 0
; TotalNumVgprs: 63
; ScratchSize: 8
; MemoryBound: 1
; FloatMode: 240
; IeeeMode: 1
; LDSByteSize: 0 bytes/workgroup (compile time only)
; SGPRBlocks: 8
; VGPRBlocks: 7
; NumSGPRsForWavesPerEU: 69
; NumVGPRsForWavesPerEU: 63
; AccumOffset: 64
; Occupancy: 8
; WaveLimiterHint : 0
; COMPUTE_PGM_RSRC2:SCRATCH_EN: 1
; COMPUTE_PGM_RSRC2:USER_SGPR: 8
; COMPUTE_PGM_RSRC2:TRAP_HANDLER: 0
; COMPUTE_PGM_RSRC2:TGID_X_EN: 1
; COMPUTE_PGM_RSRC2:TGID_Y_EN: 0
; COMPUTE_PGM_RSRC2:TGID_Z_EN: 0
; COMPUTE_PGM_RSRC2:TIDIG_COMP_CNT: 0
; COMPUTE_PGM_RSRC3_GFX90A:ACCUM_OFFSET: 15
; COMPUTE_PGM_RSRC3_GFX90A:TG_SPLIT: 0
	.section	.text._ZN2at6native12_GLOBAL__N_125multi_tensor_apply_kernelINS1_18TensorListMetadataILi1EEENS1_14UnaryOpFunctorIN3c107complexIfEELi1ELi1ELi0EEEJNS0_4SinhIS8_EEEEEvT_T0_DpT1_,"axG",@progbits,_ZN2at6native12_GLOBAL__N_125multi_tensor_apply_kernelINS1_18TensorListMetadataILi1EEENS1_14UnaryOpFunctorIN3c107complexIfEELi1ELi1ELi0EEEJNS0_4SinhIS8_EEEEEvT_T0_DpT1_,comdat
	.globl	_ZN2at6native12_GLOBAL__N_125multi_tensor_apply_kernelINS1_18TensorListMetadataILi1EEENS1_14UnaryOpFunctorIN3c107complexIfEELi1ELi1ELi0EEEJNS0_4SinhIS8_EEEEEvT_T0_DpT1_ ; -- Begin function _ZN2at6native12_GLOBAL__N_125multi_tensor_apply_kernelINS1_18TensorListMetadataILi1EEENS1_14UnaryOpFunctorIN3c107complexIfEELi1ELi1ELi0EEEJNS0_4SinhIS8_EEEEEvT_T0_DpT1_
	.p2align	8
	.type	_ZN2at6native12_GLOBAL__N_125multi_tensor_apply_kernelINS1_18TensorListMetadataILi1EEENS1_14UnaryOpFunctorIN3c107complexIfEELi1ELi1ELi0EEEJNS0_4SinhIS8_EEEEEvT_T0_DpT1_,@function
_ZN2at6native12_GLOBAL__N_125multi_tensor_apply_kernelINS1_18TensorListMetadataILi1EEENS1_14UnaryOpFunctorIN3c107complexIfEELi1ELi1ELi0EEEJNS0_4SinhIS8_EEEEEvT_T0_DpT1_: ; @_ZN2at6native12_GLOBAL__N_125multi_tensor_apply_kernelINS1_18TensorListMetadataILi1EEENS1_14UnaryOpFunctorIN3c107complexIfEELi1ELi1ELi0EEEJNS0_4SinhIS8_EEEEEvT_T0_DpT1_
; %bb.0:
	v_mov_b32_e32 v22, v0
	v_mov_b32_e32 v0, s8
	global_load_ubyte v0, v0, s[4:5] offset:1760
	s_add_u32 flat_scratch_lo, s6, s9
	s_addc_u32 flat_scratch_hi, s7, 0
	s_add_u32 s0, s0, s9
	s_addc_u32 s1, s1, 0
	s_mov_b64 s[26:27], s[4:5]
	s_add_u32 s4, s26, s8
	s_mul_hi_u32 s5, s8, 3
	s_mul_i32 s8, s8, 3
	s_addc_u32 s6, s27, 0
	s_add_u32 s4, s4, s8
	s_addc_u32 s5, s6, s5
	s_load_dword s4, s[4:5], 0x820
	s_mov_b32 s9, 0
	s_mov_b32 s32, 0
	s_waitcnt vmcnt(0)
	v_readfirstlane_b32 s5, v0
	s_lshl_b32 s5, s5, 3
	s_load_dwordx2 s[40:41], s[26:27], s5 offset:0x0
	s_load_dwordx2 s[6:7], s[26:27], s5 offset:0x370
	s_waitcnt lgkmcnt(0)
	s_ashr_i32 s5, s4, 31
	s_lshl_b64 s[42:43], s[4:5], 19
	s_add_u32 s33, s40, s42
	s_addc_u32 s50, s41, s43
	s_lshl_b64 s[4:5], s[4:5], 16
	s_and_b32 s8, s33, 31
	s_sub_u32 s38, s6, s4
	s_subb_u32 s39, s7, s5
	s_and_b32 s4, s6, 3
	s_mov_b32 s5, s9
	s_or_b64 s[4:5], s[8:9], s[4:5]
	s_cmp_eq_u64 s[4:5], 0
	s_cbranch_scc1 .LBB127_21
; %bb.1:
	v_cmp_lt_i64_e64 s[4:5], s[38:39], 1
	s_and_b64 vcc, exec, s[4:5]
	s_cbranch_vccnz .LBB127_20
; %bb.2:
	s_load_dword s4, s[26:27], 0xd3c
	v_mov_b32_e32 v0, 0x10000
	v_mov_b32_e32 v1, 0
	v_cmp_lt_u64_e32 vcc, s[38:39], v[0:1]
	v_mov_b32_e32 v31, 0
	s_waitcnt lgkmcnt(0)
	s_and_b32 s6, s4, 0xffff
	s_mul_i32 s8, s6, 3
	s_and_b64 s[4:5], vcc, exec
	v_lshlrev_b32_e32 v30, 3, v22
	v_add_co_u32_e32 v21, vcc, s8, v22
	v_mad_u64_u32 v[32:33], s[4:5], s6, 24, v[30:31]
	v_addc_co_u32_e64 v23, s[4:5], 0, 0, vcc
	s_cselect_b32 s45, s39, 0
	s_cselect_b32 s44, s38, 0x10000
	s_lshl_b32 s4, s6, 4
	s_lshl_b32 s7, s6, 1
	v_add_co_u32_e32 v31, vcc, s4, v30
	v_addc_co_u32_e64 v35, s[4:5], 0, 0, vcc
	v_add_co_u32_e32 v38, vcc, s7, v22
	v_addc_co_u32_e64 v39, s[4:5], 0, 0, vcc
	v_add_co_u32_e32 v40, vcc, s6, v22
	s_lshl_b32 s51, s6, 2
	s_lshl_b32 s52, s6, 5
	v_addc_co_u32_e64 v41, s[4:5], 0, 0, vcc
	v_lshlrev_b32_e32 v34, 3, v40
	s_mov_b64 s[46:47], 0
	v_pk_mov_b32 v[36:37], s[38:39], s[38:39] op_sel:[0,1]
	s_branch .LBB127_4
.LBB127_3:                              ;   in Loop: Header=BB127_4 Depth=1
	s_or_b64 exec, exec, s[28:29]
	s_add_u32 s46, s46, s51
	s_waitcnt vmcnt(0)
	v_mov_b32_e32 v0, 0x10000
	s_addc_u32 s47, s47, 0
	v_mov_b32_e32 v1, 0
	v_cmp_lt_i64_e32 vcc, s[46:47], v[36:37]
	v_cmp_lt_u64_e64 s[4:5], s[46:47], v[0:1]
	s_and_b64 s[4:5], vcc, s[4:5]
	s_add_u32 s33, s33, s52
	s_addc_u32 s50, s50, 0
	s_and_b64 vcc, exec, s[4:5]
	s_cbranch_vccz .LBB127_20
.LBB127_4:                              ; =>This Inner Loop Header: Depth=1
	v_mov_b32_e32 v1, s47
	v_add_co_u32_e32 v0, vcc, s46, v22
	v_addc_co_u32_e32 v1, vcc, 0, v1, vcc
	v_cmp_gt_u64_e32 vcc, s[44:45], v[0:1]
	v_mov_b32_e32 v0, 0
	v_mov_b32_e32 v1, 0
	s_and_saveexec_b64 s[6:7], vcc
	s_cbranch_execz .LBB127_6
; %bb.5:                                ;   in Loop: Header=BB127_4 Depth=1
	v_mov_b32_e32 v1, s50
	v_add_co_u32_e64 v0, s[4:5], s33, v30
	v_addc_co_u32_e64 v1, s[4:5], 0, v1, s[4:5]
	global_load_dwordx2 v[0:1], v[0:1], off
.LBB127_6:                              ;   in Loop: Header=BB127_4 Depth=1
	s_or_b64 exec, exec, s[6:7]
	v_mov_b32_e32 v3, s47
	v_add_co_u32_e64 v2, s[4:5], s46, v40
	v_addc_co_u32_e64 v3, s[4:5], v41, v3, s[4:5]
	v_cmp_gt_u64_e64 s[28:29], s[44:45], v[2:3]
	v_mov_b32_e32 v24, 0
	v_mov_b32_e32 v26, 0
	;; [unrolled: 1-line block ×3, first 2 shown]
	s_and_saveexec_b64 s[6:7], s[28:29]
	s_cbranch_execz .LBB127_8
; %bb.7:                                ;   in Loop: Header=BB127_4 Depth=1
	v_mov_b32_e32 v3, s50
	v_add_co_u32_e64 v2, s[4:5], s33, v34
	v_addc_co_u32_e64 v3, s[4:5], 0, v3, s[4:5]
	global_load_dwordx2 v[26:27], v[2:3], off
.LBB127_8:                              ;   in Loop: Header=BB127_4 Depth=1
	s_or_b64 exec, exec, s[6:7]
	v_mov_b32_e32 v3, s47
	v_add_co_u32_e64 v2, s[4:5], s46, v38
	v_addc_co_u32_e64 v3, s[4:5], v39, v3, s[4:5]
	v_cmp_gt_u64_e64 s[34:35], s[44:45], v[2:3]
	v_mov_b32_e32 v25, 0
	s_and_saveexec_b64 s[6:7], s[34:35]
	s_cbranch_execz .LBB127_10
; %bb.9:                                ;   in Loop: Header=BB127_4 Depth=1
	v_mov_b32_e32 v3, s50
	v_add_co_u32_e64 v2, s[4:5], s33, v31
	v_addc_co_u32_e64 v3, s[4:5], v3, v35, s[4:5]
	global_load_dwordx2 v[24:25], v[2:3], off
.LBB127_10:                             ;   in Loop: Header=BB127_4 Depth=1
	s_or_b64 exec, exec, s[6:7]
	v_mov_b32_e32 v3, s47
	v_add_co_u32_e64 v2, s[4:5], s46, v21
	v_addc_co_u32_e64 v3, s[4:5], v23, v3, s[4:5]
	v_cmp_gt_u64_e64 s[36:37], s[44:45], v[2:3]
	v_mov_b32_e32 v28, 0
	v_mov_b32_e32 v29, 0
	s_and_saveexec_b64 s[6:7], s[36:37]
	s_cbranch_execnz .LBB127_15
; %bb.11:                               ;   in Loop: Header=BB127_4 Depth=1
	s_or_b64 exec, exec, s[6:7]
	s_and_saveexec_b64 s[48:49], vcc
	s_cbranch_execnz .LBB127_16
.LBB127_12:                             ;   in Loop: Header=BB127_4 Depth=1
	s_or_b64 exec, exec, s[48:49]
	s_and_saveexec_b64 s[48:49], s[28:29]
	s_cbranch_execnz .LBB127_17
.LBB127_13:                             ;   in Loop: Header=BB127_4 Depth=1
	s_or_b64 exec, exec, s[48:49]
	s_and_saveexec_b64 s[28:29], s[34:35]
	s_cbranch_execnz .LBB127_18
.LBB127_14:                             ;   in Loop: Header=BB127_4 Depth=1
	s_or_b64 exec, exec, s[28:29]
	s_and_saveexec_b64 s[28:29], s[36:37]
	s_cbranch_execz .LBB127_3
	s_branch .LBB127_19
.LBB127_15:                             ;   in Loop: Header=BB127_4 Depth=1
	v_mov_b32_e32 v3, s50
	v_add_co_u32_e64 v2, s[4:5], s33, v32
	v_addc_co_u32_e64 v3, s[4:5], v3, v33, s[4:5]
	global_load_dwordx2 v[28:29], v[2:3], off
	s_or_b64 exec, exec, s[6:7]
	s_and_saveexec_b64 s[48:49], vcc
	s_cbranch_execz .LBB127_12
.LBB127_16:                             ;   in Loop: Header=BB127_4 Depth=1
	s_getpc_b64 s[4:5]
	s_add_u32 s4, s4, _ZN6thrust23THRUST_200600_302600_NS6detail7complex6csinhfERKNS0_7complexIfEE@rel32@lo+4
	s_addc_u32 s5, s5, _ZN6thrust23THRUST_200600_302600_NS6detail7complex6csinhfERKNS0_7complexIfEE@rel32@hi+12
	s_swappc_b64 s[30:31], s[4:5]
	v_mov_b32_e32 v3, s50
	v_add_co_u32_e32 v2, vcc, s33, v30
	v_addc_co_u32_e32 v3, vcc, 0, v3, vcc
	global_store_dwordx2 v[2:3], v[0:1], off
	s_or_b64 exec, exec, s[48:49]
	s_and_saveexec_b64 s[48:49], s[28:29]
	s_cbranch_execz .LBB127_13
.LBB127_17:                             ;   in Loop: Header=BB127_4 Depth=1
	s_waitcnt vmcnt(0)
	v_mov_b32_e32 v0, v26
	v_mov_b32_e32 v1, v27
	s_getpc_b64 s[4:5]
	s_add_u32 s4, s4, _ZN6thrust23THRUST_200600_302600_NS6detail7complex6csinhfERKNS0_7complexIfEE@rel32@lo+4
	s_addc_u32 s5, s5, _ZN6thrust23THRUST_200600_302600_NS6detail7complex6csinhfERKNS0_7complexIfEE@rel32@hi+12
	s_swappc_b64 s[30:31], s[4:5]
	v_mov_b32_e32 v3, s50
	v_add_co_u32_e32 v2, vcc, s33, v34
	v_addc_co_u32_e32 v3, vcc, 0, v3, vcc
	global_store_dwordx2 v[2:3], v[0:1], off
	s_or_b64 exec, exec, s[48:49]
	s_and_saveexec_b64 s[28:29], s[34:35]
	s_cbranch_execz .LBB127_14
.LBB127_18:                             ;   in Loop: Header=BB127_4 Depth=1
	s_waitcnt vmcnt(0)
	v_mov_b32_e32 v0, v24
	v_mov_b32_e32 v1, v25
	s_getpc_b64 s[4:5]
	s_add_u32 s4, s4, _ZN6thrust23THRUST_200600_302600_NS6detail7complex6csinhfERKNS0_7complexIfEE@rel32@lo+4
	s_addc_u32 s5, s5, _ZN6thrust23THRUST_200600_302600_NS6detail7complex6csinhfERKNS0_7complexIfEE@rel32@hi+12
	s_swappc_b64 s[30:31], s[4:5]
	v_mov_b32_e32 v3, s50
	v_add_co_u32_e32 v2, vcc, s33, v31
	v_addc_co_u32_e32 v3, vcc, v3, v35, vcc
	global_store_dwordx2 v[2:3], v[0:1], off
	s_or_b64 exec, exec, s[28:29]
	s_and_saveexec_b64 s[28:29], s[36:37]
	s_cbranch_execz .LBB127_3
.LBB127_19:                             ;   in Loop: Header=BB127_4 Depth=1
	s_waitcnt vmcnt(0)
	v_mov_b32_e32 v0, v28
	v_mov_b32_e32 v1, v29
	s_getpc_b64 s[4:5]
	s_add_u32 s4, s4, _ZN6thrust23THRUST_200600_302600_NS6detail7complex6csinhfERKNS0_7complexIfEE@rel32@lo+4
	s_addc_u32 s5, s5, _ZN6thrust23THRUST_200600_302600_NS6detail7complex6csinhfERKNS0_7complexIfEE@rel32@hi+12
	s_swappc_b64 s[30:31], s[4:5]
	v_mov_b32_e32 v3, s50
	v_add_co_u32_e32 v2, vcc, s33, v32
	v_addc_co_u32_e32 v3, vcc, v3, v33, vcc
	global_store_dwordx2 v[2:3], v[0:1], off
	s_branch .LBB127_3
.LBB127_20:
	s_cbranch_execz .LBB127_22
	s_branch .LBB127_25
.LBB127_21:
.LBB127_22:
	v_mov_b32_e32 v31, 0
	v_lshlrev_b32_e32 v30, 2, v22
	s_mov_b32 s4, 0
	v_cmp_gt_i64_e32 vcc, s[38:39], v[30:31]
	s_and_saveexec_b64 s[6:7], vcc
	s_cbranch_execz .LBB127_25
; %bb.23:
	s_load_dword s5, s[26:27], 0xd3c
	v_lshlrev_b32_e32 v0, 5, v22
	s_mov_b64 s[26:27], 0
	s_mov_b64 s[28:29], 0xffff
	v_mov_b32_e32 v21, s4
	s_waitcnt lgkmcnt(0)
	s_and_b32 s5, s5, 0xffff
	s_lshl_b32 s33, s5, 2
	s_add_u32 s6, s40, s42
	s_addc_u32 s7, s41, s43
	v_mov_b32_e32 v1, s7
	v_add_co_u32_e32 v32, vcc, s6, v0
	v_add_lshl_u32 v30, v22, s5, 2
	v_addc_co_u32_e32 v33, vcc, 0, v1, vcc
	s_lshl_b32 s34, s5, 5
	v_mov_b32_e32 v34, s4
.LBB127_24:                             ; =>This Inner Loop Header: Depth=1
	global_load_dwordx4 v[22:25], v[32:33], off
	global_load_dwordx4 v[26:29], v[32:33], off offset:16
	s_getpc_b64 s[36:37]
	s_add_u32 s36, s36, _ZN6thrust23THRUST_200600_302600_NS6detail7complex6csinhfERKNS0_7complexIfEE@rel32@lo+4
	s_addc_u32 s37, s37, _ZN6thrust23THRUST_200600_302600_NS6detail7complex6csinhfERKNS0_7complexIfEE@rel32@hi+12
	s_waitcnt vmcnt(1)
	v_mov_b32_e32 v0, v22
	v_mov_b32_e32 v1, v23
	s_swappc_b64 s[30:31], s[36:37]
	v_mov_b32_e32 v22, v0
	v_mov_b32_e32 v23, v1
	v_mov_b32_e32 v0, v24
	v_mov_b32_e32 v1, v25
	s_swappc_b64 s[30:31], s[36:37]
	v_mov_b32_e32 v24, v0
	v_mov_b32_e32 v25, v1
	;; [unrolled: 5-line block ×3, first 2 shown]
	v_mov_b32_e32 v0, v28
	v_mov_b32_e32 v1, v29
	s_swappc_b64 s[30:31], s[36:37]
	v_cmp_le_i64_e32 vcc, s[38:39], v[30:31]
	v_cmp_lt_u64_e64 s[4:5], s[28:29], v[30:31]
	v_mov_b32_e32 v28, v0
	v_mov_b32_e32 v29, v1
	s_or_b64 s[4:5], vcc, s[4:5]
	global_store_dwordx4 v[32:33], v[22:25], off
	v_add_co_u32_e64 v30, s[6:7], s33, v30
	global_store_dwordx4 v[32:33], v[26:29], off offset:16
	v_add_co_u32_e32 v32, vcc, s34, v32
	s_and_b64 s[4:5], exec, s[4:5]
	v_addc_co_u32_e64 v31, s[6:7], v31, v21, s[6:7]
	s_or_b64 s[26:27], s[4:5], s[26:27]
	v_addc_co_u32_e32 v33, vcc, v33, v34, vcc
	s_andn2_b64 exec, exec, s[26:27]
	s_cbranch_execnz .LBB127_24
.LBB127_25:
	s_endpgm
	.section	.rodata,"a",@progbits
	.p2align	6, 0x0
	.amdhsa_kernel _ZN2at6native12_GLOBAL__N_125multi_tensor_apply_kernelINS1_18TensorListMetadataILi1EEENS1_14UnaryOpFunctorIN3c107complexIfEELi1ELi1ELi0EEEJNS0_4SinhIS8_EEEEEvT_T0_DpT1_
		.amdhsa_group_segment_fixed_size 0
		.amdhsa_private_segment_fixed_size 0
		.amdhsa_kernarg_size 3632
		.amdhsa_user_sgpr_count 8
		.amdhsa_user_sgpr_private_segment_buffer 1
		.amdhsa_user_sgpr_dispatch_ptr 0
		.amdhsa_user_sgpr_queue_ptr 0
		.amdhsa_user_sgpr_kernarg_segment_ptr 1
		.amdhsa_user_sgpr_dispatch_id 0
		.amdhsa_user_sgpr_flat_scratch_init 1
		.amdhsa_user_sgpr_kernarg_preload_length 0
		.amdhsa_user_sgpr_kernarg_preload_offset 0
		.amdhsa_user_sgpr_private_segment_size 0
		.amdhsa_uses_dynamic_stack 0
		.amdhsa_system_sgpr_private_segment_wavefront_offset 0
		.amdhsa_system_sgpr_workgroup_id_x 1
		.amdhsa_system_sgpr_workgroup_id_y 0
		.amdhsa_system_sgpr_workgroup_id_z 0
		.amdhsa_system_sgpr_workgroup_info 0
		.amdhsa_system_vgpr_workitem_id 0
		.amdhsa_next_free_vgpr 42
		.amdhsa_next_free_sgpr 53
		.amdhsa_accum_offset 44
		.amdhsa_reserve_vcc 1
		.amdhsa_reserve_flat_scratch 1
		.amdhsa_float_round_mode_32 0
		.amdhsa_float_round_mode_16_64 0
		.amdhsa_float_denorm_mode_32 3
		.amdhsa_float_denorm_mode_16_64 3
		.amdhsa_dx10_clamp 1
		.amdhsa_ieee_mode 1
		.amdhsa_fp16_overflow 0
		.amdhsa_tg_split 0
		.amdhsa_exception_fp_ieee_invalid_op 0
		.amdhsa_exception_fp_denorm_src 0
		.amdhsa_exception_fp_ieee_div_zero 0
		.amdhsa_exception_fp_ieee_overflow 0
		.amdhsa_exception_fp_ieee_underflow 0
		.amdhsa_exception_fp_ieee_inexact 0
		.amdhsa_exception_int_div_zero 0
	.end_amdhsa_kernel
	.section	.text._ZN2at6native12_GLOBAL__N_125multi_tensor_apply_kernelINS1_18TensorListMetadataILi1EEENS1_14UnaryOpFunctorIN3c107complexIfEELi1ELi1ELi0EEEJNS0_4SinhIS8_EEEEEvT_T0_DpT1_,"axG",@progbits,_ZN2at6native12_GLOBAL__N_125multi_tensor_apply_kernelINS1_18TensorListMetadataILi1EEENS1_14UnaryOpFunctorIN3c107complexIfEELi1ELi1ELi0EEEJNS0_4SinhIS8_EEEEEvT_T0_DpT1_,comdat
.Lfunc_end127:
	.size	_ZN2at6native12_GLOBAL__N_125multi_tensor_apply_kernelINS1_18TensorListMetadataILi1EEENS1_14UnaryOpFunctorIN3c107complexIfEELi1ELi1ELi0EEEJNS0_4SinhIS8_EEEEEvT_T0_DpT1_, .Lfunc_end127-_ZN2at6native12_GLOBAL__N_125multi_tensor_apply_kernelINS1_18TensorListMetadataILi1EEENS1_14UnaryOpFunctorIN3c107complexIfEELi1ELi1ELi0EEEJNS0_4SinhIS8_EEEEEvT_T0_DpT1_
                                        ; -- End function
	.section	.AMDGPU.csdata,"",@progbits
; Kernel info:
; codeLenInByte = 1304
; NumSgprs: 59
; NumVgprs: 42
; NumAgprs: 0
; TotalNumVgprs: 42
; ScratchSize: 0
; MemoryBound: 0
; FloatMode: 240
; IeeeMode: 1
; LDSByteSize: 0 bytes/workgroup (compile time only)
; SGPRBlocks: 7
; VGPRBlocks: 5
; NumSGPRsForWavesPerEU: 59
; NumVGPRsForWavesPerEU: 42
; AccumOffset: 44
; Occupancy: 8
; WaveLimiterHint : 0
; COMPUTE_PGM_RSRC2:SCRATCH_EN: 0
; COMPUTE_PGM_RSRC2:USER_SGPR: 8
; COMPUTE_PGM_RSRC2:TRAP_HANDLER: 0
; COMPUTE_PGM_RSRC2:TGID_X_EN: 1
; COMPUTE_PGM_RSRC2:TGID_Y_EN: 0
; COMPUTE_PGM_RSRC2:TGID_Z_EN: 0
; COMPUTE_PGM_RSRC2:TIDIG_COMP_CNT: 0
; COMPUTE_PGM_RSRC3_GFX90A:ACCUM_OFFSET: 10
; COMPUTE_PGM_RSRC3_GFX90A:TG_SPLIT: 0
	.section	.text._ZN2at6native12_GLOBAL__N_125multi_tensor_apply_kernelINS1_18TensorListMetadataILi1EEENS1_14UnaryOpFunctorIN3c104HalfELi1ELi1ELi0EEEJNS0_4SinhIfEEEEEvT_T0_DpT1_,"axG",@progbits,_ZN2at6native12_GLOBAL__N_125multi_tensor_apply_kernelINS1_18TensorListMetadataILi1EEENS1_14UnaryOpFunctorIN3c104HalfELi1ELi1ELi0EEEJNS0_4SinhIfEEEEEvT_T0_DpT1_,comdat
	.globl	_ZN2at6native12_GLOBAL__N_125multi_tensor_apply_kernelINS1_18TensorListMetadataILi1EEENS1_14UnaryOpFunctorIN3c104HalfELi1ELi1ELi0EEEJNS0_4SinhIfEEEEEvT_T0_DpT1_ ; -- Begin function _ZN2at6native12_GLOBAL__N_125multi_tensor_apply_kernelINS1_18TensorListMetadataILi1EEENS1_14UnaryOpFunctorIN3c104HalfELi1ELi1ELi0EEEJNS0_4SinhIfEEEEEvT_T0_DpT1_
	.p2align	8
	.type	_ZN2at6native12_GLOBAL__N_125multi_tensor_apply_kernelINS1_18TensorListMetadataILi1EEENS1_14UnaryOpFunctorIN3c104HalfELi1ELi1ELi0EEEJNS0_4SinhIfEEEEEvT_T0_DpT1_,@function
_ZN2at6native12_GLOBAL__N_125multi_tensor_apply_kernelINS1_18TensorListMetadataILi1EEENS1_14UnaryOpFunctorIN3c104HalfELi1ELi1ELi0EEEJNS0_4SinhIfEEEEEvT_T0_DpT1_: ; @_ZN2at6native12_GLOBAL__N_125multi_tensor_apply_kernelINS1_18TensorListMetadataILi1EEENS1_14UnaryOpFunctorIN3c104HalfELi1ELi1ELi0EEEJNS0_4SinhIfEEEEEvT_T0_DpT1_
; %bb.0:
	v_mov_b32_e32 v1, s6
	global_load_ubyte v1, v1, s[4:5] offset:1760
	s_add_u32 s0, s4, s6
	s_mul_hi_u32 s1, s6, 3
	s_mul_i32 s6, s6, 3
	s_addc_u32 s2, s5, 0
	s_add_u32 s0, s0, s6
	s_addc_u32 s1, s2, s1
	s_load_dword s0, s[0:1], 0x820
	s_mov_b32 s7, 0
	s_waitcnt vmcnt(0)
	v_readfirstlane_b32 s2, v1
	s_lshl_b32 s1, s2, 3
	s_load_dwordx2 s[2:3], s[4:5], s1 offset:0x370
	s_load_dwordx2 s[12:13], s[4:5], s1 offset:0x0
	s_waitcnt lgkmcnt(0)
	s_ashr_i32 s1, s0, 31
	s_lshl_b64 s[14:15], s[0:1], 17
	s_lshl_b64 s[0:1], s[0:1], 16
	s_and_b32 s6, s12, 7
	s_sub_u32 s10, s2, s0
	s_subb_u32 s11, s3, s1
	s_and_b32 s0, s2, 3
	s_mov_b32 s1, s7
	s_or_b64 s[0:1], s[6:7], s[0:1]
	s_cmp_eq_u64 s[0:1], 0
	s_cbranch_scc1 .LBB128_21
; %bb.1:
	v_cmp_lt_i64_e64 s[0:1], s[10:11], 1
	s_and_b64 vcc, exec, s[0:1]
	s_cbranch_vccnz .LBB128_20
; %bb.2:
	s_load_dword s0, s[4:5], 0xd3c
	v_mov_b32_e32 v2, 0x10000
	v_mov_b32_e32 v3, 0
	v_cmp_lt_u64_e32 vcc, s[10:11], v[2:3]
	v_lshlrev_b32_e32 v1, 1, v0
	s_waitcnt lgkmcnt(0)
	s_and_b32 s2, s0, 0xffff
	s_and_b64 s[0:1], vcc, exec
	s_cselect_b32 s17, s11, 0
	s_cselect_b32 s16, s10, 0x10000
	s_lshl_b32 s3, s2, 1
	s_lshl_b32 s24, s2, 2
	s_add_u32 s6, s12, s14
	s_addc_u32 s7, s13, s15
	v_mov_b32_e32 v3, s7
	v_add_co_u32_e32 v2, vcc, s6, v1
	s_mul_i32 s0, s2, 3
	v_addc_co_u32_e32 v3, vcc, 0, v3, vcc
	v_add_co_u32_e32 v1, vcc, s0, v0
	v_addc_co_u32_e64 v12, s[0:1], 0, 0, vcc
	v_add_co_u32_e32 v13, vcc, s3, v0
	v_addc_co_u32_e64 v14, s[0:1], 0, 0, vcc
	v_add_co_u32_e32 v15, vcc, s2, v0
	v_lshlrev_b32_e32 v4, 1, v15
	s_mov_b32 s20, 0
	v_addc_co_u32_e64 v16, s[0:1], 0, 0, vcc
	v_mov_b32_e32 v5, s7
	v_add_co_u32_e32 v4, vcc, s6, v4
	s_lshl_b32 s25, s2, 3
	s_mov_b32 s26, s20
	s_mul_i32 s27, s2, 6
	s_mov_b32 s28, s20
	v_addc_co_u32_e32 v5, vcc, 0, v5, vcc
	s_mov_b64 s[18:19], 0
	s_mov_b32 s29, 0x39800000
	s_mov_b32 s30, 0xbf317218
	v_mov_b32_e32 v7, 0x3f317218
	v_mov_b32_e32 v17, 0x3d2aadcc
	;; [unrolled: 1-line block ×4, first 2 shown]
	s_mov_b32 s21, -1.0
	s_mov_b32 s31, 0x42b2d4fc
	s_movk_i32 s33, 0x7fff
	v_mov_b32_e32 v9, -1.0
	v_mov_b32_e32 v11, 1.0
	v_mov_b32_e32 v20, 0x7f800000
	s_branch .LBB128_4
.LBB128_3:                              ;   in Loop: Header=BB128_4 Depth=1
	s_or_b64 exec, exec, s[0:1]
	s_add_u32 s18, s18, s24
	s_addc_u32 s19, s19, 0
	s_waitcnt vmcnt(0)
	v_pk_mov_b32 v[22:23], s[10:11], s[10:11] op_sel:[0,1]
	v_cmp_lt_i64_e32 vcc, s[18:19], v[22:23]
	v_mov_b32_e32 v22, 0x10000
	v_mov_b32_e32 v23, 0
	v_cmp_lt_u64_e64 s[0:1], s[18:19], v[22:23]
	s_and_b64 s[0:1], vcc, s[0:1]
	v_mov_b32_e32 v6, s26
	v_add_co_u32_e32 v2, vcc, s25, v2
	v_addc_co_u32_e32 v3, vcc, v3, v6, vcc
	v_add_co_u32_e32 v4, vcc, s25, v4
	v_addc_co_u32_e32 v5, vcc, v5, v6, vcc
	s_and_b64 vcc, exec, s[0:1]
	s_cbranch_vccz .LBB128_20
.LBB128_4:                              ; =>This Inner Loop Header: Depth=1
	v_mov_b32_e32 v6, s19
	v_add_co_u32_e32 v22, vcc, s18, v0
	v_addc_co_u32_e32 v23, vcc, 0, v6, vcc
	v_cmp_gt_u64_e64 s[6:7], s[16:17], v[22:23]
	v_mov_b32_e32 v24, 0
	s_and_saveexec_b64 s[0:1], s[6:7]
	s_cbranch_execz .LBB128_6
; %bb.5:                                ;   in Loop: Header=BB128_4 Depth=1
	global_load_ushort v24, v[2:3], off
.LBB128_6:                              ;   in Loop: Header=BB128_4 Depth=1
	s_or_b64 exec, exec, s[0:1]
	v_mov_b32_e32 v6, s19
	v_add_co_u32_e32 v22, vcc, s18, v15
	v_addc_co_u32_e32 v23, vcc, v16, v6, vcc
	v_cmp_gt_u64_e64 s[2:3], s[16:17], v[22:23]
	v_mov_b32_e32 v23, 0
	s_and_saveexec_b64 s[0:1], s[2:3]
	s_cbranch_execz .LBB128_8
; %bb.7:                                ;   in Loop: Header=BB128_4 Depth=1
	global_load_ushort v23, v[4:5], off
.LBB128_8:                              ;   in Loop: Header=BB128_4 Depth=1
	s_or_b64 exec, exec, s[0:1]
	v_mov_b32_e32 v6, s19
	v_add_co_u32_e32 v26, vcc, s18, v13
	v_addc_co_u32_e32 v27, vcc, v14, v6, vcc
	v_cmp_gt_u64_e64 s[0:1], s[16:17], v[26:27]
	v_mov_b32_e32 v21, 0
	v_mov_b32_e32 v22, 0
	s_and_saveexec_b64 s[8:9], s[0:1]
	s_cbranch_execz .LBB128_10
; %bb.9:                                ;   in Loop: Header=BB128_4 Depth=1
	v_mov_b32_e32 v6, s20
	v_add_co_u32_e32 v26, vcc, s24, v2
	v_addc_co_u32_e32 v27, vcc, v3, v6, vcc
	global_load_ushort v22, v[26:27], off
.LBB128_10:                             ;   in Loop: Header=BB128_4 Depth=1
	s_or_b64 exec, exec, s[8:9]
	v_mov_b32_e32 v6, s19
	v_add_co_u32_e32 v26, vcc, s18, v1
	v_addc_co_u32_e32 v27, vcc, v12, v6, vcc
	v_cmp_gt_u64_e32 vcc, s[16:17], v[26:27]
	s_and_saveexec_b64 s[22:23], vcc
	s_cbranch_execnz .LBB128_15
; %bb.11:                               ;   in Loop: Header=BB128_4 Depth=1
	s_or_b64 exec, exec, s[22:23]
	s_and_saveexec_b64 s[8:9], s[6:7]
	s_cbranch_execnz .LBB128_16
.LBB128_12:                             ;   in Loop: Header=BB128_4 Depth=1
	s_or_b64 exec, exec, s[8:9]
	s_and_saveexec_b64 s[6:7], s[2:3]
	s_cbranch_execnz .LBB128_17
.LBB128_13:                             ;   in Loop: Header=BB128_4 Depth=1
	s_or_b64 exec, exec, s[6:7]
	s_and_saveexec_b64 s[2:3], s[0:1]
	s_cbranch_execnz .LBB128_18
.LBB128_14:                             ;   in Loop: Header=BB128_4 Depth=1
	s_or_b64 exec, exec, s[2:3]
	s_and_saveexec_b64 s[0:1], vcc
	s_cbranch_execz .LBB128_3
	s_branch .LBB128_19
.LBB128_15:                             ;   in Loop: Header=BB128_4 Depth=1
	v_mov_b32_e32 v6, s28
	v_add_co_u32_e64 v26, s[8:9], s27, v2
	v_addc_co_u32_e64 v27, s[8:9], v3, v6, s[8:9]
	global_load_ushort v21, v[26:27], off
	s_or_b64 exec, exec, s[22:23]
	s_and_saveexec_b64 s[8:9], s[6:7]
	s_cbranch_execz .LBB128_12
.LBB128_16:                             ;   in Loop: Header=BB128_4 Depth=1
	s_waitcnt vmcnt(0)
	v_cvt_f32_f16_e32 v25, v24
	v_add_f32_e64 v8, |v25|, s30
	v_sub_f32_e64 v27, v8, |v25|
	v_and_b32_e32 v6, 0x7fffffff, v25
	v_sub_f32_e32 v26, v27, v8
	v_pk_add_f32 v[26:27], v[6:7], v[26:27]
	v_sub_f32_e32 v6, v26, v27
	v_add_f32_e32 v6, 0x3102e308, v6
	v_add_f32_e32 v10, v8, v6
	v_mul_f32_e32 v26, 0x3fb8aa3b, v10
	v_sub_f32_e32 v8, v8, v10
	v_rndne_f32_e32 v34, v26
	v_add_f32_e32 v6, v6, v8
	v_fmac_f32_e32 v10, 0xbf317200, v34
	v_add_f32_e32 v8, v6, v10
	v_mul_f32_e32 v26, 0x35bfbc00, v34
	v_sub_f32_e32 v28, v8, v26
	v_sub_f32_e32 v10, v10, v8
	v_sub_f32_e32 v8, v8, v28
	v_add_f32_e32 v6, v6, v10
	v_sub_f32_e32 v8, v8, v26
	v_add_f32_e32 v6, v6, v8
	v_add_f32_e32 v29, v28, v6
	v_mul_f32_e32 v27, 0x2ea39ef3, v34
	v_mov_b32_e32 v26, v29
	v_pk_add_f32 v[30:31], v[28:29], v[26:27] neg_lo:[0,1] neg_hi:[0,1]
	v_sub_f32_e32 v8, v29, v31
	v_sub_f32_e32 v8, v8, v27
	v_add_f32_e32 v6, v6, v30
	v_add_f32_e32 v6, v6, v8
	;; [unrolled: 1-line block ×3, first 2 shown]
	v_mov_b32_e32 v8, 0x3c091de6
	v_sub_f32_e32 v27, v31, v10
	v_fmac_f32_e32 v8, 0x3ab42872, v10
	v_mul_f32_e32 v26, v10, v10
	v_add_f32_e32 v6, v6, v27
	v_fma_f32 v8, v10, v8, v17
	v_add_f32_e32 v27, v6, v6
	v_fma_f32 v28, v10, v10, -v26
	v_fma_f32 v8, v10, v8, v18
	v_fmac_f32_e32 v28, v10, v27
	v_fma_f32 v8, v10, v8, v19
	v_add_f32_e32 v27, v26, v28
	v_mul_f32_e32 v29, v8, v27
	v_sub_f32_e32 v26, v27, v26
	v_sub_f32_e32 v26, v28, v26
	v_fma_f32 v27, v27, v8, -v29
	v_fmac_f32_e32 v27, v26, v8
	v_add_f32_e32 v26, v29, v27
	v_add_f32_e32 v8, v10, v26
	v_sub_f32_e32 v28, v26, v29
	v_sub_f32_e32 v27, v27, v28
	;; [unrolled: 1-line block ×3, first 2 shown]
	v_add_f32_e32 v6, v6, v27
	v_sub_f32_e32 v10, v26, v10
	v_add_f32_e32 v26, v6, v10
	v_add_f32_e32 v28, v8, v26
	v_add_f32_e32 v29, 1.0, v28
	v_pk_add_f32 v[30:31], v[28:29], v[8:9] neg_lo:[0,1] neg_hi:[0,1]
	v_pk_add_f32 v[32:33], v[28:29], s[20:21]
	v_mov_b32_e32 v31, v33
	v_mov_b32_e32 v27, v28
	v_cvt_i32_f32_e32 v6, v34
	v_pk_add_f32 v[26:27], v[26:27], v[30:31] neg_lo:[0,1] neg_hi:[0,1]
	v_add_f32_e32 v8, v26, v27
	v_add_f32_e32 v10, v29, v8
	v_ldexp_f32 v34, v10, v6
	v_rcp_f32_e32 v35, v34
	v_sub_f32_e32 v10, v10, v29
	v_sub_f32_e32 v8, v8, v10
	v_ldexp_f32 v6, v8, v6
	v_mul_f32_e32 v26, v34, v35
	v_fma_f32 v28, v35, v34, -v26
	v_fmac_f32_e32 v28, v35, v6
	v_add_f32_e32 v10, v26, v28
	v_sub_f32_e32 v27, 1.0, v10
	v_pk_add_f32 v[30:31], v[10:11], v[26:27] neg_lo:[0,1] neg_hi:[0,1]
	v_mov_b32_e32 v29, v10
	v_pk_add_f32 v[28:29], v[30:31], v[28:29] neg_lo:[0,1] neg_hi:[0,1]
	v_add_f32_e32 v8, v28, v29
	v_add_f32_e32 v29, v27, v8
	v_mul_f32_e32 v10, v35, v29
	v_add_f32_e32 v36, v35, v10
	v_sub_f32_e32 v26, v36, v35
	v_mul_f32_e32 v30, v34, v10
	v_sub_f32_e32 v37, v10, v26
	v_fma_f32 v26, v10, v34, -v30
	v_fmac_f32_e32 v26, v10, v6
	v_add_f32_e32 v28, v30, v26
	v_sub_f32_e32 v31, v29, v28
	v_sub_f32_e32 v10, v27, v29
	v_pk_add_f32 v[32:33], v[28:29], v[30:31] neg_lo:[0,1] neg_hi:[0,1]
	v_mov_b32_e32 v27, v28
	v_add_f32_e32 v8, v8, v10
	v_pk_add_f32 v[26:27], v[32:33], v[26:27] neg_lo:[0,1] neg_hi:[0,1]
	v_add_f32_e32 v8, v8, v27
	v_add_f32_e32 v8, v26, v8
	;; [unrolled: 1-line block ×3, first 2 shown]
	v_mul_f32_e32 v8, v35, v8
	v_add_f32_e32 v8, v37, v8
	v_add_f32_e32 v10, v36, v8
	v_ldexp_f32 v26, v10, -2
	v_sub_f32_e32 v27, v34, v26
	v_sub_f32_e32 v28, v34, v27
	v_sub_f32_e32 v10, v10, v36
	v_sub_f32_e32 v26, v28, v26
	v_sub_f32_e32 v8, v8, v10
	v_add_f32_e32 v6, v6, v26
	v_ldexp_f32 v8, v8, -2
	v_sub_f32_e32 v6, v6, v8
	v_add_f32_e32 v6, v27, v6
	v_cmp_ngt_f32_e64 s[6:7], |v25|, s31
	v_cndmask_b32_e64 v6, v20, v6, s[6:7]
	v_cmp_lt_f32_e64 s[6:7], |v25|, s29
	v_cndmask_b32_e64 v6, v6, |v25|, s[6:7]
	v_cvt_f16_f32_e32 v6, v6
	v_bfi_b32 v6, s33, v6, v24
	global_store_short v[2:3], v6, off
	s_or_b64 exec, exec, s[8:9]
	s_and_saveexec_b64 s[6:7], s[2:3]
	s_cbranch_execz .LBB128_13
.LBB128_17:                             ;   in Loop: Header=BB128_4 Depth=1
	s_waitcnt vmcnt(0)
	v_cvt_f32_f16_e32 v6, v23
	v_add_f32_e64 v8, |v6|, s30
	v_sub_f32_e64 v10, v8, |v6|
	v_sub_f32_e32 v24, v10, v8
	v_add_f32_e32 v10, 0x3f317218, v10
	v_add_f32_e64 v24, |v6|, v24
	v_sub_f32_e32 v10, v24, v10
	v_add_f32_e32 v10, 0x3102e308, v10
	v_add_f32_e32 v24, v8, v10
	v_sub_f32_e32 v8, v8, v24
	v_mul_f32_e32 v25, 0x3fb8aa3b, v24
	v_add_f32_e32 v8, v10, v8
	v_rndne_f32_e32 v10, v25
	v_fmac_f32_e32 v24, 0xbf317200, v10
	v_add_f32_e32 v25, v8, v24
	v_sub_f32_e32 v24, v24, v25
	v_add_f32_e32 v8, v8, v24
	v_mul_f32_e32 v24, 0x35bfbc00, v10
	v_sub_f32_e32 v26, v25, v24
	v_sub_f32_e32 v25, v25, v26
	;; [unrolled: 1-line block ×3, first 2 shown]
	v_add_f32_e32 v8, v8, v24
	v_add_f32_e32 v24, v26, v8
	v_sub_f32_e32 v25, v26, v24
	v_add_f32_e32 v8, v8, v25
	v_mul_f32_e32 v25, 0x2ea39ef3, v10
	v_sub_f32_e32 v26, v24, v25
	v_sub_f32_e32 v24, v24, v26
	;; [unrolled: 1-line block ×3, first 2 shown]
	v_add_f32_e32 v8, v8, v24
	v_add_f32_e32 v24, v26, v8
	v_sub_f32_e32 v26, v26, v24
	v_mov_b32_e32 v25, 0x3c091de6
	v_add_f32_e32 v8, v8, v26
	v_mul_f32_e32 v27, v24, v24
	v_fmac_f32_e32 v25, 0x3ab42872, v24
	v_add_f32_e32 v26, v8, v8
	v_fma_f32 v28, v24, v24, -v27
	v_fma_f32 v25, v24, v25, v17
	v_fmac_f32_e32 v28, v24, v26
	v_fma_f32 v25, v24, v25, v18
	v_add_f32_e32 v26, v27, v28
	v_fma_f32 v25, v24, v25, v19
	v_sub_f32_e32 v27, v26, v27
	v_sub_f32_e32 v27, v28, v27
	v_mul_f32_e32 v28, v25, v26
	v_fma_f32 v26, v26, v25, -v28
	v_fmac_f32_e32 v26, v27, v25
	v_add_f32_e32 v25, v28, v26
	v_sub_f32_e32 v27, v25, v28
	v_sub_f32_e32 v26, v26, v27
	v_add_f32_e32 v27, v24, v25
	v_sub_f32_e32 v24, v27, v24
	v_sub_f32_e32 v24, v25, v24
	v_add_f32_e32 v8, v8, v26
	v_add_f32_e32 v8, v8, v24
	;; [unrolled: 1-line block ×3, first 2 shown]
	v_sub_f32_e32 v25, v24, v27
	v_sub_f32_e32 v8, v8, v25
	v_add_f32_e32 v25, 1.0, v24
	v_add_f32_e32 v26, -1.0, v25
	v_cvt_i32_f32_e32 v10, v10
	v_sub_f32_e32 v24, v24, v26
	v_add_f32_e32 v8, v8, v24
	v_add_f32_e32 v24, v25, v8
	v_ldexp_f32 v26, v24, v10
	v_rcp_f32_e32 v27, v26
	v_sub_f32_e32 v24, v24, v25
	v_sub_f32_e32 v8, v8, v24
	v_ldexp_f32 v8, v8, v10
	v_mul_f32_e32 v10, v26, v27
	v_fma_f32 v24, v27, v26, -v10
	v_fmac_f32_e32 v24, v27, v8
	v_add_f32_e32 v25, v10, v24
	v_sub_f32_e32 v28, 1.0, v25
	v_sub_f32_e32 v29, 1.0, v28
	v_sub_f32_e32 v10, v25, v10
	v_sub_f32_e32 v29, v29, v25
	;; [unrolled: 1-line block ×3, first 2 shown]
	v_add_f32_e32 v10, v10, v29
	v_add_f32_e32 v24, v28, v10
	v_mul_f32_e32 v25, v27, v24
	v_mul_f32_e32 v29, v26, v25
	v_fma_f32 v30, v25, v26, -v29
	v_fmac_f32_e32 v30, v25, v8
	v_sub_f32_e32 v28, v28, v24
	v_add_f32_e32 v10, v10, v28
	v_add_f32_e32 v28, v29, v30
	v_sub_f32_e32 v31, v24, v28
	v_sub_f32_e32 v24, v24, v31
	;; [unrolled: 1-line block ×4, first 2 shown]
	v_add_f32_e32 v10, v10, v24
	v_sub_f32_e32 v24, v29, v30
	v_add_f32_e32 v10, v24, v10
	v_add_f32_e32 v10, v31, v10
	;; [unrolled: 1-line block ×3, first 2 shown]
	v_mul_f32_e32 v10, v27, v10
	v_sub_f32_e32 v27, v24, v27
	v_sub_f32_e32 v25, v25, v27
	v_add_f32_e32 v10, v25, v10
	v_add_f32_e32 v25, v24, v10
	v_sub_f32_e32 v24, v25, v24
	v_sub_f32_e32 v10, v10, v24
	v_ldexp_f32 v24, v25, -2
	v_sub_f32_e32 v25, v26, v24
	v_sub_f32_e32 v26, v26, v25
	;; [unrolled: 1-line block ×3, first 2 shown]
	v_ldexp_f32 v10, v10, -2
	v_add_f32_e32 v8, v8, v24
	v_sub_f32_e32 v8, v8, v10
	v_add_f32_e32 v8, v25, v8
	v_cmp_ngt_f32_e64 s[2:3], |v6|, s31
	v_cndmask_b32_e64 v8, v20, v8, s[2:3]
	v_cmp_lt_f32_e64 s[2:3], |v6|, s29
	v_cndmask_b32_e64 v6, v8, |v6|, s[2:3]
	v_cvt_f16_f32_e32 v6, v6
	v_bfi_b32 v6, s33, v6, v23
	global_store_short v[4:5], v6, off
	s_or_b64 exec, exec, s[6:7]
	s_and_saveexec_b64 s[2:3], s[0:1]
	s_cbranch_execz .LBB128_14
.LBB128_18:                             ;   in Loop: Header=BB128_4 Depth=1
	s_waitcnt vmcnt(0)
	v_cvt_f32_f16_e32 v6, v22
	v_add_f32_e64 v8, |v6|, s30
	v_sub_f32_e64 v10, v8, |v6|
	v_sub_f32_e32 v23, v10, v8
	v_add_f32_e32 v10, 0x3f317218, v10
	v_add_f32_e64 v23, |v6|, v23
	v_sub_f32_e32 v10, v23, v10
	v_add_f32_e32 v10, 0x3102e308, v10
	v_add_f32_e32 v23, v8, v10
	v_sub_f32_e32 v8, v8, v23
	v_mul_f32_e32 v24, 0x3fb8aa3b, v23
	v_add_f32_e32 v8, v10, v8
	v_rndne_f32_e32 v10, v24
	v_fmac_f32_e32 v23, 0xbf317200, v10
	v_add_f32_e32 v24, v8, v23
	v_sub_f32_e32 v23, v23, v24
	v_add_f32_e32 v8, v8, v23
	v_mul_f32_e32 v23, 0x35bfbc00, v10
	v_sub_f32_e32 v25, v24, v23
	v_sub_f32_e32 v24, v24, v25
	;; [unrolled: 1-line block ×3, first 2 shown]
	v_add_f32_e32 v8, v8, v23
	v_add_f32_e32 v23, v25, v8
	v_sub_f32_e32 v24, v25, v23
	v_add_f32_e32 v8, v8, v24
	v_mul_f32_e32 v24, 0x2ea39ef3, v10
	v_sub_f32_e32 v25, v23, v24
	v_sub_f32_e32 v23, v23, v25
	;; [unrolled: 1-line block ×3, first 2 shown]
	v_add_f32_e32 v8, v8, v23
	v_add_f32_e32 v23, v25, v8
	v_sub_f32_e32 v25, v25, v23
	v_mov_b32_e32 v24, 0x3c091de6
	v_add_f32_e32 v8, v8, v25
	v_mul_f32_e32 v26, v23, v23
	v_fmac_f32_e32 v24, 0x3ab42872, v23
	v_add_f32_e32 v25, v8, v8
	v_fma_f32 v27, v23, v23, -v26
	v_fma_f32 v24, v23, v24, v17
	v_fmac_f32_e32 v27, v23, v25
	v_fma_f32 v24, v23, v24, v18
	v_add_f32_e32 v25, v26, v27
	v_fma_f32 v24, v23, v24, v19
	v_sub_f32_e32 v26, v25, v26
	v_sub_f32_e32 v26, v27, v26
	v_mul_f32_e32 v27, v24, v25
	v_fma_f32 v25, v25, v24, -v27
	v_fmac_f32_e32 v25, v26, v24
	v_add_f32_e32 v24, v27, v25
	v_sub_f32_e32 v26, v24, v27
	v_sub_f32_e32 v25, v25, v26
	v_add_f32_e32 v26, v23, v24
	v_sub_f32_e32 v23, v26, v23
	v_sub_f32_e32 v23, v24, v23
	v_add_f32_e32 v8, v8, v25
	v_add_f32_e32 v8, v8, v23
	v_add_f32_e32 v23, v26, v8
	v_sub_f32_e32 v24, v23, v26
	v_sub_f32_e32 v8, v8, v24
	v_add_f32_e32 v24, 1.0, v23
	v_add_f32_e32 v25, -1.0, v24
	v_cvt_i32_f32_e32 v10, v10
	v_sub_f32_e32 v23, v23, v25
	v_add_f32_e32 v8, v8, v23
	v_add_f32_e32 v23, v24, v8
	v_ldexp_f32 v25, v23, v10
	v_rcp_f32_e32 v26, v25
	v_sub_f32_e32 v23, v23, v24
	v_sub_f32_e32 v8, v8, v23
	v_ldexp_f32 v8, v8, v10
	v_mul_f32_e32 v10, v25, v26
	v_fma_f32 v23, v26, v25, -v10
	v_fmac_f32_e32 v23, v26, v8
	v_add_f32_e32 v24, v10, v23
	v_sub_f32_e32 v27, 1.0, v24
	v_sub_f32_e32 v28, 1.0, v27
	v_sub_f32_e32 v10, v24, v10
	v_sub_f32_e32 v28, v28, v24
	;; [unrolled: 1-line block ×3, first 2 shown]
	v_add_f32_e32 v10, v10, v28
	v_add_f32_e32 v23, v27, v10
	v_mul_f32_e32 v24, v26, v23
	v_mul_f32_e32 v28, v25, v24
	v_fma_f32 v29, v24, v25, -v28
	v_fmac_f32_e32 v29, v24, v8
	v_sub_f32_e32 v27, v27, v23
	v_add_f32_e32 v10, v10, v27
	v_add_f32_e32 v27, v28, v29
	v_sub_f32_e32 v30, v23, v27
	v_sub_f32_e32 v23, v23, v30
	;; [unrolled: 1-line block ×4, first 2 shown]
	v_add_f32_e32 v10, v10, v23
	v_sub_f32_e32 v23, v28, v29
	v_add_f32_e32 v10, v23, v10
	v_add_f32_e32 v10, v30, v10
	;; [unrolled: 1-line block ×3, first 2 shown]
	v_mul_f32_e32 v10, v26, v10
	v_sub_f32_e32 v26, v23, v26
	v_sub_f32_e32 v24, v24, v26
	v_add_f32_e32 v10, v24, v10
	v_add_f32_e32 v24, v23, v10
	v_sub_f32_e32 v23, v24, v23
	v_sub_f32_e32 v10, v10, v23
	v_ldexp_f32 v23, v24, -2
	v_sub_f32_e32 v24, v25, v23
	v_sub_f32_e32 v25, v25, v24
	;; [unrolled: 1-line block ×3, first 2 shown]
	v_ldexp_f32 v10, v10, -2
	v_add_f32_e32 v8, v8, v23
	v_sub_f32_e32 v8, v8, v10
	v_add_f32_e32 v8, v24, v8
	v_cmp_ngt_f32_e64 s[0:1], |v6|, s31
	v_cndmask_b32_e64 v8, v20, v8, s[0:1]
	v_cmp_lt_f32_e64 s[0:1], |v6|, s29
	v_cndmask_b32_e64 v6, v8, |v6|, s[0:1]
	v_cvt_f16_f32_e32 v6, v6
	v_mov_b32_e32 v8, s20
	v_bfi_b32 v6, s33, v6, v22
	v_add_co_u32_e64 v22, s[0:1], s24, v2
	v_addc_co_u32_e64 v23, s[0:1], v3, v8, s[0:1]
	global_store_short v[22:23], v6, off
	s_or_b64 exec, exec, s[2:3]
	s_and_saveexec_b64 s[0:1], vcc
	s_cbranch_execz .LBB128_3
.LBB128_19:                             ;   in Loop: Header=BB128_4 Depth=1
	s_waitcnt vmcnt(0)
	v_cvt_f32_f16_e32 v6, v21
	v_add_f32_e64 v8, |v6|, s30
	v_sub_f32_e64 v10, v8, |v6|
	v_sub_f32_e32 v22, v10, v8
	v_add_f32_e32 v10, 0x3f317218, v10
	v_add_f32_e64 v22, |v6|, v22
	v_sub_f32_e32 v10, v22, v10
	v_add_f32_e32 v10, 0x3102e308, v10
	v_add_f32_e32 v22, v8, v10
	v_sub_f32_e32 v8, v8, v22
	v_mul_f32_e32 v23, 0x3fb8aa3b, v22
	v_add_f32_e32 v8, v10, v8
	v_rndne_f32_e32 v10, v23
	v_fmac_f32_e32 v22, 0xbf317200, v10
	v_add_f32_e32 v23, v8, v22
	v_sub_f32_e32 v22, v22, v23
	v_add_f32_e32 v8, v8, v22
	v_mul_f32_e32 v22, 0x35bfbc00, v10
	v_sub_f32_e32 v24, v23, v22
	v_sub_f32_e32 v23, v23, v24
	;; [unrolled: 1-line block ×3, first 2 shown]
	v_add_f32_e32 v8, v8, v22
	v_add_f32_e32 v22, v24, v8
	v_sub_f32_e32 v23, v24, v22
	v_add_f32_e32 v8, v8, v23
	v_mul_f32_e32 v23, 0x2ea39ef3, v10
	v_sub_f32_e32 v24, v22, v23
	v_sub_f32_e32 v22, v22, v24
	;; [unrolled: 1-line block ×3, first 2 shown]
	v_add_f32_e32 v8, v8, v22
	v_add_f32_e32 v22, v24, v8
	v_sub_f32_e32 v24, v24, v22
	v_mov_b32_e32 v23, 0x3c091de6
	v_add_f32_e32 v8, v8, v24
	v_mul_f32_e32 v25, v22, v22
	v_fmac_f32_e32 v23, 0x3ab42872, v22
	v_add_f32_e32 v24, v8, v8
	v_fma_f32 v26, v22, v22, -v25
	v_fma_f32 v23, v22, v23, v17
	v_fmac_f32_e32 v26, v22, v24
	v_fma_f32 v23, v22, v23, v18
	v_add_f32_e32 v24, v25, v26
	v_fma_f32 v23, v22, v23, v19
	v_sub_f32_e32 v25, v24, v25
	v_sub_f32_e32 v25, v26, v25
	v_mul_f32_e32 v26, v23, v24
	v_fma_f32 v24, v24, v23, -v26
	v_fmac_f32_e32 v24, v25, v23
	v_add_f32_e32 v23, v26, v24
	v_sub_f32_e32 v25, v23, v26
	v_sub_f32_e32 v24, v24, v25
	v_add_f32_e32 v25, v22, v23
	v_sub_f32_e32 v22, v25, v22
	v_sub_f32_e32 v22, v23, v22
	v_add_f32_e32 v8, v8, v24
	v_add_f32_e32 v8, v8, v22
	;; [unrolled: 1-line block ×3, first 2 shown]
	v_sub_f32_e32 v23, v22, v25
	v_sub_f32_e32 v8, v8, v23
	v_add_f32_e32 v23, 1.0, v22
	v_add_f32_e32 v24, -1.0, v23
	v_cvt_i32_f32_e32 v10, v10
	v_sub_f32_e32 v22, v22, v24
	v_add_f32_e32 v8, v8, v22
	v_add_f32_e32 v22, v23, v8
	v_ldexp_f32 v24, v22, v10
	v_rcp_f32_e32 v25, v24
	v_sub_f32_e32 v22, v22, v23
	v_sub_f32_e32 v8, v8, v22
	v_ldexp_f32 v8, v8, v10
	v_mul_f32_e32 v10, v24, v25
	v_fma_f32 v22, v25, v24, -v10
	v_fmac_f32_e32 v22, v25, v8
	v_add_f32_e32 v23, v10, v22
	v_sub_f32_e32 v26, 1.0, v23
	v_sub_f32_e32 v27, 1.0, v26
	v_sub_f32_e32 v10, v23, v10
	v_sub_f32_e32 v27, v27, v23
	;; [unrolled: 1-line block ×3, first 2 shown]
	v_add_f32_e32 v10, v10, v27
	v_add_f32_e32 v22, v26, v10
	v_mul_f32_e32 v23, v25, v22
	v_mul_f32_e32 v27, v24, v23
	v_fma_f32 v28, v23, v24, -v27
	v_fmac_f32_e32 v28, v23, v8
	v_sub_f32_e32 v26, v26, v22
	v_add_f32_e32 v10, v10, v26
	v_add_f32_e32 v26, v27, v28
	v_sub_f32_e32 v29, v22, v26
	v_sub_f32_e32 v22, v22, v29
	;; [unrolled: 1-line block ×4, first 2 shown]
	v_add_f32_e32 v10, v10, v22
	v_sub_f32_e32 v22, v27, v28
	v_add_f32_e32 v10, v22, v10
	v_add_f32_e32 v10, v29, v10
	;; [unrolled: 1-line block ×3, first 2 shown]
	v_mul_f32_e32 v10, v25, v10
	v_sub_f32_e32 v25, v22, v25
	v_sub_f32_e32 v23, v23, v25
	v_add_f32_e32 v10, v23, v10
	v_add_f32_e32 v23, v22, v10
	v_sub_f32_e32 v22, v23, v22
	v_sub_f32_e32 v10, v10, v22
	v_ldexp_f32 v22, v23, -2
	v_sub_f32_e32 v23, v24, v22
	v_sub_f32_e32 v24, v24, v23
	;; [unrolled: 1-line block ×3, first 2 shown]
	v_ldexp_f32 v10, v10, -2
	v_add_f32_e32 v8, v8, v22
	v_sub_f32_e32 v8, v8, v10
	v_add_f32_e32 v8, v23, v8
	v_cmp_ngt_f32_e64 vcc, |v6|, s31
	v_cndmask_b32_e32 v8, v20, v8, vcc
	v_cmp_lt_f32_e64 s[2:3], |v6|, s29
	v_cndmask_b32_e64 v6, v8, |v6|, s[2:3]
	v_cvt_f16_f32_e32 v6, v6
	v_mov_b32_e32 v8, s28
	v_add_co_u32_e32 v22, vcc, s27, v2
	v_bfi_b32 v6, s33, v6, v21
	v_addc_co_u32_e32 v23, vcc, v3, v8, vcc
	global_store_short v[22:23], v6, off
	s_branch .LBB128_3
.LBB128_20:
	s_cbranch_execz .LBB128_22
	s_branch .LBB128_25
.LBB128_21:
.LBB128_22:
	v_mov_b32_e32 v3, 0
	v_lshlrev_b32_e32 v2, 2, v0
	s_mov_b32 s0, 0
	v_cmp_gt_i64_e32 vcc, s[10:11], v[2:3]
	s_and_saveexec_b64 s[2:3], vcc
	s_cbranch_execz .LBB128_25
; %bb.23:
	s_load_dword s1, s[4:5], 0xd3c
	v_lshlrev_b32_e32 v1, 3, v0
	s_mov_b32 s9, 0xbf317218
	v_mov_b32_e32 v20, 0x3d2aadcc
	v_mov_b32_e32 v21, 0x3e2aaa47
	s_waitcnt lgkmcnt(0)
	s_and_b32 s1, s1, 0xffff
	s_add_u32 s2, s12, s14
	s_addc_u32 s3, s13, s15
	v_mov_b32_e32 v2, s3
	v_add_co_u32_e32 v4, vcc, s2, v1
	v_addc_co_u32_e32 v5, vcc, 0, v2, vcc
	s_lshl_b32 s4, s1, 3
	v_add_lshl_u32 v2, v0, s1, 2
	s_lshl_b32 s8, s1, 2
	s_mov_b64 s[2:3], 0
	v_mov_b32_e32 v22, 0x3efffffc
	s_mov_b32 s5, -1.0
	s_mov_b32 s12, 0x42b2d4fc
	v_mov_b32_e32 v23, 0x7f800000
	s_mov_b32 s13, 0x39800000
	s_movk_i32 s14, 0x7fff
	s_mov_b64 s[6:7], 0xffff
	v_mov_b32_e32 v24, s0
	v_mov_b32_e32 v25, s0
	;; [unrolled: 1-line block ×3, first 2 shown]
	v_mov_b32_e32 v7, -1.0
	v_mov_b32_e32 v9, 1.0
.LBB128_24:                             ; =>This Inner Loop Header: Depth=1
	global_load_dwordx2 v[10:11], v[4:5], off
	v_mov_b32_e32 v15, v1
	v_mov_b32_e32 v6, 0x3c091de6
	;; [unrolled: 1-line block ×3, first 2 shown]
	s_waitcnt vmcnt(0)
	v_cvt_f32_f16_e32 v28, v10
	v_lshrrev_b32_e32 v26, 16, v10
	v_cvt_f32_f16_e32 v29, v26
	v_cvt_f32_f16_e32 v30, v11
	v_add_f32_e64 v13, |v28|, s9
	v_sub_f32_e64 v17, v13, |v28|
	v_and_b32_e32 v0, 0x7fffffff, v28
	v_add_f32_e64 v19, |v29|, s9
	v_sub_f32_e32 v16, v17, v13
	v_sub_f32_e64 v33, v19, |v29|
	v_pk_add_f32 v[16:17], v[0:1], v[16:17]
	v_and_b32_e32 v14, 0x7fffffff, v29
	v_sub_f32_e32 v32, v33, v19
	v_sub_f32_e32 v0, v16, v17
	v_pk_add_f32 v[14:15], v[14:15], v[32:33]
	v_add_f32_e32 v0, 0x3102e308, v0
	v_sub_f32_e32 v14, v14, v15
	v_add_f32_e32 v16, v13, v0
	v_add_f32_e32 v14, 0x3102e308, v14
	v_sub_f32_e32 v13, v13, v16
	v_mul_f32_e32 v15, 0x3fb8aa3b, v16
	v_add_f32_e32 v33, v19, v14
	v_add_f32_e32 v0, v0, v13
	v_rndne_f32_e32 v13, v15
	v_sub_f32_e32 v17, v19, v33
	v_mul_f32_e32 v19, 0x3fb8aa3b, v33
	v_fmac_f32_e32 v16, 0xbf317200, v13
	v_mul_f32_e32 v35, 0x35bfbc00, v13
	v_rndne_f32_e32 v19, v19
	v_add_f32_e32 v34, v0, v16
	v_add_f32_e32 v14, v14, v17
	v_fmac_f32_e32 v33, 0xbf317200, v19
	v_sub_f32_e32 v16, v16, v34
	v_sub_f32_e32 v32, v34, v35
	v_mul_f32_e32 v36, 0x35bfbc00, v19
	v_add_f32_e32 v37, v14, v33
	v_add_f32_e32 v0, v0, v16
	v_sub_f32_e32 v16, v34, v32
	v_sub_f32_e32 v33, v33, v37
	;; [unrolled: 1-line block ×4, first 2 shown]
	v_add_f32_e32 v14, v14, v33
	v_sub_f32_e32 v33, v37, v34
	v_add_f32_e32 v0, v0, v16
	v_sub_f32_e32 v16, v33, v36
	v_add_f32_e32 v33, v32, v0
	v_mul_f32_e32 v15, 0x2ea39ef3, v13
	v_add_f32_e32 v38, v14, v16
	v_mov_b32_e32 v14, v33
	v_add_f32_e32 v35, v34, v38
	v_pk_add_f32 v[36:37], v[32:33], v[14:15] neg_lo:[0,1] neg_hi:[0,1]
	v_mul_f32_e32 v17, 0x2ea39ef3, v19
	v_mov_b32_e32 v16, v35
	v_sub_f32_e32 v14, v33, v37
	v_add_f32_e32 v0, v0, v36
	v_pk_add_f32 v[32:33], v[34:35], v[16:17] neg_lo:[0,1] neg_hi:[0,1]
	v_sub_f32_e32 v14, v14, v15
	v_sub_f32_e32 v15, v35, v33
	v_add_f32_e32 v0, v0, v14
	v_add_f32_e32 v16, v38, v32
	v_sub_f32_e32 v14, v15, v17
	v_add_f32_e32 v15, v37, v0
	v_add_f32_e32 v14, v16, v14
	v_sub_f32_e32 v16, v37, v15
	v_fmac_f32_e32 v6, 0x3ab42872, v15
	v_mul_f32_e32 v17, v15, v15
	v_add_f32_e32 v38, v33, v14
	v_add_f32_e32 v0, v0, v16
	v_fma_f32 v6, v15, v6, v20
	v_fma_f32 v16, v15, v15, -v17
	v_fmac_f32_e32 v8, 0x3ab42872, v38
	v_sub_f32_e32 v32, v33, v38
	v_add_f32_e32 v34, v0, v0
	v_mul_f32_e32 v33, v38, v38
	v_fma_f32 v6, v15, v6, v21
	v_fma_f32 v8, v38, v8, v20
	v_add_f32_e32 v39, v14, v32
	v_fmac_f32_e32 v16, v15, v34
	v_fma_f32 v40, v38, v38, -v33
	v_fma_f32 v6, v15, v6, v22
	v_fma_f32 v8, v38, v8, v21
	v_add_f32_e32 v14, v39, v39
	v_add_f32_e32 v32, v17, v16
	v_fma_f32 v41, v38, v8, v22
	v_fmac_f32_e32 v40, v38, v14
	v_sub_f32_e32 v8, v32, v17
	v_mul_f32_e32 v14, v6, v32
	v_sub_f32_e32 v8, v16, v8
	v_fma_f32 v16, v32, v6, -v14
	v_fmac_f32_e32 v16, v8, v6
	v_add_f32_e32 v8, v14, v16
	v_sub_f32_e32 v14, v8, v14
	v_add_f32_e32 v6, v15, v8
	v_sub_f32_e32 v14, v16, v14
	v_sub_f32_e32 v15, v6, v15
	;; [unrolled: 1-line block ×3, first 2 shown]
	v_add_f32_e32 v0, v0, v14
	v_add_f32_e32 v14, v0, v8
	;; [unrolled: 1-line block ×4, first 2 shown]
	v_add_f32_e32 v17, 1.0, v16
	v_sub_f32_e32 v43, v42, v33
	v_pk_add_f32 v[32:33], v[16:17], v[6:7] neg_lo:[0,1] neg_hi:[0,1]
	v_pk_add_f32 v[34:35], v[16:17], s[4:5]
	v_cvt_i32_f32_e32 v13, v13
	v_mov_b32_e32 v15, v16
	v_mov_b32_e32 v33, v35
	v_pk_add_f32 v[14:15], v[14:15], v[32:33] neg_lo:[0,1] neg_hi:[0,1]
	v_add_f32_e32 v0, v14, v15
	v_add_f32_e32 v6, v17, v0
	v_ldexp_f32 v16, v6, v13
	v_rcp_f32_e32 v33, v16
	v_sub_f32_e32 v6, v6, v17
	v_sub_f32_e32 v0, v0, v6
	v_ldexp_f32 v32, v0, v13
	v_mul_f32_e32 v14, v16, v33
	v_fma_f32 v34, v33, v16, -v14
	v_fmac_f32_e32 v34, v33, v32
	v_add_f32_e32 v8, v14, v34
	v_sub_f32_e32 v15, 1.0, v8
	v_mov_b32_e32 v35, v8
	v_pk_add_f32 v[36:37], v[8:9], v[14:15] neg_lo:[0,1] neg_hi:[0,1]
	v_pk_add_f32 v[34:35], v[36:37], v[34:35] neg_lo:[0,1] neg_hi:[0,1]
	v_add_f32_e32 v0, v34, v35
	v_add_f32_e32 v35, v15, v0
	v_mul_f32_e32 v6, v33, v35
	v_mul_f32_e32 v14, v16, v6
	v_fma_f32 v36, v6, v16, -v14
	v_fmac_f32_e32 v36, v6, v32
	v_add_f32_e32 v34, v14, v36
	v_sub_f32_e32 v8, v15, v35
	v_sub_f32_e32 v15, v35, v34
	v_mov_b32_e32 v37, v34
	v_pk_add_f32 v[34:35], v[34:35], v[14:15] neg_lo:[0,1] neg_hi:[0,1]
	v_add_f32_e32 v0, v0, v8
	v_pk_add_f32 v[34:35], v[34:35], v[36:37] neg_lo:[0,1] neg_hi:[0,1]
	v_add_f32_e32 v0, v0, v35
	v_add_f32_e32 v8, v33, v6
	;; [unrolled: 1-line block ×3, first 2 shown]
	v_sub_f32_e32 v13, v8, v33
	v_add_f32_e32 v0, v15, v0
	v_sub_f32_e32 v6, v6, v13
	v_mul_f32_e32 v0, v33, v0
	v_add_f32_e32 v0, v6, v0
	v_add_f32_e32 v6, v8, v0
	v_sub_f32_e32 v8, v6, v8
	v_sub_f32_e32 v0, v0, v8
	v_mul_f32_e32 v8, v41, v42
	v_ldexp_f32 v34, v6, -2
	v_sub_f32_e32 v6, v40, v43
	v_fma_f32 v13, v42, v41, -v8
	v_fmac_f32_e32 v13, v6, v41
	v_add_f32_e32 v14, v8, v13
	v_sub_f32_e32 v6, v14, v8
	v_sub_f32_e32 v8, v13, v6
	v_add_f32_e32 v6, v38, v14
	v_sub_f32_e32 v13, v6, v38
	v_sub_f32_e32 v13, v14, v13
	v_add_f32_e32 v8, v39, v8
	v_add_f32_e32 v14, v8, v13
	;; [unrolled: 1-line block ×3, first 2 shown]
	v_add_f32_e32 v37, 1.0, v36
	v_pk_add_f32 v[38:39], v[36:37], v[6:7] neg_lo:[0,1] neg_hi:[0,1]
	v_pk_add_f32 v[40:41], v[36:37], s[4:5]
	v_mov_b32_e32 v39, v41
	v_mov_b32_e32 v15, v36
	v_cvt_i32_f32_e32 v6, v19
	v_pk_add_f32 v[14:15], v[14:15], v[38:39] neg_lo:[0,1] neg_hi:[0,1]
	v_add_f32_e32 v8, v14, v15
	v_add_f32_e32 v13, v37, v8
	v_ldexp_f32 v17, v13, v6
	v_rcp_f32_e32 v19, v17
	v_sub_f32_e32 v13, v13, v37
	v_sub_f32_e32 v8, v8, v13
	v_ldexp_f32 v33, v8, v6
	v_mul_f32_e32 v14, v17, v19
	v_fma_f32 v36, v19, v17, -v14
	v_fmac_f32_e32 v36, v19, v33
	v_add_f32_e32 v8, v14, v36
	v_sub_f32_e32 v15, 1.0, v8
	v_pk_add_f32 v[38:39], v[8:9], v[14:15] neg_lo:[0,1] neg_hi:[0,1]
	v_mov_b32_e32 v37, v8
	v_pk_add_f32 v[36:37], v[38:39], v[36:37] neg_lo:[0,1] neg_hi:[0,1]
	v_add_f32_e32 v6, v36, v37
	v_add_f32_e32 v37, v15, v6
	v_mul_f32_e32 v8, v19, v37
	v_mul_f32_e32 v14, v17, v8
	v_fma_f32 v38, v8, v17, -v14
	v_fmac_f32_e32 v38, v8, v33
	v_add_f32_e32 v36, v14, v38
	v_sub_f32_e32 v13, v15, v37
	v_sub_f32_e32 v15, v37, v36
	v_pk_add_f32 v[40:41], v[36:37], v[14:15] neg_lo:[0,1] neg_hi:[0,1]
	v_mov_b32_e32 v39, v36
	v_add_f32_e32 v6, v6, v13
	v_pk_add_f32 v[36:37], v[40:41], v[38:39] neg_lo:[0,1] neg_hi:[0,1]
	v_add_f32_e32 v6, v6, v37
	v_add_f32_e32 v6, v36, v6
	;; [unrolled: 1-line block ×4, first 2 shown]
	v_sub_f32_e32 v14, v13, v19
	v_mul_f32_e32 v6, v19, v6
	v_sub_f32_e32 v8, v8, v14
	v_add_f32_e32 v6, v8, v6
	v_add_f32_e32 v8, v13, v6
	v_ldexp_f32 v35, v8, -2
	v_sub_f32_e32 v13, v8, v13
	v_pk_add_f32 v[14:15], v[16:17], v[34:35] neg_lo:[0,1] neg_hi:[0,1]
	v_sub_f32_e32 v6, v6, v13
	v_pk_add_f32 v[16:17], v[16:17], v[14:15] neg_lo:[0,1] neg_hi:[0,1]
	v_ldexp_f32 v38, v6, -2
	v_pk_add_f32 v[16:17], v[16:17], v[34:35] neg_lo:[0,1] neg_hi:[0,1]
	v_add_f32_e64 v6, |v30|, s9
	v_pk_add_f32 v[16:17], v[32:33], v[16:17]
	v_sub_f32_e64 v33, v6, |v30|
	v_and_b32_e32 v18, 0x7fffffff, v30
	v_sub_f32_e32 v32, v33, v6
	v_mov_b32_e32 v19, v1
	v_pk_add_f32 v[18:19], v[18:19], v[32:33]
	v_sub_f32_e32 v8, v18, v19
	v_add_f32_e32 v8, 0x3102e308, v8
	v_add_f32_e32 v13, v6, v8
	v_sub_f32_e32 v6, v6, v13
	v_add_f32_e32 v6, v8, v6
	v_mul_f32_e32 v8, 0x3fb8aa3b, v13
	v_rndne_f32_e32 v8, v8
	v_fmac_f32_e32 v13, 0xbf317200, v8
	v_add_f32_e32 v18, v6, v13
	v_sub_f32_e32 v13, v13, v18
	v_add_f32_e32 v6, v6, v13
	v_mul_f32_e32 v13, 0x35bfbc00, v8
	v_sub_f32_e32 v32, v18, v13
	v_sub_f32_e32 v18, v18, v32
	;; [unrolled: 1-line block ×3, first 2 shown]
	v_add_f32_e32 v6, v6, v13
	v_add_f32_e32 v33, v32, v6
	v_mul_f32_e32 v19, 0x2ea39ef3, v8
	v_mov_b32_e32 v18, v33
	v_pk_add_f32 v[34:35], v[32:33], v[18:19] neg_lo:[0,1] neg_hi:[0,1]
	v_sub_f32_e32 v13, v33, v35
	v_sub_f32_e32 v13, v13, v19
	v_add_f32_e32 v6, v6, v34
	v_add_f32_e32 v6, v6, v13
	;; [unrolled: 1-line block ×3, first 2 shown]
	v_sub_f32_e32 v19, v35, v13
	v_mov_b32_e32 v18, 0x3c091de6
	v_add_f32_e32 v19, v6, v19
	v_mul_f32_e32 v32, v13, v13
	v_fmac_f32_e32 v18, 0x3ab42872, v13
	v_add_f32_e32 v6, v19, v19
	v_fma_f32 v33, v13, v13, -v32
	v_fma_f32 v18, v13, v18, v20
	v_fmac_f32_e32 v33, v13, v6
	v_fma_f32 v18, v13, v18, v21
	v_add_f32_e32 v6, v32, v33
	v_fma_f32 v18, v13, v18, v22
	v_sub_f32_e32 v32, v6, v32
	v_sub_f32_e32 v32, v33, v32
	v_mul_f32_e32 v33, v18, v6
	v_fma_f32 v6, v6, v18, -v33
	v_fmac_f32_e32 v6, v32, v18
	v_add_f32_e32 v18, v33, v6
	v_sub_f32_e32 v32, v18, v33
	v_sub_f32_e32 v32, v6, v32
	v_add_f32_e32 v6, v13, v18
	v_sub_f32_e32 v13, v6, v13
	v_sub_f32_e32 v13, v18, v13
	v_add_f32_e32 v18, v19, v32
	v_add_f32_e32 v18, v18, v13
	;; [unrolled: 1-line block ×3, first 2 shown]
	v_add_f32_e32 v33, 1.0, v32
	v_pk_add_f32 v[34:35], v[32:33], v[6:7] neg_lo:[0,1] neg_hi:[0,1]
	v_pk_add_f32 v[36:37], v[32:33], s[4:5]
	v_mov_b32_e32 v35, v37
	v_mov_b32_e32 v19, v32
	v_cvt_i32_f32_e32 v6, v8
	v_pk_add_f32 v[18:19], v[18:19], v[34:35] neg_lo:[0,1] neg_hi:[0,1]
	v_add_f32_e32 v8, v18, v19
	v_add_f32_e32 v13, v33, v8
	v_ldexp_f32 v39, v13, v6
	v_rcp_f32_e32 v40, v39
	v_sub_f32_e32 v13, v13, v33
	v_sub_f32_e32 v8, v8, v13
	v_ldexp_f32 v6, v8, v6
	v_mul_f32_e32 v18, v39, v40
	v_fma_f32 v32, v40, v39, -v18
	v_fmac_f32_e32 v32, v40, v6
	v_add_f32_e32 v8, v18, v32
	v_sub_f32_e32 v19, 1.0, v8
	v_pk_add_f32 v[34:35], v[8:9], v[18:19] neg_lo:[0,1] neg_hi:[0,1]
	v_mov_b32_e32 v33, v8
	v_pk_add_f32 v[32:33], v[34:35], v[32:33] neg_lo:[0,1] neg_hi:[0,1]
	v_add_f32_e32 v8, v32, v33
	v_add_f32_e32 v33, v19, v8
	v_mul_f32_e32 v13, v40, v33
	v_mul_f32_e32 v18, v39, v13
	v_fma_f32 v34, v13, v39, -v18
	v_fmac_f32_e32 v34, v13, v6
	v_sub_f32_e32 v19, v19, v33
	v_add_f32_e32 v32, v18, v34
	v_add_f32_e32 v8, v8, v19
	v_sub_f32_e32 v19, v33, v32
	v_pk_add_f32 v[36:37], v[32:33], v[18:19] neg_lo:[0,1] neg_hi:[0,1]
	v_mov_b32_e32 v35, v32
	v_pk_add_f32 v[32:33], v[36:37], v[34:35] neg_lo:[0,1] neg_hi:[0,1]
	v_add_f32_e32 v8, v8, v33
	v_add_f32_e32 v8, v32, v8
	v_add_f32_e32 v18, v40, v13
	v_add_f32_e32 v8, v19, v8
	v_sub_f32_e32 v19, v18, v40
	v_mul_f32_e32 v8, v40, v8
	v_sub_f32_e32 v13, v13, v19
	v_add_f32_e32 v8, v13, v8
	v_lshrrev_b32_e32 v27, 16, v11
	v_add_f32_e32 v13, v18, v8
	v_cvt_f32_f16_e32 v31, v27
	v_sub_f32_e32 v18, v13, v18
	v_ldexp_f32 v13, v13, -2
	v_sub_f32_e32 v8, v8, v18
	v_sub_f32_e32 v18, v39, v13
	v_ldexp_f32 v19, v8, -2
	v_sub_f32_e32 v8, v39, v18
	v_sub_f32_e32 v8, v8, v13
	v_add_f32_e32 v39, v6, v8
	v_add_f32_e64 v6, |v31|, s9
	v_sub_f32_e64 v33, v6, |v31|
	v_and_b32_e32 v12, 0x7fffffff, v31
	v_sub_f32_e32 v32, v33, v6
	v_mov_b32_e32 v13, v1
	v_pk_add_f32 v[12:13], v[12:13], v[32:33]
	v_sub_f32_e32 v8, v12, v13
	v_add_f32_e32 v8, 0x3102e308, v8
	v_add_f32_e32 v12, v6, v8
	v_sub_f32_e32 v6, v6, v12
	v_add_f32_e32 v6, v8, v6
	v_mul_f32_e32 v8, 0x3fb8aa3b, v12
	v_rndne_f32_e32 v8, v8
	v_fmac_f32_e32 v12, 0xbf317200, v8
	v_add_f32_e32 v33, v6, v12
	v_sub_f32_e32 v12, v12, v33
	v_add_f32_e32 v6, v6, v12
	v_mul_f32_e32 v12, 0x35bfbc00, v8
	v_sub_f32_e32 v32, v33, v12
	v_sub_f32_e32 v33, v33, v32
	;; [unrolled: 1-line block ×3, first 2 shown]
	v_add_f32_e32 v6, v6, v12
	v_add_f32_e32 v33, v32, v6
	v_mul_f32_e32 v13, 0x2ea39ef3, v8
	v_mov_b32_e32 v12, v33
	v_pk_add_f32 v[34:35], v[32:33], v[12:13] neg_lo:[0,1] neg_hi:[0,1]
	v_sub_f32_e32 v12, v33, v35
	v_sub_f32_e32 v12, v12, v13
	v_add_f32_e32 v6, v6, v34
	v_add_f32_e32 v6, v6, v12
	;; [unrolled: 1-line block ×3, first 2 shown]
	v_sub_f32_e32 v32, v35, v12
	v_mov_b32_e32 v13, 0x3c091de6
	v_add_f32_e32 v32, v6, v32
	v_mul_f32_e32 v33, v12, v12
	v_fmac_f32_e32 v13, 0x3ab42872, v12
	v_add_f32_e32 v6, v32, v32
	v_fma_f32 v34, v12, v12, -v33
	v_fma_f32 v13, v12, v13, v20
	v_fmac_f32_e32 v34, v12, v6
	v_fma_f32 v13, v12, v13, v21
	v_add_f32_e32 v6, v33, v34
	v_fma_f32 v13, v12, v13, v22
	v_sub_f32_e32 v33, v6, v33
	v_sub_f32_e32 v33, v34, v33
	v_mul_f32_e32 v34, v13, v6
	v_fma_f32 v6, v6, v13, -v34
	v_fmac_f32_e32 v6, v33, v13
	v_add_f32_e32 v13, v34, v6
	v_sub_f32_e32 v33, v13, v34
	v_sub_f32_e32 v33, v6, v33
	v_add_f32_e32 v6, v12, v13
	v_sub_f32_e32 v12, v6, v12
	v_sub_f32_e32 v12, v13, v12
	v_add_f32_e32 v13, v32, v33
	v_add_f32_e32 v12, v13, v12
	;; [unrolled: 1-line block ×3, first 2 shown]
	v_add_f32_e32 v33, 1.0, v32
	v_pk_add_f32 v[34:35], v[32:33], v[6:7] neg_lo:[0,1] neg_hi:[0,1]
	v_pk_add_f32 v[36:37], v[32:33], s[4:5]
	v_mov_b32_e32 v35, v37
	v_mov_b32_e32 v13, v32
	v_cvt_i32_f32_e32 v6, v8
	v_pk_add_f32 v[12:13], v[12:13], v[34:35] neg_lo:[0,1] neg_hi:[0,1]
	v_add_f32_e32 v8, v12, v13
	v_add_f32_e32 v12, v33, v8
	v_ldexp_f32 v40, v12, v6
	v_rcp_f32_e32 v41, v40
	v_sub_f32_e32 v12, v12, v33
	v_sub_f32_e32 v8, v8, v12
	v_ldexp_f32 v6, v8, v6
	v_mul_f32_e32 v12, v40, v41
	v_fma_f32 v32, v41, v40, -v12
	v_fmac_f32_e32 v32, v41, v6
	v_add_f32_e32 v8, v12, v32
	v_sub_f32_e32 v13, 1.0, v8
	v_pk_add_f32 v[34:35], v[8:9], v[12:13] neg_lo:[0,1] neg_hi:[0,1]
	v_mov_b32_e32 v33, v8
	v_pk_add_f32 v[32:33], v[34:35], v[32:33] neg_lo:[0,1] neg_hi:[0,1]
	v_add_f32_e32 v8, v32, v33
	v_add_f32_e32 v33, v13, v8
	v_mul_f32_e32 v42, v41, v33
	v_mul_f32_e32 v12, v40, v42
	v_fma_f32 v34, v42, v40, -v12
	v_fmac_f32_e32 v34, v42, v6
	v_sub_f32_e32 v13, v13, v33
	v_add_f32_e32 v32, v12, v34
	v_add_f32_e32 v8, v8, v13
	v_sub_f32_e32 v13, v33, v32
	v_pk_add_f32 v[36:37], v[32:33], v[12:13] neg_lo:[0,1] neg_hi:[0,1]
	v_mov_b32_e32 v35, v32
	v_pk_add_f32 v[32:33], v[36:37], v[34:35] neg_lo:[0,1] neg_hi:[0,1]
	v_add_f32_e32 v8, v8, v33
	v_add_f32_e32 v8, v32, v8
	;; [unrolled: 1-line block ×4, first 2 shown]
	v_sub_f32_e32 v13, v12, v41
	v_mul_f32_e32 v8, v41, v8
	v_sub_f32_e32 v13, v42, v13
	v_add_f32_e32 v8, v13, v8
	v_add_f32_e32 v13, v12, v8
	v_ldexp_f32 v32, v13, -2
	v_ldexp_f32 v0, v0, -2
	v_sub_f32_e32 v12, v13, v12
	v_sub_f32_e32 v13, v17, v38
	;; [unrolled: 1-line block ×7, first 2 shown]
	v_ldexp_f32 v8, v8, -2
	v_add_f32_e32 v0, v6, v0
	v_pk_add_f32 v[12:13], v[12:13], v[14:15]
	v_cmp_ngt_f32_e64 vcc, |v28|, s12
	v_sub_f32_e32 v16, v39, v19
	v_sub_f32_e32 v19, v0, v8
	v_cndmask_b32_e32 v0, v23, v12, vcc
	v_cmp_ngt_f32_e64 vcc, |v29|, s12
	v_pk_add_f32 v[16:17], v[16:17], v[18:19]
	v_cndmask_b32_e32 v6, v23, v13, vcc
	v_cmp_ngt_f32_e64 vcc, |v30|, s12
	v_cndmask_b32_e32 v8, v23, v16, vcc
	v_cmp_ngt_f32_e64 vcc, |v31|, s12
	v_cndmask_b32_e32 v12, v23, v17, vcc
	v_cmp_lt_f32_e64 s[0:1], |v31|, s13
	v_cndmask_b32_e64 v12, v12, |v31|, s[0:1]
	v_cmp_lt_f32_e64 s[0:1], |v30|, s13
	v_cndmask_b32_e64 v8, v8, |v30|, s[0:1]
	;; [unrolled: 2-line block ×4, first 2 shown]
	v_cvt_f16_f32_e32 v12, v12
	v_cvt_f16_f32_e32 v8, v8
	v_cvt_f16_f32_e32 v0, v0
	v_cvt_f16_f32_e32 v6, v6
	v_bfi_b32 v12, s14, v12, v27
	v_bfi_b32 v8, s14, v8, v11
	;; [unrolled: 1-line block ×4, first 2 shown]
	v_pack_b32_f16 v11, v8, v12
	v_pack_b32_f16 v10, v0, v6
	v_cmp_le_i64_e32 vcc, s[10:11], v[2:3]
	v_cmp_lt_u64_e64 s[0:1], s[6:7], v[2:3]
	global_store_dwordx2 v[4:5], v[10:11], off
	s_or_b64 s[0:1], vcc, s[0:1]
	v_add_co_u32_e32 v4, vcc, s4, v4
	v_addc_co_u32_e32 v5, vcc, v5, v24, vcc
	s_and_b64 s[0:1], exec, s[0:1]
	v_add_co_u32_e32 v2, vcc, s8, v2
	s_or_b64 s[2:3], s[0:1], s[2:3]
	v_addc_co_u32_e32 v3, vcc, v3, v25, vcc
	s_andn2_b64 exec, exec, s[2:3]
	s_cbranch_execnz .LBB128_24
.LBB128_25:
	s_endpgm
	.section	.rodata,"a",@progbits
	.p2align	6, 0x0
	.amdhsa_kernel _ZN2at6native12_GLOBAL__N_125multi_tensor_apply_kernelINS1_18TensorListMetadataILi1EEENS1_14UnaryOpFunctorIN3c104HalfELi1ELi1ELi0EEEJNS0_4SinhIfEEEEEvT_T0_DpT1_
		.amdhsa_group_segment_fixed_size 0
		.amdhsa_private_segment_fixed_size 0
		.amdhsa_kernarg_size 3632
		.amdhsa_user_sgpr_count 6
		.amdhsa_user_sgpr_private_segment_buffer 1
		.amdhsa_user_sgpr_dispatch_ptr 0
		.amdhsa_user_sgpr_queue_ptr 0
		.amdhsa_user_sgpr_kernarg_segment_ptr 1
		.amdhsa_user_sgpr_dispatch_id 0
		.amdhsa_user_sgpr_flat_scratch_init 0
		.amdhsa_user_sgpr_kernarg_preload_length 0
		.amdhsa_user_sgpr_kernarg_preload_offset 0
		.amdhsa_user_sgpr_private_segment_size 0
		.amdhsa_uses_dynamic_stack 0
		.amdhsa_system_sgpr_private_segment_wavefront_offset 0
		.amdhsa_system_sgpr_workgroup_id_x 1
		.amdhsa_system_sgpr_workgroup_id_y 0
		.amdhsa_system_sgpr_workgroup_id_z 0
		.amdhsa_system_sgpr_workgroup_info 0
		.amdhsa_system_vgpr_workitem_id 0
		.amdhsa_next_free_vgpr 44
		.amdhsa_next_free_sgpr 34
		.amdhsa_accum_offset 44
		.amdhsa_reserve_vcc 1
		.amdhsa_reserve_flat_scratch 0
		.amdhsa_float_round_mode_32 0
		.amdhsa_float_round_mode_16_64 0
		.amdhsa_float_denorm_mode_32 3
		.amdhsa_float_denorm_mode_16_64 3
		.amdhsa_dx10_clamp 1
		.amdhsa_ieee_mode 1
		.amdhsa_fp16_overflow 0
		.amdhsa_tg_split 0
		.amdhsa_exception_fp_ieee_invalid_op 0
		.amdhsa_exception_fp_denorm_src 0
		.amdhsa_exception_fp_ieee_div_zero 0
		.amdhsa_exception_fp_ieee_overflow 0
		.amdhsa_exception_fp_ieee_underflow 0
		.amdhsa_exception_fp_ieee_inexact 0
		.amdhsa_exception_int_div_zero 0
	.end_amdhsa_kernel
	.section	.text._ZN2at6native12_GLOBAL__N_125multi_tensor_apply_kernelINS1_18TensorListMetadataILi1EEENS1_14UnaryOpFunctorIN3c104HalfELi1ELi1ELi0EEEJNS0_4SinhIfEEEEEvT_T0_DpT1_,"axG",@progbits,_ZN2at6native12_GLOBAL__N_125multi_tensor_apply_kernelINS1_18TensorListMetadataILi1EEENS1_14UnaryOpFunctorIN3c104HalfELi1ELi1ELi0EEEJNS0_4SinhIfEEEEEvT_T0_DpT1_,comdat
.Lfunc_end128:
	.size	_ZN2at6native12_GLOBAL__N_125multi_tensor_apply_kernelINS1_18TensorListMetadataILi1EEENS1_14UnaryOpFunctorIN3c104HalfELi1ELi1ELi0EEEJNS0_4SinhIfEEEEEvT_T0_DpT1_, .Lfunc_end128-_ZN2at6native12_GLOBAL__N_125multi_tensor_apply_kernelINS1_18TensorListMetadataILi1EEENS1_14UnaryOpFunctorIN3c104HalfELi1ELi1ELi0EEEJNS0_4SinhIfEEEEEvT_T0_DpT1_
                                        ; -- End function
	.section	.AMDGPU.csdata,"",@progbits
; Kernel info:
; codeLenInByte = 5912
; NumSgprs: 38
; NumVgprs: 44
; NumAgprs: 0
; TotalNumVgprs: 44
; ScratchSize: 0
; MemoryBound: 0
; FloatMode: 240
; IeeeMode: 1
; LDSByteSize: 0 bytes/workgroup (compile time only)
; SGPRBlocks: 4
; VGPRBlocks: 5
; NumSGPRsForWavesPerEU: 38
; NumVGPRsForWavesPerEU: 44
; AccumOffset: 44
; Occupancy: 8
; WaveLimiterHint : 0
; COMPUTE_PGM_RSRC2:SCRATCH_EN: 0
; COMPUTE_PGM_RSRC2:USER_SGPR: 6
; COMPUTE_PGM_RSRC2:TRAP_HANDLER: 0
; COMPUTE_PGM_RSRC2:TGID_X_EN: 1
; COMPUTE_PGM_RSRC2:TGID_Y_EN: 0
; COMPUTE_PGM_RSRC2:TGID_Z_EN: 0
; COMPUTE_PGM_RSRC2:TIDIG_COMP_CNT: 0
; COMPUTE_PGM_RSRC3_GFX90A:ACCUM_OFFSET: 10
; COMPUTE_PGM_RSRC3_GFX90A:TG_SPLIT: 0
	.section	.text._ZN2at6native12_GLOBAL__N_125multi_tensor_apply_kernelINS1_18TensorListMetadataILi1EEENS1_14UnaryOpFunctorIN3c108BFloat16ELi1ELi1ELi0EEEJNS0_4SinhIfEEEEEvT_T0_DpT1_,"axG",@progbits,_ZN2at6native12_GLOBAL__N_125multi_tensor_apply_kernelINS1_18TensorListMetadataILi1EEENS1_14UnaryOpFunctorIN3c108BFloat16ELi1ELi1ELi0EEEJNS0_4SinhIfEEEEEvT_T0_DpT1_,comdat
	.globl	_ZN2at6native12_GLOBAL__N_125multi_tensor_apply_kernelINS1_18TensorListMetadataILi1EEENS1_14UnaryOpFunctorIN3c108BFloat16ELi1ELi1ELi0EEEJNS0_4SinhIfEEEEEvT_T0_DpT1_ ; -- Begin function _ZN2at6native12_GLOBAL__N_125multi_tensor_apply_kernelINS1_18TensorListMetadataILi1EEENS1_14UnaryOpFunctorIN3c108BFloat16ELi1ELi1ELi0EEEJNS0_4SinhIfEEEEEvT_T0_DpT1_
	.p2align	8
	.type	_ZN2at6native12_GLOBAL__N_125multi_tensor_apply_kernelINS1_18TensorListMetadataILi1EEENS1_14UnaryOpFunctorIN3c108BFloat16ELi1ELi1ELi0EEEJNS0_4SinhIfEEEEEvT_T0_DpT1_,@function
_ZN2at6native12_GLOBAL__N_125multi_tensor_apply_kernelINS1_18TensorListMetadataILi1EEENS1_14UnaryOpFunctorIN3c108BFloat16ELi1ELi1ELi0EEEJNS0_4SinhIfEEEEEvT_T0_DpT1_: ; @_ZN2at6native12_GLOBAL__N_125multi_tensor_apply_kernelINS1_18TensorListMetadataILi1EEENS1_14UnaryOpFunctorIN3c108BFloat16ELi1ELi1ELi0EEEJNS0_4SinhIfEEEEEvT_T0_DpT1_
; %bb.0:
	v_mov_b32_e32 v1, s6
	global_load_ubyte v1, v1, s[4:5] offset:1760
	s_add_u32 s0, s4, s6
	s_mul_hi_u32 s1, s6, 3
	s_mul_i32 s6, s6, 3
	s_addc_u32 s2, s5, 0
	s_add_u32 s0, s0, s6
	s_addc_u32 s1, s2, s1
	s_load_dword s0, s[0:1], 0x820
	s_mov_b32 s7, 0
	s_waitcnt vmcnt(0)
	v_readfirstlane_b32 s2, v1
	s_lshl_b32 s1, s2, 3
	s_load_dwordx2 s[2:3], s[4:5], s1 offset:0x370
	s_load_dwordx2 s[12:13], s[4:5], s1 offset:0x0
	s_waitcnt lgkmcnt(0)
	s_ashr_i32 s1, s0, 31
	s_lshl_b64 s[14:15], s[0:1], 17
	s_lshl_b64 s[0:1], s[0:1], 16
	s_and_b32 s6, s12, 7
	s_sub_u32 s10, s2, s0
	s_subb_u32 s11, s3, s1
	s_and_b32 s0, s2, 3
	s_mov_b32 s1, s7
	s_or_b64 s[0:1], s[6:7], s[0:1]
	s_cmp_eq_u64 s[0:1], 0
	s_cbranch_scc1 .LBB129_21
; %bb.1:
	v_cmp_lt_i64_e64 s[0:1], s[10:11], 1
	s_and_b64 vcc, exec, s[0:1]
	s_cbranch_vccnz .LBB129_20
; %bb.2:
	s_load_dword s0, s[4:5], 0xd3c
	v_mov_b32_e32 v2, 0x10000
	v_mov_b32_e32 v3, 0
	v_cmp_lt_u64_e32 vcc, s[10:11], v[2:3]
	v_lshlrev_b32_e32 v1, 1, v0
	s_waitcnt lgkmcnt(0)
	s_and_b32 s2, s0, 0xffff
	s_and_b64 s[0:1], vcc, exec
	s_cselect_b32 s17, s11, 0
	s_cselect_b32 s16, s10, 0x10000
	s_lshl_b32 s3, s2, 1
	s_lshl_b32 s24, s2, 2
	s_add_u32 s6, s12, s14
	s_addc_u32 s7, s13, s15
	v_mov_b32_e32 v3, s7
	v_add_co_u32_e32 v2, vcc, s6, v1
	s_mul_i32 s0, s2, 3
	v_addc_co_u32_e32 v3, vcc, 0, v3, vcc
	v_add_co_u32_e32 v1, vcc, s0, v0
	v_addc_co_u32_e64 v12, s[0:1], 0, 0, vcc
	v_add_co_u32_e32 v13, vcc, s3, v0
	v_addc_co_u32_e64 v14, s[0:1], 0, 0, vcc
	v_add_co_u32_e32 v15, vcc, s2, v0
	v_lshlrev_b32_e32 v4, 1, v15
	s_mov_b32 s20, 0
	v_addc_co_u32_e64 v16, s[0:1], 0, 0, vcc
	v_mov_b32_e32 v5, s7
	v_add_co_u32_e32 v4, vcc, s6, v4
	s_lshl_b32 s25, s2, 3
	s_mov_b32 s26, s20
	s_mul_i32 s27, s2, 6
	s_mov_b32 s28, s20
	v_addc_co_u32_e32 v5, vcc, 0, v5, vcc
	s_mov_b64 s[18:19], 0
	s_brev_b32 s29, -2
	s_mov_b32 s30, 0x39800000
	s_mov_b32 s31, 0xbf317218
	v_mov_b32_e32 v7, 0x3f317218
	v_mov_b32_e32 v17, 0x3d2aadcc
	;; [unrolled: 1-line block ×4, first 2 shown]
	s_mov_b32 s21, -1.0
	s_mov_b32 s33, 0x42b2d4fc
	s_movk_i32 s34, 0x7fff
	v_mov_b32_e32 v9, -1.0
	v_mov_b32_e32 v11, 1.0
	v_mov_b32_e32 v20, 0x7f800000
	v_mov_b32_e32 v21, 0x7fc0
	s_branch .LBB129_4
.LBB129_3:                              ;   in Loop: Header=BB129_4 Depth=1
	s_or_b64 exec, exec, s[0:1]
	s_add_u32 s18, s18, s24
	s_addc_u32 s19, s19, 0
	s_waitcnt vmcnt(0)
	v_pk_mov_b32 v[22:23], s[10:11], s[10:11] op_sel:[0,1]
	v_cmp_lt_i64_e32 vcc, s[18:19], v[22:23]
	v_mov_b32_e32 v22, 0x10000
	v_mov_b32_e32 v23, 0
	v_cmp_lt_u64_e64 s[0:1], s[18:19], v[22:23]
	s_and_b64 s[0:1], vcc, s[0:1]
	v_mov_b32_e32 v6, s26
	v_add_co_u32_e32 v2, vcc, s25, v2
	v_addc_co_u32_e32 v3, vcc, v3, v6, vcc
	v_add_co_u32_e32 v4, vcc, s25, v4
	v_addc_co_u32_e32 v5, vcc, v5, v6, vcc
	s_and_b64 vcc, exec, s[0:1]
	s_cbranch_vccz .LBB129_20
.LBB129_4:                              ; =>This Inner Loop Header: Depth=1
	v_mov_b32_e32 v6, s19
	v_add_co_u32_e32 v22, vcc, s18, v0
	v_addc_co_u32_e32 v23, vcc, 0, v6, vcc
	v_cmp_gt_u64_e64 s[6:7], s[16:17], v[22:23]
	v_mov_b32_e32 v6, 0
	s_and_saveexec_b64 s[0:1], s[6:7]
	s_cbranch_execz .LBB129_6
; %bb.5:                                ;   in Loop: Header=BB129_4 Depth=1
	global_load_ushort v6, v[2:3], off
.LBB129_6:                              ;   in Loop: Header=BB129_4 Depth=1
	s_or_b64 exec, exec, s[0:1]
	v_mov_b32_e32 v8, s19
	v_add_co_u32_e32 v22, vcc, s18, v15
	v_addc_co_u32_e32 v23, vcc, v16, v8, vcc
	v_cmp_gt_u64_e64 s[2:3], s[16:17], v[22:23]
	v_mov_b32_e32 v24, 0
	s_and_saveexec_b64 s[0:1], s[2:3]
	s_cbranch_execz .LBB129_8
; %bb.7:                                ;   in Loop: Header=BB129_4 Depth=1
	global_load_ushort v24, v[4:5], off
.LBB129_8:                              ;   in Loop: Header=BB129_4 Depth=1
	s_or_b64 exec, exec, s[0:1]
	v_mov_b32_e32 v8, s19
	v_add_co_u32_e32 v22, vcc, s18, v13
	v_addc_co_u32_e32 v23, vcc, v14, v8, vcc
	v_cmp_gt_u64_e64 s[0:1], s[16:17], v[22:23]
	v_mov_b32_e32 v22, 0
	v_mov_b32_e32 v23, 0
	s_and_saveexec_b64 s[8:9], s[0:1]
	s_cbranch_execz .LBB129_10
; %bb.9:                                ;   in Loop: Header=BB129_4 Depth=1
	v_mov_b32_e32 v8, s20
	v_add_co_u32_e32 v26, vcc, s24, v2
	v_addc_co_u32_e32 v27, vcc, v3, v8, vcc
	global_load_ushort v23, v[26:27], off
.LBB129_10:                             ;   in Loop: Header=BB129_4 Depth=1
	s_or_b64 exec, exec, s[8:9]
	v_mov_b32_e32 v8, s19
	v_add_co_u32_e32 v26, vcc, s18, v1
	v_addc_co_u32_e32 v27, vcc, v12, v8, vcc
	v_cmp_gt_u64_e32 vcc, s[16:17], v[26:27]
	s_and_saveexec_b64 s[22:23], vcc
	s_cbranch_execnz .LBB129_15
; %bb.11:                               ;   in Loop: Header=BB129_4 Depth=1
	s_or_b64 exec, exec, s[22:23]
	s_and_saveexec_b64 s[8:9], s[6:7]
	s_cbranch_execnz .LBB129_16
.LBB129_12:                             ;   in Loop: Header=BB129_4 Depth=1
	s_or_b64 exec, exec, s[8:9]
	s_and_saveexec_b64 s[6:7], s[2:3]
	s_cbranch_execnz .LBB129_17
.LBB129_13:                             ;   in Loop: Header=BB129_4 Depth=1
	s_or_b64 exec, exec, s[6:7]
	s_and_saveexec_b64 s[2:3], s[0:1]
	s_cbranch_execnz .LBB129_18
.LBB129_14:                             ;   in Loop: Header=BB129_4 Depth=1
	s_or_b64 exec, exec, s[2:3]
	s_and_saveexec_b64 s[0:1], vcc
	s_cbranch_execz .LBB129_3
	s_branch .LBB129_19
.LBB129_15:                             ;   in Loop: Header=BB129_4 Depth=1
	v_mov_b32_e32 v8, s28
	v_add_co_u32_e64 v26, s[8:9], s27, v2
	v_addc_co_u32_e64 v27, s[8:9], v3, v8, s[8:9]
	global_load_ushort v22, v[26:27], off
	s_or_b64 exec, exec, s[22:23]
	s_and_saveexec_b64 s[8:9], s[6:7]
	s_cbranch_execz .LBB129_12
.LBB129_16:                             ;   in Loop: Header=BB129_4 Depth=1
	s_waitcnt vmcnt(0)
	v_lshlrev_b32_e32 v25, 16, v6
	v_add_f32_e64 v8, |v25|, s31
	v_sub_f32_e64 v27, v8, |v25|
	v_and_b32_e32 v6, 0x7fffffff, v25
	v_sub_f32_e32 v26, v27, v8
	v_pk_add_f32 v[26:27], v[6:7], v[26:27]
	v_sub_f32_e32 v6, v26, v27
	v_add_f32_e32 v6, 0x3102e308, v6
	v_add_f32_e32 v10, v8, v6
	v_sub_f32_e32 v8, v8, v10
	v_add_f32_e32 v6, v6, v8
	v_mul_f32_e32 v8, 0x3fb8aa3b, v10
	v_rndne_f32_e32 v34, v8
	v_fmac_f32_e32 v10, 0xbf317200, v34
	v_add_f32_e32 v8, v6, v10
	v_mul_f32_e32 v26, 0x35bfbc00, v34
	v_sub_f32_e32 v28, v8, v26
	v_sub_f32_e32 v10, v10, v8
	;; [unrolled: 1-line block ×3, first 2 shown]
	v_add_f32_e32 v6, v6, v10
	v_sub_f32_e32 v8, v8, v26
	v_add_f32_e32 v6, v6, v8
	v_add_f32_e32 v29, v28, v6
	v_mul_f32_e32 v27, 0x2ea39ef3, v34
	v_mov_b32_e32 v26, v29
	v_pk_add_f32 v[30:31], v[28:29], v[26:27] neg_lo:[0,1] neg_hi:[0,1]
	v_sub_f32_e32 v8, v29, v31
	v_sub_f32_e32 v8, v8, v27
	v_add_f32_e32 v6, v6, v30
	v_add_f32_e32 v6, v6, v8
	;; [unrolled: 1-line block ×3, first 2 shown]
	v_mov_b32_e32 v8, 0x3c091de6
	v_sub_f32_e32 v27, v31, v10
	v_fmac_f32_e32 v8, 0x3ab42872, v10
	v_mul_f32_e32 v26, v10, v10
	v_add_f32_e32 v6, v6, v27
	v_fma_f32 v8, v10, v8, v17
	v_add_f32_e32 v27, v6, v6
	v_fma_f32 v28, v10, v10, -v26
	v_fma_f32 v8, v10, v8, v18
	v_fmac_f32_e32 v28, v10, v27
	v_fma_f32 v8, v10, v8, v19
	v_add_f32_e32 v27, v26, v28
	v_mul_f32_e32 v29, v8, v27
	v_sub_f32_e32 v26, v27, v26
	v_sub_f32_e32 v26, v28, v26
	v_fma_f32 v27, v27, v8, -v29
	v_fmac_f32_e32 v27, v26, v8
	v_add_f32_e32 v26, v29, v27
	v_add_f32_e32 v8, v10, v26
	v_sub_f32_e32 v28, v26, v29
	v_sub_f32_e32 v27, v27, v28
	;; [unrolled: 1-line block ×3, first 2 shown]
	v_add_f32_e32 v6, v6, v27
	v_sub_f32_e32 v10, v26, v10
	v_add_f32_e32 v26, v6, v10
	v_add_f32_e32 v28, v8, v26
	v_add_f32_e32 v29, 1.0, v28
	v_pk_add_f32 v[30:31], v[28:29], v[8:9] neg_lo:[0,1] neg_hi:[0,1]
	v_pk_add_f32 v[32:33], v[28:29], s[20:21]
	v_mov_b32_e32 v31, v33
	v_mov_b32_e32 v27, v28
	v_cvt_i32_f32_e32 v6, v34
	v_pk_add_f32 v[26:27], v[26:27], v[30:31] neg_lo:[0,1] neg_hi:[0,1]
	v_add_f32_e32 v8, v26, v27
	v_add_f32_e32 v10, v29, v8
	v_ldexp_f32 v34, v10, v6
	v_rcp_f32_e32 v35, v34
	v_sub_f32_e32 v10, v10, v29
	v_sub_f32_e32 v8, v8, v10
	v_ldexp_f32 v6, v8, v6
	v_mul_f32_e32 v26, v34, v35
	v_fma_f32 v28, v35, v34, -v26
	v_fmac_f32_e32 v28, v35, v6
	v_add_f32_e32 v10, v26, v28
	v_sub_f32_e32 v27, 1.0, v10
	v_pk_add_f32 v[30:31], v[10:11], v[26:27] neg_lo:[0,1] neg_hi:[0,1]
	v_mov_b32_e32 v29, v10
	v_pk_add_f32 v[28:29], v[30:31], v[28:29] neg_lo:[0,1] neg_hi:[0,1]
	v_add_f32_e32 v8, v28, v29
	v_add_f32_e32 v29, v27, v8
	v_mul_f32_e32 v10, v35, v29
	v_add_f32_e32 v36, v35, v10
	v_sub_f32_e32 v26, v36, v35
	v_mul_f32_e32 v30, v34, v10
	v_sub_f32_e32 v37, v10, v26
	v_fma_f32 v26, v10, v34, -v30
	v_fmac_f32_e32 v26, v10, v6
	v_add_f32_e32 v28, v30, v26
	v_sub_f32_e32 v31, v29, v28
	v_sub_f32_e32 v10, v27, v29
	v_pk_add_f32 v[32:33], v[28:29], v[30:31] neg_lo:[0,1] neg_hi:[0,1]
	v_mov_b32_e32 v27, v28
	v_add_f32_e32 v8, v8, v10
	v_pk_add_f32 v[26:27], v[32:33], v[26:27] neg_lo:[0,1] neg_hi:[0,1]
	v_add_f32_e32 v8, v8, v27
	v_add_f32_e32 v8, v26, v8
	v_add_f32_e32 v8, v31, v8
	v_mul_f32_e32 v8, v35, v8
	v_add_f32_e32 v8, v37, v8
	v_add_f32_e32 v10, v36, v8
	v_ldexp_f32 v26, v10, -2
	v_sub_f32_e32 v27, v34, v26
	v_sub_f32_e32 v28, v34, v27
	;; [unrolled: 1-line block ×5, first 2 shown]
	v_add_f32_e32 v6, v6, v26
	v_ldexp_f32 v8, v8, -2
	v_sub_f32_e32 v6, v6, v8
	v_add_f32_e32 v6, v27, v6
	v_cmp_ngt_f32_e64 s[6:7], |v25|, s33
	v_cndmask_b32_e64 v6, v20, v6, s[6:7]
	v_cmp_lt_f32_e64 s[6:7], |v25|, s30
	v_cndmask_b32_e64 v6, v6, |v25|, s[6:7]
	v_bfi_b32 v6, s29, v6, v25
	v_bfe_u32 v8, v6, 16, 1
	v_add3_u32 v8, v6, v8, s34
	v_lshrrev_b32_e32 v8, 16, v8
	v_cmp_o_f32_e64 s[6:7], v6, v6
	v_cndmask_b32_e64 v6, v21, v8, s[6:7]
	global_store_short v[2:3], v6, off
	s_or_b64 exec, exec, s[8:9]
	s_and_saveexec_b64 s[6:7], s[2:3]
	s_cbranch_execz .LBB129_13
.LBB129_17:                             ;   in Loop: Header=BB129_4 Depth=1
	s_waitcnt vmcnt(0)
	v_lshlrev_b32_e32 v32, 16, v24
	v_add_f32_e64 v8, |v32|, s31
	v_sub_f32_e64 v25, v8, |v32|
	v_and_b32_e32 v6, 0x7fffffff, v32
	v_sub_f32_e32 v24, v25, v8
	v_pk_add_f32 v[24:25], v[6:7], v[24:25]
	v_sub_f32_e32 v6, v24, v25
	v_add_f32_e32 v6, 0x3102e308, v6
	v_add_f32_e32 v10, v8, v6
	v_sub_f32_e32 v8, v8, v10
	v_add_f32_e32 v6, v6, v8
	v_mul_f32_e32 v8, 0x3fb8aa3b, v10
	v_rndne_f32_e32 v33, v8
	v_fmac_f32_e32 v10, 0xbf317200, v33
	v_add_f32_e32 v8, v6, v10
	v_sub_f32_e32 v10, v10, v8
	v_add_f32_e32 v6, v6, v10
	v_mul_f32_e32 v10, 0x35bfbc00, v33
	v_sub_f32_e32 v26, v8, v10
	v_sub_f32_e32 v8, v8, v26
	;; [unrolled: 1-line block ×3, first 2 shown]
	v_add_f32_e32 v6, v6, v8
	v_add_f32_e32 v27, v26, v6
	v_mul_f32_e32 v25, 0x2ea39ef3, v33
	v_mov_b32_e32 v24, v27
	v_pk_add_f32 v[28:29], v[26:27], v[24:25] neg_lo:[0,1] neg_hi:[0,1]
	v_sub_f32_e32 v8, v27, v29
	v_sub_f32_e32 v8, v8, v25
	v_add_f32_e32 v6, v6, v28
	v_add_f32_e32 v6, v6, v8
	;; [unrolled: 1-line block ×3, first 2 shown]
	v_sub_f32_e32 v24, v29, v10
	v_mov_b32_e32 v8, 0x3c091de6
	v_add_f32_e32 v6, v6, v24
	v_mul_f32_e32 v25, v10, v10
	v_fmac_f32_e32 v8, 0x3ab42872, v10
	v_add_f32_e32 v24, v6, v6
	v_fma_f32 v26, v10, v10, -v25
	v_fma_f32 v8, v10, v8, v17
	v_fmac_f32_e32 v26, v10, v24
	v_fma_f32 v8, v10, v8, v18
	v_add_f32_e32 v24, v25, v26
	v_fma_f32 v8, v10, v8, v19
	v_sub_f32_e32 v25, v24, v25
	v_sub_f32_e32 v25, v26, v25
	v_mul_f32_e32 v26, v8, v24
	v_fma_f32 v24, v24, v8, -v26
	v_fmac_f32_e32 v24, v25, v8
	v_add_f32_e32 v25, v26, v24
	v_sub_f32_e32 v8, v25, v26
	v_sub_f32_e32 v24, v24, v8
	v_add_f32_e32 v8, v10, v25
	v_sub_f32_e32 v10, v8, v10
	v_sub_f32_e32 v10, v25, v10
	v_add_f32_e32 v6, v6, v24
	v_add_f32_e32 v24, v6, v10
	;; [unrolled: 1-line block ×3, first 2 shown]
	v_add_f32_e32 v27, 1.0, v26
	v_pk_add_f32 v[28:29], v[26:27], v[8:9] neg_lo:[0,1] neg_hi:[0,1]
	v_pk_add_f32 v[30:31], v[26:27], s[20:21]
	v_mov_b32_e32 v29, v31
	v_mov_b32_e32 v25, v26
	v_cvt_i32_f32_e32 v6, v33
	v_pk_add_f32 v[24:25], v[24:25], v[28:29] neg_lo:[0,1] neg_hi:[0,1]
	v_add_f32_e32 v8, v24, v25
	v_add_f32_e32 v10, v27, v8
	v_ldexp_f32 v33, v10, v6
	v_rcp_f32_e32 v34, v33
	v_sub_f32_e32 v10, v10, v27
	v_sub_f32_e32 v8, v8, v10
	v_ldexp_f32 v6, v8, v6
	v_mul_f32_e32 v24, v33, v34
	v_fma_f32 v26, v34, v33, -v24
	v_fmac_f32_e32 v26, v34, v6
	v_add_f32_e32 v10, v24, v26
	v_sub_f32_e32 v25, 1.0, v10
	v_pk_add_f32 v[28:29], v[10:11], v[24:25] neg_lo:[0,1] neg_hi:[0,1]
	v_mov_b32_e32 v27, v10
	v_pk_add_f32 v[26:27], v[28:29], v[26:27] neg_lo:[0,1] neg_hi:[0,1]
	v_add_f32_e32 v8, v26, v27
	v_add_f32_e32 v27, v25, v8
	v_mul_f32_e32 v10, v34, v27
	v_mul_f32_e32 v24, v33, v10
	v_fma_f32 v28, v10, v33, -v24
	v_fmac_f32_e32 v28, v10, v6
	v_sub_f32_e32 v25, v25, v27
	v_add_f32_e32 v26, v24, v28
	v_add_f32_e32 v8, v8, v25
	v_sub_f32_e32 v25, v27, v26
	v_pk_add_f32 v[30:31], v[26:27], v[24:25] neg_lo:[0,1] neg_hi:[0,1]
	v_mov_b32_e32 v29, v26
	v_pk_add_f32 v[26:27], v[30:31], v[28:29] neg_lo:[0,1] neg_hi:[0,1]
	v_add_f32_e32 v8, v8, v27
	v_add_f32_e32 v8, v26, v8
	;; [unrolled: 1-line block ×4, first 2 shown]
	v_sub_f32_e32 v25, v24, v34
	v_mul_f32_e32 v8, v34, v8
	v_sub_f32_e32 v10, v10, v25
	v_add_f32_e32 v8, v10, v8
	v_add_f32_e32 v10, v24, v8
	v_sub_f32_e32 v24, v10, v24
	v_ldexp_f32 v10, v10, -2
	v_sub_f32_e32 v8, v8, v24
	v_sub_f32_e32 v24, v33, v10
	;; [unrolled: 1-line block ×4, first 2 shown]
	v_ldexp_f32 v8, v8, -2
	v_add_f32_e32 v6, v6, v10
	v_sub_f32_e32 v6, v6, v8
	v_add_f32_e32 v6, v24, v6
	v_cmp_ngt_f32_e64 s[2:3], |v32|, s33
	v_cndmask_b32_e64 v6, v20, v6, s[2:3]
	v_cmp_lt_f32_e64 s[2:3], |v32|, s30
	v_cndmask_b32_e64 v6, v6, |v32|, s[2:3]
	v_bfi_b32 v6, s29, v6, v32
	v_bfe_u32 v8, v6, 16, 1
	v_add3_u32 v8, v6, v8, s34
	v_lshrrev_b32_e32 v8, 16, v8
	v_cmp_o_f32_e64 s[2:3], v6, v6
	v_cndmask_b32_e64 v6, v21, v8, s[2:3]
	global_store_short v[4:5], v6, off
	s_or_b64 exec, exec, s[6:7]
	s_and_saveexec_b64 s[2:3], s[0:1]
	s_cbranch_execz .LBB129_14
.LBB129_18:                             ;   in Loop: Header=BB129_4 Depth=1
	s_waitcnt vmcnt(0)
	v_lshlrev_b32_e32 v23, 16, v23
	v_add_f32_e64 v8, |v23|, s31
	v_sub_f32_e64 v25, v8, |v23|
	v_and_b32_e32 v6, 0x7fffffff, v23
	v_sub_f32_e32 v24, v25, v8
	v_pk_add_f32 v[24:25], v[6:7], v[24:25]
	v_sub_f32_e32 v6, v24, v25
	v_add_f32_e32 v6, 0x3102e308, v6
	v_add_f32_e32 v10, v8, v6
	v_sub_f32_e32 v8, v8, v10
	v_add_f32_e32 v6, v6, v8
	v_mul_f32_e32 v8, 0x3fb8aa3b, v10
	v_rndne_f32_e32 v32, v8
	v_fmac_f32_e32 v10, 0xbf317200, v32
	v_add_f32_e32 v8, v6, v10
	v_sub_f32_e32 v10, v10, v8
	v_add_f32_e32 v6, v6, v10
	v_mul_f32_e32 v10, 0x35bfbc00, v32
	v_sub_f32_e32 v26, v8, v10
	v_sub_f32_e32 v8, v8, v26
	;; [unrolled: 1-line block ×3, first 2 shown]
	v_add_f32_e32 v6, v6, v8
	v_add_f32_e32 v27, v26, v6
	v_mul_f32_e32 v25, 0x2ea39ef3, v32
	v_mov_b32_e32 v24, v27
	v_pk_add_f32 v[28:29], v[26:27], v[24:25] neg_lo:[0,1] neg_hi:[0,1]
	v_sub_f32_e32 v8, v27, v29
	v_sub_f32_e32 v8, v8, v25
	v_add_f32_e32 v6, v6, v28
	v_add_f32_e32 v6, v6, v8
	;; [unrolled: 1-line block ×3, first 2 shown]
	v_sub_f32_e32 v24, v29, v10
	v_mov_b32_e32 v8, 0x3c091de6
	v_add_f32_e32 v6, v6, v24
	v_mul_f32_e32 v25, v10, v10
	v_fmac_f32_e32 v8, 0x3ab42872, v10
	v_add_f32_e32 v24, v6, v6
	v_fma_f32 v26, v10, v10, -v25
	v_fma_f32 v8, v10, v8, v17
	v_fmac_f32_e32 v26, v10, v24
	v_fma_f32 v8, v10, v8, v18
	v_add_f32_e32 v24, v25, v26
	v_fma_f32 v8, v10, v8, v19
	v_sub_f32_e32 v25, v24, v25
	v_sub_f32_e32 v25, v26, v25
	v_mul_f32_e32 v26, v8, v24
	v_fma_f32 v24, v24, v8, -v26
	v_fmac_f32_e32 v24, v25, v8
	v_add_f32_e32 v25, v26, v24
	v_sub_f32_e32 v8, v25, v26
	v_sub_f32_e32 v24, v24, v8
	v_add_f32_e32 v8, v10, v25
	v_sub_f32_e32 v10, v8, v10
	v_sub_f32_e32 v10, v25, v10
	v_add_f32_e32 v6, v6, v24
	v_add_f32_e32 v24, v6, v10
	;; [unrolled: 1-line block ×3, first 2 shown]
	v_add_f32_e32 v27, 1.0, v26
	v_pk_add_f32 v[28:29], v[26:27], v[8:9] neg_lo:[0,1] neg_hi:[0,1]
	v_pk_add_f32 v[30:31], v[26:27], s[20:21]
	v_mov_b32_e32 v29, v31
	v_mov_b32_e32 v25, v26
	v_cvt_i32_f32_e32 v6, v32
	v_pk_add_f32 v[24:25], v[24:25], v[28:29] neg_lo:[0,1] neg_hi:[0,1]
	v_add_f32_e32 v8, v24, v25
	v_add_f32_e32 v10, v27, v8
	v_ldexp_f32 v32, v10, v6
	v_rcp_f32_e32 v33, v32
	v_sub_f32_e32 v10, v10, v27
	v_sub_f32_e32 v8, v8, v10
	v_ldexp_f32 v6, v8, v6
	v_mul_f32_e32 v24, v32, v33
	v_fma_f32 v26, v33, v32, -v24
	v_fmac_f32_e32 v26, v33, v6
	v_add_f32_e32 v10, v24, v26
	v_sub_f32_e32 v25, 1.0, v10
	v_pk_add_f32 v[28:29], v[10:11], v[24:25] neg_lo:[0,1] neg_hi:[0,1]
	v_mov_b32_e32 v27, v10
	v_pk_add_f32 v[26:27], v[28:29], v[26:27] neg_lo:[0,1] neg_hi:[0,1]
	v_add_f32_e32 v8, v26, v27
	v_add_f32_e32 v27, v25, v8
	v_mul_f32_e32 v10, v33, v27
	v_mul_f32_e32 v24, v32, v10
	v_fma_f32 v28, v10, v32, -v24
	v_fmac_f32_e32 v28, v10, v6
	v_sub_f32_e32 v25, v25, v27
	v_add_f32_e32 v26, v24, v28
	v_add_f32_e32 v8, v8, v25
	v_sub_f32_e32 v25, v27, v26
	v_pk_add_f32 v[30:31], v[26:27], v[24:25] neg_lo:[0,1] neg_hi:[0,1]
	v_mov_b32_e32 v29, v26
	v_pk_add_f32 v[26:27], v[30:31], v[28:29] neg_lo:[0,1] neg_hi:[0,1]
	v_add_f32_e32 v8, v8, v27
	v_add_f32_e32 v8, v26, v8
	;; [unrolled: 1-line block ×4, first 2 shown]
	v_sub_f32_e32 v25, v24, v33
	v_mul_f32_e32 v8, v33, v8
	v_sub_f32_e32 v10, v10, v25
	v_add_f32_e32 v8, v10, v8
	v_add_f32_e32 v10, v24, v8
	v_sub_f32_e32 v24, v10, v24
	v_ldexp_f32 v10, v10, -2
	v_sub_f32_e32 v8, v8, v24
	v_sub_f32_e32 v24, v32, v10
	v_sub_f32_e32 v25, v32, v24
	v_sub_f32_e32 v10, v25, v10
	v_ldexp_f32 v8, v8, -2
	v_add_f32_e32 v6, v6, v10
	v_sub_f32_e32 v6, v6, v8
	v_add_f32_e32 v6, v24, v6
	v_cmp_ngt_f32_e64 s[0:1], |v23|, s33
	v_cndmask_b32_e64 v6, v20, v6, s[0:1]
	v_cmp_lt_f32_e64 s[0:1], |v23|, s30
	v_cndmask_b32_e64 v6, v6, |v23|, s[0:1]
	v_bfi_b32 v6, s29, v6, v23
	v_bfe_u32 v8, v6, 16, 1
	v_add3_u32 v8, v6, v8, s34
	v_lshrrev_b32_e32 v8, 16, v8
	v_cmp_o_f32_e64 s[0:1], v6, v6
	v_cndmask_b32_e64 v6, v21, v8, s[0:1]
	v_mov_b32_e32 v8, s20
	v_add_co_u32_e64 v24, s[0:1], s24, v2
	v_addc_co_u32_e64 v25, s[0:1], v3, v8, s[0:1]
	global_store_short v[24:25], v6, off
	s_or_b64 exec, exec, s[2:3]
	s_and_saveexec_b64 s[0:1], vcc
	s_cbranch_execz .LBB129_3
.LBB129_19:                             ;   in Loop: Header=BB129_4 Depth=1
	s_waitcnt vmcnt(0)
	v_lshlrev_b32_e32 v30, 16, v22
	v_add_f32_e64 v8, |v30|, s31
	v_sub_f32_e64 v23, v8, |v30|
	v_and_b32_e32 v6, 0x7fffffff, v30
	v_sub_f32_e32 v22, v23, v8
	v_pk_add_f32 v[22:23], v[6:7], v[22:23]
	v_sub_f32_e32 v6, v22, v23
	v_add_f32_e32 v6, 0x3102e308, v6
	v_add_f32_e32 v10, v8, v6
	v_sub_f32_e32 v8, v8, v10
	v_add_f32_e32 v6, v6, v8
	v_mul_f32_e32 v8, 0x3fb8aa3b, v10
	v_rndne_f32_e32 v31, v8
	v_fmac_f32_e32 v10, 0xbf317200, v31
	v_add_f32_e32 v8, v6, v10
	v_sub_f32_e32 v10, v10, v8
	v_add_f32_e32 v6, v6, v10
	v_mul_f32_e32 v10, 0x35bfbc00, v31
	v_sub_f32_e32 v24, v8, v10
	v_sub_f32_e32 v8, v8, v24
	;; [unrolled: 1-line block ×3, first 2 shown]
	v_add_f32_e32 v6, v6, v8
	v_add_f32_e32 v25, v24, v6
	v_mul_f32_e32 v23, 0x2ea39ef3, v31
	v_mov_b32_e32 v22, v25
	v_pk_add_f32 v[26:27], v[24:25], v[22:23] neg_lo:[0,1] neg_hi:[0,1]
	v_sub_f32_e32 v8, v25, v27
	v_sub_f32_e32 v8, v8, v23
	v_add_f32_e32 v6, v6, v26
	v_add_f32_e32 v6, v6, v8
	;; [unrolled: 1-line block ×3, first 2 shown]
	v_sub_f32_e32 v22, v27, v10
	v_mov_b32_e32 v8, 0x3c091de6
	v_add_f32_e32 v6, v6, v22
	v_mul_f32_e32 v23, v10, v10
	v_fmac_f32_e32 v8, 0x3ab42872, v10
	v_add_f32_e32 v22, v6, v6
	v_fma_f32 v24, v10, v10, -v23
	v_fma_f32 v8, v10, v8, v17
	v_fmac_f32_e32 v24, v10, v22
	v_fma_f32 v8, v10, v8, v18
	v_add_f32_e32 v22, v23, v24
	v_fma_f32 v8, v10, v8, v19
	v_sub_f32_e32 v23, v22, v23
	v_sub_f32_e32 v23, v24, v23
	v_mul_f32_e32 v24, v8, v22
	v_fma_f32 v22, v22, v8, -v24
	v_fmac_f32_e32 v22, v23, v8
	v_add_f32_e32 v23, v24, v22
	v_sub_f32_e32 v8, v23, v24
	v_sub_f32_e32 v22, v22, v8
	v_add_f32_e32 v8, v10, v23
	v_sub_f32_e32 v10, v8, v10
	v_sub_f32_e32 v10, v23, v10
	v_add_f32_e32 v6, v6, v22
	v_add_f32_e32 v22, v6, v10
	;; [unrolled: 1-line block ×3, first 2 shown]
	v_add_f32_e32 v25, 1.0, v24
	v_pk_add_f32 v[26:27], v[24:25], v[8:9] neg_lo:[0,1] neg_hi:[0,1]
	v_pk_add_f32 v[28:29], v[24:25], s[20:21]
	v_mov_b32_e32 v27, v29
	v_mov_b32_e32 v23, v24
	v_cvt_i32_f32_e32 v6, v31
	v_pk_add_f32 v[22:23], v[22:23], v[26:27] neg_lo:[0,1] neg_hi:[0,1]
	v_add_f32_e32 v8, v22, v23
	v_add_f32_e32 v10, v25, v8
	v_ldexp_f32 v31, v10, v6
	v_rcp_f32_e32 v32, v31
	v_sub_f32_e32 v10, v10, v25
	v_sub_f32_e32 v8, v8, v10
	v_ldexp_f32 v6, v8, v6
	v_mul_f32_e32 v22, v31, v32
	v_fma_f32 v24, v32, v31, -v22
	v_fmac_f32_e32 v24, v32, v6
	v_add_f32_e32 v10, v22, v24
	v_sub_f32_e32 v23, 1.0, v10
	v_pk_add_f32 v[26:27], v[10:11], v[22:23] neg_lo:[0,1] neg_hi:[0,1]
	v_mov_b32_e32 v25, v10
	v_pk_add_f32 v[24:25], v[26:27], v[24:25] neg_lo:[0,1] neg_hi:[0,1]
	v_add_f32_e32 v8, v24, v25
	v_add_f32_e32 v25, v23, v8
	v_mul_f32_e32 v10, v32, v25
	v_mul_f32_e32 v22, v31, v10
	v_fma_f32 v26, v10, v31, -v22
	v_fmac_f32_e32 v26, v10, v6
	v_sub_f32_e32 v23, v23, v25
	v_add_f32_e32 v24, v22, v26
	v_add_f32_e32 v8, v8, v23
	v_sub_f32_e32 v23, v25, v24
	v_pk_add_f32 v[28:29], v[24:25], v[22:23] neg_lo:[0,1] neg_hi:[0,1]
	v_mov_b32_e32 v27, v24
	v_pk_add_f32 v[24:25], v[28:29], v[26:27] neg_lo:[0,1] neg_hi:[0,1]
	v_add_f32_e32 v8, v8, v25
	v_add_f32_e32 v8, v24, v8
	;; [unrolled: 1-line block ×4, first 2 shown]
	v_sub_f32_e32 v23, v22, v32
	v_mul_f32_e32 v8, v32, v8
	v_sub_f32_e32 v10, v10, v23
	v_add_f32_e32 v8, v10, v8
	v_add_f32_e32 v10, v22, v8
	v_sub_f32_e32 v22, v10, v22
	v_ldexp_f32 v10, v10, -2
	v_sub_f32_e32 v8, v8, v22
	v_sub_f32_e32 v22, v31, v10
	;; [unrolled: 1-line block ×4, first 2 shown]
	v_ldexp_f32 v8, v8, -2
	v_add_f32_e32 v6, v6, v10
	v_sub_f32_e32 v6, v6, v8
	v_add_f32_e32 v6, v22, v6
	v_cmp_ngt_f32_e64 vcc, |v30|, s33
	v_cndmask_b32_e32 v6, v20, v6, vcc
	v_cmp_lt_f32_e64 s[2:3], |v30|, s30
	v_cndmask_b32_e64 v6, v6, |v30|, s[2:3]
	v_bfi_b32 v6, s29, v6, v30
	v_bfe_u32 v8, v6, 16, 1
	v_add3_u32 v8, v6, v8, s34
	v_lshrrev_b32_e32 v8, 16, v8
	v_cmp_o_f32_e32 vcc, v6, v6
	v_cndmask_b32_e32 v6, v21, v8, vcc
	v_mov_b32_e32 v8, s28
	v_add_co_u32_e32 v22, vcc, s27, v2
	v_addc_co_u32_e32 v23, vcc, v3, v8, vcc
	global_store_short v[22:23], v6, off
	s_branch .LBB129_3
.LBB129_20:
	s_cbranch_execz .LBB129_22
	s_branch .LBB129_25
.LBB129_21:
.LBB129_22:
	v_mov_b32_e32 v3, 0
	v_lshlrev_b32_e32 v2, 2, v0
	s_mov_b32 s0, 0
	v_cmp_gt_i64_e32 vcc, s[10:11], v[2:3]
	s_and_saveexec_b64 s[2:3], vcc
	s_cbranch_execz .LBB129_25
; %bb.23:
	s_load_dword s1, s[4:5], 0xd3c
	v_lshlrev_b32_e32 v1, 3, v0
	s_brev_b32 s9, -2
	v_mov_b32_e32 v12, 0x3d2aadcc
	v_mov_b32_e32 v13, 0x3e2aaa47
	s_waitcnt lgkmcnt(0)
	s_and_b32 s1, s1, 0xffff
	s_add_u32 s2, s12, s14
	s_addc_u32 s3, s13, s15
	v_mov_b32_e32 v2, s3
	v_add_co_u32_e32 v4, vcc, s2, v1
	v_addc_co_u32_e32 v5, vcc, 0, v2, vcc
	s_lshl_b32 s4, s1, 3
	v_add_lshl_u32 v2, v0, s1, 2
	s_lshl_b32 s8, s1, 2
	s_mov_b64 s[2:3], 0
	s_mov_b32 s12, 0xbf317218
	v_mov_b32_e32 v14, 0x3efffffc
	s_mov_b32 s5, -1.0
	s_mov_b32 s13, 0x42b2d4fc
	v_mov_b32_e32 v15, 0x7f800000
	s_mov_b32 s14, 0x39800000
	s_movk_i32 s15, 0x7fff
	v_mov_b32_e32 v16, 0x7fc00000
	v_mov_b32_e32 v17, 0x7fc0
	s_mov_b64 s[6:7], 0xffff
	v_mov_b32_e32 v18, s0
	v_mov_b32_e32 v19, s0
	;; [unrolled: 1-line block ×3, first 2 shown]
	v_mov_b32_e32 v7, -1.0
	v_mov_b32_e32 v9, 1.0
.LBB129_24:                             ; =>This Inner Loop Header: Depth=1
	global_load_dwordx2 v[10:11], v[4:5], off
	v_mov_b32_e32 v6, 0x3c091de6
	v_mov_b32_e32 v8, 0x3c091de6
	s_waitcnt vmcnt(0)
	v_lshlrev_b32_e32 v31, 16, v10
	v_add_f32_e64 v24, |v31|, s12
	v_and_b32_e32 v30, 0xffff0000, v10
	v_sub_f32_e64 v21, v24, |v31|
	v_and_b32_e32 v0, 0x7fffffff, v31
	v_add_f32_e64 v25, |v30|, s12
	v_sub_f32_e32 v20, v21, v24
	v_sub_f32_e64 v23, v25, |v30|
	v_pk_add_f32 v[20:21], v[0:1], v[20:21]
	v_sub_f32_e32 v22, v23, v25
	v_and_b32_e32 v0, 0x7fffffff, v30
	v_sub_f32_e32 v26, v20, v21
	v_pk_add_f32 v[20:21], v[0:1], v[22:23]
	v_add_f32_e32 v0, 0x3102e308, v26
	v_sub_f32_e32 v20, v20, v21
	v_add_f32_e32 v22, v24, v0
	v_add_f32_e32 v20, 0x3102e308, v20
	v_mul_f32_e32 v23, 0x3fb8aa3b, v22
	v_sub_f32_e32 v21, v24, v22
	v_add_f32_e32 v26, v25, v20
	v_rndne_f32_e32 v23, v23
	v_add_f32_e32 v0, v0, v21
	v_sub_f32_e32 v24, v25, v26
	v_mul_f32_e32 v25, 0x3fb8aa3b, v26
	v_fmac_f32_e32 v22, 0xbf317200, v23
	v_mul_f32_e32 v27, 0x35bfbc00, v23
	v_rndne_f32_e32 v33, v25
	v_add_f32_e32 v25, v0, v22
	v_add_f32_e32 v20, v20, v24
	v_fmac_f32_e32 v26, 0xbf317200, v33
	v_sub_f32_e32 v22, v22, v25
	v_sub_f32_e32 v24, v25, v27
	v_mul_f32_e32 v28, 0x35bfbc00, v33
	v_add_f32_e32 v29, v20, v26
	v_add_f32_e32 v0, v0, v22
	v_sub_f32_e32 v22, v25, v24
	v_sub_f32_e32 v25, v26, v29
	;; [unrolled: 1-line block ×4, first 2 shown]
	v_add_f32_e32 v20, v20, v25
	v_sub_f32_e32 v25, v29, v26
	v_add_f32_e32 v0, v0, v22
	v_sub_f32_e32 v22, v25, v28
	v_add_f32_e32 v25, v24, v0
	v_mul_f32_e32 v21, 0x2ea39ef3, v23
	v_add_f32_e32 v34, v20, v22
	v_mov_b32_e32 v20, v25
	v_add_f32_e32 v27, v26, v34
	v_pk_add_f32 v[28:29], v[24:25], v[20:21] neg_lo:[0,1] neg_hi:[0,1]
	v_cvt_i32_f32_e32 v32, v23
	v_mul_f32_e32 v23, 0x2ea39ef3, v33
	v_mov_b32_e32 v22, v27
	v_sub_f32_e32 v20, v25, v29
	v_add_f32_e32 v0, v0, v28
	v_pk_add_f32 v[24:25], v[26:27], v[22:23] neg_lo:[0,1] neg_hi:[0,1]
	v_sub_f32_e32 v20, v20, v21
	v_sub_f32_e32 v21, v27, v25
	v_add_f32_e32 v0, v0, v20
	v_add_f32_e32 v22, v34, v24
	v_sub_f32_e32 v20, v21, v23
	v_add_f32_e32 v21, v29, v0
	v_add_f32_e32 v20, v22, v20
	v_sub_f32_e32 v22, v29, v21
	v_fmac_f32_e32 v6, 0x3ab42872, v21
	v_mul_f32_e32 v23, v21, v21
	v_add_f32_e32 v28, v25, v20
	v_add_f32_e32 v0, v0, v22
	v_fma_f32 v6, v21, v6, v12
	v_fma_f32 v22, v21, v21, -v23
	v_fmac_f32_e32 v8, 0x3ab42872, v28
	v_sub_f32_e32 v24, v25, v28
	v_add_f32_e32 v26, v0, v0
	v_mul_f32_e32 v25, v28, v28
	v_fma_f32 v6, v21, v6, v13
	v_fma_f32 v8, v28, v8, v12
	v_add_f32_e32 v29, v20, v24
	v_fmac_f32_e32 v22, v21, v26
	v_fma_f32 v34, v28, v28, -v25
	v_fma_f32 v6, v21, v6, v14
	v_fma_f32 v8, v28, v8, v13
	v_add_f32_e32 v20, v29, v29
	v_add_f32_e32 v24, v23, v22
	v_fma_f32 v35, v28, v8, v14
	v_fmac_f32_e32 v34, v28, v20
	v_sub_f32_e32 v8, v24, v23
	v_mul_f32_e32 v20, v6, v24
	v_sub_f32_e32 v8, v22, v8
	v_fma_f32 v22, v24, v6, -v20
	v_fmac_f32_e32 v22, v8, v6
	v_add_f32_e32 v8, v20, v22
	v_sub_f32_e32 v20, v8, v20
	v_add_f32_e32 v6, v21, v8
	v_sub_f32_e32 v20, v22, v20
	v_sub_f32_e32 v21, v6, v21
	;; [unrolled: 1-line block ×3, first 2 shown]
	v_add_f32_e32 v0, v0, v20
	v_add_f32_e32 v20, v0, v8
	;; [unrolled: 1-line block ×4, first 2 shown]
	v_add_f32_e32 v23, 1.0, v22
	v_sub_f32_e32 v37, v36, v25
	v_pk_add_f32 v[24:25], v[22:23], v[6:7] neg_lo:[0,1] neg_hi:[0,1]
	v_pk_add_f32 v[26:27], v[22:23], s[4:5]
	v_mov_b32_e32 v21, v22
	v_mov_b32_e32 v25, v27
	v_pk_add_f32 v[20:21], v[20:21], v[24:25] neg_lo:[0,1] neg_hi:[0,1]
	v_add_f32_e32 v0, v20, v21
	v_add_f32_e32 v6, v23, v0
	v_ldexp_f32 v26, v6, v32
	v_rcp_f32_e32 v27, v26
	v_sub_f32_e32 v6, v6, v23
	v_sub_f32_e32 v0, v0, v6
	v_ldexp_f32 v0, v0, v32
	v_mul_f32_e32 v20, v26, v27
	v_fma_f32 v22, v27, v26, -v20
	v_fmac_f32_e32 v22, v27, v0
	v_add_f32_e32 v8, v20, v22
	v_sub_f32_e32 v21, 1.0, v8
	v_mov_b32_e32 v23, v8
	v_pk_add_f32 v[24:25], v[8:9], v[20:21] neg_lo:[0,1] neg_hi:[0,1]
	v_pk_add_f32 v[22:23], v[24:25], v[22:23] neg_lo:[0,1] neg_hi:[0,1]
	v_add_f32_e32 v6, v22, v23
	v_add_f32_e32 v23, v21, v6
	v_mul_f32_e32 v8, v27, v23
	v_mul_f32_e32 v20, v26, v8
	v_fma_f32 v24, v8, v26, -v20
	v_sub_f32_e32 v21, v21, v23
	v_add_f32_e32 v32, v27, v8
	v_fmac_f32_e32 v24, v8, v0
	v_add_f32_e32 v6, v6, v21
	v_sub_f32_e32 v21, v32, v27
	v_add_f32_e32 v22, v20, v24
	v_sub_f32_e32 v8, v8, v21
	v_sub_f32_e32 v21, v23, v22
	v_mov_b32_e32 v25, v22
	v_pk_add_f32 v[22:23], v[22:23], v[20:21] neg_lo:[0,1] neg_hi:[0,1]
	v_pk_add_f32 v[22:23], v[22:23], v[24:25] neg_lo:[0,1] neg_hi:[0,1]
	v_add_f32_e32 v6, v6, v23
	v_add_f32_e32 v6, v22, v6
	v_add_f32_e32 v6, v21, v6
	v_mul_f32_e32 v6, v27, v6
	v_add_f32_e32 v6, v8, v6
	v_add_f32_e32 v8, v32, v6
	v_sub_f32_e32 v20, v8, v32
	v_ldexp_f32 v8, v8, -2
	v_sub_f32_e32 v6, v6, v20
	v_sub_f32_e32 v20, v26, v8
	;; [unrolled: 1-line block ×4, first 2 shown]
	v_ldexp_f32 v6, v6, -2
	v_add_f32_e32 v0, v0, v8
	v_sub_f32_e32 v0, v0, v6
	v_add_f32_e32 v0, v20, v0
	v_cmp_ngt_f32_e64 vcc, |v31|, s13
	v_cndmask_b32_e32 v0, v15, v0, vcc
	v_cmp_lt_f32_e64 s[0:1], |v31|, s14
	v_cndmask_b32_e64 v0, v0, |v31|, s[0:1]
	v_bfi_b32 v31, s9, v0, v31
	v_bfe_u32 v0, v31, 16, 1
	v_add3_u32 v0, v31, v0, s15
	v_mul_f32_e32 v6, v35, v36
	v_lshrrev_b32_e32 v32, 16, v0
	v_sub_f32_e32 v0, v34, v37
	v_fma_f32 v8, v36, v35, -v6
	v_fmac_f32_e32 v8, v0, v35
	v_add_f32_e32 v0, v6, v8
	v_sub_f32_e32 v6, v0, v6
	v_sub_f32_e32 v8, v8, v6
	v_add_f32_e32 v6, v28, v0
	v_sub_f32_e32 v20, v6, v28
	v_sub_f32_e32 v0, v0, v20
	v_add_f32_e32 v8, v29, v8
	v_add_f32_e32 v20, v8, v0
	;; [unrolled: 1-line block ×3, first 2 shown]
	v_add_f32_e32 v23, 1.0, v22
	v_pk_add_f32 v[24:25], v[22:23], v[6:7] neg_lo:[0,1] neg_hi:[0,1]
	v_pk_add_f32 v[26:27], v[22:23], s[4:5]
	v_mov_b32_e32 v25, v27
	v_mov_b32_e32 v21, v22
	v_cvt_i32_f32_e32 v0, v33
	v_pk_add_f32 v[20:21], v[20:21], v[24:25] neg_lo:[0,1] neg_hi:[0,1]
	v_add_f32_e32 v6, v20, v21
	v_add_f32_e32 v8, v23, v6
	v_ldexp_f32 v28, v8, v0
	v_rcp_f32_e32 v29, v28
	v_sub_f32_e32 v8, v8, v23
	v_sub_f32_e32 v6, v6, v8
	v_ldexp_f32 v0, v6, v0
	v_mul_f32_e32 v20, v28, v29
	v_fma_f32 v22, v29, v28, -v20
	v_fmac_f32_e32 v22, v29, v0
	v_add_f32_e32 v8, v20, v22
	v_sub_f32_e32 v21, 1.0, v8
	v_pk_add_f32 v[24:25], v[8:9], v[20:21] neg_lo:[0,1] neg_hi:[0,1]
	v_mov_b32_e32 v23, v8
	v_pk_add_f32 v[22:23], v[24:25], v[22:23] neg_lo:[0,1] neg_hi:[0,1]
	v_add_f32_e32 v6, v22, v23
	v_add_f32_e32 v23, v21, v6
	v_mul_f32_e32 v8, v29, v23
	v_mul_f32_e32 v20, v28, v8
	v_fma_f32 v24, v8, v28, -v20
	v_fmac_f32_e32 v24, v8, v0
	v_sub_f32_e32 v21, v21, v23
	v_add_f32_e32 v22, v20, v24
	v_add_f32_e32 v6, v6, v21
	v_sub_f32_e32 v21, v23, v22
	v_pk_add_f32 v[26:27], v[22:23], v[20:21] neg_lo:[0,1] neg_hi:[0,1]
	v_mov_b32_e32 v25, v22
	v_pk_add_f32 v[22:23], v[26:27], v[24:25] neg_lo:[0,1] neg_hi:[0,1]
	v_add_f32_e32 v6, v6, v23
	v_add_f32_e32 v6, v22, v6
	v_add_f32_e32 v20, v29, v8
	v_add_f32_e32 v6, v21, v6
	v_sub_f32_e32 v21, v20, v29
	v_mul_f32_e32 v6, v29, v6
	v_sub_f32_e32 v8, v8, v21
	v_add_f32_e32 v6, v8, v6
	v_add_f32_e32 v8, v20, v6
	v_sub_f32_e32 v20, v8, v20
	v_ldexp_f32 v8, v8, -2
	v_sub_f32_e32 v6, v6, v20
	v_sub_f32_e32 v20, v28, v8
	;; [unrolled: 1-line block ×4, first 2 shown]
	v_ldexp_f32 v6, v6, -2
	v_add_f32_e32 v0, v0, v8
	v_sub_f32_e32 v0, v0, v6
	v_add_f32_e32 v0, v20, v0
	v_cmp_ngt_f32_e64 vcc, |v30|, s13
	v_cndmask_b32_e32 v0, v15, v0, vcc
	v_cmp_lt_f32_e64 s[0:1], |v30|, s14
	v_cndmask_b32_e64 v0, v0, |v30|, s[0:1]
	v_bfi_b32 v28, s9, v0, v30
	v_bfe_u32 v0, v28, 16, 1
	v_add3_u32 v0, v28, v0, s15
	v_and_b32_e32 v29, 0xffff0000, v0
	v_alignbit_b32 v0, v11, v10, 16
	v_and_b32_e32 v10, 0xffff0000, v0
	v_add_f32_e64 v6, |v10|, s12
	v_sub_f32_e64 v21, v6, |v10|
	v_and_b32_e32 v0, 0x7fffffff, v10
	v_sub_f32_e32 v20, v21, v6
	v_pk_add_f32 v[20:21], v[0:1], v[20:21]
	v_sub_f32_e32 v0, v20, v21
	v_add_f32_e32 v0, 0x3102e308, v0
	v_add_f32_e32 v8, v6, v0
	v_sub_f32_e32 v6, v6, v8
	v_add_f32_e32 v0, v0, v6
	v_mul_f32_e32 v6, 0x3fb8aa3b, v8
	v_rndne_f32_e32 v30, v6
	v_fmac_f32_e32 v8, 0xbf317200, v30
	v_add_f32_e32 v6, v0, v8
	v_sub_f32_e32 v8, v8, v6
	v_add_f32_e32 v0, v0, v8
	v_mul_f32_e32 v8, 0x35bfbc00, v30
	v_sub_f32_e32 v22, v6, v8
	v_sub_f32_e32 v6, v6, v22
	v_sub_f32_e32 v6, v6, v8
	v_add_f32_e32 v0, v0, v6
	v_add_f32_e32 v23, v22, v0
	v_mul_f32_e32 v21, 0x2ea39ef3, v30
	v_mov_b32_e32 v20, v23
	v_pk_add_f32 v[24:25], v[22:23], v[20:21] neg_lo:[0,1] neg_hi:[0,1]
	v_sub_f32_e32 v6, v23, v25
	v_sub_f32_e32 v6, v6, v21
	v_add_f32_e32 v0, v0, v24
	v_add_f32_e32 v0, v0, v6
	;; [unrolled: 1-line block ×3, first 2 shown]
	v_sub_f32_e32 v20, v25, v8
	v_mov_b32_e32 v6, 0x3c091de6
	v_add_f32_e32 v0, v0, v20
	v_mul_f32_e32 v21, v8, v8
	v_fmac_f32_e32 v6, 0x3ab42872, v8
	v_add_f32_e32 v20, v0, v0
	v_fma_f32 v22, v8, v8, -v21
	v_fma_f32 v6, v8, v6, v12
	v_fmac_f32_e32 v22, v8, v20
	v_fma_f32 v6, v8, v6, v13
	v_add_f32_e32 v20, v21, v22
	v_fma_f32 v6, v8, v6, v14
	v_sub_f32_e32 v21, v20, v21
	v_sub_f32_e32 v21, v22, v21
	v_mul_f32_e32 v22, v6, v20
	v_fma_f32 v20, v20, v6, -v22
	v_fmac_f32_e32 v20, v21, v6
	v_add_f32_e32 v21, v22, v20
	v_sub_f32_e32 v6, v21, v22
	v_sub_f32_e32 v20, v20, v6
	v_add_f32_e32 v6, v8, v21
	v_sub_f32_e32 v8, v6, v8
	v_sub_f32_e32 v8, v21, v8
	v_add_f32_e32 v0, v0, v20
	v_add_f32_e32 v20, v0, v8
	;; [unrolled: 1-line block ×3, first 2 shown]
	v_add_f32_e32 v23, 1.0, v22
	v_pk_add_f32 v[24:25], v[22:23], v[6:7] neg_lo:[0,1] neg_hi:[0,1]
	v_pk_add_f32 v[26:27], v[22:23], s[4:5]
	v_mov_b32_e32 v25, v27
	v_mov_b32_e32 v21, v22
	v_cvt_i32_f32_e32 v0, v30
	v_pk_add_f32 v[20:21], v[20:21], v[24:25] neg_lo:[0,1] neg_hi:[0,1]
	v_add_f32_e32 v6, v20, v21
	v_add_f32_e32 v8, v23, v6
	v_ldexp_f32 v30, v8, v0
	v_rcp_f32_e32 v33, v30
	v_sub_f32_e32 v8, v8, v23
	v_sub_f32_e32 v6, v6, v8
	v_ldexp_f32 v0, v6, v0
	v_mul_f32_e32 v20, v30, v33
	v_fma_f32 v22, v33, v30, -v20
	v_fmac_f32_e32 v22, v33, v0
	v_add_f32_e32 v8, v20, v22
	v_sub_f32_e32 v21, 1.0, v8
	v_pk_add_f32 v[24:25], v[8:9], v[20:21] neg_lo:[0,1] neg_hi:[0,1]
	v_mov_b32_e32 v23, v8
	v_pk_add_f32 v[22:23], v[24:25], v[22:23] neg_lo:[0,1] neg_hi:[0,1]
	v_add_f32_e32 v6, v22, v23
	v_add_f32_e32 v23, v21, v6
	v_mul_f32_e32 v8, v33, v23
	v_mul_f32_e32 v20, v30, v8
	v_fma_f32 v24, v8, v30, -v20
	v_fmac_f32_e32 v24, v8, v0
	v_sub_f32_e32 v21, v21, v23
	v_add_f32_e32 v22, v20, v24
	v_add_f32_e32 v6, v6, v21
	v_sub_f32_e32 v21, v23, v22
	v_pk_add_f32 v[26:27], v[22:23], v[20:21] neg_lo:[0,1] neg_hi:[0,1]
	v_mov_b32_e32 v25, v22
	v_pk_add_f32 v[22:23], v[26:27], v[24:25] neg_lo:[0,1] neg_hi:[0,1]
	v_add_f32_e32 v6, v6, v23
	v_add_f32_e32 v6, v22, v6
	;; [unrolled: 1-line block ×4, first 2 shown]
	v_sub_f32_e32 v21, v20, v33
	v_mul_f32_e32 v6, v33, v6
	v_sub_f32_e32 v8, v8, v21
	v_add_f32_e32 v6, v8, v6
	v_add_f32_e32 v8, v20, v6
	v_sub_f32_e32 v20, v8, v20
	v_ldexp_f32 v8, v8, -2
	v_sub_f32_e32 v6, v6, v20
	v_sub_f32_e32 v20, v30, v8
	;; [unrolled: 1-line block ×4, first 2 shown]
	v_ldexp_f32 v6, v6, -2
	v_add_f32_e32 v0, v0, v8
	v_sub_f32_e32 v0, v0, v6
	v_add_f32_e32 v0, v20, v0
	v_cmp_ngt_f32_e64 vcc, |v10|, s13
	v_cndmask_b32_e32 v0, v15, v0, vcc
	v_cmp_lt_f32_e64 s[0:1], |v10|, s14
	v_cndmask_b32_e64 v0, v0, |v10|, s[0:1]
	v_bfi_b32 v26, s9, v0, v10
	v_and_b32_e32 v30, 0xffff0000, v11
	v_bfe_u32 v0, v26, 16, 1
	v_add_f32_e64 v6, |v30|, s12
	v_add3_u32 v0, v26, v0, s15
	v_sub_f32_e64 v11, v6, |v30|
	v_lshrrev_b32_e32 v27, 16, v0
	v_and_b32_e32 v0, 0x7fffffff, v30
	v_sub_f32_e32 v10, v11, v6
	v_pk_add_f32 v[10:11], v[0:1], v[10:11]
	v_sub_f32_e32 v0, v10, v11
	v_add_f32_e32 v0, 0x3102e308, v0
	v_add_f32_e32 v8, v6, v0
	v_sub_f32_e32 v6, v6, v8
	v_add_f32_e32 v0, v0, v6
	v_mul_f32_e32 v6, 0x3fb8aa3b, v8
	v_rndne_f32_e32 v33, v6
	v_fmac_f32_e32 v8, 0xbf317200, v33
	v_add_f32_e32 v6, v0, v8
	v_sub_f32_e32 v8, v8, v6
	v_add_f32_e32 v0, v0, v8
	v_mul_f32_e32 v8, 0x35bfbc00, v33
	v_sub_f32_e32 v20, v6, v8
	v_sub_f32_e32 v6, v6, v20
	;; [unrolled: 1-line block ×3, first 2 shown]
	v_add_f32_e32 v0, v0, v6
	v_add_f32_e32 v21, v20, v0
	v_mul_f32_e32 v11, 0x2ea39ef3, v33
	v_mov_b32_e32 v10, v21
	v_pk_add_f32 v[22:23], v[20:21], v[10:11] neg_lo:[0,1] neg_hi:[0,1]
	v_sub_f32_e32 v6, v21, v23
	v_sub_f32_e32 v6, v6, v11
	v_add_f32_e32 v0, v0, v22
	v_add_f32_e32 v0, v0, v6
	;; [unrolled: 1-line block ×3, first 2 shown]
	v_sub_f32_e32 v10, v23, v8
	v_mov_b32_e32 v6, 0x3c091de6
	v_add_f32_e32 v0, v0, v10
	v_mul_f32_e32 v11, v8, v8
	v_fmac_f32_e32 v6, 0x3ab42872, v8
	v_add_f32_e32 v10, v0, v0
	v_fma_f32 v20, v8, v8, -v11
	v_fma_f32 v6, v8, v6, v12
	v_fmac_f32_e32 v20, v8, v10
	v_fma_f32 v6, v8, v6, v13
	v_add_f32_e32 v10, v11, v20
	v_fma_f32 v6, v8, v6, v14
	v_sub_f32_e32 v11, v10, v11
	v_sub_f32_e32 v11, v20, v11
	v_mul_f32_e32 v20, v6, v10
	v_fma_f32 v10, v10, v6, -v20
	v_fmac_f32_e32 v10, v11, v6
	v_add_f32_e32 v11, v20, v10
	v_sub_f32_e32 v6, v11, v20
	v_sub_f32_e32 v10, v10, v6
	v_add_f32_e32 v6, v8, v11
	v_sub_f32_e32 v8, v6, v8
	v_sub_f32_e32 v8, v11, v8
	v_add_f32_e32 v0, v0, v10
	v_add_f32_e32 v10, v0, v8
	;; [unrolled: 1-line block ×3, first 2 shown]
	v_add_f32_e32 v21, 1.0, v20
	v_pk_add_f32 v[22:23], v[20:21], v[6:7] neg_lo:[0,1] neg_hi:[0,1]
	v_pk_add_f32 v[24:25], v[20:21], s[4:5]
	v_mov_b32_e32 v23, v25
	v_mov_b32_e32 v11, v20
	v_cvt_i32_f32_e32 v0, v33
	v_pk_add_f32 v[10:11], v[10:11], v[22:23] neg_lo:[0,1] neg_hi:[0,1]
	v_add_f32_e32 v6, v10, v11
	v_add_f32_e32 v8, v21, v6
	v_ldexp_f32 v33, v8, v0
	v_rcp_f32_e32 v34, v33
	v_sub_f32_e32 v8, v8, v21
	v_sub_f32_e32 v6, v6, v8
	v_ldexp_f32 v0, v6, v0
	v_mul_f32_e32 v10, v33, v34
	v_fma_f32 v20, v34, v33, -v10
	v_fmac_f32_e32 v20, v34, v0
	v_add_f32_e32 v8, v10, v20
	v_sub_f32_e32 v11, 1.0, v8
	v_pk_add_f32 v[22:23], v[8:9], v[10:11] neg_lo:[0,1] neg_hi:[0,1]
	v_mov_b32_e32 v21, v8
	v_pk_add_f32 v[20:21], v[22:23], v[20:21] neg_lo:[0,1] neg_hi:[0,1]
	v_add_f32_e32 v6, v20, v21
	v_add_f32_e32 v21, v11, v6
	v_mul_f32_e32 v8, v34, v21
	v_mul_f32_e32 v10, v33, v8
	v_fma_f32 v22, v8, v33, -v10
	v_fmac_f32_e32 v22, v8, v0
	v_sub_f32_e32 v11, v11, v21
	v_add_f32_e32 v20, v10, v22
	v_add_f32_e32 v6, v6, v11
	v_sub_f32_e32 v11, v21, v20
	v_pk_add_f32 v[24:25], v[20:21], v[10:11] neg_lo:[0,1] neg_hi:[0,1]
	v_mov_b32_e32 v23, v20
	v_pk_add_f32 v[20:21], v[24:25], v[22:23] neg_lo:[0,1] neg_hi:[0,1]
	v_add_f32_e32 v6, v6, v21
	v_add_f32_e32 v6, v20, v6
	;; [unrolled: 1-line block ×4, first 2 shown]
	v_sub_f32_e32 v11, v10, v34
	v_mul_f32_e32 v6, v34, v6
	v_sub_f32_e32 v8, v8, v11
	v_add_f32_e32 v6, v8, v6
	v_add_f32_e32 v8, v10, v6
	v_sub_f32_e32 v10, v8, v10
	v_ldexp_f32 v8, v8, -2
	v_sub_f32_e32 v6, v6, v10
	v_sub_f32_e32 v10, v33, v8
	;; [unrolled: 1-line block ×4, first 2 shown]
	v_ldexp_f32 v6, v6, -2
	v_add_f32_e32 v0, v0, v8
	v_sub_f32_e32 v0, v0, v6
	v_add_f32_e32 v0, v10, v0
	v_cmp_ngt_f32_e64 vcc, |v30|, s13
	v_cndmask_b32_e32 v0, v15, v0, vcc
	v_cmp_lt_f32_e64 s[0:1], |v30|, s14
	v_cndmask_b32_e64 v0, v0, |v30|, s[0:1]
	v_bfi_b32 v0, s9, v0, v30
	v_bfe_u32 v6, v0, 16, 1
	v_add3_u32 v6, v0, v6, s15
	v_and_b32_e32 v6, 0xffff0000, v6
	v_cmp_o_f32_e32 vcc, v0, v0
	v_cndmask_b32_e32 v0, v16, v6, vcc
	v_cmp_o_f32_e32 vcc, v26, v26
	v_cndmask_b32_e32 v6, v17, v27, vcc
	;; [unrolled: 2-line block ×4, first 2 shown]
	v_or_b32_e32 v8, v10, v8
	v_or3_b32 v11, 0, v6, v0
	v_or3_b32 v10, v8, 0, 0
	v_cmp_le_i64_e32 vcc, s[10:11], v[2:3]
	v_cmp_lt_u64_e64 s[0:1], s[6:7], v[2:3]
	global_store_dwordx2 v[4:5], v[10:11], off
	s_or_b64 s[0:1], vcc, s[0:1]
	v_add_co_u32_e32 v4, vcc, s4, v4
	v_addc_co_u32_e32 v5, vcc, v5, v18, vcc
	s_and_b64 s[0:1], exec, s[0:1]
	v_add_co_u32_e32 v2, vcc, s8, v2
	s_or_b64 s[2:3], s[0:1], s[2:3]
	v_addc_co_u32_e32 v3, vcc, v3, v19, vcc
	s_andn2_b64 exec, exec, s[2:3]
	s_cbranch_execnz .LBB129_24
.LBB129_25:
	s_endpgm
	.section	.rodata,"a",@progbits
	.p2align	6, 0x0
	.amdhsa_kernel _ZN2at6native12_GLOBAL__N_125multi_tensor_apply_kernelINS1_18TensorListMetadataILi1EEENS1_14UnaryOpFunctorIN3c108BFloat16ELi1ELi1ELi0EEEJNS0_4SinhIfEEEEEvT_T0_DpT1_
		.amdhsa_group_segment_fixed_size 0
		.amdhsa_private_segment_fixed_size 0
		.amdhsa_kernarg_size 3632
		.amdhsa_user_sgpr_count 6
		.amdhsa_user_sgpr_private_segment_buffer 1
		.amdhsa_user_sgpr_dispatch_ptr 0
		.amdhsa_user_sgpr_queue_ptr 0
		.amdhsa_user_sgpr_kernarg_segment_ptr 1
		.amdhsa_user_sgpr_dispatch_id 0
		.amdhsa_user_sgpr_flat_scratch_init 0
		.amdhsa_user_sgpr_kernarg_preload_length 0
		.amdhsa_user_sgpr_kernarg_preload_offset 0
		.amdhsa_user_sgpr_private_segment_size 0
		.amdhsa_uses_dynamic_stack 0
		.amdhsa_system_sgpr_private_segment_wavefront_offset 0
		.amdhsa_system_sgpr_workgroup_id_x 1
		.amdhsa_system_sgpr_workgroup_id_y 0
		.amdhsa_system_sgpr_workgroup_id_z 0
		.amdhsa_system_sgpr_workgroup_info 0
		.amdhsa_system_vgpr_workitem_id 0
		.amdhsa_next_free_vgpr 38
		.amdhsa_next_free_sgpr 35
		.amdhsa_accum_offset 40
		.amdhsa_reserve_vcc 1
		.amdhsa_reserve_flat_scratch 0
		.amdhsa_float_round_mode_32 0
		.amdhsa_float_round_mode_16_64 0
		.amdhsa_float_denorm_mode_32 3
		.amdhsa_float_denorm_mode_16_64 3
		.amdhsa_dx10_clamp 1
		.amdhsa_ieee_mode 1
		.amdhsa_fp16_overflow 0
		.amdhsa_tg_split 0
		.amdhsa_exception_fp_ieee_invalid_op 0
		.amdhsa_exception_fp_denorm_src 0
		.amdhsa_exception_fp_ieee_div_zero 0
		.amdhsa_exception_fp_ieee_overflow 0
		.amdhsa_exception_fp_ieee_underflow 0
		.amdhsa_exception_fp_ieee_inexact 0
		.amdhsa_exception_int_div_zero 0
	.end_amdhsa_kernel
	.section	.text._ZN2at6native12_GLOBAL__N_125multi_tensor_apply_kernelINS1_18TensorListMetadataILi1EEENS1_14UnaryOpFunctorIN3c108BFloat16ELi1ELi1ELi0EEEJNS0_4SinhIfEEEEEvT_T0_DpT1_,"axG",@progbits,_ZN2at6native12_GLOBAL__N_125multi_tensor_apply_kernelINS1_18TensorListMetadataILi1EEENS1_14UnaryOpFunctorIN3c108BFloat16ELi1ELi1ELi0EEEJNS0_4SinhIfEEEEEvT_T0_DpT1_,comdat
.Lfunc_end129:
	.size	_ZN2at6native12_GLOBAL__N_125multi_tensor_apply_kernelINS1_18TensorListMetadataILi1EEENS1_14UnaryOpFunctorIN3c108BFloat16ELi1ELi1ELi0EEEJNS0_4SinhIfEEEEEvT_T0_DpT1_, .Lfunc_end129-_ZN2at6native12_GLOBAL__N_125multi_tensor_apply_kernelINS1_18TensorListMetadataILi1EEENS1_14UnaryOpFunctorIN3c108BFloat16ELi1ELi1ELi0EEEJNS0_4SinhIfEEEEEvT_T0_DpT1_
                                        ; -- End function
	.section	.AMDGPU.csdata,"",@progbits
; Kernel info:
; codeLenInByte = 6256
; NumSgprs: 39
; NumVgprs: 38
; NumAgprs: 0
; TotalNumVgprs: 38
; ScratchSize: 0
; MemoryBound: 0
; FloatMode: 240
; IeeeMode: 1
; LDSByteSize: 0 bytes/workgroup (compile time only)
; SGPRBlocks: 4
; VGPRBlocks: 4
; NumSGPRsForWavesPerEU: 39
; NumVGPRsForWavesPerEU: 38
; AccumOffset: 40
; Occupancy: 8
; WaveLimiterHint : 0
; COMPUTE_PGM_RSRC2:SCRATCH_EN: 0
; COMPUTE_PGM_RSRC2:USER_SGPR: 6
; COMPUTE_PGM_RSRC2:TRAP_HANDLER: 0
; COMPUTE_PGM_RSRC2:TGID_X_EN: 1
; COMPUTE_PGM_RSRC2:TGID_Y_EN: 0
; COMPUTE_PGM_RSRC2:TGID_Z_EN: 0
; COMPUTE_PGM_RSRC2:TIDIG_COMP_CNT: 0
; COMPUTE_PGM_RSRC3_GFX90A:ACCUM_OFFSET: 9
; COMPUTE_PGM_RSRC3_GFX90A:TG_SPLIT: 0
	.section	.text._ZN2at6native12_GLOBAL__N_125multi_tensor_apply_kernelINS1_18TensorListMetadataILi2EEENS1_14UnaryOpFunctorIdLi2ELi1ELi1EEEJNS0_3ExpIdEEEEEvT_T0_DpT1_,"axG",@progbits,_ZN2at6native12_GLOBAL__N_125multi_tensor_apply_kernelINS1_18TensorListMetadataILi2EEENS1_14UnaryOpFunctorIdLi2ELi1ELi1EEEJNS0_3ExpIdEEEEEvT_T0_DpT1_,comdat
	.globl	_ZN2at6native12_GLOBAL__N_125multi_tensor_apply_kernelINS1_18TensorListMetadataILi2EEENS1_14UnaryOpFunctorIdLi2ELi1ELi1EEEJNS0_3ExpIdEEEEEvT_T0_DpT1_ ; -- Begin function _ZN2at6native12_GLOBAL__N_125multi_tensor_apply_kernelINS1_18TensorListMetadataILi2EEENS1_14UnaryOpFunctorIdLi2ELi1ELi1EEEJNS0_3ExpIdEEEEEvT_T0_DpT1_
	.p2align	8
	.type	_ZN2at6native12_GLOBAL__N_125multi_tensor_apply_kernelINS1_18TensorListMetadataILi2EEENS1_14UnaryOpFunctorIdLi2ELi1ELi1EEEJNS0_3ExpIdEEEEEvT_T0_DpT1_,@function
_ZN2at6native12_GLOBAL__N_125multi_tensor_apply_kernelINS1_18TensorListMetadataILi2EEENS1_14UnaryOpFunctorIdLi2ELi1ELi1EEEJNS0_3ExpIdEEEEEvT_T0_DpT1_: ; @_ZN2at6native12_GLOBAL__N_125multi_tensor_apply_kernelINS1_18TensorListMetadataILi2EEENS1_14UnaryOpFunctorIdLi2ELi1ELi1EEEJNS0_3ExpIdEEEEEvT_T0_DpT1_
; %bb.0:
	v_mov_b32_e32 v1, s6
	global_load_ubyte v1, v1, s[4:5] offset:1536
	s_add_u32 s0, s4, s6
	s_mul_hi_u32 s2, s6, 3
	s_mul_i32 s6, s6, 3
	s_addc_u32 s9, s5, 0
	s_add_u32 s8, s0, s6
	s_addc_u32 s9, s9, s2
	s_load_dword s8, s[8:9], 0x740
	s_mov_b32 s1, 0
	s_mov_b32 s7, s1
	s_mov_b32 s3, s1
	s_waitcnt lgkmcnt(0)
	s_ashr_i32 s9, s8, 31
	s_lshl_b64 s[16:17], s[8:9], 19
	s_waitcnt vmcnt(0)
	v_readfirstlane_b32 s0, v1
	s_lshl_b32 s0, s0, 3
	s_load_dwordx2 s[22:23], s[4:5], s0 offset:0x0
	s_load_dwordx2 s[10:11], s[4:5], s0 offset:0x400
	;; [unrolled: 1-line block ×3, first 2 shown]
	s_waitcnt lgkmcnt(0)
	s_add_u32 s33, s22, s16
	s_addc_u32 s62, s23, s17
	s_and_b32 s0, s33, 31
	s_add_u32 s63, s20, s16
	s_addc_u32 s64, s21, s17
	s_and_b32 s6, s10, 3
	s_and_b32 s2, s63, 31
	s_or_b64 s[6:7], s[0:1], s[6:7]
	s_or_b64 s[2:3], s[2:3], s[6:7]
	s_lshl_b64 s[6:7], s[8:9], 16
	s_sub_u32 s18, s10, s6
	s_subb_u32 s19, s11, s7
	s_cmp_eq_u64 s[2:3], 0
	s_mov_b64 s[2:3], -1
	s_cbranch_scc0 .LBB130_5
; %bb.1:
	v_mov_b32_e32 v3, 0
	v_lshlrev_b32_e32 v2, 2, v0
	v_cmp_gt_i64_e32 vcc, s[18:19], v[2:3]
	s_and_saveexec_b64 s[24:25], vcc
	s_cbranch_execz .LBB130_4
; %bb.2:
	s_load_dword s0, s[4:5], 0xc5c
	s_mov_b32 s2, 0xfca7ab0c
	s_mov_b32 s28, 0x652b82fe
	;; [unrolled: 1-line block ×4, first 2 shown]
	s_waitcnt lgkmcnt(0)
	s_and_b32 s0, s0, 0xffff
	s_mov_b32 s3, 0x3e928af3
	s_mov_b32 s36, 0x6a5dcb37
	;; [unrolled: 1-line block ×12, first 2 shown]
	v_lshlrev_b32_e32 v4, 5, v0
	s_mov_b64 s[26:27], 0
	v_add_lshl_u32 v2, v0, s0, 2
	s_lshl_b32 s65, s0, 2
	s_lshl_b32 s66, s0, 5
	s_mov_b32 s29, 0x3ff71547
	s_mov_b32 s31, 0xbfe62e42
	;; [unrolled: 1-line block ×4, first 2 shown]
	v_pk_mov_b32 v[6:7], s[2:3], s[2:3] op_sel:[0,1]
	s_mov_b32 s39, 0x3ec71dee
	s_mov_b32 s41, 0x3efa0199
	s_mov_b32 s43, 0x3f2a01a0
	s_mov_b32 s45, 0x3f56c16c
	s_mov_b32 s47, 0x3f811111
	s_mov_b32 s49, 0x3fa55555
	s_mov_b32 s51, 0x3fc55555
	s_mov_b32 s53, 0x3fe00000
	s_mov_b32 s55, 0x40900000
	v_mov_b32_e32 v1, 0x7ff00000
	s_mov_b32 s57, 0xc090cc00
	s_mov_b64 s[58:59], 0xffff
	v_mov_b32_e32 v5, s1
.LBB130_3:                              ; =>This Inner Loop Header: Depth=1
	v_cmp_le_i64_e32 vcc, s[18:19], v[2:3]
	v_cmp_lt_u64_e64 s[0:1], s[58:59], v[2:3]
	v_add_co_u32_e64 v2, s[2:3], s65, v2
	v_addc_co_u32_e64 v3, s[2:3], v3, v5, s[2:3]
	v_mov_b32_e32 v8, s62
	v_add_co_u32_e64 v12, s[2:3], s33, v4
	v_addc_co_u32_e64 v13, s[2:3], 0, v8, s[2:3]
	global_load_dwordx4 v[8:11], v[12:13], off
	s_nop 0
	global_load_dwordx4 v[12:15], v[12:13], off offset:16
	v_mov_b32_e32 v17, s64
	v_add_co_u32_e64 v16, s[2:3], s63, v4
	s_or_b64 s[60:61], vcc, s[0:1]
	v_addc_co_u32_e64 v17, s[2:3], 0, v17, s[2:3]
	s_waitcnt vmcnt(1)
	v_mul_f64 v[20:21], v[10:11], s[28:29]
	v_rndne_f64_e32 v[20:21], v[20:21]
	v_mul_f64 v[18:19], v[8:9], s[28:29]
	s_waitcnt vmcnt(0)
	v_mul_f64 v[22:23], v[12:13], s[28:29]
	v_fma_f64 v[28:29], s[30:31], v[20:21], v[10:11]
	v_rndne_f64_e32 v[18:19], v[18:19]
	v_rndne_f64_e32 v[22:23], v[22:23]
	v_fmac_f64_e32 v[28:29], s[34:35], v[20:21]
	v_fma_f64 v[26:27], s[30:31], v[18:19], v[8:9]
	v_cvt_i32_f64_e32 v35, v[20:21]
	v_fma_f64 v[30:31], s[30:31], v[22:23], v[12:13]
	v_fma_f64 v[20:21], s[36:37], v[28:29], v[6:7]
	v_fmac_f64_e32 v[26:27], s[34:35], v[18:19]
	v_fmac_f64_e32 v[30:31], s[34:35], v[22:23]
	v_fma_f64 v[20:21], v[28:29], v[20:21], s[38:39]
	v_cvt_i32_f64_e32 v34, v[18:19]
	v_cvt_i32_f64_e32 v36, v[22:23]
	v_fma_f64 v[18:19], s[36:37], v[26:27], v[6:7]
	v_fma_f64 v[22:23], s[36:37], v[30:31], v[6:7]
	;; [unrolled: 1-line block ×3, first 2 shown]
	v_mul_f64 v[24:25], v[14:15], s[28:29]
	v_fma_f64 v[18:19], v[26:27], v[18:19], s[38:39]
	v_fma_f64 v[22:23], v[30:31], v[22:23], s[38:39]
	v_fma_f64 v[20:21], v[28:29], v[20:21], s[42:43]
	v_rndne_f64_e32 v[24:25], v[24:25]
	v_fma_f64 v[18:19], v[26:27], v[18:19], s[40:41]
	v_fma_f64 v[22:23], v[30:31], v[22:23], s[40:41]
	;; [unrolled: 1-line block ×7, first 2 shown]
	v_fmac_f64_e32 v[32:33], s[34:35], v[24:25]
	v_fma_f64 v[18:19], v[26:27], v[18:19], s[44:45]
	v_fma_f64 v[22:23], v[30:31], v[22:23], s[44:45]
	;; [unrolled: 1-line block ×3, first 2 shown]
	v_cvt_i32_f64_e32 v37, v[24:25]
	v_fma_f64 v[24:25], s[36:37], v[32:33], v[6:7]
	v_fma_f64 v[18:19], v[26:27], v[18:19], s[46:47]
	;; [unrolled: 1-line block ×11, first 2 shown]
	v_fma_f64 v[20:21], v[28:29], v[20:21], 1.0
	v_fma_f64 v[24:25], v[32:33], v[24:25], s[42:43]
	v_fma_f64 v[18:19], v[26:27], v[18:19], s[52:53]
	;; [unrolled: 1-line block ×3, first 2 shown]
	v_fma_f64 v[20:21], v[28:29], v[20:21], 1.0
	v_fma_f64 v[24:25], v[32:33], v[24:25], s[44:45]
	v_fma_f64 v[18:19], v[26:27], v[18:19], 1.0
	v_fma_f64 v[22:23], v[30:31], v[22:23], 1.0
	v_ldexp_f64 v[20:21], v[20:21], v35
	v_cmp_nlt_f64_e32 vcc, s[54:55], v[10:11]
	v_cmp_ngt_f64_e64 s[8:9], s[56:57], v[10:11]
	v_fma_f64 v[24:25], v[32:33], v[24:25], s[46:47]
	v_fma_f64 v[18:19], v[26:27], v[18:19], 1.0
	v_fma_f64 v[22:23], v[30:31], v[22:23], 1.0
	v_cmp_nlt_f64_e64 s[0:1], s[54:55], v[12:13]
	v_cndmask_b32_e32 v21, v1, v21, vcc
	v_cmp_ngt_f64_e64 s[10:11], s[56:57], v[12:13]
	s_and_b64 vcc, s[8:9], vcc
	v_fma_f64 v[24:25], v[32:33], v[24:25], s[48:49]
	v_ldexp_f64 v[18:19], v[18:19], v34
	v_ldexp_f64 v[22:23], v[22:23], v36
	v_cmp_nlt_f64_e64 s[2:3], s[54:55], v[14:15]
	v_cmp_nlt_f64_e64 s[6:7], s[54:55], v[8:9]
	v_cmp_ngt_f64_e64 s[12:13], s[56:57], v[14:15]
	v_cmp_ngt_f64_e64 s[14:15], s[56:57], v[8:9]
	v_cndmask_b32_e32 v10, 0, v20, vcc
	s_and_b64 vcc, s[10:11], s[0:1]
	v_fma_f64 v[24:25], v[32:33], v[24:25], s[50:51]
	v_cndmask_b32_e64 v19, v1, v19, s[6:7]
	s_and_b64 s[6:7], s[14:15], s[6:7]
	v_cndmask_b32_e32 v12, 0, v22, vcc
	s_and_b64 vcc, s[12:13], s[2:3]
	v_fma_f64 v[24:25], v[32:33], v[24:25], s[52:53]
	s_add_u32 s33, s33, s66
	v_fma_f64 v[24:25], v[32:33], v[24:25], 1.0
	s_addc_u32 s62, s62, 0
	v_fma_f64 v[24:25], v[32:33], v[24:25], 1.0
	s_add_u32 s63, s63, s66
	v_ldexp_f64 v[24:25], v[24:25], v37
	s_addc_u32 s64, s64, 0
	v_cndmask_b32_e64 v23, v1, v23, s[0:1]
	v_cndmask_b32_e64 v25, v1, v25, s[2:3]
	s_and_b64 s[0:1], exec, s[60:61]
	v_cndmask_b32_e64 v9, 0, v19, s[14:15]
	v_cndmask_b32_e64 v8, 0, v18, s[6:7]
	;; [unrolled: 1-line block ×5, first 2 shown]
	v_cndmask_b32_e32 v14, 0, v24, vcc
	s_or_b64 s[26:27], s[0:1], s[26:27]
	global_store_dwordx4 v[16:17], v[8:11], off
	global_store_dwordx4 v[16:17], v[12:15], off offset:16
	s_andn2_b64 exec, exec, s[26:27]
	s_cbranch_execnz .LBB130_3
.LBB130_4:
	s_or_b64 exec, exec, s[24:25]
	s_mov_b64 s[2:3], 0
.LBB130_5:
	s_andn2_b64 vcc, exec, s[2:3]
	s_cbranch_vccnz .LBB130_25
; %bb.6:
	v_cmp_lt_i64_e64 s[0:1], s[18:19], 1
	s_and_b64 vcc, exec, s[0:1]
	s_cbranch_vccnz .LBB130_25
; %bb.7:
	s_load_dword s0, s[4:5], 0xc5c
	v_mov_b32_e32 v2, 0x10000
	v_mov_b32_e32 v3, 0
	v_cmp_lt_u64_e32 vcc, s[18:19], v[2:3]
	v_lshlrev_b32_e32 v10, 3, v0
	s_waitcnt lgkmcnt(0)
	s_and_b32 s2, s0, 0xffff
	s_and_b64 s[0:1], vcc, exec
	v_mov_b32_e32 v13, s23
	v_add_co_u32_e32 v2, vcc, s22, v10
	v_addc_co_u32_e32 v1, vcc, 0, v13, vcc
	v_mov_b32_e32 v11, 0
	v_mov_b32_e32 v15, s21
	v_add_co_u32_e32 v4, vcc, s20, v10
	v_addc_co_u32_e32 v3, vcc, 0, v15, vcc
	v_mad_u64_u32 v[8:9], s[0:1], s2, 24, v[10:11]
	v_add_co_u32_e32 v6, vcc, s22, v8
	v_addc_co_u32_e32 v5, vcc, v13, v9, vcc
	v_add_co_u32_e32 v8, vcc, s20, v8
	s_mul_i32 s4, s2, 3
	v_addc_co_u32_e32 v7, vcc, v15, v9, vcc
	v_add_co_u32_e32 v17, vcc, s4, v0
	v_addc_co_u32_e64 v44, s[0:1], 0, 0, vcc
	s_cselect_b32 s9, s19, 0
	s_cselect_b32 s8, s18, 0x10000
	s_lshl_b32 s0, s2, 4
	v_add_co_u32_e32 v11, vcc, s0, v10
	v_addc_co_u32_e64 v14, s[0:1], 0, 0, vcc
	v_add_co_u32_e32 v10, vcc, s22, v11
	v_addc_co_u32_e32 v9, vcc, v13, v14, vcc
	v_add_co_u32_e32 v12, vcc, s20, v11
	s_lshl_b32 s3, s2, 1
	v_addc_co_u32_e32 v11, vcc, v15, v14, vcc
	v_add_co_u32_e32 v45, vcc, s3, v0
	v_addc_co_u32_e64 v46, s[0:1], 0, 0, vcc
	v_add_co_u32_e32 v47, vcc, s2, v0
	v_lshlrev_b32_e32 v16, 3, v47
	v_addc_co_u32_e64 v48, s[0:1], 0, 0, vcc
	v_add_co_u32_e32 v14, vcc, s22, v16
	v_addc_co_u32_e32 v13, vcc, 0, v13, vcc
	v_add_co_u32_e32 v16, vcc, s20, v16
	s_mov_b32 s12, 0x652b82fe
	s_mov_b32 s14, 0xfefa39ef
	;; [unrolled: 1-line block ×7, first 2 shown]
	s_lshl_b32 s31, s2, 2
	s_lshl_b32 s33, s2, 5
	v_addc_co_u32_e32 v15, vcc, 0, v15, vcc
	s_mov_b64 s[10:11], 0
	s_mov_b32 s13, 0x3ff71547
	s_mov_b32 s15, 0xbfe62e42
	s_mov_b32 s21, 0xbc7abc9e
	s_mov_b32 s23, 0x3e5ade15
	s_mov_b32 s25, 0x40900000
	s_mov_b32 s27, 0xc090cc00
	v_mov_b32_e32 v18, 0xfca7ab0c
	v_mov_b32_e32 v19, 0x3e928af3
	;; [unrolled: 1-line block ×19, first 2 shown]
	s_branch .LBB130_9
.LBB130_8:                              ;   in Loop: Header=BB130_9 Depth=1
	s_or_b64 exec, exec, s[2:3]
	s_add_u32 s10, s10, s31
	s_addc_u32 s11, s11, 0
	s_waitcnt vmcnt(0)
	v_pk_mov_b32 v[36:37], s[18:19], s[18:19] op_sel:[0,1]
	v_cmp_ge_i64_e32 vcc, s[10:11], v[36:37]
	v_mov_b32_e32 v36, 0xffff
	v_mov_b32_e32 v37, 0
	v_cmp_gt_u64_e64 s[0:1], s[10:11], v[36:37]
	s_or_b64 s[0:1], vcc, s[0:1]
	v_mov_b32_e32 v36, s30
	v_add_co_u32_e32 v2, vcc, s33, v2
	v_addc_co_u32_e32 v1, vcc, v1, v36, vcc
	v_add_co_u32_e32 v4, vcc, s33, v4
	v_addc_co_u32_e32 v3, vcc, v3, v36, vcc
	v_add_co_u32_e32 v6, vcc, s33, v6
	v_addc_co_u32_e32 v5, vcc, v5, v36, vcc
	v_add_co_u32_e32 v8, vcc, s33, v8
	v_addc_co_u32_e32 v7, vcc, v7, v36, vcc
	v_add_co_u32_e32 v10, vcc, s33, v10
	v_addc_co_u32_e32 v9, vcc, v9, v36, vcc
	v_add_co_u32_e32 v12, vcc, s33, v12
	v_addc_co_u32_e32 v11, vcc, v11, v36, vcc
	v_add_co_u32_e32 v14, vcc, s33, v14
	v_addc_co_u32_e32 v13, vcc, v13, v36, vcc
	v_add_co_u32_e32 v16, vcc, s33, v16
	v_addc_co_u32_e32 v15, vcc, v15, v36, vcc
	s_and_b64 vcc, exec, s[0:1]
	s_cbranch_vccnz .LBB130_25
.LBB130_9:                              ; =>This Inner Loop Header: Depth=1
	v_mov_b32_e32 v37, s11
	v_add_co_u32_e32 v36, vcc, s10, v0
	v_addc_co_u32_e32 v37, vcc, 0, v37, vcc
	v_pk_mov_b32 v[40:41], 0, 0
	v_cmp_gt_u64_e64 s[4:5], s[8:9], v[36:37]
	v_pk_mov_b32 v[42:43], v[40:41], v[40:41] op_sel:[0,1]
	s_and_saveexec_b64 s[0:1], s[4:5]
	s_cbranch_execz .LBB130_11
; %bb.10:                               ;   in Loop: Header=BB130_9 Depth=1
	v_mov_b32_e32 v37, s17
	v_add_co_u32_e32 v36, vcc, s16, v2
	v_addc_co_u32_e32 v37, vcc, v1, v37, vcc
	global_load_dwordx2 v[42:43], v[36:37], off
.LBB130_11:                             ;   in Loop: Header=BB130_9 Depth=1
	s_or_b64 exec, exec, s[0:1]
	v_mov_b32_e32 v37, s11
	v_add_co_u32_e32 v36, vcc, s10, v47
	v_addc_co_u32_e32 v37, vcc, v48, v37, vcc
	v_cmp_gt_u64_e64 s[2:3], s[8:9], v[36:37]
	s_and_saveexec_b64 s[0:1], s[2:3]
	s_cbranch_execz .LBB130_13
; %bb.12:                               ;   in Loop: Header=BB130_9 Depth=1
	v_mov_b32_e32 v37, s17
	v_add_co_u32_e32 v36, vcc, s16, v14
	v_addc_co_u32_e32 v37, vcc, v13, v37, vcc
	global_load_dwordx2 v[40:41], v[36:37], off
.LBB130_13:                             ;   in Loop: Header=BB130_9 Depth=1
	s_or_b64 exec, exec, s[0:1]
	v_mov_b32_e32 v37, s11
	v_add_co_u32_e32 v36, vcc, s10, v45
	v_addc_co_u32_e32 v37, vcc, v46, v37, vcc
	v_cmp_gt_u64_e64 s[0:1], s[8:9], v[36:37]
	v_pk_mov_b32 v[36:37], 0, 0
	v_pk_mov_b32 v[38:39], v[36:37], v[36:37] op_sel:[0,1]
	s_and_saveexec_b64 s[6:7], s[0:1]
	s_cbranch_execz .LBB130_15
; %bb.14:                               ;   in Loop: Header=BB130_9 Depth=1
	v_mov_b32_e32 v39, s17
	v_add_co_u32_e32 v38, vcc, s16, v10
	v_addc_co_u32_e32 v39, vcc, v9, v39, vcc
	global_load_dwordx2 v[38:39], v[38:39], off
.LBB130_15:                             ;   in Loop: Header=BB130_9 Depth=1
	s_or_b64 exec, exec, s[6:7]
	v_mov_b32_e32 v51, s11
	v_add_co_u32_e32 v50, vcc, s10, v17
	v_addc_co_u32_e32 v51, vcc, v44, v51, vcc
	v_cmp_gt_u64_e32 vcc, s[8:9], v[50:51]
	s_and_saveexec_b64 s[28:29], vcc
	s_cbranch_execnz .LBB130_20
; %bb.16:                               ;   in Loop: Header=BB130_9 Depth=1
	s_or_b64 exec, exec, s[28:29]
	s_and_saveexec_b64 s[28:29], s[4:5]
	s_cbranch_execnz .LBB130_21
.LBB130_17:                             ;   in Loop: Header=BB130_9 Depth=1
	s_or_b64 exec, exec, s[28:29]
	s_and_saveexec_b64 s[6:7], s[2:3]
	s_cbranch_execnz .LBB130_22
.LBB130_18:                             ;   in Loop: Header=BB130_9 Depth=1
	s_or_b64 exec, exec, s[6:7]
	s_and_saveexec_b64 s[4:5], s[0:1]
	s_cbranch_execnz .LBB130_23
.LBB130_19:                             ;   in Loop: Header=BB130_9 Depth=1
	s_or_b64 exec, exec, s[4:5]
	s_and_saveexec_b64 s[2:3], vcc
	s_cbranch_execz .LBB130_8
	s_branch .LBB130_24
.LBB130_20:                             ;   in Loop: Header=BB130_9 Depth=1
	v_mov_b32_e32 v37, s17
	v_add_co_u32_e64 v36, s[6:7], s16, v6
	v_addc_co_u32_e64 v37, s[6:7], v5, v37, s[6:7]
	global_load_dwordx2 v[36:37], v[36:37], off
	s_or_b64 exec, exec, s[28:29]
	s_and_saveexec_b64 s[28:29], s[4:5]
	s_cbranch_execz .LBB130_17
.LBB130_21:                             ;   in Loop: Header=BB130_9 Depth=1
	s_waitcnt vmcnt(0)
	v_mul_f64 v[50:51], v[42:43], s[12:13]
	v_rndne_f64_e32 v[50:51], v[50:51]
	v_fma_f64 v[52:53], s[14:15], v[50:51], v[42:43]
	v_fmac_f64_e32 v[52:53], s[20:21], v[50:51]
	v_pk_mov_b32 v[54:55], v[18:19], v[18:19] op_sel:[0,1]
	v_fmac_f64_e32 v[54:55], s[22:23], v[52:53]
	v_pk_mov_b32 v[56:57], v[20:21], v[20:21] op_sel:[0,1]
	;; [unrolled: 2-line block ×9, first 2 shown]
	v_fmac_f64_e32 v[54:55], v[52:53], v[56:57]
	v_fma_f64 v[54:55], v[52:53], v[54:55], 1.0
	v_fma_f64 v[52:53], v[52:53], v[54:55], 1.0
	v_cvt_i32_f64_e32 v50, v[50:51]
	v_ldexp_f64 v[50:51], v[52:53], v50
	v_cmp_nlt_f64_e64 s[4:5], s[24:25], v[42:43]
	v_cmp_ngt_f64_e64 s[6:7], s[26:27], v[42:43]
	v_cndmask_b32_e64 v51, v49, v51, s[4:5]
	s_and_b64 s[4:5], s[6:7], s[4:5]
	v_cndmask_b32_e64 v43, 0, v51, s[6:7]
	v_cndmask_b32_e64 v42, 0, v50, s[4:5]
	v_mov_b32_e32 v51, s17
	v_add_co_u32_e64 v50, s[4:5], s16, v4
	v_addc_co_u32_e64 v51, s[4:5], v3, v51, s[4:5]
	global_store_dwordx2 v[50:51], v[42:43], off
	s_or_b64 exec, exec, s[28:29]
	s_and_saveexec_b64 s[6:7], s[2:3]
	s_cbranch_execz .LBB130_18
.LBB130_22:                             ;   in Loop: Header=BB130_9 Depth=1
	s_waitcnt vmcnt(0)
	v_mul_f64 v[42:43], v[40:41], s[12:13]
	v_rndne_f64_e32 v[42:43], v[42:43]
	v_fma_f64 v[50:51], s[14:15], v[42:43], v[40:41]
	v_fmac_f64_e32 v[50:51], s[20:21], v[42:43]
	v_pk_mov_b32 v[52:53], v[18:19], v[18:19] op_sel:[0,1]
	v_fmac_f64_e32 v[52:53], s[22:23], v[50:51]
	v_pk_mov_b32 v[54:55], v[20:21], v[20:21] op_sel:[0,1]
	;; [unrolled: 2-line block ×9, first 2 shown]
	v_fmac_f64_e32 v[52:53], v[50:51], v[54:55]
	v_fma_f64 v[52:53], v[50:51], v[52:53], 1.0
	v_fma_f64 v[50:51], v[50:51], v[52:53], 1.0
	v_cvt_i32_f64_e32 v42, v[42:43]
	v_ldexp_f64 v[42:43], v[50:51], v42
	v_cmp_nlt_f64_e64 s[2:3], s[24:25], v[40:41]
	v_cmp_ngt_f64_e64 s[4:5], s[26:27], v[40:41]
	v_cndmask_b32_e64 v43, v49, v43, s[2:3]
	s_and_b64 s[2:3], s[4:5], s[2:3]
	v_cndmask_b32_e64 v41, 0, v43, s[4:5]
	v_cndmask_b32_e64 v40, 0, v42, s[2:3]
	v_mov_b32_e32 v43, s17
	v_add_co_u32_e64 v42, s[2:3], s16, v16
	v_addc_co_u32_e64 v43, s[2:3], v15, v43, s[2:3]
	global_store_dwordx2 v[42:43], v[40:41], off
	s_or_b64 exec, exec, s[6:7]
	s_and_saveexec_b64 s[4:5], s[0:1]
	s_cbranch_execz .LBB130_19
.LBB130_23:                             ;   in Loop: Header=BB130_9 Depth=1
	s_waitcnt vmcnt(0)
	v_mul_f64 v[40:41], v[38:39], s[12:13]
	v_rndne_f64_e32 v[40:41], v[40:41]
	v_fma_f64 v[42:43], s[14:15], v[40:41], v[38:39]
	v_fmac_f64_e32 v[42:43], s[20:21], v[40:41]
	v_pk_mov_b32 v[50:51], v[18:19], v[18:19] op_sel:[0,1]
	v_fmac_f64_e32 v[50:51], s[22:23], v[42:43]
	v_pk_mov_b32 v[52:53], v[20:21], v[20:21] op_sel:[0,1]
	;; [unrolled: 2-line block ×9, first 2 shown]
	v_fmac_f64_e32 v[50:51], v[42:43], v[52:53]
	v_fma_f64 v[50:51], v[42:43], v[50:51], 1.0
	v_fma_f64 v[42:43], v[42:43], v[50:51], 1.0
	v_cvt_i32_f64_e32 v40, v[40:41]
	v_ldexp_f64 v[40:41], v[42:43], v40
	v_cmp_nlt_f64_e64 s[0:1], s[24:25], v[38:39]
	v_cmp_ngt_f64_e64 s[2:3], s[26:27], v[38:39]
	v_cndmask_b32_e64 v41, v49, v41, s[0:1]
	s_and_b64 s[0:1], s[2:3], s[0:1]
	v_cndmask_b32_e64 v39, 0, v41, s[2:3]
	v_cndmask_b32_e64 v38, 0, v40, s[0:1]
	v_mov_b32_e32 v41, s17
	v_add_co_u32_e64 v40, s[0:1], s16, v12
	v_addc_co_u32_e64 v41, s[0:1], v11, v41, s[0:1]
	global_store_dwordx2 v[40:41], v[38:39], off
	s_or_b64 exec, exec, s[4:5]
	s_and_saveexec_b64 s[2:3], vcc
	s_cbranch_execz .LBB130_8
.LBB130_24:                             ;   in Loop: Header=BB130_9 Depth=1
	s_waitcnt vmcnt(0)
	v_mul_f64 v[38:39], v[36:37], s[12:13]
	v_rndne_f64_e32 v[38:39], v[38:39]
	v_fma_f64 v[40:41], s[14:15], v[38:39], v[36:37]
	v_fmac_f64_e32 v[40:41], s[20:21], v[38:39]
	v_pk_mov_b32 v[42:43], v[18:19], v[18:19] op_sel:[0,1]
	v_fmac_f64_e32 v[42:43], s[22:23], v[40:41]
	v_pk_mov_b32 v[50:51], v[20:21], v[20:21] op_sel:[0,1]
	;; [unrolled: 2-line block ×9, first 2 shown]
	v_fmac_f64_e32 v[42:43], v[40:41], v[50:51]
	v_fma_f64 v[42:43], v[40:41], v[42:43], 1.0
	v_fma_f64 v[40:41], v[40:41], v[42:43], 1.0
	v_cvt_i32_f64_e32 v38, v[38:39]
	v_ldexp_f64 v[38:39], v[40:41], v38
	v_cmp_nlt_f64_e32 vcc, s[24:25], v[36:37]
	v_cmp_ngt_f64_e64 s[0:1], s[26:27], v[36:37]
	v_cndmask_b32_e32 v39, v49, v39, vcc
	s_and_b64 vcc, s[0:1], vcc
	v_cndmask_b32_e64 v37, 0, v39, s[0:1]
	v_cndmask_b32_e32 v36, 0, v38, vcc
	v_mov_b32_e32 v39, s17
	v_add_co_u32_e32 v38, vcc, s16, v8
	v_addc_co_u32_e32 v39, vcc, v7, v39, vcc
	global_store_dwordx2 v[38:39], v[36:37], off
	s_branch .LBB130_8
.LBB130_25:
	s_endpgm
	.section	.rodata,"a",@progbits
	.p2align	6, 0x0
	.amdhsa_kernel _ZN2at6native12_GLOBAL__N_125multi_tensor_apply_kernelINS1_18TensorListMetadataILi2EEENS1_14UnaryOpFunctorIdLi2ELi1ELi1EEEJNS0_3ExpIdEEEEEvT_T0_DpT1_
		.amdhsa_group_segment_fixed_size 0
		.amdhsa_private_segment_fixed_size 0
		.amdhsa_kernarg_size 3408
		.amdhsa_user_sgpr_count 6
		.amdhsa_user_sgpr_private_segment_buffer 1
		.amdhsa_user_sgpr_dispatch_ptr 0
		.amdhsa_user_sgpr_queue_ptr 0
		.amdhsa_user_sgpr_kernarg_segment_ptr 1
		.amdhsa_user_sgpr_dispatch_id 0
		.amdhsa_user_sgpr_flat_scratch_init 0
		.amdhsa_user_sgpr_kernarg_preload_length 0
		.amdhsa_user_sgpr_kernarg_preload_offset 0
		.amdhsa_user_sgpr_private_segment_size 0
		.amdhsa_uses_dynamic_stack 0
		.amdhsa_system_sgpr_private_segment_wavefront_offset 0
		.amdhsa_system_sgpr_workgroup_id_x 1
		.amdhsa_system_sgpr_workgroup_id_y 0
		.amdhsa_system_sgpr_workgroup_id_z 0
		.amdhsa_system_sgpr_workgroup_info 0
		.amdhsa_system_vgpr_workitem_id 0
		.amdhsa_next_free_vgpr 58
		.amdhsa_next_free_sgpr 67
		.amdhsa_accum_offset 60
		.amdhsa_reserve_vcc 1
		.amdhsa_reserve_flat_scratch 0
		.amdhsa_float_round_mode_32 0
		.amdhsa_float_round_mode_16_64 0
		.amdhsa_float_denorm_mode_32 3
		.amdhsa_float_denorm_mode_16_64 3
		.amdhsa_dx10_clamp 1
		.amdhsa_ieee_mode 1
		.amdhsa_fp16_overflow 0
		.amdhsa_tg_split 0
		.amdhsa_exception_fp_ieee_invalid_op 0
		.amdhsa_exception_fp_denorm_src 0
		.amdhsa_exception_fp_ieee_div_zero 0
		.amdhsa_exception_fp_ieee_overflow 0
		.amdhsa_exception_fp_ieee_underflow 0
		.amdhsa_exception_fp_ieee_inexact 0
		.amdhsa_exception_int_div_zero 0
	.end_amdhsa_kernel
	.section	.text._ZN2at6native12_GLOBAL__N_125multi_tensor_apply_kernelINS1_18TensorListMetadataILi2EEENS1_14UnaryOpFunctorIdLi2ELi1ELi1EEEJNS0_3ExpIdEEEEEvT_T0_DpT1_,"axG",@progbits,_ZN2at6native12_GLOBAL__N_125multi_tensor_apply_kernelINS1_18TensorListMetadataILi2EEENS1_14UnaryOpFunctorIdLi2ELi1ELi1EEEJNS0_3ExpIdEEEEEvT_T0_DpT1_,comdat
.Lfunc_end130:
	.size	_ZN2at6native12_GLOBAL__N_125multi_tensor_apply_kernelINS1_18TensorListMetadataILi2EEENS1_14UnaryOpFunctorIdLi2ELi1ELi1EEEJNS0_3ExpIdEEEEEvT_T0_DpT1_, .Lfunc_end130-_ZN2at6native12_GLOBAL__N_125multi_tensor_apply_kernelINS1_18TensorListMetadataILi2EEENS1_14UnaryOpFunctorIdLi2ELi1ELi1EEEJNS0_3ExpIdEEEEEvT_T0_DpT1_
                                        ; -- End function
	.section	.AMDGPU.csdata,"",@progbits
; Kernel info:
; codeLenInByte = 3180
; NumSgprs: 71
; NumVgprs: 58
; NumAgprs: 0
; TotalNumVgprs: 58
; ScratchSize: 0
; MemoryBound: 0
; FloatMode: 240
; IeeeMode: 1
; LDSByteSize: 0 bytes/workgroup (compile time only)
; SGPRBlocks: 8
; VGPRBlocks: 7
; NumSGPRsForWavesPerEU: 71
; NumVGPRsForWavesPerEU: 58
; AccumOffset: 60
; Occupancy: 8
; WaveLimiterHint : 0
; COMPUTE_PGM_RSRC2:SCRATCH_EN: 0
; COMPUTE_PGM_RSRC2:USER_SGPR: 6
; COMPUTE_PGM_RSRC2:TRAP_HANDLER: 0
; COMPUTE_PGM_RSRC2:TGID_X_EN: 1
; COMPUTE_PGM_RSRC2:TGID_Y_EN: 0
; COMPUTE_PGM_RSRC2:TGID_Z_EN: 0
; COMPUTE_PGM_RSRC2:TIDIG_COMP_CNT: 0
; COMPUTE_PGM_RSRC3_GFX90A:ACCUM_OFFSET: 14
; COMPUTE_PGM_RSRC3_GFX90A:TG_SPLIT: 0
	.section	.text._ZN2at6native12_GLOBAL__N_125multi_tensor_apply_kernelINS1_18TensorListMetadataILi2EEENS1_14UnaryOpFunctorIfLi2ELi1ELi1EEEJNS0_3ExpIfEEEEEvT_T0_DpT1_,"axG",@progbits,_ZN2at6native12_GLOBAL__N_125multi_tensor_apply_kernelINS1_18TensorListMetadataILi2EEENS1_14UnaryOpFunctorIfLi2ELi1ELi1EEEJNS0_3ExpIfEEEEEvT_T0_DpT1_,comdat
	.globl	_ZN2at6native12_GLOBAL__N_125multi_tensor_apply_kernelINS1_18TensorListMetadataILi2EEENS1_14UnaryOpFunctorIfLi2ELi1ELi1EEEJNS0_3ExpIfEEEEEvT_T0_DpT1_ ; -- Begin function _ZN2at6native12_GLOBAL__N_125multi_tensor_apply_kernelINS1_18TensorListMetadataILi2EEENS1_14UnaryOpFunctorIfLi2ELi1ELi1EEEJNS0_3ExpIfEEEEEvT_T0_DpT1_
	.p2align	8
	.type	_ZN2at6native12_GLOBAL__N_125multi_tensor_apply_kernelINS1_18TensorListMetadataILi2EEENS1_14UnaryOpFunctorIfLi2ELi1ELi1EEEJNS0_3ExpIfEEEEEvT_T0_DpT1_,@function
_ZN2at6native12_GLOBAL__N_125multi_tensor_apply_kernelINS1_18TensorListMetadataILi2EEENS1_14UnaryOpFunctorIfLi2ELi1ELi1EEEJNS0_3ExpIfEEEEEvT_T0_DpT1_: ; @_ZN2at6native12_GLOBAL__N_125multi_tensor_apply_kernelINS1_18TensorListMetadataILi2EEENS1_14UnaryOpFunctorIfLi2ELi1ELi1EEEJNS0_3ExpIfEEEEEvT_T0_DpT1_
; %bb.0:
	v_mov_b32_e32 v1, s6
	global_load_ubyte v1, v1, s[4:5] offset:1536
	s_add_u32 s0, s4, s6
	s_mul_hi_u32 s2, s6, 3
	s_mul_i32 s6, s6, 3
	s_addc_u32 s7, s5, 0
	s_add_u32 s6, s0, s6
	s_addc_u32 s7, s7, s2
	s_mov_b32 s1, 0
	s_mov_b32 s3, s1
	s_waitcnt vmcnt(0)
	v_readfirstlane_b32 s0, v1
	s_lshl_b32 s0, s0, 3
	s_load_dword s10, s[6:7], 0x740
	s_load_dwordx2 s[16:17], s[4:5], s0 offset:0x0
	s_load_dwordx2 s[12:13], s[4:5], s0 offset:0x400
	;; [unrolled: 1-line block ×3, first 2 shown]
	s_mov_b32 s7, s1
	s_waitcnt lgkmcnt(0)
	s_ashr_i32 s11, s10, 31
	s_and_b32 s0, s16, 15
	s_and_b32 s6, s12, 3
	;; [unrolled: 1-line block ×3, first 2 shown]
	s_or_b64 s[6:7], s[0:1], s[6:7]
	s_lshl_b64 s[8:9], s[10:11], 18
	s_or_b64 s[2:3], s[2:3], s[6:7]
	s_lshl_b64 s[6:7], s[10:11], 16
	s_sub_u32 s10, s12, s6
	s_subb_u32 s11, s13, s7
	s_cmp_eq_u64 s[2:3], 0
	s_mov_b64 s[2:3], -1
	s_cbranch_scc0 .LBB131_5
; %bb.1:
	v_mov_b32_e32 v3, 0
	v_lshlrev_b32_e32 v2, 2, v0
	v_cmp_gt_i64_e32 vcc, s[10:11], v[2:3]
	s_and_saveexec_b64 s[12:13], vcc
	s_cbranch_execz .LBB131_4
; %bb.2:
	s_load_dword s0, s[4:5], 0xc5c
	v_lshlrev_b32_e32 v1, 4, v0
	v_mov_b32_e32 v4, s9
	v_add_co_u32_e32 v1, vcc, s8, v1
	v_addc_co_u32_e32 v5, vcc, 0, v4, vcc
	s_waitcnt lgkmcnt(0)
	s_and_b32 s0, s0, 0xffff
	v_add_co_u32_e32 v4, vcc, 8, v1
	v_add_lshl_u32 v2, v0, s0, 2
	s_lshl_b32 s22, s0, 2
	v_addc_co_u32_e32 v1, vcc, 0, v5, vcc
	s_lshl_b32 s23, s0, 4
	s_mov_b64 s[18:19], 0
	v_mov_b32_e32 v5, s17
	v_mov_b32_e32 v6, s15
	s_mov_b32 s24, 0x3fb8aa3b
	s_mov_b32 s25, 0xc2ce8ed0
	;; [unrolled: 1-line block ×3, first 2 shown]
	v_mov_b32_e32 v7, 0x7f800000
	s_mov_b64 s[20:21], 0xffff
	v_mov_b32_e32 v8, s1
	v_mov_b32_e32 v9, s1
.LBB131_3:                              ; =>This Inner Loop Header: Depth=1
	v_add_co_u32_e32 v10, vcc, s16, v4
	v_addc_co_u32_e32 v11, vcc, v5, v1, vcc
	global_load_dwordx4 v[10:13], v[10:11], off offset:-8
	v_add_co_u32_e32 v14, vcc, s14, v4
	v_addc_co_u32_e32 v15, vcc, v6, v1, vcc
	v_cmp_le_i64_e32 vcc, s[10:11], v[2:3]
	v_cmp_lt_u64_e64 s[0:1], s[20:21], v[2:3]
	v_add_co_u32_e64 v2, s[2:3], s22, v2
	v_addc_co_u32_e64 v3, s[2:3], v3, v8, s[2:3]
	v_add_co_u32_e64 v4, s[2:3], s23, v4
	s_or_b64 s[0:1], vcc, s[0:1]
	v_addc_co_u32_e64 v1, s[2:3], v1, v9, s[2:3]
	s_and_b64 s[0:1], exec, s[0:1]
	s_or_b64 s[18:19], s[0:1], s[18:19]
	s_waitcnt vmcnt(0)
	v_mul_f32_e32 v16, 0x3fb8aa3b, v11
	v_mul_f32_e32 v17, 0x3fb8aa3b, v10
	;; [unrolled: 1-line block ×4, first 2 shown]
	v_fma_f32 v20, v11, s24, -v16
	v_rndne_f32_e32 v21, v16
	v_fma_f32 v22, v10, s24, -v17
	v_rndne_f32_e32 v23, v17
	;; [unrolled: 2-line block ×4, first 2 shown]
	v_fmac_f32_e32 v20, 0x32a5705f, v11
	v_sub_f32_e32 v16, v16, v21
	v_fmac_f32_e32 v22, 0x32a5705f, v10
	v_sub_f32_e32 v17, v17, v23
	;; [unrolled: 2-line block ×4, first 2 shown]
	v_add_f32_e32 v16, v16, v20
	v_add_f32_e32 v17, v17, v22
	;; [unrolled: 1-line block ×4, first 2 shown]
	v_cvt_i32_f32_e32 v21, v21
	v_cvt_i32_f32_e32 v23, v23
	;; [unrolled: 1-line block ×4, first 2 shown]
	v_exp_f32_e32 v16, v16
	v_exp_f32_e32 v17, v17
	;; [unrolled: 1-line block ×4, first 2 shown]
	v_ldexp_f32 v16, v16, v21
	v_ldexp_f32 v17, v17, v23
	v_cmp_ngt_f32_e32 vcc, s25, v10
	v_ldexp_f32 v18, v18, v25
	v_cmp_ngt_f32_e64 s[0:1], s25, v13
	v_ldexp_f32 v19, v19, v27
	v_cmp_ngt_f32_e64 s[2:3], s25, v12
	v_cmp_ngt_f32_e64 s[6:7], s25, v11
	v_cndmask_b32_e64 v16, 0, v16, s[6:7]
	v_cndmask_b32_e32 v17, 0, v17, vcc
	v_cmp_nlt_f32_e32 vcc, s26, v10
	v_cndmask_b32_e64 v18, 0, v18, s[0:1]
	v_cmp_nlt_f32_e64 s[0:1], s26, v13
	v_cndmask_b32_e64 v19, 0, v19, s[2:3]
	v_cmp_nlt_f32_e64 s[2:3], s26, v12
	v_cmp_nlt_f32_e64 s[6:7], s26, v11
	v_cndmask_b32_e64 v11, v7, v16, s[6:7]
	v_cndmask_b32_e32 v10, v7, v17, vcc
	v_cndmask_b32_e64 v13, v7, v18, s[0:1]
	v_cndmask_b32_e64 v12, v7, v19, s[2:3]
	global_store_dwordx4 v[14:15], v[10:13], off offset:-8
	s_andn2_b64 exec, exec, s[18:19]
	s_cbranch_execnz .LBB131_3
.LBB131_4:
	s_or_b64 exec, exec, s[12:13]
	s_mov_b64 s[2:3], 0
.LBB131_5:
	s_andn2_b64 vcc, exec, s[2:3]
	s_cbranch_vccnz .LBB131_25
; %bb.6:
	v_cmp_lt_i64_e64 s[0:1], s[10:11], 1
	s_and_b64 vcc, exec, s[0:1]
	s_cbranch_vccnz .LBB131_25
; %bb.7:
	s_load_dword s0, s[4:5], 0xc5c
	v_mov_b32_e32 v2, 0x10000
	v_mov_b32_e32 v3, 0
	v_cmp_lt_u64_e32 vcc, s[10:11], v[2:3]
	v_lshlrev_b32_e32 v10, 2, v0
	s_waitcnt lgkmcnt(0)
	s_and_b32 s2, s0, 0xffff
	s_and_b64 s[0:1], vcc, exec
	v_mov_b32_e32 v13, s17
	v_add_co_u32_e32 v2, vcc, s16, v10
	v_addc_co_u32_e32 v1, vcc, 0, v13, vcc
	v_mov_b32_e32 v11, 0
	v_mov_b32_e32 v15, s15
	v_add_co_u32_e32 v4, vcc, s14, v10
	v_addc_co_u32_e32 v3, vcc, 0, v15, vcc
	v_mad_u64_u32 v[8:9], s[0:1], s2, 12, v[10:11]
	v_add_co_u32_e32 v6, vcc, s16, v8
	v_addc_co_u32_e32 v5, vcc, v13, v9, vcc
	v_add_co_u32_e32 v8, vcc, s14, v8
	s_mul_i32 s4, s2, 3
	v_addc_co_u32_e32 v7, vcc, v15, v9, vcc
	v_add_co_u32_e32 v17, vcc, s4, v0
	v_addc_co_u32_e64 v18, s[0:1], 0, 0, vcc
	s_cselect_b32 s13, s11, 0
	s_cselect_b32 s12, s10, 0x10000
	s_lshl_b32 s0, s2, 3
	v_add_co_u32_e32 v11, vcc, s0, v10
	v_addc_co_u32_e64 v14, s[0:1], 0, 0, vcc
	v_add_co_u32_e32 v10, vcc, s16, v11
	v_addc_co_u32_e32 v9, vcc, v13, v14, vcc
	v_add_co_u32_e32 v12, vcc, s14, v11
	s_lshl_b32 s3, s2, 1
	v_addc_co_u32_e32 v11, vcc, v15, v14, vcc
	v_add_co_u32_e32 v19, vcc, s3, v0
	v_addc_co_u32_e64 v20, s[0:1], 0, 0, vcc
	v_add_co_u32_e32 v21, vcc, s2, v0
	v_lshlrev_b32_e32 v16, 2, v21
	v_addc_co_u32_e64 v22, s[0:1], 0, 0, vcc
	v_add_co_u32_e32 v14, vcc, s16, v16
	v_addc_co_u32_e32 v13, vcc, 0, v13, vcc
	v_add_co_u32_e32 v16, vcc, s14, v16
	s_mov_b32 s18, 0
	s_lshl_b32 s19, s2, 2
	s_lshl_b32 s20, s2, 4
	v_addc_co_u32_e32 v15, vcc, 0, v15, vcc
	s_mov_b64 s[14:15], 0
	s_mov_b32 s21, 0x3fb8aa3b
	s_mov_b32 s22, 0xc2ce8ed0
	;; [unrolled: 1-line block ×3, first 2 shown]
	v_mov_b32_e32 v23, 0x7f800000
	s_branch .LBB131_9
.LBB131_8:                              ;   in Loop: Header=BB131_9 Depth=1
	s_or_b64 exec, exec, s[0:1]
	s_add_u32 s14, s14, s19
	s_addc_u32 s15, s15, 0
	s_waitcnt vmcnt(0)
	v_pk_mov_b32 v[24:25], s[10:11], s[10:11] op_sel:[0,1]
	v_cmp_ge_i64_e32 vcc, s[14:15], v[24:25]
	v_mov_b32_e32 v24, 0xffff
	v_mov_b32_e32 v25, 0
	v_cmp_gt_u64_e64 s[0:1], s[14:15], v[24:25]
	s_or_b64 s[0:1], vcc, s[0:1]
	v_mov_b32_e32 v24, s18
	v_add_co_u32_e32 v2, vcc, s20, v2
	v_addc_co_u32_e32 v1, vcc, v1, v24, vcc
	v_add_co_u32_e32 v4, vcc, s20, v4
	v_addc_co_u32_e32 v3, vcc, v3, v24, vcc
	;; [unrolled: 2-line block ×8, first 2 shown]
	s_and_b64 vcc, exec, s[0:1]
	s_cbranch_vccnz .LBB131_25
.LBB131_9:                              ; =>This Inner Loop Header: Depth=1
	v_mov_b32_e32 v25, s15
	v_add_co_u32_e32 v24, vcc, s14, v0
	v_addc_co_u32_e32 v25, vcc, 0, v25, vcc
	v_cmp_gt_u64_e64 s[4:5], s[12:13], v[24:25]
	v_mov_b32_e32 v26, 0
	s_and_saveexec_b64 s[0:1], s[4:5]
	s_cbranch_execz .LBB131_11
; %bb.10:                               ;   in Loop: Header=BB131_9 Depth=1
	v_mov_b32_e32 v25, s9
	v_add_co_u32_e32 v24, vcc, s8, v2
	v_addc_co_u32_e32 v25, vcc, v1, v25, vcc
	global_load_dword v26, v[24:25], off
.LBB131_11:                             ;   in Loop: Header=BB131_9 Depth=1
	s_or_b64 exec, exec, s[0:1]
	v_mov_b32_e32 v25, s15
	v_add_co_u32_e32 v24, vcc, s14, v21
	v_addc_co_u32_e32 v25, vcc, v22, v25, vcc
	v_cmp_gt_u64_e64 s[2:3], s[12:13], v[24:25]
	v_mov_b32_e32 v27, 0
	s_and_saveexec_b64 s[0:1], s[2:3]
	s_cbranch_execz .LBB131_13
; %bb.12:                               ;   in Loop: Header=BB131_9 Depth=1
	v_mov_b32_e32 v25, s9
	v_add_co_u32_e32 v24, vcc, s8, v14
	v_addc_co_u32_e32 v25, vcc, v13, v25, vcc
	global_load_dword v27, v[24:25], off
.LBB131_13:                             ;   in Loop: Header=BB131_9 Depth=1
	s_or_b64 exec, exec, s[0:1]
	v_mov_b32_e32 v25, s15
	v_add_co_u32_e32 v24, vcc, s14, v19
	v_addc_co_u32_e32 v25, vcc, v20, v25, vcc
	v_cmp_gt_u64_e64 s[0:1], s[12:13], v[24:25]
	v_mov_b32_e32 v24, 0
	v_mov_b32_e32 v25, 0
	s_and_saveexec_b64 s[6:7], s[0:1]
	s_cbranch_execz .LBB131_15
; %bb.14:                               ;   in Loop: Header=BB131_9 Depth=1
	v_mov_b32_e32 v25, s9
	v_add_co_u32_e32 v28, vcc, s8, v10
	v_addc_co_u32_e32 v29, vcc, v9, v25, vcc
	global_load_dword v25, v[28:29], off
.LBB131_15:                             ;   in Loop: Header=BB131_9 Depth=1
	s_or_b64 exec, exec, s[6:7]
	v_mov_b32_e32 v29, s15
	v_add_co_u32_e32 v28, vcc, s14, v17
	v_addc_co_u32_e32 v29, vcc, v18, v29, vcc
	v_cmp_gt_u64_e32 vcc, s[12:13], v[28:29]
	s_and_saveexec_b64 s[16:17], vcc
	s_cbranch_execnz .LBB131_20
; %bb.16:                               ;   in Loop: Header=BB131_9 Depth=1
	s_or_b64 exec, exec, s[16:17]
	s_and_saveexec_b64 s[6:7], s[4:5]
	s_cbranch_execnz .LBB131_21
.LBB131_17:                             ;   in Loop: Header=BB131_9 Depth=1
	s_or_b64 exec, exec, s[6:7]
	s_and_saveexec_b64 s[4:5], s[2:3]
	s_cbranch_execnz .LBB131_22
.LBB131_18:                             ;   in Loop: Header=BB131_9 Depth=1
	s_or_b64 exec, exec, s[4:5]
	s_and_saveexec_b64 s[2:3], s[0:1]
	s_cbranch_execnz .LBB131_23
.LBB131_19:                             ;   in Loop: Header=BB131_9 Depth=1
	s_or_b64 exec, exec, s[2:3]
	s_and_saveexec_b64 s[0:1], vcc
	s_cbranch_execz .LBB131_8
	s_branch .LBB131_24
.LBB131_20:                             ;   in Loop: Header=BB131_9 Depth=1
	v_mov_b32_e32 v24, s9
	v_add_co_u32_e64 v28, s[6:7], s8, v6
	v_addc_co_u32_e64 v29, s[6:7], v5, v24, s[6:7]
	global_load_dword v24, v[28:29], off
	s_or_b64 exec, exec, s[16:17]
	s_and_saveexec_b64 s[6:7], s[4:5]
	s_cbranch_execz .LBB131_17
.LBB131_21:                             ;   in Loop: Header=BB131_9 Depth=1
	s_waitcnt vmcnt(0)
	v_mul_f32_e32 v28, 0x3fb8aa3b, v26
	v_rndne_f32_e32 v30, v28
	v_sub_f32_e32 v31, v28, v30
	v_fma_f32 v28, v26, s21, -v28
	v_fmac_f32_e32 v28, 0x32a5705f, v26
	v_add_f32_e32 v28, v31, v28
	v_exp_f32_e32 v31, v28
	v_cvt_i32_f32_e32 v30, v30
	v_mov_b32_e32 v29, s9
	v_add_co_u32_e64 v28, s[4:5], s8, v4
	v_addc_co_u32_e64 v29, s[4:5], v3, v29, s[4:5]
	v_ldexp_f32 v30, v31, v30
	v_cmp_ngt_f32_e64 s[4:5], s22, v26
	v_cndmask_b32_e64 v30, 0, v30, s[4:5]
	v_cmp_nlt_f32_e64 s[4:5], s23, v26
	v_cndmask_b32_e64 v26, v23, v30, s[4:5]
	global_store_dword v[28:29], v26, off
	s_or_b64 exec, exec, s[6:7]
	s_and_saveexec_b64 s[4:5], s[2:3]
	s_cbranch_execz .LBB131_18
.LBB131_22:                             ;   in Loop: Header=BB131_9 Depth=1
	s_waitcnt vmcnt(0)
	v_mul_f32_e32 v26, 0x3fb8aa3b, v27
	v_rndne_f32_e32 v28, v26
	v_sub_f32_e32 v29, v26, v28
	v_fma_f32 v26, v27, s21, -v26
	v_fmac_f32_e32 v26, 0x32a5705f, v27
	v_add_f32_e32 v26, v29, v26
	v_cvt_i32_f32_e32 v28, v28
	v_exp_f32_e32 v26, v26
	v_cmp_ngt_f32_e64 s[2:3], s22, v27
	v_ldexp_f32 v26, v26, v28
	v_cndmask_b32_e64 v26, 0, v26, s[2:3]
	v_cmp_nlt_f32_e64 s[2:3], s23, v27
	v_cndmask_b32_e64 v28, v23, v26, s[2:3]
	v_mov_b32_e32 v27, s9
	v_add_co_u32_e64 v26, s[2:3], s8, v16
	v_addc_co_u32_e64 v27, s[2:3], v15, v27, s[2:3]
	global_store_dword v[26:27], v28, off
	s_or_b64 exec, exec, s[4:5]
	s_and_saveexec_b64 s[2:3], s[0:1]
	s_cbranch_execz .LBB131_19
.LBB131_23:                             ;   in Loop: Header=BB131_9 Depth=1
	s_waitcnt vmcnt(0)
	v_mul_f32_e32 v26, 0x3fb8aa3b, v25
	v_rndne_f32_e32 v27, v26
	v_sub_f32_e32 v28, v26, v27
	v_fma_f32 v26, v25, s21, -v26
	v_fmac_f32_e32 v26, 0x32a5705f, v25
	v_add_f32_e32 v26, v28, v26
	v_cvt_i32_f32_e32 v27, v27
	v_exp_f32_e32 v26, v26
	v_cmp_ngt_f32_e64 s[0:1], s22, v25
	v_ldexp_f32 v26, v26, v27
	v_cndmask_b32_e64 v26, 0, v26, s[0:1]
	v_cmp_nlt_f32_e64 s[0:1], s23, v25
	v_cndmask_b32_e64 v25, v23, v26, s[0:1]
	v_mov_b32_e32 v27, s9
	v_add_co_u32_e64 v26, s[0:1], s8, v12
	v_addc_co_u32_e64 v27, s[0:1], v11, v27, s[0:1]
	global_store_dword v[26:27], v25, off
	s_or_b64 exec, exec, s[2:3]
	s_and_saveexec_b64 s[0:1], vcc
	s_cbranch_execz .LBB131_8
.LBB131_24:                             ;   in Loop: Header=BB131_9 Depth=1
	s_waitcnt vmcnt(0)
	v_mul_f32_e32 v25, 0x3fb8aa3b, v24
	v_rndne_f32_e32 v26, v25
	v_sub_f32_e32 v27, v25, v26
	v_fma_f32 v25, v24, s21, -v25
	v_fmac_f32_e32 v25, 0x32a5705f, v24
	v_add_f32_e32 v25, v27, v25
	v_cvt_i32_f32_e32 v26, v26
	v_exp_f32_e32 v25, v25
	v_cmp_ngt_f32_e32 vcc, s22, v24
	v_ldexp_f32 v25, v25, v26
	v_cndmask_b32_e32 v25, 0, v25, vcc
	v_cmp_nlt_f32_e32 vcc, s23, v24
	v_cndmask_b32_e32 v26, v23, v25, vcc
	v_mov_b32_e32 v25, s9
	v_add_co_u32_e32 v24, vcc, s8, v8
	v_addc_co_u32_e32 v25, vcc, v7, v25, vcc
	global_store_dword v[24:25], v26, off
	s_branch .LBB131_8
.LBB131_25:
	s_endpgm
	.section	.rodata,"a",@progbits
	.p2align	6, 0x0
	.amdhsa_kernel _ZN2at6native12_GLOBAL__N_125multi_tensor_apply_kernelINS1_18TensorListMetadataILi2EEENS1_14UnaryOpFunctorIfLi2ELi1ELi1EEEJNS0_3ExpIfEEEEEvT_T0_DpT1_
		.amdhsa_group_segment_fixed_size 0
		.amdhsa_private_segment_fixed_size 0
		.amdhsa_kernarg_size 3408
		.amdhsa_user_sgpr_count 6
		.amdhsa_user_sgpr_private_segment_buffer 1
		.amdhsa_user_sgpr_dispatch_ptr 0
		.amdhsa_user_sgpr_queue_ptr 0
		.amdhsa_user_sgpr_kernarg_segment_ptr 1
		.amdhsa_user_sgpr_dispatch_id 0
		.amdhsa_user_sgpr_flat_scratch_init 0
		.amdhsa_user_sgpr_kernarg_preload_length 0
		.amdhsa_user_sgpr_kernarg_preload_offset 0
		.amdhsa_user_sgpr_private_segment_size 0
		.amdhsa_uses_dynamic_stack 0
		.amdhsa_system_sgpr_private_segment_wavefront_offset 0
		.amdhsa_system_sgpr_workgroup_id_x 1
		.amdhsa_system_sgpr_workgroup_id_y 0
		.amdhsa_system_sgpr_workgroup_id_z 0
		.amdhsa_system_sgpr_workgroup_info 0
		.amdhsa_system_vgpr_workitem_id 0
		.amdhsa_next_free_vgpr 32
		.amdhsa_next_free_sgpr 27
		.amdhsa_accum_offset 32
		.amdhsa_reserve_vcc 1
		.amdhsa_reserve_flat_scratch 0
		.amdhsa_float_round_mode_32 0
		.amdhsa_float_round_mode_16_64 0
		.amdhsa_float_denorm_mode_32 3
		.amdhsa_float_denorm_mode_16_64 3
		.amdhsa_dx10_clamp 1
		.amdhsa_ieee_mode 1
		.amdhsa_fp16_overflow 0
		.amdhsa_tg_split 0
		.amdhsa_exception_fp_ieee_invalid_op 0
		.amdhsa_exception_fp_denorm_src 0
		.amdhsa_exception_fp_ieee_div_zero 0
		.amdhsa_exception_fp_ieee_overflow 0
		.amdhsa_exception_fp_ieee_underflow 0
		.amdhsa_exception_fp_ieee_inexact 0
		.amdhsa_exception_int_div_zero 0
	.end_amdhsa_kernel
	.section	.text._ZN2at6native12_GLOBAL__N_125multi_tensor_apply_kernelINS1_18TensorListMetadataILi2EEENS1_14UnaryOpFunctorIfLi2ELi1ELi1EEEJNS0_3ExpIfEEEEEvT_T0_DpT1_,"axG",@progbits,_ZN2at6native12_GLOBAL__N_125multi_tensor_apply_kernelINS1_18TensorListMetadataILi2EEENS1_14UnaryOpFunctorIfLi2ELi1ELi1EEEJNS0_3ExpIfEEEEEvT_T0_DpT1_,comdat
.Lfunc_end131:
	.size	_ZN2at6native12_GLOBAL__N_125multi_tensor_apply_kernelINS1_18TensorListMetadataILi2EEENS1_14UnaryOpFunctorIfLi2ELi1ELi1EEEJNS0_3ExpIfEEEEEvT_T0_DpT1_, .Lfunc_end131-_ZN2at6native12_GLOBAL__N_125multi_tensor_apply_kernelINS1_18TensorListMetadataILi2EEENS1_14UnaryOpFunctorIfLi2ELi1ELi1EEEJNS0_3ExpIfEEEEEvT_T0_DpT1_
                                        ; -- End function
	.section	.AMDGPU.csdata,"",@progbits
; Kernel info:
; codeLenInByte = 1896
; NumSgprs: 31
; NumVgprs: 32
; NumAgprs: 0
; TotalNumVgprs: 32
; ScratchSize: 0
; MemoryBound: 0
; FloatMode: 240
; IeeeMode: 1
; LDSByteSize: 0 bytes/workgroup (compile time only)
; SGPRBlocks: 3
; VGPRBlocks: 3
; NumSGPRsForWavesPerEU: 31
; NumVGPRsForWavesPerEU: 32
; AccumOffset: 32
; Occupancy: 8
; WaveLimiterHint : 0
; COMPUTE_PGM_RSRC2:SCRATCH_EN: 0
; COMPUTE_PGM_RSRC2:USER_SGPR: 6
; COMPUTE_PGM_RSRC2:TRAP_HANDLER: 0
; COMPUTE_PGM_RSRC2:TGID_X_EN: 1
; COMPUTE_PGM_RSRC2:TGID_Y_EN: 0
; COMPUTE_PGM_RSRC2:TGID_Z_EN: 0
; COMPUTE_PGM_RSRC2:TIDIG_COMP_CNT: 0
; COMPUTE_PGM_RSRC3_GFX90A:ACCUM_OFFSET: 7
; COMPUTE_PGM_RSRC3_GFX90A:TG_SPLIT: 0
	.section	.text._ZN2at6native12_GLOBAL__N_125multi_tensor_apply_kernelINS1_18TensorListMetadataILi2EEENS1_14UnaryOpFunctorIN3c107complexIdEELi2ELi1ELi1EEEJNS0_3ExpIS8_EEEEEvT_T0_DpT1_,"axG",@progbits,_ZN2at6native12_GLOBAL__N_125multi_tensor_apply_kernelINS1_18TensorListMetadataILi2EEENS1_14UnaryOpFunctorIN3c107complexIdEELi2ELi1ELi1EEEJNS0_3ExpIS8_EEEEEvT_T0_DpT1_,comdat
	.globl	_ZN2at6native12_GLOBAL__N_125multi_tensor_apply_kernelINS1_18TensorListMetadataILi2EEENS1_14UnaryOpFunctorIN3c107complexIdEELi2ELi1ELi1EEEJNS0_3ExpIS8_EEEEEvT_T0_DpT1_ ; -- Begin function _ZN2at6native12_GLOBAL__N_125multi_tensor_apply_kernelINS1_18TensorListMetadataILi2EEENS1_14UnaryOpFunctorIN3c107complexIdEELi2ELi1ELi1EEEJNS0_3ExpIS8_EEEEEvT_T0_DpT1_
	.p2align	8
	.type	_ZN2at6native12_GLOBAL__N_125multi_tensor_apply_kernelINS1_18TensorListMetadataILi2EEENS1_14UnaryOpFunctorIN3c107complexIdEELi2ELi1ELi1EEEJNS0_3ExpIS8_EEEEEvT_T0_DpT1_,@function
_ZN2at6native12_GLOBAL__N_125multi_tensor_apply_kernelINS1_18TensorListMetadataILi2EEENS1_14UnaryOpFunctorIN3c107complexIdEELi2ELi1ELi1EEEJNS0_3ExpIS8_EEEEEvT_T0_DpT1_: ; @_ZN2at6native12_GLOBAL__N_125multi_tensor_apply_kernelINS1_18TensorListMetadataILi2EEENS1_14UnaryOpFunctorIN3c107complexIdEELi2ELi1ELi1EEEJNS0_3ExpIS8_EEEEEvT_T0_DpT1_
; %bb.0:
	v_mov_b32_e32 v1, s6
	global_load_ubyte v1, v1, s[4:5] offset:1536
	s_add_u32 s0, s4, s6
	s_mul_hi_u32 s3, s6, 3
	s_mul_i32 s6, s6, 3
	s_addc_u32 s7, s5, 0
	s_add_u32 s2, s0, s6
	s_addc_u32 s3, s7, s3
	s_load_dword s2, s[2:3], 0x740
	s_mov_b32 s11, 0
	s_mov_b32 s1, s11
	;; [unrolled: 1-line block ×3, first 2 shown]
	s_waitcnt lgkmcnt(0)
	s_ashr_i32 s3, s2, 31
	s_lshl_b64 s[12:13], s[2:3], 20
	s_waitcnt vmcnt(0)
	v_readfirstlane_b32 s0, v1
	s_lshl_b32 s0, s0, 3
	s_load_dwordx2 s[8:9], s[4:5], s0 offset:0x0
	s_load_dwordx2 s[14:15], s[4:5], s0 offset:0x400
	;; [unrolled: 1-line block ×3, first 2 shown]
	s_waitcnt lgkmcnt(0)
	s_add_u32 s33, s8, s12
	s_addc_u32 s92, s9, s13
	s_add_u32 s93, s6, s12
	s_addc_u32 s94, s7, s13
	s_and_b32 s0, s33, 63
	s_and_b32 s16, s14, 3
	;; [unrolled: 1-line block ×3, first 2 shown]
	s_or_b64 s[0:1], s[0:1], s[16:17]
	s_lshl_b64 s[2:3], s[2:3], 16
	s_or_b64 s[0:1], s[10:11], s[0:1]
	s_sub_u32 s14, s14, s2
	s_subb_u32 s15, s15, s3
	s_cmp_eq_u64 s[0:1], 0
	s_mov_b64 s[0:1], -1
	s_cbranch_scc0 .LBB132_181
; %bb.1:
	v_mov_b32_e32 v22, 0
	v_lshlrev_b32_e32 v2, 2, v0
	v_mov_b32_e32 v3, v22
	v_cmp_gt_i64_e32 vcc, s[14:15], v[2:3]
	s_mov_b64 s[0:1], exec
                                        ; implicit-def: $vgpr86 : SGPR spill to VGPR lane
	v_writelane_b32 v86, s0, 0
	v_writelane_b32 v86, s1, 1
	s_and_b64 s[0:1], s[0:1], vcc
	s_mov_b64 exec, s[0:1]
	s_cbranch_execz .LBB132_180
; %bb.2:
	s_load_dword s0, s[4:5], 0xc5c
	s_mov_b32 s20, 0
	s_mov_b32 s22, 0
	;; [unrolled: 1-line block ×4, first 2 shown]
	s_waitcnt lgkmcnt(0)
	s_and_b32 s0, s0, 0xffff
	s_mov_b32 s36, 0x6dc9c883
	s_mov_b32 s38, 0x33145c00
	s_mov_b32 s40, 0x252049c0
	s_mov_b32 s42, 0x652b82fe
	s_mov_b32 s44, 0xfefa39ef
	s_mov_b32 s46, 0x3b39803f
	s_mov_b32 s48, 0x6a5dcb37
	s_mov_b32 s50, 0x11110bb3
	s_mov_b32 s52, 0x55555555
	s_mov_b32 s54, 0
	s_mov_b32 s56, 0
	s_mov_b32 s58, 0x9037ab78
	s_mov_b32 s60, 0x46cc5e42
	s_mov_b32 s62, 0xa17f65f6
	s_mov_b32 s64, 0x19f4ec90
	s_mov_b32 s66, 0x16c16967
	s_mov_b32 s68, 0xb42fdfa7
	s_mov_b32 s70, 0xf9a43bb8
	s_mov_b32 s72, 0x796cde01
	s_mov_b32 s74, 0x19e83e5c
	v_mov_b32_e32 v25, v22
	v_lshlrev_b32_e32 v26, 6, v0
	v_add_lshl_u32 v24, v0, s0, 2
	s_lshl_b32 s10, s0, 2
	s_lshl_b32 s95, s0, 6
	s_mov_b64 s[18:19], 0
	s_mov_b32 s78, 0x7ff00000
	s_mov_b32 s79, 0x108aa2
	;; [unrolled: 1-line block ×4, first 2 shown]
	s_movk_i32 s16, 0xff80
	s_mov_b32 s25, 0x7ff00000
	s_mov_b32 s27, 0x3ff921fb
	;; [unrolled: 1-line block ×26, first 2 shown]
	s_movk_i32 s17, 0x1f8
	s_mov_b64 s[80:81], 0xffff
	v_mov_b32_e32 v1, 0x40100000
	v_mov_b32_e32 v27, 0x3ff00000
	;; [unrolled: 1-line block ×22, first 2 shown]
	s_branch .LBB132_4
.LBB132_3:                              ;   in Loop: Header=BB132_4 Depth=1
	s_or_b64 exec, exec, s[2:3]
	v_mov_b32_e32 v3, s94
	v_add_co_u32_e32 v2, vcc, s93, v26
	v_addc_co_u32_e32 v3, vcc, 0, v3, vcc
	v_cmp_le_i64_e32 vcc, s[14:15], v[24:25]
	v_cmp_lt_u64_e64 s[0:1], s[80:81], v[24:25]
	s_or_b64 s[0:1], vcc, s[0:1]
	s_add_u32 s33, s33, s95
	s_addc_u32 s92, s92, 0
	s_add_u32 s93, s93, s95
	s_addc_u32 s94, s94, 0
	global_store_dwordx4 v[2:3], v[6:9], off
	global_store_dwordx4 v[2:3], v[14:17], off offset:16
	global_store_dwordx4 v[2:3], v[18:21], off offset:32
	;; [unrolled: 1-line block ×3, first 2 shown]
	v_mov_b32_e32 v2, s11
	s_and_b64 s[0:1], exec, s[0:1]
	v_add_co_u32_e32 v24, vcc, s10, v24
	s_or_b64 s[18:19], s[0:1], s[18:19]
	v_addc_co_u32_e32 v25, vcc, v25, v2, vcc
	s_andn2_b64 exec, exec, s[18:19]
	s_cbranch_execz .LBB132_180
.LBB132_4:                              ; =>This Inner Loop Header: Depth=1
	v_mov_b32_e32 v2, s92
	v_add_co_u32_e32 v6, vcc, s33, v26
	v_addc_co_u32_e32 v7, vcc, 0, v2, vcc
	global_load_dwordx4 v[14:17], v[6:7], off
	global_load_dwordx4 v[18:21], v[6:7], off offset:16
	global_load_dwordx4 v[2:5], v[6:7], off offset:48
	;; [unrolled: 1-line block ×3, first 2 shown]
                                        ; implicit-def: $vgpr8_vgpr9
	s_waitcnt vmcnt(3)
	v_and_b32_e32 v6, 0x7fffffff, v17
	v_or_b32_e32 v7, v6, v16
	v_cmp_ne_u32_e32 vcc, 0, v7
	s_and_saveexec_b64 s[0:1], vcc
	s_xor_b64 s[82:83], exec, s[0:1]
	s_cbranch_execz .LBB132_46
; %bb.5:                                ;   in Loop: Header=BB132_4 Depth=1
	v_and_b32_e32 v23, 0x7fffffff, v15
	v_or_b32_e32 v7, v23, v14
	v_cmp_ne_u32_e32 vcc, 0, v7
                                        ; implicit-def: $vgpr8_vgpr9
	s_and_saveexec_b64 s[0:1], vcc
	s_xor_b64 s[84:85], exec, s[0:1]
	s_cbranch_execz .LBB132_35
; %bb.6:                                ;   in Loop: Header=BB132_4 Depth=1
	v_cmp_gt_u32_e32 vcc, s78, v6
                                        ; implicit-def: $vgpr8_vgpr9
	s_and_saveexec_b64 s[0:1], vcc
	s_xor_b64 s[86:87], exec, s[0:1]
	s_cbranch_execz .LBB132_28
; %bb.7:                                ;   in Loop: Header=BB132_4 Depth=1
	v_add_u32_e32 v6, 0xbf79d1be, v15
	v_cmp_lt_u32_e32 vcc, s79, v6
                                        ; implicit-def: $vgpr8_vgpr9
	s_and_saveexec_b64 s[0:1], vcc
	s_xor_b64 s[2:3], exec, s[0:1]
	s_cbranch_execz .LBB132_17
; %bb.8:                                ;   in Loop: Header=BB132_4 Depth=1
	v_cmp_nlt_f64_e64 s[88:89], |v[16:17]|, s[20:21]
                                        ; implicit-def: $vgpr50
                                        ; implicit-def: $vgpr6_vgpr7
                                        ; implicit-def: $vgpr8_vgpr9
	s_and_saveexec_b64 s[0:1], s[88:89]
	s_xor_b64 s[90:91], exec, s[0:1]
	s_cbranch_execz .LBB132_10
; %bb.9:                                ;   in Loop: Header=BB132_4 Depth=1
	v_and_b32_e32 v23, 0x7fffffff, v17
	v_ldexp_f64 v[46:47], |v[16:17]|, s16
	v_cmp_ge_f64_e64 vcc, |v[16:17]|, s[22:23]
	v_trig_preop_f64 v[6:7], |v[16:17]|, 0
	v_cndmask_b32_e32 v47, v23, v47, vcc
	v_cndmask_b32_e32 v46, v16, v46, vcc
	v_trig_preop_f64 v[8:9], |v[16:17]|, 1
	v_mul_f64 v[50:51], v[6:7], v[46:47]
	v_mul_f64 v[48:49], v[8:9], v[46:47]
	v_fma_f64 v[6:7], v[6:7], v[46:47], -v[50:51]
	v_add_f64 v[52:53], v[48:49], v[6:7]
	v_add_f64 v[54:55], v[50:51], v[52:53]
	v_ldexp_f64 v[58:59], v[54:55], -2
	v_fract_f64_e32 v[60:61], v[58:59]
	v_cmp_neq_f64_e64 vcc, |v[58:59]|, s[24:25]
	v_cndmask_b32_e32 v59, 0, v61, vcc
	v_cndmask_b32_e32 v58, 0, v60, vcc
	v_add_f64 v[60:61], v[52:53], -v[48:49]
	v_add_f64 v[6:7], v[6:7], -v[60:61]
	;; [unrolled: 1-line block ×4, first 2 shown]
	v_fma_f64 v[8:9], v[8:9], v[46:47], -v[48:49]
	v_trig_preop_f64 v[48:49], |v[16:17]|, 2
	v_add_f64 v[6:7], v[6:7], v[60:61]
	v_mul_f64 v[60:61], v[48:49], v[46:47]
	v_add_f64 v[62:63], v[60:61], v[8:9]
	v_add_f64 v[64:65], v[62:63], v[6:7]
	v_add_f64 v[50:51], v[54:55], -v[50:51]
	v_add_f64 v[54:55], v[64:65], -v[62:63]
	;; [unrolled: 1-line block ×5, first 2 shown]
	v_add_f64 v[6:7], v[6:7], v[54:55]
	v_add_f64 v[54:55], v[62:63], -v[60:61]
	v_add_f64 v[8:9], v[8:9], -v[54:55]
	;; [unrolled: 1-line block ×4, first 2 shown]
	v_add_f64 v[8:9], v[8:9], v[54:55]
	v_add_f64 v[50:51], v[52:53], -v[50:51]
	v_add_f64 v[6:7], v[8:9], v[6:7]
	v_fma_f64 v[8:9], v[48:49], v[46:47], -v[60:61]
	v_add_f64 v[52:53], v[50:51], v[64:65]
	v_add_f64 v[6:7], v[8:9], v[6:7]
	v_ldexp_f64 v[8:9], v[58:59], 2
	v_add_f64 v[46:47], v[52:53], v[8:9]
	v_cmp_gt_f64_e32 vcc, 0, v[46:47]
	v_cndmask_b32_e32 v23, 0, v1, vcc
	v_add_f64 v[8:9], v[8:9], v[22:23]
	v_add_f64 v[46:47], v[52:53], v[8:9]
	v_cvt_i32_f64_e32 v23, v[46:47]
	v_cvt_f64_i32_e32 v[46:47], v23
	v_add_f64 v[8:9], v[8:9], -v[46:47]
	v_add_f64 v[50:51], v[52:53], -v[50:51]
	v_add_f64 v[46:47], v[52:53], v[8:9]
	v_add_f64 v[50:51], v[64:65], -v[50:51]
	v_add_f64 v[8:9], v[46:47], -v[8:9]
	v_cmp_le_f64_e32 vcc, 0.5, v[46:47]
	v_add_f64 v[6:7], v[50:51], v[6:7]
	v_add_f64 v[8:9], v[52:53], -v[8:9]
	v_addc_co_u32_e64 v50, s[0:1], 0, v23, vcc
	v_cndmask_b32_e32 v23, 0, v27, vcc
	v_add_f64 v[6:7], v[6:7], v[8:9]
	v_add_f64 v[8:9], v[46:47], -v[22:23]
	v_add_f64 v[46:47], v[8:9], v[6:7]
	v_add_f64 v[8:9], v[46:47], -v[8:9]
	s_mov_b32 s26, s28
	v_add_f64 v[6:7], v[6:7], -v[8:9]
	v_mul_f64 v[8:9], v[46:47], s[26:27]
	v_fma_f64 v[48:49], v[46:47], s[26:27], -v[8:9]
	s_mov_b32 s35, s31
	v_fmac_f64_e32 v[48:49], s[34:35], v[46:47]
	v_fmac_f64_e32 v[48:49], s[26:27], v[6:7]
	v_add_f64 v[6:7], v[8:9], v[48:49]
	v_add_f64 v[8:9], v[6:7], -v[8:9]
	v_add_f64 v[8:9], v[48:49], -v[8:9]
	s_andn2_saveexec_b64 s[0:1], s[90:91]
	s_cbranch_execz .LBB132_12
	s_branch .LBB132_11
.LBB132_10:                             ;   in Loop: Header=BB132_4 Depth=1
	s_andn2_saveexec_b64 s[0:1], s[90:91]
	s_cbranch_execz .LBB132_12
.LBB132_11:                             ;   in Loop: Header=BB132_4 Depth=1
	v_mul_f64 v[6:7], |v[16:17]|, s[36:37]
	v_rndne_f64_e32 v[46:47], v[6:7]
	v_fma_f64 v[6:7], v[46:47], s[28:29], |v[16:17]|
	v_mul_f64 v[48:49], v[46:47], s[38:39]
	v_add_f64 v[52:53], v[6:7], v[48:49]
	v_fma_f64 v[8:9], s[38:39], v[46:47], v[6:7]
	s_mov_b32 s30, s38
	v_add_f64 v[6:7], v[6:7], -v[52:53]
	v_fma_f64 v[50:51], s[30:31], v[46:47], v[48:49]
	v_add_f64 v[6:7], v[6:7], v[48:49]
	v_add_f64 v[48:49], v[52:53], -v[8:9]
	v_add_f64 v[6:7], v[48:49], v[6:7]
	v_add_f64 v[48:49], v[6:7], -v[50:51]
	v_fmac_f64_e32 v[48:49], s[40:41], v[46:47]
	v_add_f64 v[6:7], v[8:9], v[48:49]
	v_add_f64 v[8:9], v[6:7], -v[8:9]
	v_add_f64 v[8:9], v[48:49], -v[8:9]
	v_cvt_i32_f64_e32 v50, v[46:47]
.LBB132_12:                             ;   in Loop: Header=BB132_4 Depth=1
	s_or_b64 exec, exec, s[0:1]
                                        ; implicit-def: $vgpr51
                                        ; implicit-def: $vgpr46_vgpr47
                                        ; implicit-def: $vgpr48_vgpr49
	s_and_saveexec_b64 s[0:1], s[88:89]
	s_xor_b64 s[88:89], exec, s[0:1]
	s_cbranch_execz .LBB132_14
; %bb.13:                               ;   in Loop: Header=BB132_4 Depth=1
	v_and_b32_e32 v23, 0x7fffffff, v17
	v_ldexp_f64 v[52:53], |v[16:17]|, s16
	v_cmp_ge_f64_e64 vcc, |v[16:17]|, s[22:23]
	v_trig_preop_f64 v[46:47], |v[16:17]|, 0
	v_cndmask_b32_e32 v53, v23, v53, vcc
	v_cndmask_b32_e32 v52, v16, v52, vcc
	v_trig_preop_f64 v[48:49], |v[16:17]|, 1
	v_mul_f64 v[58:59], v[46:47], v[52:53]
	v_mul_f64 v[54:55], v[48:49], v[52:53]
	v_fma_f64 v[46:47], v[46:47], v[52:53], -v[58:59]
	v_add_f64 v[60:61], v[54:55], v[46:47]
	v_add_f64 v[62:63], v[58:59], v[60:61]
	v_ldexp_f64 v[64:65], v[62:63], -2
	v_fract_f64_e32 v[66:67], v[64:65]
	v_cmp_neq_f64_e64 vcc, |v[64:65]|, s[24:25]
	v_cndmask_b32_e32 v65, 0, v67, vcc
	v_cndmask_b32_e32 v64, 0, v66, vcc
	v_add_f64 v[66:67], v[60:61], -v[54:55]
	v_add_f64 v[46:47], v[46:47], -v[66:67]
	;; [unrolled: 1-line block ×4, first 2 shown]
	v_fma_f64 v[48:49], v[48:49], v[52:53], -v[54:55]
	v_trig_preop_f64 v[54:55], |v[16:17]|, 2
	v_add_f64 v[46:47], v[46:47], v[66:67]
	v_mul_f64 v[66:67], v[54:55], v[52:53]
	v_add_f64 v[68:69], v[66:67], v[48:49]
	v_add_f64 v[70:71], v[68:69], v[46:47]
	v_add_f64 v[58:59], v[62:63], -v[58:59]
	v_add_f64 v[62:63], v[70:71], -v[68:69]
	;; [unrolled: 1-line block ×5, first 2 shown]
	v_add_f64 v[46:47], v[46:47], v[62:63]
	v_add_f64 v[62:63], v[68:69], -v[66:67]
	v_add_f64 v[48:49], v[48:49], -v[62:63]
	;; [unrolled: 1-line block ×4, first 2 shown]
	v_add_f64 v[48:49], v[48:49], v[62:63]
	v_add_f64 v[58:59], v[60:61], -v[58:59]
	v_add_f64 v[46:47], v[48:49], v[46:47]
	v_fma_f64 v[48:49], v[54:55], v[52:53], -v[66:67]
	v_add_f64 v[60:61], v[58:59], v[70:71]
	v_add_f64 v[46:47], v[48:49], v[46:47]
	v_ldexp_f64 v[48:49], v[64:65], 2
	v_add_f64 v[52:53], v[60:61], v[48:49]
	v_cmp_gt_f64_e32 vcc, 0, v[52:53]
	v_cndmask_b32_e32 v23, 0, v1, vcc
	v_add_f64 v[48:49], v[48:49], v[22:23]
	v_add_f64 v[52:53], v[60:61], v[48:49]
	v_cvt_i32_f64_e32 v23, v[52:53]
	v_cvt_f64_i32_e32 v[52:53], v23
	v_add_f64 v[48:49], v[48:49], -v[52:53]
	v_add_f64 v[58:59], v[60:61], -v[58:59]
	v_add_f64 v[52:53], v[60:61], v[48:49]
	v_add_f64 v[58:59], v[70:71], -v[58:59]
	v_add_f64 v[48:49], v[52:53], -v[48:49]
	v_cmp_le_f64_e32 vcc, 0.5, v[52:53]
	v_add_f64 v[46:47], v[58:59], v[46:47]
	v_add_f64 v[48:49], v[60:61], -v[48:49]
	v_addc_co_u32_e64 v51, s[0:1], 0, v23, vcc
	v_cndmask_b32_e32 v23, 0, v27, vcc
	v_add_f64 v[46:47], v[46:47], v[48:49]
	v_add_f64 v[48:49], v[52:53], -v[22:23]
	v_add_f64 v[52:53], v[48:49], v[46:47]
	v_add_f64 v[48:49], v[52:53], -v[48:49]
	s_mov_b32 s26, s28
	v_add_f64 v[46:47], v[46:47], -v[48:49]
	v_mul_f64 v[48:49], v[52:53], s[26:27]
	v_fma_f64 v[54:55], v[52:53], s[26:27], -v[48:49]
	s_mov_b32 s35, s31
	v_fmac_f64_e32 v[54:55], s[34:35], v[52:53]
	v_fmac_f64_e32 v[54:55], s[26:27], v[46:47]
	v_add_f64 v[46:47], v[48:49], v[54:55]
	v_add_f64 v[48:49], v[46:47], -v[48:49]
	v_add_f64 v[48:49], v[54:55], -v[48:49]
	s_andn2_saveexec_b64 s[0:1], s[88:89]
	s_cbranch_execnz .LBB132_15
	s_branch .LBB132_16
.LBB132_14:                             ;   in Loop: Header=BB132_4 Depth=1
	s_andn2_saveexec_b64 s[0:1], s[88:89]
	s_cbranch_execz .LBB132_16
.LBB132_15:                             ;   in Loop: Header=BB132_4 Depth=1
	v_mul_f64 v[46:47], |v[16:17]|, s[36:37]
	v_rndne_f64_e32 v[52:53], v[46:47]
	v_fma_f64 v[46:47], v[52:53], s[28:29], |v[16:17]|
	v_mul_f64 v[54:55], v[52:53], s[38:39]
	v_add_f64 v[60:61], v[46:47], v[54:55]
	v_fma_f64 v[48:49], s[38:39], v[52:53], v[46:47]
	s_mov_b32 s30, s38
	v_add_f64 v[46:47], v[46:47], -v[60:61]
	v_fma_f64 v[58:59], s[30:31], v[52:53], v[54:55]
	v_add_f64 v[46:47], v[46:47], v[54:55]
	v_add_f64 v[54:55], v[60:61], -v[48:49]
	v_add_f64 v[46:47], v[54:55], v[46:47]
	v_add_f64 v[54:55], v[46:47], -v[58:59]
	v_fmac_f64_e32 v[54:55], s[40:41], v[52:53]
	v_add_f64 v[46:47], v[48:49], v[54:55]
	v_add_f64 v[48:49], v[46:47], -v[48:49]
	v_add_f64 v[48:49], v[54:55], -v[48:49]
	v_cvt_i32_f64_e32 v51, v[52:53]
.LBB132_16:                             ;   in Loop: Header=BB132_4 Depth=1
	s_or_b64 exec, exec, s[0:1]
	v_mul_f64 v[52:53], v[14:15], s[42:43]
	v_rndne_f64_e32 v[52:53], v[52:53]
	v_fma_f64 v[54:55], s[44:45], v[52:53], v[14:15]
	v_fmac_f64_e32 v[54:55], s[46:47], v[52:53]
	v_pk_mov_b32 v[58:59], v[28:29], v[28:29] op_sel:[0,1]
	v_fmac_f64_e32 v[58:59], s[48:49], v[54:55]
	v_pk_mov_b32 v[60:61], v[30:31], v[30:31] op_sel:[0,1]
	;; [unrolled: 2-line block ×9, first 2 shown]
	v_fmac_f64_e32 v[58:59], v[54:55], v[60:61]
	v_fma_f64 v[58:59], v[54:55], v[58:59], 1.0
	v_fma_f64 v[54:55], v[54:55], v[58:59], 1.0
	v_cvt_i32_f64_e32 v23, v[52:53]
	v_ldexp_f64 v[52:53], v[54:55], v23
	v_cmp_nlt_f64_e32 vcc, s[54:55], v[14:15]
	v_cmp_ngt_f64_e64 s[0:1], s[56:57], v[14:15]
	v_cndmask_b32_e32 v23, v56, v53, vcc
	s_and_b64 vcc, s[0:1], vcc
	v_cndmask_b32_e32 v14, 0, v52, vcc
	v_mul_f64 v[52:53], v[6:7], v[6:7]
	v_pk_mov_b32 v[62:63], s[58:59], s[58:59] op_sel:[0,1]
	v_mul_f64 v[54:55], v[52:53], 0.5
	v_fma_f64 v[64:65], s[60:61], v[52:53], v[62:63]
	v_add_f64 v[58:59], -v[54:55], 1.0
	v_fma_f64 v[64:65], v[52:53], v[64:65], s[62:63]
	v_add_f64 v[60:61], -v[58:59], 1.0
	v_fma_f64 v[64:65], v[52:53], v[64:65], s[64:65]
	v_add_f64 v[54:55], v[60:61], -v[54:55]
	v_fma_f64 v[64:65], v[52:53], v[64:65], s[66:67]
	v_mul_f64 v[60:61], v[52:53], v[52:53]
	v_fma_f64 v[64:65], v[52:53], v[64:65], s[52:53]
	v_fma_f64 v[54:55], v[6:7], -v[8:9], v[54:55]
	v_fmac_f64_e32 v[54:55], v[60:61], v[64:65]
	v_add_f64 v[54:55], v[58:59], v[54:55]
	v_pk_mov_b32 v[58:59], s[68:69], s[68:69] op_sel:[0,1]
	v_fma_f64 v[60:61], s[70:71], v[52:53], v[58:59]
	v_fma_f64 v[60:61], v[52:53], v[60:61], s[72:73]
	;; [unrolled: 1-line block ×4, first 2 shown]
	v_mul_f64 v[64:65], v[6:7], -v[52:53]
	v_mul_f64 v[66:67], v[8:9], 0.5
	v_fmac_f64_e32 v[66:67], v[64:65], v[60:61]
	v_fma_f64 v[8:9], v[52:53], v[66:67], -v[8:9]
	s_mov_b32 s76, s52
	v_fmac_f64_e32 v[8:9], s[76:77], v[64:65]
	v_add_f64 v[6:7], v[6:7], -v[8:9]
	v_and_b32_e32 v8, 1, v50
	v_xor_b32_e32 v7, 0x80000000, v7
	v_cmp_eq_u32_e32 vcc, 0, v8
	v_lshlrev_b32_e32 v8, 30, v50
	v_cndmask_b32_e32 v7, v7, v55, vcc
	v_and_b32_e32 v8, 0x80000000, v8
	v_xor_b32_e32 v7, v7, v8
	v_mul_f64 v[8:9], v[46:47], v[46:47]
	v_mul_f64 v[52:53], v[8:9], 0.5
	v_fmac_f64_e32 v[62:63], s[60:61], v[8:9]
	v_cndmask_b32_e32 v6, v6, v54, vcc
	v_add_f64 v[54:55], -v[52:53], 1.0
	v_fma_f64 v[62:63], v[8:9], v[62:63], s[62:63]
	v_add_f64 v[60:61], -v[54:55], 1.0
	v_fma_f64 v[62:63], v[8:9], v[62:63], s[64:65]
	v_add_f64 v[52:53], v[60:61], -v[52:53]
	v_fma_f64 v[62:63], v[8:9], v[62:63], s[66:67]
	v_mul_f64 v[60:61], v[8:9], v[8:9]
	v_fma_f64 v[62:63], v[8:9], v[62:63], s[52:53]
	v_fma_f64 v[52:53], v[46:47], -v[48:49], v[52:53]
	v_fmac_f64_e32 v[52:53], v[60:61], v[62:63]
	v_fmac_f64_e32 v[58:59], s[70:71], v[8:9]
	v_add_f64 v[52:53], v[54:55], v[52:53]
	v_fma_f64 v[54:55], v[8:9], v[58:59], s[72:73]
	v_fma_f64 v[54:55], v[8:9], v[54:55], s[74:75]
	v_fma_f64 v[54:55], v[8:9], v[54:55], s[50:51]
	v_mul_f64 v[58:59], v[46:47], -v[8:9]
	v_mul_f64 v[60:61], v[48:49], 0.5
	v_fmac_f64_e32 v[60:61], v[58:59], v[54:55]
	v_cmp_class_f64_e64 vcc, v[16:17], s17
	v_fma_f64 v[8:9], v[8:9], v[60:61], -v[48:49]
	v_and_b32_e32 v16, 1, v51
	v_cndmask_b32_e64 v15, 0, v23, s[0:1]
	v_fmac_f64_e32 v[8:9], s[76:77], v[58:59]
	v_cmp_eq_u32_e64 s[0:1], 0, v16
	v_lshlrev_b32_e32 v16, 30, v51
	v_add_f64 v[8:9], v[46:47], -v[8:9]
	v_xor_b32_e32 v16, v16, v17
	v_cndmask_b32_e64 v9, v53, v9, s[0:1]
	v_and_b32_e32 v16, 0x80000000, v16
	v_cndmask_b32_e64 v8, v52, v8, s[0:1]
	v_xor_b32_e32 v9, v9, v16
	v_cndmask_b32_e32 v6, 0, v6, vcc
	v_cndmask_b32_e32 v7, v57, v7, vcc
	;; [unrolled: 1-line block ×4, first 2 shown]
	v_mul_f64 v[6:7], v[14:15], v[6:7]
	v_mul_f64 v[8:9], v[14:15], v[8:9]
                                        ; implicit-def: $vgpr16_vgpr17
.LBB132_17:                             ;   in Loop: Header=BB132_4 Depth=1
	s_andn2_saveexec_b64 s[88:89], s[2:3]
	s_cbranch_execz .LBB132_20
; %bb.18:                               ;   in Loop: Header=BB132_4 Depth=1
	v_cmp_nlt_f64_e64 s[2:3], |v[16:17]|, s[20:21]
                                        ; implicit-def: $vgpr50
                                        ; implicit-def: $vgpr6_vgpr7
                                        ; implicit-def: $vgpr8_vgpr9
	s_and_saveexec_b64 s[0:1], s[2:3]
	s_xor_b64 s[90:91], exec, s[0:1]
	s_cbranch_execz .LBB132_21
; %bb.19:                               ;   in Loop: Header=BB132_4 Depth=1
	v_and_b32_e32 v23, 0x7fffffff, v17
	v_ldexp_f64 v[46:47], |v[16:17]|, s16
	v_cmp_ge_f64_e64 vcc, |v[16:17]|, s[22:23]
	v_trig_preop_f64 v[6:7], |v[16:17]|, 0
	v_cndmask_b32_e32 v47, v23, v47, vcc
	v_cndmask_b32_e32 v46, v16, v46, vcc
	v_trig_preop_f64 v[8:9], |v[16:17]|, 1
	v_mul_f64 v[50:51], v[6:7], v[46:47]
	v_mul_f64 v[48:49], v[8:9], v[46:47]
	v_fma_f64 v[6:7], v[6:7], v[46:47], -v[50:51]
	v_add_f64 v[52:53], v[48:49], v[6:7]
	v_add_f64 v[54:55], v[50:51], v[52:53]
	v_ldexp_f64 v[58:59], v[54:55], -2
	v_fract_f64_e32 v[60:61], v[58:59]
	v_cmp_neq_f64_e64 vcc, |v[58:59]|, s[24:25]
	v_cndmask_b32_e32 v59, 0, v61, vcc
	v_cndmask_b32_e32 v58, 0, v60, vcc
	v_add_f64 v[60:61], v[52:53], -v[48:49]
	v_add_f64 v[6:7], v[6:7], -v[60:61]
	;; [unrolled: 1-line block ×4, first 2 shown]
	v_fma_f64 v[8:9], v[8:9], v[46:47], -v[48:49]
	v_trig_preop_f64 v[48:49], |v[16:17]|, 2
	v_add_f64 v[6:7], v[6:7], v[60:61]
	v_mul_f64 v[60:61], v[48:49], v[46:47]
	v_add_f64 v[62:63], v[60:61], v[8:9]
	v_add_f64 v[64:65], v[62:63], v[6:7]
	v_add_f64 v[50:51], v[54:55], -v[50:51]
	v_add_f64 v[54:55], v[64:65], -v[62:63]
	v_add_f64 v[6:7], v[6:7], -v[54:55]
	v_add_f64 v[54:55], v[64:65], -v[54:55]
	v_add_f64 v[54:55], v[62:63], -v[54:55]
	v_add_f64 v[6:7], v[6:7], v[54:55]
	v_add_f64 v[54:55], v[62:63], -v[60:61]
	v_add_f64 v[8:9], v[8:9], -v[54:55]
	v_add_f64 v[54:55], v[62:63], -v[54:55]
	v_add_f64 v[54:55], v[60:61], -v[54:55]
	v_add_f64 v[8:9], v[8:9], v[54:55]
	v_add_f64 v[50:51], v[52:53], -v[50:51]
	v_add_f64 v[6:7], v[8:9], v[6:7]
	v_fma_f64 v[8:9], v[48:49], v[46:47], -v[60:61]
	v_add_f64 v[52:53], v[50:51], v[64:65]
	v_add_f64 v[6:7], v[8:9], v[6:7]
	v_ldexp_f64 v[8:9], v[58:59], 2
	v_add_f64 v[46:47], v[52:53], v[8:9]
	v_cmp_gt_f64_e32 vcc, 0, v[46:47]
	v_cndmask_b32_e32 v23, 0, v1, vcc
	v_add_f64 v[8:9], v[8:9], v[22:23]
	v_add_f64 v[46:47], v[52:53], v[8:9]
	v_cvt_i32_f64_e32 v23, v[46:47]
	v_cvt_f64_i32_e32 v[46:47], v23
	v_add_f64 v[8:9], v[8:9], -v[46:47]
	v_add_f64 v[50:51], v[52:53], -v[50:51]
	v_add_f64 v[46:47], v[52:53], v[8:9]
	v_add_f64 v[50:51], v[64:65], -v[50:51]
	v_add_f64 v[8:9], v[46:47], -v[8:9]
	v_cmp_le_f64_e32 vcc, 0.5, v[46:47]
	v_add_f64 v[6:7], v[50:51], v[6:7]
	v_add_f64 v[8:9], v[52:53], -v[8:9]
	v_addc_co_u32_e64 v50, s[0:1], 0, v23, vcc
	v_cndmask_b32_e32 v23, 0, v27, vcc
	v_add_f64 v[6:7], v[6:7], v[8:9]
	v_add_f64 v[8:9], v[46:47], -v[22:23]
	v_add_f64 v[46:47], v[8:9], v[6:7]
	v_add_f64 v[8:9], v[46:47], -v[8:9]
	s_mov_b32 s26, s28
	v_add_f64 v[6:7], v[6:7], -v[8:9]
	v_mul_f64 v[8:9], v[46:47], s[26:27]
	v_fma_f64 v[48:49], v[46:47], s[26:27], -v[8:9]
	s_mov_b32 s35, s31
	v_fmac_f64_e32 v[48:49], s[34:35], v[46:47]
	v_fmac_f64_e32 v[48:49], s[26:27], v[6:7]
	v_add_f64 v[6:7], v[8:9], v[48:49]
	v_add_f64 v[8:9], v[6:7], -v[8:9]
	v_add_f64 v[8:9], v[48:49], -v[8:9]
	s_andn2_saveexec_b64 s[0:1], s[90:91]
	s_cbranch_execz .LBB132_23
	s_branch .LBB132_22
.LBB132_20:                             ;   in Loop: Header=BB132_4 Depth=1
	s_or_b64 exec, exec, s[88:89]
                                        ; implicit-def: $vgpr14_vgpr15
                                        ; implicit-def: $vgpr23
	s_andn2_saveexec_b64 s[2:3], s[86:87]
	s_cbranch_execnz .LBB132_29
	s_branch .LBB132_34
.LBB132_21:                             ;   in Loop: Header=BB132_4 Depth=1
	s_andn2_saveexec_b64 s[0:1], s[90:91]
	s_cbranch_execz .LBB132_23
.LBB132_22:                             ;   in Loop: Header=BB132_4 Depth=1
	v_mul_f64 v[6:7], |v[16:17]|, s[36:37]
	v_rndne_f64_e32 v[46:47], v[6:7]
	v_fma_f64 v[6:7], v[46:47], s[28:29], |v[16:17]|
	v_mul_f64 v[48:49], v[46:47], s[38:39]
	v_add_f64 v[52:53], v[6:7], v[48:49]
	v_fma_f64 v[8:9], s[38:39], v[46:47], v[6:7]
	s_mov_b32 s30, s38
	v_add_f64 v[6:7], v[6:7], -v[52:53]
	v_fma_f64 v[50:51], s[30:31], v[46:47], v[48:49]
	v_add_f64 v[6:7], v[6:7], v[48:49]
	v_add_f64 v[48:49], v[52:53], -v[8:9]
	v_add_f64 v[6:7], v[48:49], v[6:7]
	v_add_f64 v[48:49], v[6:7], -v[50:51]
	v_fmac_f64_e32 v[48:49], s[40:41], v[46:47]
	v_add_f64 v[6:7], v[8:9], v[48:49]
	v_add_f64 v[8:9], v[6:7], -v[8:9]
	v_add_f64 v[8:9], v[48:49], -v[8:9]
	v_cvt_i32_f64_e32 v50, v[46:47]
.LBB132_23:                             ;   in Loop: Header=BB132_4 Depth=1
	s_or_b64 exec, exec, s[0:1]
                                        ; implicit-def: $vgpr51
                                        ; implicit-def: $vgpr46_vgpr47
                                        ; implicit-def: $vgpr48_vgpr49
	s_and_saveexec_b64 s[0:1], s[2:3]
	s_xor_b64 s[2:3], exec, s[0:1]
	s_cbranch_execz .LBB132_25
; %bb.24:                               ;   in Loop: Header=BB132_4 Depth=1
	v_and_b32_e32 v23, 0x7fffffff, v17
	v_ldexp_f64 v[52:53], |v[16:17]|, s16
	v_cmp_ge_f64_e64 vcc, |v[16:17]|, s[22:23]
	v_trig_preop_f64 v[46:47], |v[16:17]|, 0
	v_cndmask_b32_e32 v53, v23, v53, vcc
	v_cndmask_b32_e32 v52, v16, v52, vcc
	v_trig_preop_f64 v[48:49], |v[16:17]|, 1
	v_mul_f64 v[58:59], v[46:47], v[52:53]
	v_mul_f64 v[54:55], v[48:49], v[52:53]
	v_fma_f64 v[46:47], v[46:47], v[52:53], -v[58:59]
	v_add_f64 v[60:61], v[54:55], v[46:47]
	v_add_f64 v[62:63], v[58:59], v[60:61]
	v_ldexp_f64 v[64:65], v[62:63], -2
	v_fract_f64_e32 v[66:67], v[64:65]
	v_cmp_neq_f64_e64 vcc, |v[64:65]|, s[24:25]
	v_cndmask_b32_e32 v65, 0, v67, vcc
	v_cndmask_b32_e32 v64, 0, v66, vcc
	v_add_f64 v[66:67], v[60:61], -v[54:55]
	v_add_f64 v[46:47], v[46:47], -v[66:67]
	;; [unrolled: 1-line block ×4, first 2 shown]
	v_fma_f64 v[48:49], v[48:49], v[52:53], -v[54:55]
	v_trig_preop_f64 v[54:55], |v[16:17]|, 2
	v_add_f64 v[46:47], v[46:47], v[66:67]
	v_mul_f64 v[66:67], v[54:55], v[52:53]
	v_add_f64 v[68:69], v[66:67], v[48:49]
	v_add_f64 v[70:71], v[68:69], v[46:47]
	v_add_f64 v[58:59], v[62:63], -v[58:59]
	v_add_f64 v[62:63], v[70:71], -v[68:69]
	;; [unrolled: 1-line block ×5, first 2 shown]
	v_add_f64 v[46:47], v[46:47], v[62:63]
	v_add_f64 v[62:63], v[68:69], -v[66:67]
	v_add_f64 v[48:49], v[48:49], -v[62:63]
	;; [unrolled: 1-line block ×4, first 2 shown]
	v_add_f64 v[48:49], v[48:49], v[62:63]
	v_add_f64 v[58:59], v[60:61], -v[58:59]
	v_add_f64 v[46:47], v[48:49], v[46:47]
	v_fma_f64 v[48:49], v[54:55], v[52:53], -v[66:67]
	v_add_f64 v[60:61], v[58:59], v[70:71]
	v_add_f64 v[46:47], v[48:49], v[46:47]
	v_ldexp_f64 v[48:49], v[64:65], 2
	v_add_f64 v[52:53], v[60:61], v[48:49]
	v_cmp_gt_f64_e32 vcc, 0, v[52:53]
	v_cndmask_b32_e32 v23, 0, v1, vcc
	v_add_f64 v[48:49], v[48:49], v[22:23]
	v_add_f64 v[52:53], v[60:61], v[48:49]
	v_cvt_i32_f64_e32 v23, v[52:53]
	v_cvt_f64_i32_e32 v[52:53], v23
	v_add_f64 v[48:49], v[48:49], -v[52:53]
	v_add_f64 v[58:59], v[60:61], -v[58:59]
	v_add_f64 v[52:53], v[60:61], v[48:49]
	v_add_f64 v[58:59], v[70:71], -v[58:59]
	v_add_f64 v[48:49], v[52:53], -v[48:49]
	v_cmp_le_f64_e32 vcc, 0.5, v[52:53]
	v_add_f64 v[46:47], v[58:59], v[46:47]
	v_add_f64 v[48:49], v[60:61], -v[48:49]
	v_addc_co_u32_e64 v51, s[0:1], 0, v23, vcc
	v_cndmask_b32_e32 v23, 0, v27, vcc
	v_add_f64 v[46:47], v[46:47], v[48:49]
	v_add_f64 v[48:49], v[52:53], -v[22:23]
	v_add_f64 v[52:53], v[48:49], v[46:47]
	v_add_f64 v[48:49], v[52:53], -v[48:49]
	s_mov_b32 s26, s28
	v_add_f64 v[46:47], v[46:47], -v[48:49]
	v_mul_f64 v[48:49], v[52:53], s[26:27]
	v_fma_f64 v[54:55], v[52:53], s[26:27], -v[48:49]
	s_mov_b32 s35, s31
	v_fmac_f64_e32 v[54:55], s[34:35], v[52:53]
	v_fmac_f64_e32 v[54:55], s[26:27], v[46:47]
	v_add_f64 v[46:47], v[48:49], v[54:55]
	v_add_f64 v[48:49], v[46:47], -v[48:49]
	v_add_f64 v[48:49], v[54:55], -v[48:49]
	s_andn2_saveexec_b64 s[0:1], s[2:3]
	s_cbranch_execnz .LBB132_26
	s_branch .LBB132_27
.LBB132_25:                             ;   in Loop: Header=BB132_4 Depth=1
	s_andn2_saveexec_b64 s[0:1], s[2:3]
	s_cbranch_execz .LBB132_27
.LBB132_26:                             ;   in Loop: Header=BB132_4 Depth=1
	v_mul_f64 v[46:47], |v[16:17]|, s[36:37]
	v_rndne_f64_e32 v[52:53], v[46:47]
	v_fma_f64 v[46:47], v[52:53], s[28:29], |v[16:17]|
	v_mul_f64 v[54:55], v[52:53], s[38:39]
	v_add_f64 v[60:61], v[46:47], v[54:55]
	v_fma_f64 v[48:49], s[38:39], v[52:53], v[46:47]
	s_mov_b32 s30, s38
	v_add_f64 v[46:47], v[46:47], -v[60:61]
	v_fma_f64 v[58:59], s[30:31], v[52:53], v[54:55]
	v_add_f64 v[46:47], v[46:47], v[54:55]
	v_add_f64 v[54:55], v[60:61], -v[48:49]
	v_add_f64 v[46:47], v[54:55], v[46:47]
	v_add_f64 v[54:55], v[46:47], -v[58:59]
	v_fmac_f64_e32 v[54:55], s[40:41], v[52:53]
	v_add_f64 v[46:47], v[48:49], v[54:55]
	v_add_f64 v[48:49], v[46:47], -v[48:49]
	v_add_f64 v[48:49], v[54:55], -v[48:49]
	v_cvt_i32_f64_e32 v51, v[52:53]
.LBB132_27:                             ;   in Loop: Header=BB132_4 Depth=1
	s_or_b64 exec, exec, s[0:1]
	v_mul_f64 v[52:53], v[6:7], v[6:7]
	v_pk_mov_b32 v[62:63], s[58:59], s[58:59] op_sel:[0,1]
	v_mul_f64 v[54:55], v[52:53], 0.5
	v_fma_f64 v[64:65], s[60:61], v[52:53], v[62:63]
	v_add_f64 v[58:59], -v[54:55], 1.0
	v_fma_f64 v[64:65], v[52:53], v[64:65], s[62:63]
	v_fma_f64 v[64:65], v[52:53], v[64:65], s[64:65]
	v_add_f64 v[66:67], -v[58:59], 1.0
	v_fma_f64 v[64:65], v[52:53], v[64:65], s[66:67]
	v_add_f64 v[54:55], v[66:67], -v[54:55]
	v_mul_f64 v[60:61], v[52:53], v[52:53]
	v_fma_f64 v[64:65], v[52:53], v[64:65], s[52:53]
	v_fma_f64 v[54:55], v[6:7], -v[8:9], v[54:55]
	v_fmac_f64_e32 v[54:55], v[60:61], v[64:65]
	v_pk_mov_b32 v[60:61], s[68:69], s[68:69] op_sel:[0,1]
	v_fma_f64 v[64:65], s[70:71], v[52:53], v[60:61]
	v_fma_f64 v[64:65], v[52:53], v[64:65], s[72:73]
	v_fma_f64 v[64:65], v[52:53], v[64:65], s[74:75]
	v_add_f64 v[54:55], v[58:59], v[54:55]
	v_mul_f64 v[58:59], v[6:7], -v[52:53]
	v_fma_f64 v[64:65], v[52:53], v[64:65], s[50:51]
	v_mul_f64 v[66:67], v[8:9], 0.5
	v_fmac_f64_e32 v[66:67], v[58:59], v[64:65]
	v_fma_f64 v[8:9], v[52:53], v[66:67], -v[8:9]
	s_mov_b32 s76, s52
	v_fmac_f64_e32 v[8:9], s[76:77], v[58:59]
	v_and_b32_e32 v23, 1, v50
	v_add_f64 v[6:7], v[6:7], -v[8:9]
	v_xor_b32_e32 v7, 0x80000000, v7
	v_cmp_eq_u32_e32 vcc, 0, v23
	v_lshlrev_b32_e32 v8, 30, v50
	s_mov_b32 s0, 0x19ba0da4
	v_cndmask_b32_e32 v7, v7, v55, vcc
	v_and_b32_e32 v8, 0x80000000, v8
	s_mov_b32 s1, 0xc0937be3
	v_xor_b32_e32 v7, v7, v8
	v_add_f64 v[8:9], v[14:15], s[0:1]
	v_mul_f64 v[14:15], v[8:9], s[42:43]
	v_rndne_f64_e32 v[14:15], v[14:15]
	v_fma_f64 v[52:53], s[44:45], v[14:15], v[8:9]
	v_cndmask_b32_e32 v6, v6, v54, vcc
	v_fmac_f64_e32 v[52:53], s[46:47], v[14:15]
	v_pk_mov_b32 v[54:55], v[28:29], v[28:29] op_sel:[0,1]
	v_fmac_f64_e32 v[54:55], s[48:49], v[52:53]
	v_pk_mov_b32 v[58:59], v[30:31], v[30:31] op_sel:[0,1]
	;; [unrolled: 2-line block ×9, first 2 shown]
	v_fmac_f64_e32 v[54:55], v[52:53], v[58:59]
	v_fma_f64 v[54:55], v[52:53], v[54:55], 1.0
	v_fma_f64 v[52:53], v[52:53], v[54:55], 1.0
	v_cvt_i32_f64_e32 v14, v[14:15]
	v_ldexp_f64 v[14:15], v[52:53], v14
	v_mul_f64 v[52:53], v[46:47], v[46:47]
	v_mul_f64 v[54:55], v[52:53], 0.5
	v_fmac_f64_e32 v[62:63], s[60:61], v[52:53]
	v_add_f64 v[58:59], -v[54:55], 1.0
	v_fma_f64 v[62:63], v[52:53], v[62:63], s[62:63]
	v_add_f64 v[64:65], -v[58:59], 1.0
	v_fma_f64 v[62:63], v[52:53], v[62:63], s[64:65]
	v_add_f64 v[54:55], v[64:65], -v[54:55]
	v_fma_f64 v[62:63], v[52:53], v[62:63], s[66:67]
	v_mul_f64 v[64:65], v[52:53], v[52:53]
	v_fma_f64 v[62:63], v[52:53], v[62:63], s[52:53]
	v_fma_f64 v[54:55], v[46:47], -v[48:49], v[54:55]
	v_fmac_f64_e32 v[54:55], v[64:65], v[62:63]
	v_fmac_f64_e32 v[60:61], s[70:71], v[52:53]
	v_add_f64 v[54:55], v[58:59], v[54:55]
	v_fma_f64 v[58:59], v[52:53], v[60:61], s[72:73]
	v_fma_f64 v[58:59], v[52:53], v[58:59], s[74:75]
	;; [unrolled: 1-line block ×3, first 2 shown]
	v_mul_f64 v[60:61], v[46:47], -v[52:53]
	v_mul_f64 v[62:63], v[48:49], 0.5
	v_cmp_nlt_f64_e64 s[0:1], s[54:55], v[8:9]
	v_fmac_f64_e32 v[62:63], v[60:61], v[58:59]
	v_cndmask_b32_e64 v15, v56, v15, s[0:1]
	v_cmp_ngt_f64_e64 s[2:3], s[56:57], v[8:9]
	v_fma_f64 v[48:49], v[52:53], v[62:63], -v[48:49]
	v_cmp_class_f64_e64 vcc, v[16:17], s17
	v_cndmask_b32_e64 v15, 0, v15, s[2:3]
	s_and_b64 s[0:1], s[2:3], s[0:1]
	v_fmac_f64_e32 v[48:49], s[76:77], v[60:61]
	v_and_b32_e32 v16, 1, v51
	v_cndmask_b32_e64 v8, 0, v14, s[0:1]
	v_lshrrev_b32_e32 v14, 20, v15
	v_add_f64 v[46:47], v[46:47], -v[48:49]
	v_cmp_eq_u32_e64 s[0:1], 0, v16
	v_add_u32_e32 v14, 0xffffff09, v14
	v_cndmask_b32_e64 v16, v54, v46, s[0:1]
	v_cndmask_b32_e64 v46, v55, v47, s[0:1]
	v_lshlrev_b32_e32 v47, 30, v51
	v_and_b32_e32 v9, 0xfffff, v15
	v_lshrrev_b16_e32 v15, 15, v14
	v_xor_b32_e32 v17, v47, v17
	v_add_u16_e32 v15, v14, v15
	v_and_b32_e32 v17, 0x80000000, v17
	v_ashrrev_i16_e32 v15, 1, v15
	v_xor_b32_e32 v17, v46, v17
	v_cndmask_b32_e32 v6, 0, v6, vcc
	v_cndmask_b32_e32 v7, v57, v7, vcc
	v_or_b32_e32 v9, 0x7fe00000, v9
	v_bfe_i32 v15, v15, 0, 16
	v_cndmask_b32_e32 v16, 0, v16, vcc
	v_cndmask_b32_e32 v17, v57, v17, vcc
	v_mul_f64 v[6:7], v[8:9], v[6:7]
	v_lshl_add_u32 v23, v15, 20, v27
	v_sub_u32_e32 v14, v14, v15
	v_mul_f64 v[8:9], v[8:9], v[16:17]
	v_mul_f64 v[6:7], v[6:7], v[22:23]
	v_lshl_add_u32 v15, v14, 20, v27
	v_mov_b32_e32 v14, v22
	v_mul_f64 v[8:9], v[8:9], v[22:23]
	v_mul_f64 v[6:7], v[6:7], v[14:15]
	;; [unrolled: 1-line block ×3, first 2 shown]
	s_or_b64 exec, exec, s[88:89]
                                        ; implicit-def: $vgpr14_vgpr15
                                        ; implicit-def: $vgpr23
.LBB132_28:                             ;   in Loop: Header=BB132_4 Depth=1
	s_andn2_saveexec_b64 s[2:3], s[86:87]
	s_cbranch_execz .LBB132_34
.LBB132_29:                             ;   in Loop: Header=BB132_4 Depth=1
	v_cmp_ne_u32_e32 vcc, 0, v14
	v_cmp_ne_u32_e64 s[0:1], s78, v23
	s_or_b64 s[0:1], vcc, s[0:1]
	v_add_f64 v[8:9], v[16:17], -v[16:17]
	s_and_saveexec_b64 s[86:87], s[0:1]
	s_xor_b64 s[0:1], exec, s[86:87]
; %bb.30:                               ;   in Loop: Header=BB132_4 Depth=1
                                        ; implicit-def: $vgpr14_vgpr15
; %bb.31:                               ;   in Loop: Header=BB132_4 Depth=1
	s_or_saveexec_b64 s[0:1], s[0:1]
	v_pk_mov_b32 v[6:7], v[8:9], v[8:9] op_sel:[0,1]
	s_xor_b64 exec, exec, s[0:1]
; %bb.32:                               ;   in Loop: Header=BB132_4 Depth=1
	v_cmp_lt_i64_e32 vcc, -1, v[14:15]
	v_cndmask_b32_e32 v7, 0, v15, vcc
	v_cndmask_b32_e32 v6, 0, v14, vcc
	;; [unrolled: 1-line block ×4, first 2 shown]
; %bb.33:                               ;   in Loop: Header=BB132_4 Depth=1
	s_or_b64 exec, exec, s[0:1]
.LBB132_34:                             ;   in Loop: Header=BB132_4 Depth=1
	s_or_b64 exec, exec, s[2:3]
                                        ; implicit-def: $vgpr16_vgpr17
.LBB132_35:                             ;   in Loop: Header=BB132_4 Depth=1
	s_andn2_saveexec_b64 s[2:3], s[84:85]
	s_cbranch_execz .LBB132_45
; %bb.36:                               ;   in Loop: Header=BB132_4 Depth=1
	v_cmp_nlt_f64_e64 s[84:85], |v[16:17]|, s[20:21]
	v_trig_preop_f64 v[48:49], |v[16:17]|, 0
	v_trig_preop_f64 v[46:47], |v[16:17]|, 1
	v_ldexp_f64 v[50:51], |v[16:17]|, s16
	v_trig_preop_f64 v[14:15], |v[16:17]|, 2
	v_and_b32_e32 v59, 0x7fffffff, v17
                                        ; implicit-def: $vgpr58
                                        ; implicit-def: $vgpr6_vgpr7
                                        ; implicit-def: $vgpr8_vgpr9
	s_and_saveexec_b64 s[0:1], s[84:85]
	s_xor_b64 s[86:87], exec, s[0:1]
	s_cbranch_execz .LBB132_38
; %bb.37:                               ;   in Loop: Header=BB132_4 Depth=1
	v_cmp_ge_f64_e64 vcc, |v[16:17]|, s[22:23]
	v_cndmask_b32_e32 v7, v59, v51, vcc
	v_cndmask_b32_e32 v6, v16, v50, vcc
	v_mul_f64 v[52:53], v[48:49], v[6:7]
	v_mul_f64 v[8:9], v[46:47], v[6:7]
	v_fma_f64 v[54:55], v[48:49], v[6:7], -v[52:53]
	v_add_f64 v[60:61], v[8:9], v[54:55]
	v_add_f64 v[62:63], v[52:53], v[60:61]
	v_ldexp_f64 v[64:65], v[62:63], -2
	v_fract_f64_e32 v[66:67], v[64:65]
	v_cmp_neq_f64_e64 vcc, |v[64:65]|, s[24:25]
	v_cndmask_b32_e32 v65, 0, v67, vcc
	v_cndmask_b32_e32 v64, 0, v66, vcc
	v_add_f64 v[66:67], v[60:61], -v[8:9]
	v_add_f64 v[54:55], v[54:55], -v[66:67]
	;; [unrolled: 1-line block ×4, first 2 shown]
	v_add_f64 v[54:55], v[54:55], v[66:67]
	v_fma_f64 v[8:9], v[46:47], v[6:7], -v[8:9]
	v_mul_f64 v[66:67], v[14:15], v[6:7]
	v_add_f64 v[68:69], v[66:67], v[8:9]
	v_add_f64 v[70:71], v[68:69], v[54:55]
	v_add_f64 v[52:53], v[62:63], -v[52:53]
	v_add_f64 v[62:63], v[70:71], -v[68:69]
	;; [unrolled: 1-line block ×5, first 2 shown]
	v_add_f64 v[54:55], v[54:55], v[62:63]
	v_add_f64 v[62:63], v[68:69], -v[66:67]
	v_add_f64 v[8:9], v[8:9], -v[62:63]
	;; [unrolled: 1-line block ×5, first 2 shown]
	v_add_f64 v[60:61], v[52:53], v[70:71]
	v_add_f64 v[8:9], v[8:9], v[62:63]
	v_add_f64 v[52:53], v[60:61], -v[52:53]
	v_add_f64 v[8:9], v[8:9], v[54:55]
	v_fma_f64 v[6:7], v[14:15], v[6:7], -v[66:67]
	v_add_f64 v[52:53], v[70:71], -v[52:53]
	v_add_f64 v[6:7], v[6:7], v[8:9]
	v_ldexp_f64 v[8:9], v[64:65], 2
	v_add_f64 v[6:7], v[52:53], v[6:7]
	v_add_f64 v[52:53], v[60:61], v[8:9]
	v_cmp_gt_f64_e32 vcc, 0, v[52:53]
	v_cndmask_b32_e32 v23, 0, v1, vcc
	v_add_f64 v[8:9], v[8:9], v[22:23]
	v_add_f64 v[52:53], v[60:61], v[8:9]
	v_cvt_i32_f64_e32 v23, v[52:53]
	v_cvt_f64_i32_e32 v[52:53], v23
	v_add_f64 v[8:9], v[8:9], -v[52:53]
	v_add_f64 v[52:53], v[60:61], v[8:9]
	v_add_f64 v[8:9], v[52:53], -v[8:9]
	v_cmp_le_f64_e32 vcc, 0.5, v[52:53]
	v_add_f64 v[8:9], v[60:61], -v[8:9]
	v_addc_co_u32_e64 v58, s[0:1], 0, v23, vcc
	v_cndmask_b32_e32 v23, 0, v27, vcc
	v_add_f64 v[6:7], v[6:7], v[8:9]
	v_add_f64 v[8:9], v[52:53], -v[22:23]
	v_add_f64 v[52:53], v[8:9], v[6:7]
	v_add_f64 v[8:9], v[52:53], -v[8:9]
	s_mov_b32 s26, s28
	v_add_f64 v[6:7], v[6:7], -v[8:9]
	v_mul_f64 v[8:9], v[52:53], s[26:27]
	v_fma_f64 v[54:55], v[52:53], s[26:27], -v[8:9]
	s_mov_b32 s35, s31
	v_fmac_f64_e32 v[54:55], s[34:35], v[52:53]
	v_fmac_f64_e32 v[54:55], s[26:27], v[6:7]
	v_add_f64 v[6:7], v[8:9], v[54:55]
	v_add_f64 v[8:9], v[6:7], -v[8:9]
	v_add_f64 v[8:9], v[54:55], -v[8:9]
	s_andn2_saveexec_b64 s[0:1], s[86:87]
	s_cbranch_execz .LBB132_40
	s_branch .LBB132_39
.LBB132_38:                             ;   in Loop: Header=BB132_4 Depth=1
	s_andn2_saveexec_b64 s[0:1], s[86:87]
	s_cbranch_execz .LBB132_40
.LBB132_39:                             ;   in Loop: Header=BB132_4 Depth=1
	v_mul_f64 v[6:7], |v[16:17]|, s[36:37]
	v_rndne_f64_e32 v[52:53], v[6:7]
	v_fma_f64 v[6:7], v[52:53], s[28:29], |v[16:17]|
	v_mul_f64 v[54:55], v[52:53], s[38:39]
	v_add_f64 v[62:63], v[6:7], v[54:55]
	v_fma_f64 v[8:9], s[38:39], v[52:53], v[6:7]
	s_mov_b32 s30, s38
	v_add_f64 v[6:7], v[6:7], -v[62:63]
	v_fma_f64 v[60:61], s[30:31], v[52:53], v[54:55]
	v_add_f64 v[6:7], v[6:7], v[54:55]
	v_add_f64 v[54:55], v[62:63], -v[8:9]
	v_add_f64 v[6:7], v[54:55], v[6:7]
	v_add_f64 v[54:55], v[6:7], -v[60:61]
	v_fmac_f64_e32 v[54:55], s[40:41], v[52:53]
	v_add_f64 v[6:7], v[8:9], v[54:55]
	v_add_f64 v[8:9], v[6:7], -v[8:9]
	v_add_f64 v[8:9], v[54:55], -v[8:9]
	v_cvt_i32_f64_e32 v58, v[52:53]
.LBB132_40:                             ;   in Loop: Header=BB132_4 Depth=1
	s_or_b64 exec, exec, s[0:1]
                                        ; implicit-def: $vgpr60
                                        ; implicit-def: $vgpr52_vgpr53
                                        ; implicit-def: $vgpr54_vgpr55
	s_and_saveexec_b64 s[0:1], s[84:85]
	s_xor_b64 s[84:85], exec, s[0:1]
	s_cbranch_execz .LBB132_42
; %bb.41:                               ;   in Loop: Header=BB132_4 Depth=1
	v_cmp_ge_f64_e64 vcc, |v[16:17]|, s[22:23]
	v_cndmask_b32_e32 v51, v59, v51, vcc
	v_cndmask_b32_e32 v50, v16, v50, vcc
	v_mul_f64 v[54:55], v[48:49], v[50:51]
	v_mul_f64 v[52:53], v[46:47], v[50:51]
	v_fma_f64 v[48:49], v[48:49], v[50:51], -v[54:55]
	v_add_f64 v[60:61], v[52:53], v[48:49]
	v_add_f64 v[62:63], v[54:55], v[60:61]
	v_ldexp_f64 v[64:65], v[62:63], -2
	v_fract_f64_e32 v[66:67], v[64:65]
	v_cmp_neq_f64_e64 vcc, |v[64:65]|, s[24:25]
	v_cndmask_b32_e32 v65, 0, v67, vcc
	v_cndmask_b32_e32 v64, 0, v66, vcc
	v_add_f64 v[66:67], v[60:61], -v[52:53]
	v_add_f64 v[48:49], v[48:49], -v[66:67]
	;; [unrolled: 1-line block ×4, first 2 shown]
	v_fma_f64 v[46:47], v[46:47], v[50:51], -v[52:53]
	v_mul_f64 v[52:53], v[14:15], v[50:51]
	v_add_f64 v[48:49], v[48:49], v[66:67]
	v_add_f64 v[66:67], v[52:53], v[46:47]
	;; [unrolled: 1-line block ×3, first 2 shown]
	v_add_f64 v[54:55], v[62:63], -v[54:55]
	v_add_f64 v[62:63], v[68:69], -v[66:67]
	;; [unrolled: 1-line block ×5, first 2 shown]
	v_add_f64 v[48:49], v[48:49], v[62:63]
	v_add_f64 v[62:63], v[66:67], -v[52:53]
	v_add_f64 v[46:47], v[46:47], -v[62:63]
	;; [unrolled: 1-line block ×4, first 2 shown]
	v_add_f64 v[46:47], v[46:47], v[62:63]
	v_add_f64 v[54:55], v[60:61], -v[54:55]
	v_add_f64 v[46:47], v[46:47], v[48:49]
	v_fma_f64 v[14:15], v[14:15], v[50:51], -v[52:53]
	v_add_f64 v[60:61], v[54:55], v[68:69]
	v_add_f64 v[14:15], v[14:15], v[46:47]
	v_ldexp_f64 v[46:47], v[64:65], 2
	v_add_f64 v[48:49], v[60:61], v[46:47]
	v_cmp_gt_f64_e32 vcc, 0, v[48:49]
	v_cndmask_b32_e32 v23, 0, v1, vcc
	v_add_f64 v[46:47], v[46:47], v[22:23]
	v_add_f64 v[48:49], v[60:61], v[46:47]
	v_cvt_i32_f64_e32 v23, v[48:49]
	v_cvt_f64_i32_e32 v[48:49], v23
	v_add_f64 v[46:47], v[46:47], -v[48:49]
	v_add_f64 v[54:55], v[60:61], -v[54:55]
	v_add_f64 v[48:49], v[60:61], v[46:47]
	v_add_f64 v[54:55], v[68:69], -v[54:55]
	v_add_f64 v[46:47], v[48:49], -v[46:47]
	v_cmp_le_f64_e32 vcc, 0.5, v[48:49]
	v_add_f64 v[14:15], v[54:55], v[14:15]
	v_add_f64 v[46:47], v[60:61], -v[46:47]
	v_addc_co_u32_e64 v60, s[0:1], 0, v23, vcc
	v_cndmask_b32_e32 v23, 0, v27, vcc
	v_add_f64 v[14:15], v[14:15], v[46:47]
	v_add_f64 v[46:47], v[48:49], -v[22:23]
	v_add_f64 v[48:49], v[46:47], v[14:15]
	v_add_f64 v[46:47], v[48:49], -v[46:47]
	s_mov_b32 s26, s28
	v_add_f64 v[14:15], v[14:15], -v[46:47]
	v_mul_f64 v[46:47], v[48:49], s[26:27]
	v_fma_f64 v[50:51], v[48:49], s[26:27], -v[46:47]
	s_mov_b32 s35, s31
	v_fmac_f64_e32 v[50:51], s[34:35], v[48:49]
	v_fmac_f64_e32 v[50:51], s[26:27], v[14:15]
	v_add_f64 v[52:53], v[46:47], v[50:51]
	v_add_f64 v[14:15], v[52:53], -v[46:47]
	v_add_f64 v[54:55], v[50:51], -v[14:15]
	s_andn2_saveexec_b64 s[0:1], s[84:85]
	s_cbranch_execnz .LBB132_43
	s_branch .LBB132_44
.LBB132_42:                             ;   in Loop: Header=BB132_4 Depth=1
	s_andn2_saveexec_b64 s[0:1], s[84:85]
	s_cbranch_execz .LBB132_44
.LBB132_43:                             ;   in Loop: Header=BB132_4 Depth=1
	v_mul_f64 v[14:15], |v[16:17]|, s[36:37]
	v_rndne_f64_e32 v[14:15], v[14:15]
	v_fma_f64 v[46:47], v[14:15], s[28:29], |v[16:17]|
	v_mul_f64 v[50:51], v[14:15], s[38:39]
	v_add_f64 v[54:55], v[46:47], v[50:51]
	v_fma_f64 v[48:49], s[38:39], v[14:15], v[46:47]
	s_mov_b32 s30, s38
	v_add_f64 v[46:47], v[46:47], -v[54:55]
	v_fma_f64 v[52:53], s[30:31], v[14:15], v[50:51]
	v_add_f64 v[46:47], v[46:47], v[50:51]
	v_add_f64 v[50:51], v[54:55], -v[48:49]
	v_add_f64 v[46:47], v[50:51], v[46:47]
	v_add_f64 v[46:47], v[46:47], -v[52:53]
	v_fmac_f64_e32 v[46:47], s[40:41], v[14:15]
	v_add_f64 v[52:53], v[48:49], v[46:47]
	v_add_f64 v[48:49], v[52:53], -v[48:49]
	v_add_f64 v[54:55], v[46:47], -v[48:49]
	v_cvt_i32_f64_e32 v60, v[14:15]
.LBB132_44:                             ;   in Loop: Header=BB132_4 Depth=1
	s_or_b64 exec, exec, s[0:1]
	v_mul_f64 v[14:15], v[6:7], v[6:7]
	v_pk_mov_b32 v[62:63], s[58:59], s[58:59] op_sel:[0,1]
	v_mul_f64 v[46:47], v[14:15], 0.5
	v_fma_f64 v[64:65], s[60:61], v[14:15], v[62:63]
	v_add_f64 v[48:49], -v[46:47], 1.0
	v_fma_f64 v[64:65], v[14:15], v[64:65], s[62:63]
	v_add_f64 v[50:51], -v[48:49], 1.0
	v_fma_f64 v[64:65], v[14:15], v[64:65], s[64:65]
	v_add_f64 v[46:47], v[50:51], -v[46:47]
	v_fma_f64 v[64:65], v[14:15], v[64:65], s[66:67]
	v_mul_f64 v[50:51], v[14:15], v[14:15]
	v_fma_f64 v[64:65], v[14:15], v[64:65], s[52:53]
	v_fma_f64 v[46:47], v[6:7], -v[8:9], v[46:47]
	v_fmac_f64_e32 v[46:47], v[50:51], v[64:65]
	v_add_f64 v[46:47], v[48:49], v[46:47]
	v_pk_mov_b32 v[48:49], s[68:69], s[68:69] op_sel:[0,1]
	v_fma_f64 v[50:51], s[70:71], v[14:15], v[48:49]
	v_fma_f64 v[50:51], v[14:15], v[50:51], s[72:73]
	;; [unrolled: 1-line block ×4, first 2 shown]
	v_mul_f64 v[64:65], v[6:7], -v[14:15]
	v_mul_f64 v[66:67], v[8:9], 0.5
	v_fmac_f64_e32 v[66:67], v[64:65], v[50:51]
	v_fma_f64 v[8:9], v[14:15], v[66:67], -v[8:9]
	s_mov_b32 s76, s52
	v_fmac_f64_e32 v[8:9], s[76:77], v[64:65]
	v_add_f64 v[6:7], v[6:7], -v[8:9]
	v_and_b32_e32 v8, 1, v58
	v_xor_b32_e32 v7, 0x80000000, v7
	v_cmp_eq_u32_e32 vcc, 0, v8
	v_lshlrev_b32_e32 v8, 30, v58
	v_cndmask_b32_e32 v7, v7, v47, vcc
	v_and_b32_e32 v8, 0x80000000, v8
	v_xor_b32_e32 v7, v7, v8
	v_mul_f64 v[8:9], v[52:53], v[52:53]
	v_mul_f64 v[14:15], v[8:9], 0.5
	v_fmac_f64_e32 v[62:63], s[60:61], v[8:9]
	v_cndmask_b32_e32 v6, v6, v46, vcc
	v_add_f64 v[46:47], -v[14:15], 1.0
	v_fma_f64 v[58:59], v[8:9], v[62:63], s[62:63]
	v_add_f64 v[50:51], -v[46:47], 1.0
	v_fma_f64 v[58:59], v[8:9], v[58:59], s[64:65]
	v_add_f64 v[14:15], v[50:51], -v[14:15]
	v_fma_f64 v[58:59], v[8:9], v[58:59], s[66:67]
	v_mul_f64 v[50:51], v[8:9], v[8:9]
	v_fma_f64 v[58:59], v[8:9], v[58:59], s[52:53]
	v_fma_f64 v[14:15], v[52:53], -v[54:55], v[14:15]
	v_fmac_f64_e32 v[14:15], v[50:51], v[58:59]
	v_fmac_f64_e32 v[48:49], s[70:71], v[8:9]
	v_add_f64 v[14:15], v[46:47], v[14:15]
	v_fma_f64 v[46:47], v[8:9], v[48:49], s[72:73]
	v_fma_f64 v[46:47], v[8:9], v[46:47], s[74:75]
	;; [unrolled: 1-line block ×3, first 2 shown]
	v_mul_f64 v[48:49], v[52:53], -v[8:9]
	v_mul_f64 v[50:51], v[54:55], 0.5
	v_fmac_f64_e32 v[50:51], v[48:49], v[46:47]
	v_fma_f64 v[8:9], v[8:9], v[50:51], -v[54:55]
	v_cmp_class_f64_e64 vcc, v[16:17], s17
	v_fmac_f64_e32 v[8:9], s[76:77], v[48:49]
	v_and_b32_e32 v16, 1, v60
	v_add_f64 v[8:9], v[52:53], -v[8:9]
	v_cmp_eq_u32_e64 s[0:1], 0, v16
	v_cndmask_b32_e64 v8, v14, v8, s[0:1]
	v_lshlrev_b32_e32 v14, 30, v60
	v_xor_b32_e32 v14, v14, v17
	v_cndmask_b32_e64 v9, v15, v9, s[0:1]
	v_and_b32_e32 v14, 0x80000000, v14
	v_xor_b32_e32 v9, v9, v14
	v_cndmask_b32_e32 v6, 0, v6, vcc
	v_cndmask_b32_e32 v7, v57, v7, vcc
	;; [unrolled: 1-line block ×4, first 2 shown]
.LBB132_45:                             ;   in Loop: Header=BB132_4 Depth=1
	s_or_b64 exec, exec, s[2:3]
                                        ; implicit-def: $vgpr14_vgpr15
.LBB132_46:                             ;   in Loop: Header=BB132_4 Depth=1
	s_andn2_saveexec_b64 s[2:3], s[82:83]
	s_cbranch_execz .LBB132_48
; %bb.47:                               ;   in Loop: Header=BB132_4 Depth=1
	v_mul_f64 v[6:7], v[14:15], s[42:43]
	v_rndne_f64_e32 v[6:7], v[6:7]
	v_fma_f64 v[8:9], s[44:45], v[6:7], v[14:15]
	v_fmac_f64_e32 v[8:9], s[46:47], v[6:7]
	v_pk_mov_b32 v[46:47], v[28:29], v[28:29] op_sel:[0,1]
	v_fmac_f64_e32 v[46:47], s[48:49], v[8:9]
	v_pk_mov_b32 v[48:49], v[30:31], v[30:31] op_sel:[0,1]
	;; [unrolled: 2-line block ×9, first 2 shown]
	v_fmac_f64_e32 v[46:47], v[8:9], v[48:49]
	v_fma_f64 v[46:47], v[8:9], v[46:47], 1.0
	v_fma_f64 v[8:9], v[8:9], v[46:47], 1.0
	v_cvt_i32_f64_e32 v6, v[6:7]
	v_ldexp_f64 v[6:7], v[8:9], v6
	v_cmp_nlt_f64_e32 vcc, s[54:55], v[14:15]
	v_cmp_ngt_f64_e64 s[0:1], s[56:57], v[14:15]
	v_cndmask_b32_e32 v7, v56, v7, vcc
	s_and_b64 vcc, s[0:1], vcc
	v_cndmask_b32_e64 v7, 0, v7, s[0:1]
	v_cndmask_b32_e32 v6, 0, v6, vcc
	v_pk_mov_b32 v[8:9], v[16:17], v[16:17] op_sel:[0,1]
.LBB132_48:                             ;   in Loop: Header=BB132_4 Depth=1
	s_or_b64 exec, exec, s[2:3]
	s_waitcnt vmcnt(2)
	v_and_b32_e32 v14, 0x7fffffff, v21
	v_or_b32_e32 v15, v14, v20
	v_cmp_ne_u32_e32 vcc, 0, v15
                                        ; implicit-def: $vgpr16_vgpr17
	s_and_saveexec_b64 s[0:1], vcc
	s_xor_b64 s[82:83], exec, s[0:1]
	s_cbranch_execz .LBB132_90
; %bb.49:                               ;   in Loop: Header=BB132_4 Depth=1
	v_and_b32_e32 v23, 0x7fffffff, v19
	v_or_b32_e32 v15, v23, v18
	v_cmp_ne_u32_e32 vcc, 0, v15
                                        ; implicit-def: $vgpr16_vgpr17
	s_and_saveexec_b64 s[0:1], vcc
	s_xor_b64 s[84:85], exec, s[0:1]
	s_cbranch_execz .LBB132_79
; %bb.50:                               ;   in Loop: Header=BB132_4 Depth=1
	v_cmp_gt_u32_e32 vcc, s78, v14
                                        ; implicit-def: $vgpr16_vgpr17
	s_and_saveexec_b64 s[0:1], vcc
	s_xor_b64 s[86:87], exec, s[0:1]
	s_cbranch_execz .LBB132_72
; %bb.51:                               ;   in Loop: Header=BB132_4 Depth=1
	v_add_u32_e32 v14, 0xbf79d1be, v19
	v_cmp_lt_u32_e32 vcc, s79, v14
                                        ; implicit-def: $vgpr16_vgpr17
	s_and_saveexec_b64 s[0:1], vcc
	s_xor_b64 s[2:3], exec, s[0:1]
	s_cbranch_execz .LBB132_61
; %bb.52:                               ;   in Loop: Header=BB132_4 Depth=1
	v_cmp_nlt_f64_e64 s[88:89], |v[20:21]|, s[20:21]
                                        ; implicit-def: $vgpr50
                                        ; implicit-def: $vgpr14_vgpr15
                                        ; implicit-def: $vgpr16_vgpr17
	s_and_saveexec_b64 s[0:1], s[88:89]
	s_xor_b64 s[90:91], exec, s[0:1]
	s_cbranch_execz .LBB132_54
; %bb.53:                               ;   in Loop: Header=BB132_4 Depth=1
	v_and_b32_e32 v23, 0x7fffffff, v21
	v_ldexp_f64 v[46:47], |v[20:21]|, s16
	v_cmp_ge_f64_e64 vcc, |v[20:21]|, s[22:23]
	v_trig_preop_f64 v[14:15], |v[20:21]|, 0
	v_cndmask_b32_e32 v47, v23, v47, vcc
	v_cndmask_b32_e32 v46, v20, v46, vcc
	v_trig_preop_f64 v[16:17], |v[20:21]|, 1
	v_mul_f64 v[50:51], v[14:15], v[46:47]
	v_mul_f64 v[48:49], v[16:17], v[46:47]
	v_fma_f64 v[14:15], v[14:15], v[46:47], -v[50:51]
	v_add_f64 v[52:53], v[48:49], v[14:15]
	v_add_f64 v[54:55], v[50:51], v[52:53]
	v_ldexp_f64 v[58:59], v[54:55], -2
	v_fract_f64_e32 v[60:61], v[58:59]
	v_cmp_neq_f64_e64 vcc, |v[58:59]|, s[24:25]
	v_cndmask_b32_e32 v59, 0, v61, vcc
	v_cndmask_b32_e32 v58, 0, v60, vcc
	v_add_f64 v[60:61], v[52:53], -v[48:49]
	v_add_f64 v[14:15], v[14:15], -v[60:61]
	;; [unrolled: 1-line block ×4, first 2 shown]
	v_fma_f64 v[16:17], v[16:17], v[46:47], -v[48:49]
	v_trig_preop_f64 v[48:49], |v[20:21]|, 2
	v_add_f64 v[14:15], v[14:15], v[60:61]
	v_mul_f64 v[60:61], v[48:49], v[46:47]
	v_add_f64 v[62:63], v[60:61], v[16:17]
	v_add_f64 v[64:65], v[62:63], v[14:15]
	v_add_f64 v[50:51], v[54:55], -v[50:51]
	v_add_f64 v[54:55], v[64:65], -v[62:63]
	;; [unrolled: 1-line block ×5, first 2 shown]
	v_add_f64 v[14:15], v[14:15], v[54:55]
	v_add_f64 v[54:55], v[62:63], -v[60:61]
	v_add_f64 v[16:17], v[16:17], -v[54:55]
	v_add_f64 v[54:55], v[62:63], -v[54:55]
	v_add_f64 v[54:55], v[60:61], -v[54:55]
	v_add_f64 v[16:17], v[16:17], v[54:55]
	v_add_f64 v[50:51], v[52:53], -v[50:51]
	v_add_f64 v[14:15], v[16:17], v[14:15]
	v_fma_f64 v[16:17], v[48:49], v[46:47], -v[60:61]
	v_add_f64 v[52:53], v[50:51], v[64:65]
	v_add_f64 v[14:15], v[16:17], v[14:15]
	v_ldexp_f64 v[16:17], v[58:59], 2
	v_add_f64 v[46:47], v[52:53], v[16:17]
	v_cmp_gt_f64_e32 vcc, 0, v[46:47]
	v_cndmask_b32_e32 v23, 0, v1, vcc
	v_add_f64 v[16:17], v[16:17], v[22:23]
	v_add_f64 v[46:47], v[52:53], v[16:17]
	v_cvt_i32_f64_e32 v23, v[46:47]
	v_cvt_f64_i32_e32 v[46:47], v23
	v_add_f64 v[16:17], v[16:17], -v[46:47]
	v_add_f64 v[50:51], v[52:53], -v[50:51]
	v_add_f64 v[46:47], v[52:53], v[16:17]
	v_add_f64 v[50:51], v[64:65], -v[50:51]
	v_add_f64 v[16:17], v[46:47], -v[16:17]
	v_cmp_le_f64_e32 vcc, 0.5, v[46:47]
	v_add_f64 v[14:15], v[50:51], v[14:15]
	v_add_f64 v[16:17], v[52:53], -v[16:17]
	v_addc_co_u32_e64 v50, s[0:1], 0, v23, vcc
	v_cndmask_b32_e32 v23, 0, v27, vcc
	v_add_f64 v[14:15], v[14:15], v[16:17]
	v_add_f64 v[16:17], v[46:47], -v[22:23]
	v_add_f64 v[46:47], v[16:17], v[14:15]
	v_add_f64 v[16:17], v[46:47], -v[16:17]
	s_mov_b32 s26, s28
	v_add_f64 v[14:15], v[14:15], -v[16:17]
	v_mul_f64 v[16:17], v[46:47], s[26:27]
	v_fma_f64 v[48:49], v[46:47], s[26:27], -v[16:17]
	s_mov_b32 s35, s31
	v_fmac_f64_e32 v[48:49], s[34:35], v[46:47]
	v_fmac_f64_e32 v[48:49], s[26:27], v[14:15]
	v_add_f64 v[14:15], v[16:17], v[48:49]
	v_add_f64 v[16:17], v[14:15], -v[16:17]
	v_add_f64 v[16:17], v[48:49], -v[16:17]
	s_andn2_saveexec_b64 s[0:1], s[90:91]
	s_cbranch_execz .LBB132_56
	s_branch .LBB132_55
.LBB132_54:                             ;   in Loop: Header=BB132_4 Depth=1
	s_andn2_saveexec_b64 s[0:1], s[90:91]
	s_cbranch_execz .LBB132_56
.LBB132_55:                             ;   in Loop: Header=BB132_4 Depth=1
	v_mul_f64 v[14:15], |v[20:21]|, s[36:37]
	v_rndne_f64_e32 v[46:47], v[14:15]
	v_fma_f64 v[14:15], v[46:47], s[28:29], |v[20:21]|
	v_mul_f64 v[48:49], v[46:47], s[38:39]
	v_add_f64 v[52:53], v[14:15], v[48:49]
	v_fma_f64 v[16:17], s[38:39], v[46:47], v[14:15]
	s_mov_b32 s30, s38
	v_add_f64 v[14:15], v[14:15], -v[52:53]
	v_fma_f64 v[50:51], s[30:31], v[46:47], v[48:49]
	v_add_f64 v[14:15], v[14:15], v[48:49]
	v_add_f64 v[48:49], v[52:53], -v[16:17]
	v_add_f64 v[14:15], v[48:49], v[14:15]
	v_add_f64 v[48:49], v[14:15], -v[50:51]
	v_fmac_f64_e32 v[48:49], s[40:41], v[46:47]
	v_add_f64 v[14:15], v[16:17], v[48:49]
	v_add_f64 v[16:17], v[14:15], -v[16:17]
	v_add_f64 v[16:17], v[48:49], -v[16:17]
	v_cvt_i32_f64_e32 v50, v[46:47]
.LBB132_56:                             ;   in Loop: Header=BB132_4 Depth=1
	s_or_b64 exec, exec, s[0:1]
                                        ; implicit-def: $vgpr51
                                        ; implicit-def: $vgpr46_vgpr47
                                        ; implicit-def: $vgpr48_vgpr49
	s_and_saveexec_b64 s[0:1], s[88:89]
	s_xor_b64 s[88:89], exec, s[0:1]
	s_cbranch_execz .LBB132_58
; %bb.57:                               ;   in Loop: Header=BB132_4 Depth=1
	v_and_b32_e32 v23, 0x7fffffff, v21
	v_ldexp_f64 v[52:53], |v[20:21]|, s16
	v_cmp_ge_f64_e64 vcc, |v[20:21]|, s[22:23]
	v_trig_preop_f64 v[46:47], |v[20:21]|, 0
	v_cndmask_b32_e32 v53, v23, v53, vcc
	v_cndmask_b32_e32 v52, v20, v52, vcc
	v_trig_preop_f64 v[48:49], |v[20:21]|, 1
	v_mul_f64 v[58:59], v[46:47], v[52:53]
	v_mul_f64 v[54:55], v[48:49], v[52:53]
	v_fma_f64 v[46:47], v[46:47], v[52:53], -v[58:59]
	v_add_f64 v[60:61], v[54:55], v[46:47]
	v_add_f64 v[62:63], v[58:59], v[60:61]
	v_ldexp_f64 v[64:65], v[62:63], -2
	v_fract_f64_e32 v[66:67], v[64:65]
	v_cmp_neq_f64_e64 vcc, |v[64:65]|, s[24:25]
	v_cndmask_b32_e32 v65, 0, v67, vcc
	v_cndmask_b32_e32 v64, 0, v66, vcc
	v_add_f64 v[66:67], v[60:61], -v[54:55]
	v_add_f64 v[46:47], v[46:47], -v[66:67]
	;; [unrolled: 1-line block ×4, first 2 shown]
	v_fma_f64 v[48:49], v[48:49], v[52:53], -v[54:55]
	v_trig_preop_f64 v[54:55], |v[20:21]|, 2
	v_add_f64 v[46:47], v[46:47], v[66:67]
	v_mul_f64 v[66:67], v[54:55], v[52:53]
	v_add_f64 v[68:69], v[66:67], v[48:49]
	v_add_f64 v[70:71], v[68:69], v[46:47]
	v_add_f64 v[58:59], v[62:63], -v[58:59]
	v_add_f64 v[62:63], v[70:71], -v[68:69]
	;; [unrolled: 1-line block ×5, first 2 shown]
	v_add_f64 v[46:47], v[46:47], v[62:63]
	v_add_f64 v[62:63], v[68:69], -v[66:67]
	v_add_f64 v[48:49], v[48:49], -v[62:63]
	;; [unrolled: 1-line block ×4, first 2 shown]
	v_add_f64 v[48:49], v[48:49], v[62:63]
	v_add_f64 v[58:59], v[60:61], -v[58:59]
	v_add_f64 v[46:47], v[48:49], v[46:47]
	v_fma_f64 v[48:49], v[54:55], v[52:53], -v[66:67]
	v_add_f64 v[60:61], v[58:59], v[70:71]
	v_add_f64 v[46:47], v[48:49], v[46:47]
	v_ldexp_f64 v[48:49], v[64:65], 2
	v_add_f64 v[52:53], v[60:61], v[48:49]
	v_cmp_gt_f64_e32 vcc, 0, v[52:53]
	v_cndmask_b32_e32 v23, 0, v1, vcc
	v_add_f64 v[48:49], v[48:49], v[22:23]
	v_add_f64 v[52:53], v[60:61], v[48:49]
	v_cvt_i32_f64_e32 v23, v[52:53]
	v_cvt_f64_i32_e32 v[52:53], v23
	v_add_f64 v[48:49], v[48:49], -v[52:53]
	v_add_f64 v[58:59], v[60:61], -v[58:59]
	v_add_f64 v[52:53], v[60:61], v[48:49]
	v_add_f64 v[58:59], v[70:71], -v[58:59]
	v_add_f64 v[48:49], v[52:53], -v[48:49]
	v_cmp_le_f64_e32 vcc, 0.5, v[52:53]
	v_add_f64 v[46:47], v[58:59], v[46:47]
	v_add_f64 v[48:49], v[60:61], -v[48:49]
	v_addc_co_u32_e64 v51, s[0:1], 0, v23, vcc
	v_cndmask_b32_e32 v23, 0, v27, vcc
	v_add_f64 v[46:47], v[46:47], v[48:49]
	v_add_f64 v[48:49], v[52:53], -v[22:23]
	v_add_f64 v[52:53], v[48:49], v[46:47]
	v_add_f64 v[48:49], v[52:53], -v[48:49]
	s_mov_b32 s26, s28
	v_add_f64 v[46:47], v[46:47], -v[48:49]
	v_mul_f64 v[48:49], v[52:53], s[26:27]
	v_fma_f64 v[54:55], v[52:53], s[26:27], -v[48:49]
	s_mov_b32 s35, s31
	v_fmac_f64_e32 v[54:55], s[34:35], v[52:53]
	v_fmac_f64_e32 v[54:55], s[26:27], v[46:47]
	v_add_f64 v[46:47], v[48:49], v[54:55]
	v_add_f64 v[48:49], v[46:47], -v[48:49]
	v_add_f64 v[48:49], v[54:55], -v[48:49]
	s_andn2_saveexec_b64 s[0:1], s[88:89]
	s_cbranch_execnz .LBB132_59
	s_branch .LBB132_60
.LBB132_58:                             ;   in Loop: Header=BB132_4 Depth=1
	s_andn2_saveexec_b64 s[0:1], s[88:89]
	s_cbranch_execz .LBB132_60
.LBB132_59:                             ;   in Loop: Header=BB132_4 Depth=1
	v_mul_f64 v[46:47], |v[20:21]|, s[36:37]
	v_rndne_f64_e32 v[52:53], v[46:47]
	v_fma_f64 v[46:47], v[52:53], s[28:29], |v[20:21]|
	v_mul_f64 v[54:55], v[52:53], s[38:39]
	v_add_f64 v[60:61], v[46:47], v[54:55]
	v_fma_f64 v[48:49], s[38:39], v[52:53], v[46:47]
	s_mov_b32 s30, s38
	v_add_f64 v[46:47], v[46:47], -v[60:61]
	v_fma_f64 v[58:59], s[30:31], v[52:53], v[54:55]
	v_add_f64 v[46:47], v[46:47], v[54:55]
	v_add_f64 v[54:55], v[60:61], -v[48:49]
	v_add_f64 v[46:47], v[54:55], v[46:47]
	v_add_f64 v[54:55], v[46:47], -v[58:59]
	v_fmac_f64_e32 v[54:55], s[40:41], v[52:53]
	v_add_f64 v[46:47], v[48:49], v[54:55]
	v_add_f64 v[48:49], v[46:47], -v[48:49]
	v_add_f64 v[48:49], v[54:55], -v[48:49]
	v_cvt_i32_f64_e32 v51, v[52:53]
.LBB132_60:                             ;   in Loop: Header=BB132_4 Depth=1
	s_or_b64 exec, exec, s[0:1]
	v_mul_f64 v[52:53], v[18:19], s[42:43]
	v_rndne_f64_e32 v[52:53], v[52:53]
	v_fma_f64 v[54:55], s[44:45], v[52:53], v[18:19]
	v_fmac_f64_e32 v[54:55], s[46:47], v[52:53]
	v_pk_mov_b32 v[58:59], v[28:29], v[28:29] op_sel:[0,1]
	v_fmac_f64_e32 v[58:59], s[48:49], v[54:55]
	v_pk_mov_b32 v[60:61], v[30:31], v[30:31] op_sel:[0,1]
	;; [unrolled: 2-line block ×9, first 2 shown]
	v_fmac_f64_e32 v[58:59], v[54:55], v[60:61]
	v_fma_f64 v[58:59], v[54:55], v[58:59], 1.0
	v_fma_f64 v[54:55], v[54:55], v[58:59], 1.0
	v_cvt_i32_f64_e32 v23, v[52:53]
	v_ldexp_f64 v[52:53], v[54:55], v23
	v_cmp_nlt_f64_e32 vcc, s[54:55], v[18:19]
	v_cmp_ngt_f64_e64 s[0:1], s[56:57], v[18:19]
	v_cndmask_b32_e32 v23, v56, v53, vcc
	s_and_b64 vcc, s[0:1], vcc
	v_cndmask_b32_e32 v18, 0, v52, vcc
	v_mul_f64 v[52:53], v[14:15], v[14:15]
	v_pk_mov_b32 v[62:63], s[58:59], s[58:59] op_sel:[0,1]
	v_mul_f64 v[54:55], v[52:53], 0.5
	v_fma_f64 v[64:65], s[60:61], v[52:53], v[62:63]
	v_add_f64 v[58:59], -v[54:55], 1.0
	v_fma_f64 v[64:65], v[52:53], v[64:65], s[62:63]
	v_add_f64 v[60:61], -v[58:59], 1.0
	v_fma_f64 v[64:65], v[52:53], v[64:65], s[64:65]
	v_add_f64 v[54:55], v[60:61], -v[54:55]
	v_fma_f64 v[64:65], v[52:53], v[64:65], s[66:67]
	v_mul_f64 v[60:61], v[52:53], v[52:53]
	v_fma_f64 v[64:65], v[52:53], v[64:65], s[52:53]
	v_fma_f64 v[54:55], v[14:15], -v[16:17], v[54:55]
	v_fmac_f64_e32 v[54:55], v[60:61], v[64:65]
	v_add_f64 v[54:55], v[58:59], v[54:55]
	v_pk_mov_b32 v[58:59], s[68:69], s[68:69] op_sel:[0,1]
	v_fma_f64 v[60:61], s[70:71], v[52:53], v[58:59]
	v_fma_f64 v[60:61], v[52:53], v[60:61], s[72:73]
	v_fma_f64 v[60:61], v[52:53], v[60:61], s[74:75]
	v_fma_f64 v[60:61], v[52:53], v[60:61], s[50:51]
	v_mul_f64 v[64:65], v[14:15], -v[52:53]
	v_mul_f64 v[66:67], v[16:17], 0.5
	v_fmac_f64_e32 v[66:67], v[64:65], v[60:61]
	v_fma_f64 v[16:17], v[52:53], v[66:67], -v[16:17]
	s_mov_b32 s76, s52
	v_fmac_f64_e32 v[16:17], s[76:77], v[64:65]
	v_add_f64 v[14:15], v[14:15], -v[16:17]
	v_and_b32_e32 v16, 1, v50
	v_xor_b32_e32 v15, 0x80000000, v15
	v_cmp_eq_u32_e32 vcc, 0, v16
	v_lshlrev_b32_e32 v16, 30, v50
	v_cndmask_b32_e32 v15, v15, v55, vcc
	v_and_b32_e32 v16, 0x80000000, v16
	v_xor_b32_e32 v15, v15, v16
	v_mul_f64 v[16:17], v[46:47], v[46:47]
	v_mul_f64 v[52:53], v[16:17], 0.5
	v_fmac_f64_e32 v[62:63], s[60:61], v[16:17]
	v_cndmask_b32_e32 v14, v14, v54, vcc
	v_add_f64 v[54:55], -v[52:53], 1.0
	v_fma_f64 v[62:63], v[16:17], v[62:63], s[62:63]
	v_add_f64 v[60:61], -v[54:55], 1.0
	v_fma_f64 v[62:63], v[16:17], v[62:63], s[64:65]
	v_add_f64 v[52:53], v[60:61], -v[52:53]
	v_fma_f64 v[62:63], v[16:17], v[62:63], s[66:67]
	v_mul_f64 v[60:61], v[16:17], v[16:17]
	v_fma_f64 v[62:63], v[16:17], v[62:63], s[52:53]
	v_fma_f64 v[52:53], v[46:47], -v[48:49], v[52:53]
	v_fmac_f64_e32 v[52:53], v[60:61], v[62:63]
	v_fmac_f64_e32 v[58:59], s[70:71], v[16:17]
	v_add_f64 v[52:53], v[54:55], v[52:53]
	v_fma_f64 v[54:55], v[16:17], v[58:59], s[72:73]
	v_fma_f64 v[54:55], v[16:17], v[54:55], s[74:75]
	;; [unrolled: 1-line block ×3, first 2 shown]
	v_mul_f64 v[58:59], v[46:47], -v[16:17]
	v_mul_f64 v[60:61], v[48:49], 0.5
	v_fmac_f64_e32 v[60:61], v[58:59], v[54:55]
	v_cmp_class_f64_e64 vcc, v[20:21], s17
	v_fma_f64 v[16:17], v[16:17], v[60:61], -v[48:49]
	v_and_b32_e32 v20, 1, v51
	v_cndmask_b32_e64 v19, 0, v23, s[0:1]
	v_fmac_f64_e32 v[16:17], s[76:77], v[58:59]
	v_cmp_eq_u32_e64 s[0:1], 0, v20
	v_lshlrev_b32_e32 v20, 30, v51
	v_add_f64 v[16:17], v[46:47], -v[16:17]
	v_xor_b32_e32 v20, v20, v21
	v_cndmask_b32_e64 v17, v53, v17, s[0:1]
	v_and_b32_e32 v20, 0x80000000, v20
	v_cndmask_b32_e64 v16, v52, v16, s[0:1]
	v_xor_b32_e32 v17, v17, v20
	v_cndmask_b32_e32 v14, 0, v14, vcc
	v_cndmask_b32_e32 v15, v57, v15, vcc
	;; [unrolled: 1-line block ×4, first 2 shown]
	v_mul_f64 v[14:15], v[18:19], v[14:15]
	v_mul_f64 v[16:17], v[18:19], v[16:17]
                                        ; implicit-def: $vgpr20_vgpr21
.LBB132_61:                             ;   in Loop: Header=BB132_4 Depth=1
	s_andn2_saveexec_b64 s[88:89], s[2:3]
	s_cbranch_execz .LBB132_71
; %bb.62:                               ;   in Loop: Header=BB132_4 Depth=1
	v_cmp_nlt_f64_e64 s[2:3], |v[20:21]|, s[20:21]
                                        ; implicit-def: $vgpr50
                                        ; implicit-def: $vgpr14_vgpr15
                                        ; implicit-def: $vgpr16_vgpr17
	s_and_saveexec_b64 s[0:1], s[2:3]
	s_xor_b64 s[90:91], exec, s[0:1]
	s_cbranch_execz .LBB132_64
; %bb.63:                               ;   in Loop: Header=BB132_4 Depth=1
	v_and_b32_e32 v23, 0x7fffffff, v21
	v_ldexp_f64 v[46:47], |v[20:21]|, s16
	v_cmp_ge_f64_e64 vcc, |v[20:21]|, s[22:23]
	v_trig_preop_f64 v[14:15], |v[20:21]|, 0
	v_cndmask_b32_e32 v47, v23, v47, vcc
	v_cndmask_b32_e32 v46, v20, v46, vcc
	v_trig_preop_f64 v[16:17], |v[20:21]|, 1
	v_mul_f64 v[50:51], v[14:15], v[46:47]
	v_mul_f64 v[48:49], v[16:17], v[46:47]
	v_fma_f64 v[14:15], v[14:15], v[46:47], -v[50:51]
	v_add_f64 v[52:53], v[48:49], v[14:15]
	v_add_f64 v[54:55], v[50:51], v[52:53]
	v_ldexp_f64 v[58:59], v[54:55], -2
	v_fract_f64_e32 v[60:61], v[58:59]
	v_cmp_neq_f64_e64 vcc, |v[58:59]|, s[24:25]
	v_cndmask_b32_e32 v59, 0, v61, vcc
	v_cndmask_b32_e32 v58, 0, v60, vcc
	v_add_f64 v[60:61], v[52:53], -v[48:49]
	v_add_f64 v[14:15], v[14:15], -v[60:61]
	v_add_f64 v[60:61], v[52:53], -v[60:61]
	v_add_f64 v[60:61], v[48:49], -v[60:61]
	v_fma_f64 v[16:17], v[16:17], v[46:47], -v[48:49]
	v_trig_preop_f64 v[48:49], |v[20:21]|, 2
	v_add_f64 v[14:15], v[14:15], v[60:61]
	v_mul_f64 v[60:61], v[48:49], v[46:47]
	v_add_f64 v[62:63], v[60:61], v[16:17]
	v_add_f64 v[64:65], v[62:63], v[14:15]
	v_add_f64 v[50:51], v[54:55], -v[50:51]
	v_add_f64 v[54:55], v[64:65], -v[62:63]
	;; [unrolled: 1-line block ×5, first 2 shown]
	v_add_f64 v[14:15], v[14:15], v[54:55]
	v_add_f64 v[54:55], v[62:63], -v[60:61]
	v_add_f64 v[16:17], v[16:17], -v[54:55]
	v_add_f64 v[54:55], v[62:63], -v[54:55]
	v_add_f64 v[54:55], v[60:61], -v[54:55]
	v_add_f64 v[16:17], v[16:17], v[54:55]
	v_add_f64 v[50:51], v[52:53], -v[50:51]
	v_add_f64 v[14:15], v[16:17], v[14:15]
	v_fma_f64 v[16:17], v[48:49], v[46:47], -v[60:61]
	v_add_f64 v[52:53], v[50:51], v[64:65]
	v_add_f64 v[14:15], v[16:17], v[14:15]
	v_ldexp_f64 v[16:17], v[58:59], 2
	v_add_f64 v[46:47], v[52:53], v[16:17]
	v_cmp_gt_f64_e32 vcc, 0, v[46:47]
	v_cndmask_b32_e32 v23, 0, v1, vcc
	v_add_f64 v[16:17], v[16:17], v[22:23]
	v_add_f64 v[46:47], v[52:53], v[16:17]
	v_cvt_i32_f64_e32 v23, v[46:47]
	v_cvt_f64_i32_e32 v[46:47], v23
	v_add_f64 v[16:17], v[16:17], -v[46:47]
	v_add_f64 v[50:51], v[52:53], -v[50:51]
	v_add_f64 v[46:47], v[52:53], v[16:17]
	v_add_f64 v[50:51], v[64:65], -v[50:51]
	v_add_f64 v[16:17], v[46:47], -v[16:17]
	v_cmp_le_f64_e32 vcc, 0.5, v[46:47]
	v_add_f64 v[14:15], v[50:51], v[14:15]
	v_add_f64 v[16:17], v[52:53], -v[16:17]
	v_addc_co_u32_e64 v50, s[0:1], 0, v23, vcc
	v_cndmask_b32_e32 v23, 0, v27, vcc
	v_add_f64 v[14:15], v[14:15], v[16:17]
	v_add_f64 v[16:17], v[46:47], -v[22:23]
	v_add_f64 v[46:47], v[16:17], v[14:15]
	v_add_f64 v[16:17], v[46:47], -v[16:17]
	s_mov_b32 s26, s28
	v_add_f64 v[14:15], v[14:15], -v[16:17]
	v_mul_f64 v[16:17], v[46:47], s[26:27]
	v_fma_f64 v[48:49], v[46:47], s[26:27], -v[16:17]
	s_mov_b32 s35, s31
	v_fmac_f64_e32 v[48:49], s[34:35], v[46:47]
	v_fmac_f64_e32 v[48:49], s[26:27], v[14:15]
	v_add_f64 v[14:15], v[16:17], v[48:49]
	v_add_f64 v[16:17], v[14:15], -v[16:17]
	v_add_f64 v[16:17], v[48:49], -v[16:17]
	s_andn2_saveexec_b64 s[0:1], s[90:91]
	s_cbranch_execz .LBB132_66
	s_branch .LBB132_65
.LBB132_64:                             ;   in Loop: Header=BB132_4 Depth=1
	s_andn2_saveexec_b64 s[0:1], s[90:91]
	s_cbranch_execz .LBB132_66
.LBB132_65:                             ;   in Loop: Header=BB132_4 Depth=1
	v_mul_f64 v[14:15], |v[20:21]|, s[36:37]
	v_rndne_f64_e32 v[46:47], v[14:15]
	v_fma_f64 v[14:15], v[46:47], s[28:29], |v[20:21]|
	v_mul_f64 v[48:49], v[46:47], s[38:39]
	v_add_f64 v[52:53], v[14:15], v[48:49]
	v_fma_f64 v[16:17], s[38:39], v[46:47], v[14:15]
	s_mov_b32 s30, s38
	v_add_f64 v[14:15], v[14:15], -v[52:53]
	v_fma_f64 v[50:51], s[30:31], v[46:47], v[48:49]
	v_add_f64 v[14:15], v[14:15], v[48:49]
	v_add_f64 v[48:49], v[52:53], -v[16:17]
	v_add_f64 v[14:15], v[48:49], v[14:15]
	v_add_f64 v[48:49], v[14:15], -v[50:51]
	v_fmac_f64_e32 v[48:49], s[40:41], v[46:47]
	v_add_f64 v[14:15], v[16:17], v[48:49]
	v_add_f64 v[16:17], v[14:15], -v[16:17]
	v_add_f64 v[16:17], v[48:49], -v[16:17]
	v_cvt_i32_f64_e32 v50, v[46:47]
.LBB132_66:                             ;   in Loop: Header=BB132_4 Depth=1
	s_or_b64 exec, exec, s[0:1]
                                        ; implicit-def: $vgpr51
                                        ; implicit-def: $vgpr46_vgpr47
                                        ; implicit-def: $vgpr48_vgpr49
	s_and_saveexec_b64 s[0:1], s[2:3]
	s_xor_b64 s[2:3], exec, s[0:1]
	s_cbranch_execz .LBB132_68
; %bb.67:                               ;   in Loop: Header=BB132_4 Depth=1
	v_and_b32_e32 v23, 0x7fffffff, v21
	v_ldexp_f64 v[52:53], |v[20:21]|, s16
	v_cmp_ge_f64_e64 vcc, |v[20:21]|, s[22:23]
	v_trig_preop_f64 v[46:47], |v[20:21]|, 0
	v_cndmask_b32_e32 v53, v23, v53, vcc
	v_cndmask_b32_e32 v52, v20, v52, vcc
	v_trig_preop_f64 v[48:49], |v[20:21]|, 1
	v_mul_f64 v[58:59], v[46:47], v[52:53]
	v_mul_f64 v[54:55], v[48:49], v[52:53]
	v_fma_f64 v[46:47], v[46:47], v[52:53], -v[58:59]
	v_add_f64 v[60:61], v[54:55], v[46:47]
	v_add_f64 v[62:63], v[58:59], v[60:61]
	v_ldexp_f64 v[64:65], v[62:63], -2
	v_fract_f64_e32 v[66:67], v[64:65]
	v_cmp_neq_f64_e64 vcc, |v[64:65]|, s[24:25]
	v_cndmask_b32_e32 v65, 0, v67, vcc
	v_cndmask_b32_e32 v64, 0, v66, vcc
	v_add_f64 v[66:67], v[60:61], -v[54:55]
	v_add_f64 v[46:47], v[46:47], -v[66:67]
	;; [unrolled: 1-line block ×4, first 2 shown]
	v_fma_f64 v[48:49], v[48:49], v[52:53], -v[54:55]
	v_trig_preop_f64 v[54:55], |v[20:21]|, 2
	v_add_f64 v[46:47], v[46:47], v[66:67]
	v_mul_f64 v[66:67], v[54:55], v[52:53]
	v_add_f64 v[68:69], v[66:67], v[48:49]
	v_add_f64 v[70:71], v[68:69], v[46:47]
	v_add_f64 v[58:59], v[62:63], -v[58:59]
	v_add_f64 v[62:63], v[70:71], -v[68:69]
	;; [unrolled: 1-line block ×5, first 2 shown]
	v_add_f64 v[46:47], v[46:47], v[62:63]
	v_add_f64 v[62:63], v[68:69], -v[66:67]
	v_add_f64 v[48:49], v[48:49], -v[62:63]
	;; [unrolled: 1-line block ×4, first 2 shown]
	v_add_f64 v[48:49], v[48:49], v[62:63]
	v_add_f64 v[58:59], v[60:61], -v[58:59]
	v_add_f64 v[46:47], v[48:49], v[46:47]
	v_fma_f64 v[48:49], v[54:55], v[52:53], -v[66:67]
	v_add_f64 v[60:61], v[58:59], v[70:71]
	v_add_f64 v[46:47], v[48:49], v[46:47]
	v_ldexp_f64 v[48:49], v[64:65], 2
	v_add_f64 v[52:53], v[60:61], v[48:49]
	v_cmp_gt_f64_e32 vcc, 0, v[52:53]
	v_cndmask_b32_e32 v23, 0, v1, vcc
	v_add_f64 v[48:49], v[48:49], v[22:23]
	v_add_f64 v[52:53], v[60:61], v[48:49]
	v_cvt_i32_f64_e32 v23, v[52:53]
	v_cvt_f64_i32_e32 v[52:53], v23
	v_add_f64 v[48:49], v[48:49], -v[52:53]
	v_add_f64 v[58:59], v[60:61], -v[58:59]
	v_add_f64 v[52:53], v[60:61], v[48:49]
	v_add_f64 v[58:59], v[70:71], -v[58:59]
	v_add_f64 v[48:49], v[52:53], -v[48:49]
	v_cmp_le_f64_e32 vcc, 0.5, v[52:53]
	v_add_f64 v[46:47], v[58:59], v[46:47]
	v_add_f64 v[48:49], v[60:61], -v[48:49]
	v_addc_co_u32_e64 v51, s[0:1], 0, v23, vcc
	v_cndmask_b32_e32 v23, 0, v27, vcc
	v_add_f64 v[46:47], v[46:47], v[48:49]
	v_add_f64 v[48:49], v[52:53], -v[22:23]
	v_add_f64 v[52:53], v[48:49], v[46:47]
	v_add_f64 v[48:49], v[52:53], -v[48:49]
	s_mov_b32 s26, s28
	v_add_f64 v[46:47], v[46:47], -v[48:49]
	v_mul_f64 v[48:49], v[52:53], s[26:27]
	v_fma_f64 v[54:55], v[52:53], s[26:27], -v[48:49]
	s_mov_b32 s35, s31
	v_fmac_f64_e32 v[54:55], s[34:35], v[52:53]
	v_fmac_f64_e32 v[54:55], s[26:27], v[46:47]
	v_add_f64 v[46:47], v[48:49], v[54:55]
	v_add_f64 v[48:49], v[46:47], -v[48:49]
	v_add_f64 v[48:49], v[54:55], -v[48:49]
	s_andn2_saveexec_b64 s[0:1], s[2:3]
	s_cbranch_execnz .LBB132_69
	s_branch .LBB132_70
.LBB132_68:                             ;   in Loop: Header=BB132_4 Depth=1
	s_andn2_saveexec_b64 s[0:1], s[2:3]
	s_cbranch_execz .LBB132_70
.LBB132_69:                             ;   in Loop: Header=BB132_4 Depth=1
	v_mul_f64 v[46:47], |v[20:21]|, s[36:37]
	v_rndne_f64_e32 v[52:53], v[46:47]
	v_fma_f64 v[46:47], v[52:53], s[28:29], |v[20:21]|
	v_mul_f64 v[54:55], v[52:53], s[38:39]
	v_add_f64 v[60:61], v[46:47], v[54:55]
	v_fma_f64 v[48:49], s[38:39], v[52:53], v[46:47]
	s_mov_b32 s30, s38
	v_add_f64 v[46:47], v[46:47], -v[60:61]
	v_fma_f64 v[58:59], s[30:31], v[52:53], v[54:55]
	v_add_f64 v[46:47], v[46:47], v[54:55]
	v_add_f64 v[54:55], v[60:61], -v[48:49]
	v_add_f64 v[46:47], v[54:55], v[46:47]
	v_add_f64 v[54:55], v[46:47], -v[58:59]
	v_fmac_f64_e32 v[54:55], s[40:41], v[52:53]
	v_add_f64 v[46:47], v[48:49], v[54:55]
	v_add_f64 v[48:49], v[46:47], -v[48:49]
	v_add_f64 v[48:49], v[54:55], -v[48:49]
	v_cvt_i32_f64_e32 v51, v[52:53]
.LBB132_70:                             ;   in Loop: Header=BB132_4 Depth=1
	s_or_b64 exec, exec, s[0:1]
	v_mul_f64 v[52:53], v[14:15], v[14:15]
	v_pk_mov_b32 v[62:63], s[58:59], s[58:59] op_sel:[0,1]
	v_mul_f64 v[54:55], v[52:53], 0.5
	v_fma_f64 v[64:65], s[60:61], v[52:53], v[62:63]
	v_add_f64 v[58:59], -v[54:55], 1.0
	v_fma_f64 v[64:65], v[52:53], v[64:65], s[62:63]
	v_fma_f64 v[64:65], v[52:53], v[64:65], s[64:65]
	v_add_f64 v[66:67], -v[58:59], 1.0
	v_fma_f64 v[64:65], v[52:53], v[64:65], s[66:67]
	v_add_f64 v[54:55], v[66:67], -v[54:55]
	v_mul_f64 v[60:61], v[52:53], v[52:53]
	v_fma_f64 v[64:65], v[52:53], v[64:65], s[52:53]
	v_fma_f64 v[54:55], v[14:15], -v[16:17], v[54:55]
	v_fmac_f64_e32 v[54:55], v[60:61], v[64:65]
	v_pk_mov_b32 v[60:61], s[68:69], s[68:69] op_sel:[0,1]
	v_fma_f64 v[64:65], s[70:71], v[52:53], v[60:61]
	v_fma_f64 v[64:65], v[52:53], v[64:65], s[72:73]
	;; [unrolled: 1-line block ×3, first 2 shown]
	v_add_f64 v[54:55], v[58:59], v[54:55]
	v_mul_f64 v[58:59], v[14:15], -v[52:53]
	v_fma_f64 v[64:65], v[52:53], v[64:65], s[50:51]
	v_mul_f64 v[66:67], v[16:17], 0.5
	v_fmac_f64_e32 v[66:67], v[58:59], v[64:65]
	v_fma_f64 v[16:17], v[52:53], v[66:67], -v[16:17]
	s_mov_b32 s76, s52
	v_fmac_f64_e32 v[16:17], s[76:77], v[58:59]
	v_and_b32_e32 v23, 1, v50
	v_add_f64 v[14:15], v[14:15], -v[16:17]
	v_xor_b32_e32 v15, 0x80000000, v15
	v_cmp_eq_u32_e32 vcc, 0, v23
	v_lshlrev_b32_e32 v16, 30, v50
	s_mov_b32 s0, 0x19ba0da4
	v_cndmask_b32_e32 v15, v15, v55, vcc
	v_and_b32_e32 v16, 0x80000000, v16
	s_mov_b32 s1, 0xc0937be3
	v_xor_b32_e32 v15, v15, v16
	v_add_f64 v[16:17], v[18:19], s[0:1]
	v_mul_f64 v[18:19], v[16:17], s[42:43]
	v_rndne_f64_e32 v[18:19], v[18:19]
	v_fma_f64 v[52:53], s[44:45], v[18:19], v[16:17]
	v_cndmask_b32_e32 v14, v14, v54, vcc
	v_fmac_f64_e32 v[52:53], s[46:47], v[18:19]
	v_pk_mov_b32 v[54:55], v[28:29], v[28:29] op_sel:[0,1]
	v_fmac_f64_e32 v[54:55], s[48:49], v[52:53]
	v_pk_mov_b32 v[58:59], v[30:31], v[30:31] op_sel:[0,1]
	;; [unrolled: 2-line block ×9, first 2 shown]
	v_fmac_f64_e32 v[54:55], v[52:53], v[58:59]
	v_fma_f64 v[54:55], v[52:53], v[54:55], 1.0
	v_fma_f64 v[52:53], v[52:53], v[54:55], 1.0
	v_cvt_i32_f64_e32 v18, v[18:19]
	v_ldexp_f64 v[18:19], v[52:53], v18
	v_mul_f64 v[52:53], v[46:47], v[46:47]
	v_mul_f64 v[54:55], v[52:53], 0.5
	v_fmac_f64_e32 v[62:63], s[60:61], v[52:53]
	v_add_f64 v[58:59], -v[54:55], 1.0
	v_fma_f64 v[62:63], v[52:53], v[62:63], s[62:63]
	v_add_f64 v[64:65], -v[58:59], 1.0
	v_fma_f64 v[62:63], v[52:53], v[62:63], s[64:65]
	v_add_f64 v[54:55], v[64:65], -v[54:55]
	v_fma_f64 v[62:63], v[52:53], v[62:63], s[66:67]
	v_mul_f64 v[64:65], v[52:53], v[52:53]
	v_fma_f64 v[62:63], v[52:53], v[62:63], s[52:53]
	v_fma_f64 v[54:55], v[46:47], -v[48:49], v[54:55]
	v_fmac_f64_e32 v[54:55], v[64:65], v[62:63]
	v_fmac_f64_e32 v[60:61], s[70:71], v[52:53]
	v_add_f64 v[54:55], v[58:59], v[54:55]
	v_fma_f64 v[58:59], v[52:53], v[60:61], s[72:73]
	v_fma_f64 v[58:59], v[52:53], v[58:59], s[74:75]
	;; [unrolled: 1-line block ×3, first 2 shown]
	v_mul_f64 v[60:61], v[46:47], -v[52:53]
	v_mul_f64 v[62:63], v[48:49], 0.5
	v_cmp_nlt_f64_e64 s[0:1], s[54:55], v[16:17]
	v_fmac_f64_e32 v[62:63], v[60:61], v[58:59]
	v_cndmask_b32_e64 v19, v56, v19, s[0:1]
	v_cmp_ngt_f64_e64 s[2:3], s[56:57], v[16:17]
	v_fma_f64 v[48:49], v[52:53], v[62:63], -v[48:49]
	v_cmp_class_f64_e64 vcc, v[20:21], s17
	v_cndmask_b32_e64 v19, 0, v19, s[2:3]
	s_and_b64 s[0:1], s[2:3], s[0:1]
	v_fmac_f64_e32 v[48:49], s[76:77], v[60:61]
	v_and_b32_e32 v20, 1, v51
	v_cndmask_b32_e64 v16, 0, v18, s[0:1]
	v_lshrrev_b32_e32 v18, 20, v19
	v_add_f64 v[46:47], v[46:47], -v[48:49]
	v_cmp_eq_u32_e64 s[0:1], 0, v20
	v_add_u32_e32 v18, 0xffffff09, v18
	v_cndmask_b32_e64 v20, v54, v46, s[0:1]
	v_cndmask_b32_e64 v46, v55, v47, s[0:1]
	v_lshlrev_b32_e32 v47, 30, v51
	v_and_b32_e32 v17, 0xfffff, v19
	v_lshrrev_b16_e32 v19, 15, v18
	v_xor_b32_e32 v21, v47, v21
	v_add_u16_e32 v19, v18, v19
	v_and_b32_e32 v21, 0x80000000, v21
	v_ashrrev_i16_e32 v19, 1, v19
	v_xor_b32_e32 v21, v46, v21
	v_cndmask_b32_e32 v14, 0, v14, vcc
	v_cndmask_b32_e32 v15, v57, v15, vcc
	v_or_b32_e32 v17, 0x7fe00000, v17
	v_bfe_i32 v19, v19, 0, 16
	v_cndmask_b32_e32 v20, 0, v20, vcc
	v_cndmask_b32_e32 v21, v57, v21, vcc
	v_mul_f64 v[14:15], v[16:17], v[14:15]
	v_lshl_add_u32 v23, v19, 20, v27
	v_sub_u32_e32 v18, v18, v19
	v_mul_f64 v[16:17], v[16:17], v[20:21]
	v_mul_f64 v[14:15], v[14:15], v[22:23]
	v_lshl_add_u32 v19, v18, 20, v27
	v_mov_b32_e32 v18, v22
	v_mul_f64 v[16:17], v[16:17], v[22:23]
	v_mul_f64 v[14:15], v[14:15], v[18:19]
	;; [unrolled: 1-line block ×3, first 2 shown]
.LBB132_71:                             ;   in Loop: Header=BB132_4 Depth=1
	s_or_b64 exec, exec, s[88:89]
                                        ; implicit-def: $vgpr18_vgpr19
                                        ; implicit-def: $vgpr23
.LBB132_72:                             ;   in Loop: Header=BB132_4 Depth=1
	s_andn2_saveexec_b64 s[2:3], s[86:87]
	s_cbranch_execz .LBB132_78
; %bb.73:                               ;   in Loop: Header=BB132_4 Depth=1
	v_cmp_ne_u32_e32 vcc, 0, v18
	v_cmp_ne_u32_e64 s[0:1], s78, v23
	s_or_b64 s[0:1], vcc, s[0:1]
	v_add_f64 v[16:17], v[20:21], -v[20:21]
	s_and_saveexec_b64 s[86:87], s[0:1]
	s_xor_b64 s[0:1], exec, s[86:87]
; %bb.74:                               ;   in Loop: Header=BB132_4 Depth=1
                                        ; implicit-def: $vgpr18_vgpr19
; %bb.75:                               ;   in Loop: Header=BB132_4 Depth=1
	s_or_saveexec_b64 s[0:1], s[0:1]
	v_pk_mov_b32 v[14:15], v[16:17], v[16:17] op_sel:[0,1]
	s_xor_b64 exec, exec, s[0:1]
; %bb.76:                               ;   in Loop: Header=BB132_4 Depth=1
	v_cmp_lt_i64_e32 vcc, -1, v[18:19]
	v_cndmask_b32_e32 v15, 0, v19, vcc
	v_cndmask_b32_e32 v14, 0, v18, vcc
	;; [unrolled: 1-line block ×4, first 2 shown]
; %bb.77:                               ;   in Loop: Header=BB132_4 Depth=1
	s_or_b64 exec, exec, s[0:1]
.LBB132_78:                             ;   in Loop: Header=BB132_4 Depth=1
	s_or_b64 exec, exec, s[2:3]
                                        ; implicit-def: $vgpr20_vgpr21
.LBB132_79:                             ;   in Loop: Header=BB132_4 Depth=1
	s_andn2_saveexec_b64 s[2:3], s[84:85]
	s_cbranch_execz .LBB132_89
; %bb.80:                               ;   in Loop: Header=BB132_4 Depth=1
	v_cmp_nlt_f64_e64 s[84:85], |v[20:21]|, s[20:21]
	v_trig_preop_f64 v[48:49], |v[20:21]|, 0
	v_trig_preop_f64 v[46:47], |v[20:21]|, 1
	v_ldexp_f64 v[50:51], |v[20:21]|, s16
	v_trig_preop_f64 v[18:19], |v[20:21]|, 2
	v_and_b32_e32 v59, 0x7fffffff, v21
                                        ; implicit-def: $vgpr58
                                        ; implicit-def: $vgpr14_vgpr15
                                        ; implicit-def: $vgpr16_vgpr17
	s_and_saveexec_b64 s[0:1], s[84:85]
	s_xor_b64 s[86:87], exec, s[0:1]
	s_cbranch_execz .LBB132_82
; %bb.81:                               ;   in Loop: Header=BB132_4 Depth=1
	v_cmp_ge_f64_e64 vcc, |v[20:21]|, s[22:23]
	v_cndmask_b32_e32 v15, v59, v51, vcc
	v_cndmask_b32_e32 v14, v20, v50, vcc
	v_mul_f64 v[52:53], v[48:49], v[14:15]
	v_mul_f64 v[16:17], v[46:47], v[14:15]
	v_fma_f64 v[54:55], v[48:49], v[14:15], -v[52:53]
	v_add_f64 v[60:61], v[16:17], v[54:55]
	v_add_f64 v[62:63], v[52:53], v[60:61]
	v_ldexp_f64 v[64:65], v[62:63], -2
	v_fract_f64_e32 v[66:67], v[64:65]
	v_cmp_neq_f64_e64 vcc, |v[64:65]|, s[24:25]
	v_cndmask_b32_e32 v65, 0, v67, vcc
	v_cndmask_b32_e32 v64, 0, v66, vcc
	v_add_f64 v[66:67], v[60:61], -v[16:17]
	v_add_f64 v[54:55], v[54:55], -v[66:67]
	;; [unrolled: 1-line block ×4, first 2 shown]
	v_add_f64 v[54:55], v[54:55], v[66:67]
	v_fma_f64 v[16:17], v[46:47], v[14:15], -v[16:17]
	v_mul_f64 v[66:67], v[18:19], v[14:15]
	v_add_f64 v[68:69], v[66:67], v[16:17]
	v_add_f64 v[70:71], v[68:69], v[54:55]
	v_add_f64 v[52:53], v[62:63], -v[52:53]
	v_add_f64 v[62:63], v[70:71], -v[68:69]
	;; [unrolled: 1-line block ×5, first 2 shown]
	v_add_f64 v[54:55], v[54:55], v[62:63]
	v_add_f64 v[62:63], v[68:69], -v[66:67]
	v_add_f64 v[16:17], v[16:17], -v[62:63]
	;; [unrolled: 1-line block ×5, first 2 shown]
	v_add_f64 v[60:61], v[52:53], v[70:71]
	v_add_f64 v[16:17], v[16:17], v[62:63]
	v_add_f64 v[52:53], v[60:61], -v[52:53]
	v_add_f64 v[16:17], v[16:17], v[54:55]
	v_fma_f64 v[14:15], v[18:19], v[14:15], -v[66:67]
	v_add_f64 v[52:53], v[70:71], -v[52:53]
	v_add_f64 v[14:15], v[14:15], v[16:17]
	v_ldexp_f64 v[16:17], v[64:65], 2
	v_add_f64 v[14:15], v[52:53], v[14:15]
	v_add_f64 v[52:53], v[60:61], v[16:17]
	v_cmp_gt_f64_e32 vcc, 0, v[52:53]
	v_cndmask_b32_e32 v23, 0, v1, vcc
	v_add_f64 v[16:17], v[16:17], v[22:23]
	v_add_f64 v[52:53], v[60:61], v[16:17]
	v_cvt_i32_f64_e32 v23, v[52:53]
	v_cvt_f64_i32_e32 v[52:53], v23
	v_add_f64 v[16:17], v[16:17], -v[52:53]
	v_add_f64 v[52:53], v[60:61], v[16:17]
	v_add_f64 v[16:17], v[52:53], -v[16:17]
	v_cmp_le_f64_e32 vcc, 0.5, v[52:53]
	v_add_f64 v[16:17], v[60:61], -v[16:17]
	v_addc_co_u32_e64 v58, s[0:1], 0, v23, vcc
	v_cndmask_b32_e32 v23, 0, v27, vcc
	v_add_f64 v[14:15], v[14:15], v[16:17]
	v_add_f64 v[16:17], v[52:53], -v[22:23]
	v_add_f64 v[52:53], v[16:17], v[14:15]
	v_add_f64 v[16:17], v[52:53], -v[16:17]
	s_mov_b32 s26, s28
	v_add_f64 v[14:15], v[14:15], -v[16:17]
	v_mul_f64 v[16:17], v[52:53], s[26:27]
	v_fma_f64 v[54:55], v[52:53], s[26:27], -v[16:17]
	s_mov_b32 s35, s31
	v_fmac_f64_e32 v[54:55], s[34:35], v[52:53]
	v_fmac_f64_e32 v[54:55], s[26:27], v[14:15]
	v_add_f64 v[14:15], v[16:17], v[54:55]
	v_add_f64 v[16:17], v[14:15], -v[16:17]
	v_add_f64 v[16:17], v[54:55], -v[16:17]
	s_andn2_saveexec_b64 s[0:1], s[86:87]
	s_cbranch_execz .LBB132_84
	s_branch .LBB132_83
.LBB132_82:                             ;   in Loop: Header=BB132_4 Depth=1
	s_andn2_saveexec_b64 s[0:1], s[86:87]
	s_cbranch_execz .LBB132_84
.LBB132_83:                             ;   in Loop: Header=BB132_4 Depth=1
	v_mul_f64 v[14:15], |v[20:21]|, s[36:37]
	v_rndne_f64_e32 v[52:53], v[14:15]
	v_fma_f64 v[14:15], v[52:53], s[28:29], |v[20:21]|
	v_mul_f64 v[54:55], v[52:53], s[38:39]
	v_add_f64 v[62:63], v[14:15], v[54:55]
	v_fma_f64 v[16:17], s[38:39], v[52:53], v[14:15]
	s_mov_b32 s30, s38
	v_add_f64 v[14:15], v[14:15], -v[62:63]
	v_fma_f64 v[60:61], s[30:31], v[52:53], v[54:55]
	v_add_f64 v[14:15], v[14:15], v[54:55]
	v_add_f64 v[54:55], v[62:63], -v[16:17]
	v_add_f64 v[14:15], v[54:55], v[14:15]
	v_add_f64 v[54:55], v[14:15], -v[60:61]
	v_fmac_f64_e32 v[54:55], s[40:41], v[52:53]
	v_add_f64 v[14:15], v[16:17], v[54:55]
	v_add_f64 v[16:17], v[14:15], -v[16:17]
	v_add_f64 v[16:17], v[54:55], -v[16:17]
	v_cvt_i32_f64_e32 v58, v[52:53]
.LBB132_84:                             ;   in Loop: Header=BB132_4 Depth=1
	s_or_b64 exec, exec, s[0:1]
                                        ; implicit-def: $vgpr60
                                        ; implicit-def: $vgpr52_vgpr53
                                        ; implicit-def: $vgpr54_vgpr55
	s_and_saveexec_b64 s[0:1], s[84:85]
	s_xor_b64 s[84:85], exec, s[0:1]
	s_cbranch_execz .LBB132_86
; %bb.85:                               ;   in Loop: Header=BB132_4 Depth=1
	v_cmp_ge_f64_e64 vcc, |v[20:21]|, s[22:23]
	v_cndmask_b32_e32 v51, v59, v51, vcc
	v_cndmask_b32_e32 v50, v20, v50, vcc
	v_mul_f64 v[54:55], v[48:49], v[50:51]
	v_mul_f64 v[52:53], v[46:47], v[50:51]
	v_fma_f64 v[48:49], v[48:49], v[50:51], -v[54:55]
	v_add_f64 v[60:61], v[52:53], v[48:49]
	v_add_f64 v[62:63], v[54:55], v[60:61]
	v_ldexp_f64 v[64:65], v[62:63], -2
	v_fract_f64_e32 v[66:67], v[64:65]
	v_cmp_neq_f64_e64 vcc, |v[64:65]|, s[24:25]
	v_cndmask_b32_e32 v65, 0, v67, vcc
	v_cndmask_b32_e32 v64, 0, v66, vcc
	v_add_f64 v[66:67], v[60:61], -v[52:53]
	v_add_f64 v[48:49], v[48:49], -v[66:67]
	v_add_f64 v[66:67], v[60:61], -v[66:67]
	v_add_f64 v[66:67], v[52:53], -v[66:67]
	v_fma_f64 v[46:47], v[46:47], v[50:51], -v[52:53]
	v_mul_f64 v[52:53], v[18:19], v[50:51]
	v_add_f64 v[48:49], v[48:49], v[66:67]
	v_add_f64 v[66:67], v[52:53], v[46:47]
	;; [unrolled: 1-line block ×3, first 2 shown]
	v_add_f64 v[54:55], v[62:63], -v[54:55]
	v_add_f64 v[62:63], v[68:69], -v[66:67]
	v_add_f64 v[48:49], v[48:49], -v[62:63]
	v_add_f64 v[62:63], v[68:69], -v[62:63]
	v_add_f64 v[62:63], v[66:67], -v[62:63]
	v_add_f64 v[48:49], v[48:49], v[62:63]
	v_add_f64 v[62:63], v[66:67], -v[52:53]
	v_add_f64 v[46:47], v[46:47], -v[62:63]
	v_add_f64 v[62:63], v[66:67], -v[62:63]
	v_add_f64 v[62:63], v[52:53], -v[62:63]
	v_add_f64 v[46:47], v[46:47], v[62:63]
	v_add_f64 v[54:55], v[60:61], -v[54:55]
	v_add_f64 v[46:47], v[46:47], v[48:49]
	v_fma_f64 v[18:19], v[18:19], v[50:51], -v[52:53]
	v_add_f64 v[60:61], v[54:55], v[68:69]
	v_add_f64 v[18:19], v[18:19], v[46:47]
	v_ldexp_f64 v[46:47], v[64:65], 2
	v_add_f64 v[48:49], v[60:61], v[46:47]
	v_cmp_gt_f64_e32 vcc, 0, v[48:49]
	v_cndmask_b32_e32 v23, 0, v1, vcc
	v_add_f64 v[46:47], v[46:47], v[22:23]
	v_add_f64 v[48:49], v[60:61], v[46:47]
	v_cvt_i32_f64_e32 v23, v[48:49]
	v_cvt_f64_i32_e32 v[48:49], v23
	v_add_f64 v[46:47], v[46:47], -v[48:49]
	v_add_f64 v[54:55], v[60:61], -v[54:55]
	v_add_f64 v[48:49], v[60:61], v[46:47]
	v_add_f64 v[54:55], v[68:69], -v[54:55]
	v_add_f64 v[46:47], v[48:49], -v[46:47]
	v_cmp_le_f64_e32 vcc, 0.5, v[48:49]
	v_add_f64 v[18:19], v[54:55], v[18:19]
	v_add_f64 v[46:47], v[60:61], -v[46:47]
	v_addc_co_u32_e64 v60, s[0:1], 0, v23, vcc
	v_cndmask_b32_e32 v23, 0, v27, vcc
	v_add_f64 v[18:19], v[18:19], v[46:47]
	v_add_f64 v[46:47], v[48:49], -v[22:23]
	v_add_f64 v[48:49], v[46:47], v[18:19]
	v_add_f64 v[46:47], v[48:49], -v[46:47]
	s_mov_b32 s26, s28
	v_add_f64 v[18:19], v[18:19], -v[46:47]
	v_mul_f64 v[46:47], v[48:49], s[26:27]
	v_fma_f64 v[50:51], v[48:49], s[26:27], -v[46:47]
	s_mov_b32 s35, s31
	v_fmac_f64_e32 v[50:51], s[34:35], v[48:49]
	v_fmac_f64_e32 v[50:51], s[26:27], v[18:19]
	v_add_f64 v[52:53], v[46:47], v[50:51]
	v_add_f64 v[18:19], v[52:53], -v[46:47]
	v_add_f64 v[54:55], v[50:51], -v[18:19]
	s_andn2_saveexec_b64 s[0:1], s[84:85]
	s_cbranch_execnz .LBB132_87
	s_branch .LBB132_88
.LBB132_86:                             ;   in Loop: Header=BB132_4 Depth=1
	s_andn2_saveexec_b64 s[0:1], s[84:85]
	s_cbranch_execz .LBB132_88
.LBB132_87:                             ;   in Loop: Header=BB132_4 Depth=1
	v_mul_f64 v[18:19], |v[20:21]|, s[36:37]
	v_rndne_f64_e32 v[18:19], v[18:19]
	v_fma_f64 v[46:47], v[18:19], s[28:29], |v[20:21]|
	v_mul_f64 v[50:51], v[18:19], s[38:39]
	v_add_f64 v[54:55], v[46:47], v[50:51]
	v_fma_f64 v[48:49], s[38:39], v[18:19], v[46:47]
	s_mov_b32 s30, s38
	v_add_f64 v[46:47], v[46:47], -v[54:55]
	v_fma_f64 v[52:53], s[30:31], v[18:19], v[50:51]
	v_add_f64 v[46:47], v[46:47], v[50:51]
	v_add_f64 v[50:51], v[54:55], -v[48:49]
	v_add_f64 v[46:47], v[50:51], v[46:47]
	v_add_f64 v[46:47], v[46:47], -v[52:53]
	v_fmac_f64_e32 v[46:47], s[40:41], v[18:19]
	v_add_f64 v[52:53], v[48:49], v[46:47]
	v_add_f64 v[48:49], v[52:53], -v[48:49]
	v_add_f64 v[54:55], v[46:47], -v[48:49]
	v_cvt_i32_f64_e32 v60, v[18:19]
.LBB132_88:                             ;   in Loop: Header=BB132_4 Depth=1
	s_or_b64 exec, exec, s[0:1]
	v_mul_f64 v[18:19], v[14:15], v[14:15]
	v_pk_mov_b32 v[62:63], s[58:59], s[58:59] op_sel:[0,1]
	v_mul_f64 v[46:47], v[18:19], 0.5
	v_fma_f64 v[64:65], s[60:61], v[18:19], v[62:63]
	v_add_f64 v[48:49], -v[46:47], 1.0
	v_fma_f64 v[64:65], v[18:19], v[64:65], s[62:63]
	v_add_f64 v[50:51], -v[48:49], 1.0
	v_fma_f64 v[64:65], v[18:19], v[64:65], s[64:65]
	v_add_f64 v[46:47], v[50:51], -v[46:47]
	v_fma_f64 v[64:65], v[18:19], v[64:65], s[66:67]
	v_mul_f64 v[50:51], v[18:19], v[18:19]
	v_fma_f64 v[64:65], v[18:19], v[64:65], s[52:53]
	v_fma_f64 v[46:47], v[14:15], -v[16:17], v[46:47]
	v_fmac_f64_e32 v[46:47], v[50:51], v[64:65]
	v_add_f64 v[46:47], v[48:49], v[46:47]
	v_pk_mov_b32 v[48:49], s[68:69], s[68:69] op_sel:[0,1]
	v_fma_f64 v[50:51], s[70:71], v[18:19], v[48:49]
	v_fma_f64 v[50:51], v[18:19], v[50:51], s[72:73]
	v_fma_f64 v[50:51], v[18:19], v[50:51], s[74:75]
	v_fma_f64 v[50:51], v[18:19], v[50:51], s[50:51]
	v_mul_f64 v[64:65], v[14:15], -v[18:19]
	v_mul_f64 v[66:67], v[16:17], 0.5
	v_fmac_f64_e32 v[66:67], v[64:65], v[50:51]
	v_fma_f64 v[16:17], v[18:19], v[66:67], -v[16:17]
	s_mov_b32 s76, s52
	v_fmac_f64_e32 v[16:17], s[76:77], v[64:65]
	v_add_f64 v[14:15], v[14:15], -v[16:17]
	v_and_b32_e32 v16, 1, v58
	v_xor_b32_e32 v15, 0x80000000, v15
	v_cmp_eq_u32_e32 vcc, 0, v16
	v_lshlrev_b32_e32 v16, 30, v58
	v_cndmask_b32_e32 v15, v15, v47, vcc
	v_and_b32_e32 v16, 0x80000000, v16
	v_xor_b32_e32 v15, v15, v16
	v_mul_f64 v[16:17], v[52:53], v[52:53]
	v_mul_f64 v[18:19], v[16:17], 0.5
	v_fmac_f64_e32 v[62:63], s[60:61], v[16:17]
	v_cndmask_b32_e32 v14, v14, v46, vcc
	v_add_f64 v[46:47], -v[18:19], 1.0
	v_fma_f64 v[58:59], v[16:17], v[62:63], s[62:63]
	v_add_f64 v[50:51], -v[46:47], 1.0
	v_fma_f64 v[58:59], v[16:17], v[58:59], s[64:65]
	v_add_f64 v[18:19], v[50:51], -v[18:19]
	v_fma_f64 v[58:59], v[16:17], v[58:59], s[66:67]
	v_mul_f64 v[50:51], v[16:17], v[16:17]
	v_fma_f64 v[58:59], v[16:17], v[58:59], s[52:53]
	v_fma_f64 v[18:19], v[52:53], -v[54:55], v[18:19]
	v_fmac_f64_e32 v[18:19], v[50:51], v[58:59]
	v_fmac_f64_e32 v[48:49], s[70:71], v[16:17]
	v_add_f64 v[18:19], v[46:47], v[18:19]
	v_fma_f64 v[46:47], v[16:17], v[48:49], s[72:73]
	v_fma_f64 v[46:47], v[16:17], v[46:47], s[74:75]
	;; [unrolled: 1-line block ×3, first 2 shown]
	v_mul_f64 v[48:49], v[52:53], -v[16:17]
	v_mul_f64 v[50:51], v[54:55], 0.5
	v_fmac_f64_e32 v[50:51], v[48:49], v[46:47]
	v_fma_f64 v[16:17], v[16:17], v[50:51], -v[54:55]
	v_cmp_class_f64_e64 vcc, v[20:21], s17
	v_fmac_f64_e32 v[16:17], s[76:77], v[48:49]
	v_and_b32_e32 v20, 1, v60
	v_add_f64 v[16:17], v[52:53], -v[16:17]
	v_cmp_eq_u32_e64 s[0:1], 0, v20
	v_cndmask_b32_e64 v16, v18, v16, s[0:1]
	v_lshlrev_b32_e32 v18, 30, v60
	v_xor_b32_e32 v18, v18, v21
	v_cndmask_b32_e64 v17, v19, v17, s[0:1]
	v_and_b32_e32 v18, 0x80000000, v18
	v_xor_b32_e32 v17, v17, v18
	v_cndmask_b32_e32 v14, 0, v14, vcc
	v_cndmask_b32_e32 v15, v57, v15, vcc
	;; [unrolled: 1-line block ×4, first 2 shown]
.LBB132_89:                             ;   in Loop: Header=BB132_4 Depth=1
	s_or_b64 exec, exec, s[2:3]
                                        ; implicit-def: $vgpr18_vgpr19
.LBB132_90:                             ;   in Loop: Header=BB132_4 Depth=1
	s_andn2_saveexec_b64 s[2:3], s[82:83]
	s_cbranch_execz .LBB132_92
; %bb.91:                               ;   in Loop: Header=BB132_4 Depth=1
	v_mul_f64 v[14:15], v[18:19], s[42:43]
	v_rndne_f64_e32 v[14:15], v[14:15]
	v_fma_f64 v[16:17], s[44:45], v[14:15], v[18:19]
	v_fmac_f64_e32 v[16:17], s[46:47], v[14:15]
	v_pk_mov_b32 v[46:47], v[28:29], v[28:29] op_sel:[0,1]
	v_fmac_f64_e32 v[46:47], s[48:49], v[16:17]
	v_pk_mov_b32 v[48:49], v[30:31], v[30:31] op_sel:[0,1]
	v_fmac_f64_e32 v[48:49], v[16:17], v[46:47]
	v_pk_mov_b32 v[46:47], v[32:33], v[32:33] op_sel:[0,1]
	v_fmac_f64_e32 v[46:47], v[16:17], v[48:49]
	v_pk_mov_b32 v[48:49], v[34:35], v[34:35] op_sel:[0,1]
	v_fmac_f64_e32 v[48:49], v[16:17], v[46:47]
	v_pk_mov_b32 v[46:47], v[36:37], v[36:37] op_sel:[0,1]
	v_fmac_f64_e32 v[46:47], v[16:17], v[48:49]
	v_pk_mov_b32 v[48:49], v[38:39], v[38:39] op_sel:[0,1]
	v_fmac_f64_e32 v[48:49], v[16:17], v[46:47]
	v_pk_mov_b32 v[46:47], v[40:41], v[40:41] op_sel:[0,1]
	v_fmac_f64_e32 v[46:47], v[16:17], v[48:49]
	v_pk_mov_b32 v[48:49], v[42:43], v[42:43] op_sel:[0,1]
	v_fmac_f64_e32 v[48:49], v[16:17], v[46:47]
	v_pk_mov_b32 v[46:47], v[44:45], v[44:45] op_sel:[0,1]
	v_fmac_f64_e32 v[46:47], v[16:17], v[48:49]
	v_fma_f64 v[46:47], v[16:17], v[46:47], 1.0
	v_fma_f64 v[16:17], v[16:17], v[46:47], 1.0
	v_cvt_i32_f64_e32 v14, v[14:15]
	v_ldexp_f64 v[14:15], v[16:17], v14
	v_cmp_nlt_f64_e32 vcc, s[54:55], v[18:19]
	v_cmp_ngt_f64_e64 s[0:1], s[56:57], v[18:19]
	v_cndmask_b32_e32 v15, v56, v15, vcc
	s_and_b64 vcc, s[0:1], vcc
	v_cndmask_b32_e64 v15, 0, v15, s[0:1]
	v_cndmask_b32_e32 v14, 0, v14, vcc
	v_pk_mov_b32 v[16:17], v[20:21], v[20:21] op_sel:[0,1]
.LBB132_92:                             ;   in Loop: Header=BB132_4 Depth=1
	s_or_b64 exec, exec, s[2:3]
	s_waitcnt vmcnt(0)
	v_and_b32_e32 v18, 0x7fffffff, v13
	v_or_b32_e32 v19, v18, v12
	v_cmp_ne_u32_e32 vcc, 0, v19
                                        ; implicit-def: $vgpr20_vgpr21
	s_and_saveexec_b64 s[0:1], vcc
	s_xor_b64 s[82:83], exec, s[0:1]
	s_cbranch_execz .LBB132_134
; %bb.93:                               ;   in Loop: Header=BB132_4 Depth=1
	v_and_b32_e32 v23, 0x7fffffff, v11
	v_or_b32_e32 v19, v23, v10
	v_cmp_ne_u32_e32 vcc, 0, v19
                                        ; implicit-def: $vgpr20_vgpr21
	s_and_saveexec_b64 s[0:1], vcc
	s_xor_b64 s[84:85], exec, s[0:1]
	s_cbranch_execz .LBB132_123
; %bb.94:                               ;   in Loop: Header=BB132_4 Depth=1
	v_cmp_gt_u32_e32 vcc, s78, v18
                                        ; implicit-def: $vgpr20_vgpr21
	s_and_saveexec_b64 s[0:1], vcc
	s_xor_b64 s[86:87], exec, s[0:1]
	s_cbranch_execz .LBB132_116
; %bb.95:                               ;   in Loop: Header=BB132_4 Depth=1
	v_add_u32_e32 v18, 0xbf79d1be, v11
	v_cmp_lt_u32_e32 vcc, s79, v18
                                        ; implicit-def: $vgpr20_vgpr21
	s_and_saveexec_b64 s[0:1], vcc
	s_xor_b64 s[2:3], exec, s[0:1]
	s_cbranch_execz .LBB132_105
; %bb.96:                               ;   in Loop: Header=BB132_4 Depth=1
	v_cmp_nlt_f64_e64 s[88:89], |v[12:13]|, s[20:21]
                                        ; implicit-def: $vgpr50
                                        ; implicit-def: $vgpr18_vgpr19
                                        ; implicit-def: $vgpr20_vgpr21
	s_and_saveexec_b64 s[0:1], s[88:89]
	s_xor_b64 s[90:91], exec, s[0:1]
	s_cbranch_execz .LBB132_98
; %bb.97:                               ;   in Loop: Header=BB132_4 Depth=1
	v_and_b32_e32 v23, 0x7fffffff, v13
	v_ldexp_f64 v[46:47], |v[12:13]|, s16
	v_cmp_ge_f64_e64 vcc, |v[12:13]|, s[22:23]
	v_trig_preop_f64 v[18:19], |v[12:13]|, 0
	v_cndmask_b32_e32 v47, v23, v47, vcc
	v_cndmask_b32_e32 v46, v12, v46, vcc
	v_trig_preop_f64 v[20:21], |v[12:13]|, 1
	v_mul_f64 v[50:51], v[18:19], v[46:47]
	v_mul_f64 v[48:49], v[20:21], v[46:47]
	v_fma_f64 v[18:19], v[18:19], v[46:47], -v[50:51]
	v_add_f64 v[52:53], v[48:49], v[18:19]
	v_add_f64 v[54:55], v[50:51], v[52:53]
	v_ldexp_f64 v[58:59], v[54:55], -2
	v_fract_f64_e32 v[60:61], v[58:59]
	v_cmp_neq_f64_e64 vcc, |v[58:59]|, s[24:25]
	v_cndmask_b32_e32 v59, 0, v61, vcc
	v_cndmask_b32_e32 v58, 0, v60, vcc
	v_add_f64 v[60:61], v[52:53], -v[48:49]
	v_add_f64 v[18:19], v[18:19], -v[60:61]
	;; [unrolled: 1-line block ×4, first 2 shown]
	v_fma_f64 v[20:21], v[20:21], v[46:47], -v[48:49]
	v_trig_preop_f64 v[48:49], |v[12:13]|, 2
	v_add_f64 v[18:19], v[18:19], v[60:61]
	v_mul_f64 v[60:61], v[48:49], v[46:47]
	v_add_f64 v[62:63], v[60:61], v[20:21]
	v_add_f64 v[64:65], v[62:63], v[18:19]
	v_add_f64 v[50:51], v[54:55], -v[50:51]
	v_add_f64 v[54:55], v[64:65], -v[62:63]
	;; [unrolled: 1-line block ×5, first 2 shown]
	v_add_f64 v[18:19], v[18:19], v[54:55]
	v_add_f64 v[54:55], v[62:63], -v[60:61]
	v_add_f64 v[20:21], v[20:21], -v[54:55]
	;; [unrolled: 1-line block ×4, first 2 shown]
	v_add_f64 v[20:21], v[20:21], v[54:55]
	v_add_f64 v[50:51], v[52:53], -v[50:51]
	v_add_f64 v[18:19], v[20:21], v[18:19]
	v_fma_f64 v[20:21], v[48:49], v[46:47], -v[60:61]
	v_add_f64 v[52:53], v[50:51], v[64:65]
	v_add_f64 v[18:19], v[20:21], v[18:19]
	v_ldexp_f64 v[20:21], v[58:59], 2
	v_add_f64 v[46:47], v[52:53], v[20:21]
	v_cmp_gt_f64_e32 vcc, 0, v[46:47]
	v_cndmask_b32_e32 v23, 0, v1, vcc
	v_add_f64 v[20:21], v[20:21], v[22:23]
	v_add_f64 v[46:47], v[52:53], v[20:21]
	v_cvt_i32_f64_e32 v23, v[46:47]
	v_cvt_f64_i32_e32 v[46:47], v23
	v_add_f64 v[20:21], v[20:21], -v[46:47]
	v_add_f64 v[50:51], v[52:53], -v[50:51]
	v_add_f64 v[46:47], v[52:53], v[20:21]
	v_add_f64 v[50:51], v[64:65], -v[50:51]
	v_add_f64 v[20:21], v[46:47], -v[20:21]
	v_cmp_le_f64_e32 vcc, 0.5, v[46:47]
	v_add_f64 v[18:19], v[50:51], v[18:19]
	v_add_f64 v[20:21], v[52:53], -v[20:21]
	v_addc_co_u32_e64 v50, s[0:1], 0, v23, vcc
	v_cndmask_b32_e32 v23, 0, v27, vcc
	v_add_f64 v[18:19], v[18:19], v[20:21]
	v_add_f64 v[20:21], v[46:47], -v[22:23]
	v_add_f64 v[46:47], v[20:21], v[18:19]
	v_add_f64 v[20:21], v[46:47], -v[20:21]
	s_mov_b32 s26, s28
	v_add_f64 v[18:19], v[18:19], -v[20:21]
	v_mul_f64 v[20:21], v[46:47], s[26:27]
	v_fma_f64 v[48:49], v[46:47], s[26:27], -v[20:21]
	s_mov_b32 s35, s31
	v_fmac_f64_e32 v[48:49], s[34:35], v[46:47]
	v_fmac_f64_e32 v[48:49], s[26:27], v[18:19]
	v_add_f64 v[18:19], v[20:21], v[48:49]
	v_add_f64 v[20:21], v[18:19], -v[20:21]
	v_add_f64 v[20:21], v[48:49], -v[20:21]
	s_andn2_saveexec_b64 s[0:1], s[90:91]
	s_cbranch_execz .LBB132_100
	s_branch .LBB132_99
.LBB132_98:                             ;   in Loop: Header=BB132_4 Depth=1
	s_andn2_saveexec_b64 s[0:1], s[90:91]
	s_cbranch_execz .LBB132_100
.LBB132_99:                             ;   in Loop: Header=BB132_4 Depth=1
	v_mul_f64 v[18:19], |v[12:13]|, s[36:37]
	v_rndne_f64_e32 v[46:47], v[18:19]
	v_fma_f64 v[18:19], v[46:47], s[28:29], |v[12:13]|
	v_mul_f64 v[48:49], v[46:47], s[38:39]
	v_add_f64 v[52:53], v[18:19], v[48:49]
	v_fma_f64 v[20:21], s[38:39], v[46:47], v[18:19]
	s_mov_b32 s30, s38
	v_add_f64 v[18:19], v[18:19], -v[52:53]
	v_fma_f64 v[50:51], s[30:31], v[46:47], v[48:49]
	v_add_f64 v[18:19], v[18:19], v[48:49]
	v_add_f64 v[48:49], v[52:53], -v[20:21]
	v_add_f64 v[18:19], v[48:49], v[18:19]
	v_add_f64 v[48:49], v[18:19], -v[50:51]
	v_fmac_f64_e32 v[48:49], s[40:41], v[46:47]
	v_add_f64 v[18:19], v[20:21], v[48:49]
	v_add_f64 v[20:21], v[18:19], -v[20:21]
	v_add_f64 v[20:21], v[48:49], -v[20:21]
	v_cvt_i32_f64_e32 v50, v[46:47]
.LBB132_100:                            ;   in Loop: Header=BB132_4 Depth=1
	s_or_b64 exec, exec, s[0:1]
                                        ; implicit-def: $vgpr51
                                        ; implicit-def: $vgpr46_vgpr47
                                        ; implicit-def: $vgpr48_vgpr49
	s_and_saveexec_b64 s[0:1], s[88:89]
	s_xor_b64 s[88:89], exec, s[0:1]
	s_cbranch_execz .LBB132_102
; %bb.101:                              ;   in Loop: Header=BB132_4 Depth=1
	v_and_b32_e32 v23, 0x7fffffff, v13
	v_ldexp_f64 v[52:53], |v[12:13]|, s16
	v_cmp_ge_f64_e64 vcc, |v[12:13]|, s[22:23]
	v_trig_preop_f64 v[46:47], |v[12:13]|, 0
	v_cndmask_b32_e32 v53, v23, v53, vcc
	v_cndmask_b32_e32 v52, v12, v52, vcc
	v_trig_preop_f64 v[48:49], |v[12:13]|, 1
	v_mul_f64 v[58:59], v[46:47], v[52:53]
	v_mul_f64 v[54:55], v[48:49], v[52:53]
	v_fma_f64 v[46:47], v[46:47], v[52:53], -v[58:59]
	v_add_f64 v[60:61], v[54:55], v[46:47]
	v_add_f64 v[62:63], v[58:59], v[60:61]
	v_ldexp_f64 v[64:65], v[62:63], -2
	v_fract_f64_e32 v[66:67], v[64:65]
	v_cmp_neq_f64_e64 vcc, |v[64:65]|, s[24:25]
	v_cndmask_b32_e32 v65, 0, v67, vcc
	v_cndmask_b32_e32 v64, 0, v66, vcc
	v_add_f64 v[66:67], v[60:61], -v[54:55]
	v_add_f64 v[46:47], v[46:47], -v[66:67]
	;; [unrolled: 1-line block ×4, first 2 shown]
	v_fma_f64 v[48:49], v[48:49], v[52:53], -v[54:55]
	v_trig_preop_f64 v[54:55], |v[12:13]|, 2
	v_add_f64 v[46:47], v[46:47], v[66:67]
	v_mul_f64 v[66:67], v[54:55], v[52:53]
	v_add_f64 v[68:69], v[66:67], v[48:49]
	v_add_f64 v[70:71], v[68:69], v[46:47]
	v_add_f64 v[58:59], v[62:63], -v[58:59]
	v_add_f64 v[62:63], v[70:71], -v[68:69]
	;; [unrolled: 1-line block ×5, first 2 shown]
	v_add_f64 v[46:47], v[46:47], v[62:63]
	v_add_f64 v[62:63], v[68:69], -v[66:67]
	v_add_f64 v[48:49], v[48:49], -v[62:63]
	;; [unrolled: 1-line block ×4, first 2 shown]
	v_add_f64 v[48:49], v[48:49], v[62:63]
	v_add_f64 v[58:59], v[60:61], -v[58:59]
	v_add_f64 v[46:47], v[48:49], v[46:47]
	v_fma_f64 v[48:49], v[54:55], v[52:53], -v[66:67]
	v_add_f64 v[60:61], v[58:59], v[70:71]
	v_add_f64 v[46:47], v[48:49], v[46:47]
	v_ldexp_f64 v[48:49], v[64:65], 2
	v_add_f64 v[52:53], v[60:61], v[48:49]
	v_cmp_gt_f64_e32 vcc, 0, v[52:53]
	v_cndmask_b32_e32 v23, 0, v1, vcc
	v_add_f64 v[48:49], v[48:49], v[22:23]
	v_add_f64 v[52:53], v[60:61], v[48:49]
	v_cvt_i32_f64_e32 v23, v[52:53]
	v_cvt_f64_i32_e32 v[52:53], v23
	v_add_f64 v[48:49], v[48:49], -v[52:53]
	v_add_f64 v[58:59], v[60:61], -v[58:59]
	v_add_f64 v[52:53], v[60:61], v[48:49]
	v_add_f64 v[58:59], v[70:71], -v[58:59]
	v_add_f64 v[48:49], v[52:53], -v[48:49]
	v_cmp_le_f64_e32 vcc, 0.5, v[52:53]
	v_add_f64 v[46:47], v[58:59], v[46:47]
	v_add_f64 v[48:49], v[60:61], -v[48:49]
	v_addc_co_u32_e64 v51, s[0:1], 0, v23, vcc
	v_cndmask_b32_e32 v23, 0, v27, vcc
	v_add_f64 v[46:47], v[46:47], v[48:49]
	v_add_f64 v[48:49], v[52:53], -v[22:23]
	v_add_f64 v[52:53], v[48:49], v[46:47]
	v_add_f64 v[48:49], v[52:53], -v[48:49]
	s_mov_b32 s26, s28
	v_add_f64 v[46:47], v[46:47], -v[48:49]
	v_mul_f64 v[48:49], v[52:53], s[26:27]
	v_fma_f64 v[54:55], v[52:53], s[26:27], -v[48:49]
	s_mov_b32 s35, s31
	v_fmac_f64_e32 v[54:55], s[34:35], v[52:53]
	v_fmac_f64_e32 v[54:55], s[26:27], v[46:47]
	v_add_f64 v[46:47], v[48:49], v[54:55]
	v_add_f64 v[48:49], v[46:47], -v[48:49]
	v_add_f64 v[48:49], v[54:55], -v[48:49]
	s_andn2_saveexec_b64 s[0:1], s[88:89]
	s_cbranch_execnz .LBB132_103
	s_branch .LBB132_104
.LBB132_102:                            ;   in Loop: Header=BB132_4 Depth=1
	s_andn2_saveexec_b64 s[0:1], s[88:89]
	s_cbranch_execz .LBB132_104
.LBB132_103:                            ;   in Loop: Header=BB132_4 Depth=1
	v_mul_f64 v[46:47], |v[12:13]|, s[36:37]
	v_rndne_f64_e32 v[52:53], v[46:47]
	v_fma_f64 v[46:47], v[52:53], s[28:29], |v[12:13]|
	v_mul_f64 v[54:55], v[52:53], s[38:39]
	v_add_f64 v[60:61], v[46:47], v[54:55]
	v_fma_f64 v[48:49], s[38:39], v[52:53], v[46:47]
	s_mov_b32 s30, s38
	v_add_f64 v[46:47], v[46:47], -v[60:61]
	v_fma_f64 v[58:59], s[30:31], v[52:53], v[54:55]
	v_add_f64 v[46:47], v[46:47], v[54:55]
	v_add_f64 v[54:55], v[60:61], -v[48:49]
	v_add_f64 v[46:47], v[54:55], v[46:47]
	v_add_f64 v[54:55], v[46:47], -v[58:59]
	v_fmac_f64_e32 v[54:55], s[40:41], v[52:53]
	v_add_f64 v[46:47], v[48:49], v[54:55]
	v_add_f64 v[48:49], v[46:47], -v[48:49]
	v_add_f64 v[48:49], v[54:55], -v[48:49]
	v_cvt_i32_f64_e32 v51, v[52:53]
.LBB132_104:                            ;   in Loop: Header=BB132_4 Depth=1
	s_or_b64 exec, exec, s[0:1]
	v_mul_f64 v[52:53], v[10:11], s[42:43]
	v_rndne_f64_e32 v[52:53], v[52:53]
	v_fma_f64 v[54:55], s[44:45], v[52:53], v[10:11]
	v_fmac_f64_e32 v[54:55], s[46:47], v[52:53]
	v_pk_mov_b32 v[58:59], v[28:29], v[28:29] op_sel:[0,1]
	v_fmac_f64_e32 v[58:59], s[48:49], v[54:55]
	v_pk_mov_b32 v[60:61], v[30:31], v[30:31] op_sel:[0,1]
	;; [unrolled: 2-line block ×9, first 2 shown]
	v_fmac_f64_e32 v[58:59], v[54:55], v[60:61]
	v_fma_f64 v[58:59], v[54:55], v[58:59], 1.0
	v_fma_f64 v[54:55], v[54:55], v[58:59], 1.0
	v_cvt_i32_f64_e32 v23, v[52:53]
	v_ldexp_f64 v[52:53], v[54:55], v23
	v_cmp_nlt_f64_e32 vcc, s[54:55], v[10:11]
	v_cmp_ngt_f64_e64 s[0:1], s[56:57], v[10:11]
	v_cndmask_b32_e32 v23, v56, v53, vcc
	s_and_b64 vcc, s[0:1], vcc
	v_cndmask_b32_e32 v10, 0, v52, vcc
	v_mul_f64 v[52:53], v[18:19], v[18:19]
	v_pk_mov_b32 v[62:63], s[58:59], s[58:59] op_sel:[0,1]
	v_mul_f64 v[54:55], v[52:53], 0.5
	v_fma_f64 v[64:65], s[60:61], v[52:53], v[62:63]
	v_add_f64 v[58:59], -v[54:55], 1.0
	v_fma_f64 v[64:65], v[52:53], v[64:65], s[62:63]
	v_add_f64 v[60:61], -v[58:59], 1.0
	v_fma_f64 v[64:65], v[52:53], v[64:65], s[64:65]
	v_add_f64 v[54:55], v[60:61], -v[54:55]
	v_fma_f64 v[64:65], v[52:53], v[64:65], s[66:67]
	v_mul_f64 v[60:61], v[52:53], v[52:53]
	v_fma_f64 v[64:65], v[52:53], v[64:65], s[52:53]
	v_fma_f64 v[54:55], v[18:19], -v[20:21], v[54:55]
	v_fmac_f64_e32 v[54:55], v[60:61], v[64:65]
	v_add_f64 v[54:55], v[58:59], v[54:55]
	v_pk_mov_b32 v[58:59], s[68:69], s[68:69] op_sel:[0,1]
	v_fma_f64 v[60:61], s[70:71], v[52:53], v[58:59]
	v_fma_f64 v[60:61], v[52:53], v[60:61], s[72:73]
	;; [unrolled: 1-line block ×4, first 2 shown]
	v_mul_f64 v[64:65], v[18:19], -v[52:53]
	v_mul_f64 v[66:67], v[20:21], 0.5
	v_fmac_f64_e32 v[66:67], v[64:65], v[60:61]
	v_fma_f64 v[20:21], v[52:53], v[66:67], -v[20:21]
	s_mov_b32 s76, s52
	v_fmac_f64_e32 v[20:21], s[76:77], v[64:65]
	v_add_f64 v[18:19], v[18:19], -v[20:21]
	v_and_b32_e32 v20, 1, v50
	v_xor_b32_e32 v19, 0x80000000, v19
	v_cmp_eq_u32_e32 vcc, 0, v20
	v_lshlrev_b32_e32 v20, 30, v50
	v_cndmask_b32_e32 v19, v19, v55, vcc
	v_and_b32_e32 v20, 0x80000000, v20
	v_xor_b32_e32 v19, v19, v20
	v_mul_f64 v[20:21], v[46:47], v[46:47]
	v_mul_f64 v[52:53], v[20:21], 0.5
	v_fmac_f64_e32 v[62:63], s[60:61], v[20:21]
	v_cndmask_b32_e32 v18, v18, v54, vcc
	v_add_f64 v[54:55], -v[52:53], 1.0
	v_fma_f64 v[62:63], v[20:21], v[62:63], s[62:63]
	v_add_f64 v[60:61], -v[54:55], 1.0
	v_fma_f64 v[62:63], v[20:21], v[62:63], s[64:65]
	v_add_f64 v[52:53], v[60:61], -v[52:53]
	v_fma_f64 v[62:63], v[20:21], v[62:63], s[66:67]
	v_mul_f64 v[60:61], v[20:21], v[20:21]
	v_fma_f64 v[62:63], v[20:21], v[62:63], s[52:53]
	v_fma_f64 v[52:53], v[46:47], -v[48:49], v[52:53]
	v_fmac_f64_e32 v[52:53], v[60:61], v[62:63]
	v_fmac_f64_e32 v[58:59], s[70:71], v[20:21]
	v_add_f64 v[52:53], v[54:55], v[52:53]
	v_fma_f64 v[54:55], v[20:21], v[58:59], s[72:73]
	v_fma_f64 v[54:55], v[20:21], v[54:55], s[74:75]
	;; [unrolled: 1-line block ×3, first 2 shown]
	v_mul_f64 v[58:59], v[46:47], -v[20:21]
	v_mul_f64 v[60:61], v[48:49], 0.5
	v_fmac_f64_e32 v[60:61], v[58:59], v[54:55]
	v_fma_f64 v[20:21], v[20:21], v[60:61], -v[48:49]
	v_cmp_class_f64_e64 vcc, v[12:13], s17
	v_fmac_f64_e32 v[20:21], s[76:77], v[58:59]
	v_and_b32_e32 v12, 1, v51
	v_cndmask_b32_e64 v11, 0, v23, s[0:1]
	v_add_f64 v[20:21], v[46:47], -v[20:21]
	v_cmp_eq_u32_e64 s[0:1], 0, v12
	v_cndmask_b32_e64 v12, v52, v20, s[0:1]
	v_cndmask_b32_e64 v20, v53, v21, s[0:1]
	v_lshlrev_b32_e32 v21, 30, v51
	v_xor_b32_e32 v13, v21, v13
	v_and_b32_e32 v13, 0x80000000, v13
	v_xor_b32_e32 v13, v20, v13
	v_cndmask_b32_e32 v18, 0, v18, vcc
	v_cndmask_b32_e32 v19, v57, v19, vcc
	;; [unrolled: 1-line block ×4, first 2 shown]
	v_mul_f64 v[18:19], v[10:11], v[18:19]
	v_mul_f64 v[20:21], v[10:11], v[12:13]
                                        ; implicit-def: $vgpr12_vgpr13
.LBB132_105:                            ;   in Loop: Header=BB132_4 Depth=1
	s_andn2_saveexec_b64 s[88:89], s[2:3]
	s_cbranch_execz .LBB132_115
; %bb.106:                              ;   in Loop: Header=BB132_4 Depth=1
	v_cmp_nlt_f64_e64 s[2:3], |v[12:13]|, s[20:21]
                                        ; implicit-def: $vgpr50
                                        ; implicit-def: $vgpr18_vgpr19
                                        ; implicit-def: $vgpr20_vgpr21
	s_and_saveexec_b64 s[0:1], s[2:3]
	s_xor_b64 s[90:91], exec, s[0:1]
	s_cbranch_execz .LBB132_108
; %bb.107:                              ;   in Loop: Header=BB132_4 Depth=1
	v_and_b32_e32 v23, 0x7fffffff, v13
	v_ldexp_f64 v[46:47], |v[12:13]|, s16
	v_cmp_ge_f64_e64 vcc, |v[12:13]|, s[22:23]
	v_trig_preop_f64 v[18:19], |v[12:13]|, 0
	v_cndmask_b32_e32 v47, v23, v47, vcc
	v_cndmask_b32_e32 v46, v12, v46, vcc
	v_trig_preop_f64 v[20:21], |v[12:13]|, 1
	v_mul_f64 v[50:51], v[18:19], v[46:47]
	v_mul_f64 v[48:49], v[20:21], v[46:47]
	v_fma_f64 v[18:19], v[18:19], v[46:47], -v[50:51]
	v_add_f64 v[52:53], v[48:49], v[18:19]
	v_add_f64 v[54:55], v[50:51], v[52:53]
	v_ldexp_f64 v[58:59], v[54:55], -2
	v_fract_f64_e32 v[60:61], v[58:59]
	v_cmp_neq_f64_e64 vcc, |v[58:59]|, s[24:25]
	v_cndmask_b32_e32 v59, 0, v61, vcc
	v_cndmask_b32_e32 v58, 0, v60, vcc
	v_add_f64 v[60:61], v[52:53], -v[48:49]
	v_add_f64 v[18:19], v[18:19], -v[60:61]
	;; [unrolled: 1-line block ×4, first 2 shown]
	v_fma_f64 v[20:21], v[20:21], v[46:47], -v[48:49]
	v_trig_preop_f64 v[48:49], |v[12:13]|, 2
	v_add_f64 v[18:19], v[18:19], v[60:61]
	v_mul_f64 v[60:61], v[48:49], v[46:47]
	v_add_f64 v[62:63], v[60:61], v[20:21]
	v_add_f64 v[64:65], v[62:63], v[18:19]
	v_add_f64 v[50:51], v[54:55], -v[50:51]
	v_add_f64 v[54:55], v[64:65], -v[62:63]
	;; [unrolled: 1-line block ×5, first 2 shown]
	v_add_f64 v[18:19], v[18:19], v[54:55]
	v_add_f64 v[54:55], v[62:63], -v[60:61]
	v_add_f64 v[20:21], v[20:21], -v[54:55]
	;; [unrolled: 1-line block ×4, first 2 shown]
	v_add_f64 v[20:21], v[20:21], v[54:55]
	v_add_f64 v[50:51], v[52:53], -v[50:51]
	v_add_f64 v[18:19], v[20:21], v[18:19]
	v_fma_f64 v[20:21], v[48:49], v[46:47], -v[60:61]
	v_add_f64 v[52:53], v[50:51], v[64:65]
	v_add_f64 v[18:19], v[20:21], v[18:19]
	v_ldexp_f64 v[20:21], v[58:59], 2
	v_add_f64 v[46:47], v[52:53], v[20:21]
	v_cmp_gt_f64_e32 vcc, 0, v[46:47]
	v_cndmask_b32_e32 v23, 0, v1, vcc
	v_add_f64 v[20:21], v[20:21], v[22:23]
	v_add_f64 v[46:47], v[52:53], v[20:21]
	v_cvt_i32_f64_e32 v23, v[46:47]
	v_cvt_f64_i32_e32 v[46:47], v23
	v_add_f64 v[20:21], v[20:21], -v[46:47]
	v_add_f64 v[50:51], v[52:53], -v[50:51]
	v_add_f64 v[46:47], v[52:53], v[20:21]
	v_add_f64 v[50:51], v[64:65], -v[50:51]
	v_add_f64 v[20:21], v[46:47], -v[20:21]
	v_cmp_le_f64_e32 vcc, 0.5, v[46:47]
	v_add_f64 v[18:19], v[50:51], v[18:19]
	v_add_f64 v[20:21], v[52:53], -v[20:21]
	v_addc_co_u32_e64 v50, s[0:1], 0, v23, vcc
	v_cndmask_b32_e32 v23, 0, v27, vcc
	v_add_f64 v[18:19], v[18:19], v[20:21]
	v_add_f64 v[20:21], v[46:47], -v[22:23]
	v_add_f64 v[46:47], v[20:21], v[18:19]
	v_add_f64 v[20:21], v[46:47], -v[20:21]
	s_mov_b32 s26, s28
	v_add_f64 v[18:19], v[18:19], -v[20:21]
	v_mul_f64 v[20:21], v[46:47], s[26:27]
	v_fma_f64 v[48:49], v[46:47], s[26:27], -v[20:21]
	s_mov_b32 s35, s31
	v_fmac_f64_e32 v[48:49], s[34:35], v[46:47]
	v_fmac_f64_e32 v[48:49], s[26:27], v[18:19]
	v_add_f64 v[18:19], v[20:21], v[48:49]
	v_add_f64 v[20:21], v[18:19], -v[20:21]
	v_add_f64 v[20:21], v[48:49], -v[20:21]
	s_andn2_saveexec_b64 s[0:1], s[90:91]
	s_cbranch_execz .LBB132_110
	s_branch .LBB132_109
.LBB132_108:                            ;   in Loop: Header=BB132_4 Depth=1
	s_andn2_saveexec_b64 s[0:1], s[90:91]
	s_cbranch_execz .LBB132_110
.LBB132_109:                            ;   in Loop: Header=BB132_4 Depth=1
	v_mul_f64 v[18:19], |v[12:13]|, s[36:37]
	v_rndne_f64_e32 v[46:47], v[18:19]
	v_fma_f64 v[18:19], v[46:47], s[28:29], |v[12:13]|
	v_mul_f64 v[48:49], v[46:47], s[38:39]
	v_add_f64 v[52:53], v[18:19], v[48:49]
	v_fma_f64 v[20:21], s[38:39], v[46:47], v[18:19]
	s_mov_b32 s30, s38
	v_add_f64 v[18:19], v[18:19], -v[52:53]
	v_fma_f64 v[50:51], s[30:31], v[46:47], v[48:49]
	v_add_f64 v[18:19], v[18:19], v[48:49]
	v_add_f64 v[48:49], v[52:53], -v[20:21]
	v_add_f64 v[18:19], v[48:49], v[18:19]
	v_add_f64 v[48:49], v[18:19], -v[50:51]
	v_fmac_f64_e32 v[48:49], s[40:41], v[46:47]
	v_add_f64 v[18:19], v[20:21], v[48:49]
	v_add_f64 v[20:21], v[18:19], -v[20:21]
	v_add_f64 v[20:21], v[48:49], -v[20:21]
	v_cvt_i32_f64_e32 v50, v[46:47]
.LBB132_110:                            ;   in Loop: Header=BB132_4 Depth=1
	s_or_b64 exec, exec, s[0:1]
                                        ; implicit-def: $vgpr51
                                        ; implicit-def: $vgpr46_vgpr47
                                        ; implicit-def: $vgpr48_vgpr49
	s_and_saveexec_b64 s[0:1], s[2:3]
	s_xor_b64 s[2:3], exec, s[0:1]
	s_cbranch_execz .LBB132_112
; %bb.111:                              ;   in Loop: Header=BB132_4 Depth=1
	v_and_b32_e32 v23, 0x7fffffff, v13
	v_ldexp_f64 v[52:53], |v[12:13]|, s16
	v_cmp_ge_f64_e64 vcc, |v[12:13]|, s[22:23]
	v_trig_preop_f64 v[46:47], |v[12:13]|, 0
	v_cndmask_b32_e32 v53, v23, v53, vcc
	v_cndmask_b32_e32 v52, v12, v52, vcc
	v_trig_preop_f64 v[48:49], |v[12:13]|, 1
	v_mul_f64 v[58:59], v[46:47], v[52:53]
	v_mul_f64 v[54:55], v[48:49], v[52:53]
	v_fma_f64 v[46:47], v[46:47], v[52:53], -v[58:59]
	v_add_f64 v[60:61], v[54:55], v[46:47]
	v_add_f64 v[62:63], v[58:59], v[60:61]
	v_ldexp_f64 v[64:65], v[62:63], -2
	v_fract_f64_e32 v[66:67], v[64:65]
	v_cmp_neq_f64_e64 vcc, |v[64:65]|, s[24:25]
	v_cndmask_b32_e32 v65, 0, v67, vcc
	v_cndmask_b32_e32 v64, 0, v66, vcc
	v_add_f64 v[66:67], v[60:61], -v[54:55]
	v_add_f64 v[46:47], v[46:47], -v[66:67]
	;; [unrolled: 1-line block ×4, first 2 shown]
	v_fma_f64 v[48:49], v[48:49], v[52:53], -v[54:55]
	v_trig_preop_f64 v[54:55], |v[12:13]|, 2
	v_add_f64 v[46:47], v[46:47], v[66:67]
	v_mul_f64 v[66:67], v[54:55], v[52:53]
	v_add_f64 v[68:69], v[66:67], v[48:49]
	v_add_f64 v[70:71], v[68:69], v[46:47]
	v_add_f64 v[58:59], v[62:63], -v[58:59]
	v_add_f64 v[62:63], v[70:71], -v[68:69]
	;; [unrolled: 1-line block ×5, first 2 shown]
	v_add_f64 v[46:47], v[46:47], v[62:63]
	v_add_f64 v[62:63], v[68:69], -v[66:67]
	v_add_f64 v[48:49], v[48:49], -v[62:63]
	;; [unrolled: 1-line block ×4, first 2 shown]
	v_add_f64 v[48:49], v[48:49], v[62:63]
	v_add_f64 v[58:59], v[60:61], -v[58:59]
	v_add_f64 v[46:47], v[48:49], v[46:47]
	v_fma_f64 v[48:49], v[54:55], v[52:53], -v[66:67]
	v_add_f64 v[60:61], v[58:59], v[70:71]
	v_add_f64 v[46:47], v[48:49], v[46:47]
	v_ldexp_f64 v[48:49], v[64:65], 2
	v_add_f64 v[52:53], v[60:61], v[48:49]
	v_cmp_gt_f64_e32 vcc, 0, v[52:53]
	v_cndmask_b32_e32 v23, 0, v1, vcc
	v_add_f64 v[48:49], v[48:49], v[22:23]
	v_add_f64 v[52:53], v[60:61], v[48:49]
	v_cvt_i32_f64_e32 v23, v[52:53]
	v_cvt_f64_i32_e32 v[52:53], v23
	v_add_f64 v[48:49], v[48:49], -v[52:53]
	v_add_f64 v[58:59], v[60:61], -v[58:59]
	v_add_f64 v[52:53], v[60:61], v[48:49]
	v_add_f64 v[58:59], v[70:71], -v[58:59]
	v_add_f64 v[48:49], v[52:53], -v[48:49]
	v_cmp_le_f64_e32 vcc, 0.5, v[52:53]
	v_add_f64 v[46:47], v[58:59], v[46:47]
	v_add_f64 v[48:49], v[60:61], -v[48:49]
	v_addc_co_u32_e64 v51, s[0:1], 0, v23, vcc
	v_cndmask_b32_e32 v23, 0, v27, vcc
	v_add_f64 v[46:47], v[46:47], v[48:49]
	v_add_f64 v[48:49], v[52:53], -v[22:23]
	v_add_f64 v[52:53], v[48:49], v[46:47]
	v_add_f64 v[48:49], v[52:53], -v[48:49]
	s_mov_b32 s26, s28
	v_add_f64 v[46:47], v[46:47], -v[48:49]
	v_mul_f64 v[48:49], v[52:53], s[26:27]
	v_fma_f64 v[54:55], v[52:53], s[26:27], -v[48:49]
	s_mov_b32 s35, s31
	v_fmac_f64_e32 v[54:55], s[34:35], v[52:53]
	v_fmac_f64_e32 v[54:55], s[26:27], v[46:47]
	v_add_f64 v[46:47], v[48:49], v[54:55]
	v_add_f64 v[48:49], v[46:47], -v[48:49]
	v_add_f64 v[48:49], v[54:55], -v[48:49]
	s_andn2_saveexec_b64 s[0:1], s[2:3]
	s_cbranch_execnz .LBB132_113
	s_branch .LBB132_114
.LBB132_112:                            ;   in Loop: Header=BB132_4 Depth=1
	s_andn2_saveexec_b64 s[0:1], s[2:3]
	s_cbranch_execz .LBB132_114
.LBB132_113:                            ;   in Loop: Header=BB132_4 Depth=1
	v_mul_f64 v[46:47], |v[12:13]|, s[36:37]
	v_rndne_f64_e32 v[52:53], v[46:47]
	v_fma_f64 v[46:47], v[52:53], s[28:29], |v[12:13]|
	v_mul_f64 v[54:55], v[52:53], s[38:39]
	v_add_f64 v[60:61], v[46:47], v[54:55]
	v_fma_f64 v[48:49], s[38:39], v[52:53], v[46:47]
	s_mov_b32 s30, s38
	v_add_f64 v[46:47], v[46:47], -v[60:61]
	v_fma_f64 v[58:59], s[30:31], v[52:53], v[54:55]
	v_add_f64 v[46:47], v[46:47], v[54:55]
	v_add_f64 v[54:55], v[60:61], -v[48:49]
	v_add_f64 v[46:47], v[54:55], v[46:47]
	v_add_f64 v[54:55], v[46:47], -v[58:59]
	v_fmac_f64_e32 v[54:55], s[40:41], v[52:53]
	v_add_f64 v[46:47], v[48:49], v[54:55]
	v_add_f64 v[48:49], v[46:47], -v[48:49]
	v_add_f64 v[48:49], v[54:55], -v[48:49]
	v_cvt_i32_f64_e32 v51, v[52:53]
.LBB132_114:                            ;   in Loop: Header=BB132_4 Depth=1
	s_or_b64 exec, exec, s[0:1]
	v_mul_f64 v[52:53], v[18:19], v[18:19]
	v_pk_mov_b32 v[62:63], s[58:59], s[58:59] op_sel:[0,1]
	v_mul_f64 v[54:55], v[52:53], 0.5
	v_fma_f64 v[64:65], s[60:61], v[52:53], v[62:63]
	v_add_f64 v[58:59], -v[54:55], 1.0
	v_fma_f64 v[64:65], v[52:53], v[64:65], s[62:63]
	v_fma_f64 v[64:65], v[52:53], v[64:65], s[64:65]
	v_add_f64 v[66:67], -v[58:59], 1.0
	v_fma_f64 v[64:65], v[52:53], v[64:65], s[66:67]
	v_add_f64 v[54:55], v[66:67], -v[54:55]
	v_mul_f64 v[60:61], v[52:53], v[52:53]
	v_fma_f64 v[64:65], v[52:53], v[64:65], s[52:53]
	v_fma_f64 v[54:55], v[18:19], -v[20:21], v[54:55]
	v_fmac_f64_e32 v[54:55], v[60:61], v[64:65]
	v_pk_mov_b32 v[60:61], s[68:69], s[68:69] op_sel:[0,1]
	v_fma_f64 v[64:65], s[70:71], v[52:53], v[60:61]
	v_fma_f64 v[64:65], v[52:53], v[64:65], s[72:73]
	;; [unrolled: 1-line block ×3, first 2 shown]
	v_add_f64 v[54:55], v[58:59], v[54:55]
	v_mul_f64 v[58:59], v[18:19], -v[52:53]
	v_fma_f64 v[64:65], v[52:53], v[64:65], s[50:51]
	v_mul_f64 v[66:67], v[20:21], 0.5
	v_fmac_f64_e32 v[66:67], v[58:59], v[64:65]
	v_fma_f64 v[20:21], v[52:53], v[66:67], -v[20:21]
	s_mov_b32 s76, s52
	v_fmac_f64_e32 v[20:21], s[76:77], v[58:59]
	v_and_b32_e32 v23, 1, v50
	v_add_f64 v[18:19], v[18:19], -v[20:21]
	s_mov_b32 s0, 0x19ba0da4
	v_xor_b32_e32 v19, 0x80000000, v19
	v_cmp_eq_u32_e32 vcc, 0, v23
	v_lshlrev_b32_e32 v20, 30, v50
	s_mov_b32 s1, 0xc0937be3
	v_cndmask_b32_e32 v19, v19, v55, vcc
	v_and_b32_e32 v20, 0x80000000, v20
	v_add_f64 v[10:11], v[10:11], s[0:1]
	v_xor_b32_e32 v19, v19, v20
	v_mul_f64 v[20:21], v[10:11], s[42:43]
	v_rndne_f64_e32 v[20:21], v[20:21]
	v_fma_f64 v[52:53], s[44:45], v[20:21], v[10:11]
	v_cndmask_b32_e32 v18, v18, v54, vcc
	v_fmac_f64_e32 v[52:53], s[46:47], v[20:21]
	v_pk_mov_b32 v[54:55], v[28:29], v[28:29] op_sel:[0,1]
	v_fmac_f64_e32 v[54:55], s[48:49], v[52:53]
	v_pk_mov_b32 v[58:59], v[30:31], v[30:31] op_sel:[0,1]
	;; [unrolled: 2-line block ×9, first 2 shown]
	v_fmac_f64_e32 v[54:55], v[52:53], v[58:59]
	v_fma_f64 v[54:55], v[52:53], v[54:55], 1.0
	v_cmp_class_f64_e64 vcc, v[12:13], s17
	v_fma_f64 v[52:53], v[52:53], v[54:55], 1.0
	v_cvt_i32_f64_e32 v12, v[20:21]
	v_ldexp_f64 v[20:21], v[52:53], v12
	v_mul_f64 v[52:53], v[46:47], v[46:47]
	v_mul_f64 v[54:55], v[52:53], 0.5
	v_fmac_f64_e32 v[62:63], s[60:61], v[52:53]
	v_cmp_nlt_f64_e64 s[0:1], s[54:55], v[10:11]
	v_add_f64 v[58:59], -v[54:55], 1.0
	v_fma_f64 v[62:63], v[52:53], v[62:63], s[62:63]
	v_cndmask_b32_e64 v12, v56, v21, s[0:1]
	v_cmp_ngt_f64_e64 s[2:3], s[56:57], v[10:11]
	v_add_f64 v[64:65], -v[58:59], 1.0
	v_fma_f64 v[62:63], v[52:53], v[62:63], s[64:65]
	v_cndmask_b32_e64 v12, 0, v12, s[2:3]
	v_add_f64 v[54:55], v[64:65], -v[54:55]
	v_fma_f64 v[62:63], v[52:53], v[62:63], s[66:67]
	v_and_b32_e32 v11, 0xfffff, v12
	v_lshrrev_b32_e32 v12, 20, v12
	v_mul_f64 v[64:65], v[52:53], v[52:53]
	v_fma_f64 v[62:63], v[52:53], v[62:63], s[52:53]
	v_fma_f64 v[54:55], v[46:47], -v[48:49], v[54:55]
	s_and_b64 s[0:1], s[2:3], s[0:1]
	v_add_u32_e32 v12, 0xffffff09, v12
	v_fmac_f64_e32 v[54:55], v[64:65], v[62:63]
	v_fmac_f64_e32 v[60:61], s[70:71], v[52:53]
	v_cndmask_b32_e64 v10, 0, v20, s[0:1]
	v_lshrrev_b16_e32 v20, 15, v12
	v_add_f64 v[54:55], v[58:59], v[54:55]
	v_fma_f64 v[58:59], v[52:53], v[60:61], s[72:73]
	v_add_u16_e32 v20, v12, v20
	v_fma_f64 v[58:59], v[52:53], v[58:59], s[74:75]
	v_ashrrev_i16_e32 v20, 1, v20
	v_fma_f64 v[58:59], v[52:53], v[58:59], s[50:51]
	v_mul_f64 v[60:61], v[46:47], -v[52:53]
	v_mul_f64 v[62:63], v[48:49], 0.5
	v_bfe_i32 v20, v20, 0, 16
	v_fmac_f64_e32 v[62:63], v[60:61], v[58:59]
	v_sub_u32_e32 v12, v12, v20
	v_fma_f64 v[48:49], v[52:53], v[62:63], -v[48:49]
	v_lshl_add_u32 v21, v12, 20, v27
	v_fmac_f64_e32 v[48:49], s[76:77], v[60:61]
	v_and_b32_e32 v12, 1, v51
	v_add_f64 v[46:47], v[46:47], -v[48:49]
	v_cmp_eq_u32_e64 s[0:1], 0, v12
	v_cndmask_b32_e64 v12, v54, v46, s[0:1]
	v_cndmask_b32_e64 v46, v55, v47, s[0:1]
	v_lshlrev_b32_e32 v47, 30, v51
	v_xor_b32_e32 v13, v47, v13
	v_and_b32_e32 v13, 0x80000000, v13
	v_xor_b32_e32 v13, v46, v13
	v_cndmask_b32_e32 v18, 0, v18, vcc
	v_cndmask_b32_e32 v19, v57, v19, vcc
	v_or_b32_e32 v11, 0x7fe00000, v11
	v_cndmask_b32_e32 v12, 0, v12, vcc
	v_cndmask_b32_e32 v13, v57, v13, vcc
	v_mul_f64 v[18:19], v[10:11], v[18:19]
	v_lshl_add_u32 v23, v20, 20, v27
	v_mul_f64 v[10:11], v[10:11], v[12:13]
	v_mul_f64 v[18:19], v[18:19], v[22:23]
	v_mov_b32_e32 v20, v22
	v_mul_f64 v[10:11], v[10:11], v[22:23]
	v_mul_f64 v[18:19], v[18:19], v[20:21]
	;; [unrolled: 1-line block ×3, first 2 shown]
.LBB132_115:                            ;   in Loop: Header=BB132_4 Depth=1
	s_or_b64 exec, exec, s[88:89]
                                        ; implicit-def: $vgpr10_vgpr11
                                        ; implicit-def: $vgpr23
.LBB132_116:                            ;   in Loop: Header=BB132_4 Depth=1
	s_andn2_saveexec_b64 s[2:3], s[86:87]
	s_cbranch_execz .LBB132_122
; %bb.117:                              ;   in Loop: Header=BB132_4 Depth=1
	v_cmp_ne_u32_e32 vcc, 0, v10
	v_cmp_ne_u32_e64 s[0:1], s78, v23
	s_or_b64 s[0:1], vcc, s[0:1]
	v_add_f64 v[20:21], v[12:13], -v[12:13]
	s_and_saveexec_b64 s[86:87], s[0:1]
	s_xor_b64 s[0:1], exec, s[86:87]
; %bb.118:                              ;   in Loop: Header=BB132_4 Depth=1
                                        ; implicit-def: $vgpr10_vgpr11
; %bb.119:                              ;   in Loop: Header=BB132_4 Depth=1
	s_or_saveexec_b64 s[0:1], s[0:1]
	v_pk_mov_b32 v[18:19], v[20:21], v[20:21] op_sel:[0,1]
	s_xor_b64 exec, exec, s[0:1]
; %bb.120:                              ;   in Loop: Header=BB132_4 Depth=1
	v_cmp_lt_i64_e32 vcc, -1, v[10:11]
	v_cndmask_b32_e32 v19, 0, v11, vcc
	v_cndmask_b32_e32 v18, 0, v10, vcc
	;; [unrolled: 1-line block ×4, first 2 shown]
; %bb.121:                              ;   in Loop: Header=BB132_4 Depth=1
	s_or_b64 exec, exec, s[0:1]
.LBB132_122:                            ;   in Loop: Header=BB132_4 Depth=1
	s_or_b64 exec, exec, s[2:3]
                                        ; implicit-def: $vgpr12_vgpr13
.LBB132_123:                            ;   in Loop: Header=BB132_4 Depth=1
	s_andn2_saveexec_b64 s[2:3], s[84:85]
	s_cbranch_execz .LBB132_133
; %bb.124:                              ;   in Loop: Header=BB132_4 Depth=1
	v_cmp_nlt_f64_e64 s[84:85], |v[12:13]|, s[20:21]
	v_trig_preop_f64 v[48:49], |v[12:13]|, 0
	v_trig_preop_f64 v[46:47], |v[12:13]|, 1
	v_ldexp_f64 v[50:51], |v[12:13]|, s16
	v_trig_preop_f64 v[20:21], |v[12:13]|, 2
	v_and_b32_e32 v59, 0x7fffffff, v13
                                        ; implicit-def: $vgpr58
                                        ; implicit-def: $vgpr10_vgpr11
                                        ; implicit-def: $vgpr18_vgpr19
	s_and_saveexec_b64 s[0:1], s[84:85]
	s_xor_b64 s[86:87], exec, s[0:1]
	s_cbranch_execz .LBB132_126
; %bb.125:                              ;   in Loop: Header=BB132_4 Depth=1
	v_cmp_ge_f64_e64 vcc, |v[12:13]|, s[22:23]
	v_cndmask_b32_e32 v11, v59, v51, vcc
	v_cndmask_b32_e32 v10, v12, v50, vcc
	v_mul_f64 v[52:53], v[48:49], v[10:11]
	v_mul_f64 v[18:19], v[46:47], v[10:11]
	v_fma_f64 v[54:55], v[48:49], v[10:11], -v[52:53]
	v_add_f64 v[60:61], v[18:19], v[54:55]
	v_add_f64 v[62:63], v[52:53], v[60:61]
	v_ldexp_f64 v[64:65], v[62:63], -2
	v_fract_f64_e32 v[66:67], v[64:65]
	v_cmp_neq_f64_e64 vcc, |v[64:65]|, s[24:25]
	v_cndmask_b32_e32 v65, 0, v67, vcc
	v_cndmask_b32_e32 v64, 0, v66, vcc
	v_add_f64 v[66:67], v[60:61], -v[18:19]
	v_add_f64 v[54:55], v[54:55], -v[66:67]
	;; [unrolled: 1-line block ×4, first 2 shown]
	v_add_f64 v[54:55], v[54:55], v[66:67]
	v_fma_f64 v[18:19], v[46:47], v[10:11], -v[18:19]
	v_mul_f64 v[66:67], v[20:21], v[10:11]
	v_add_f64 v[68:69], v[66:67], v[18:19]
	v_add_f64 v[70:71], v[68:69], v[54:55]
	v_add_f64 v[52:53], v[62:63], -v[52:53]
	v_add_f64 v[62:63], v[70:71], -v[68:69]
	;; [unrolled: 1-line block ×5, first 2 shown]
	v_add_f64 v[54:55], v[54:55], v[62:63]
	v_add_f64 v[62:63], v[68:69], -v[66:67]
	v_add_f64 v[18:19], v[18:19], -v[62:63]
	;; [unrolled: 1-line block ×5, first 2 shown]
	v_add_f64 v[60:61], v[52:53], v[70:71]
	v_add_f64 v[18:19], v[18:19], v[62:63]
	v_add_f64 v[52:53], v[60:61], -v[52:53]
	v_add_f64 v[18:19], v[18:19], v[54:55]
	v_fma_f64 v[10:11], v[20:21], v[10:11], -v[66:67]
	v_add_f64 v[52:53], v[70:71], -v[52:53]
	v_add_f64 v[10:11], v[10:11], v[18:19]
	v_ldexp_f64 v[18:19], v[64:65], 2
	v_add_f64 v[10:11], v[52:53], v[10:11]
	v_add_f64 v[52:53], v[60:61], v[18:19]
	v_cmp_gt_f64_e32 vcc, 0, v[52:53]
	v_cndmask_b32_e32 v23, 0, v1, vcc
	v_add_f64 v[18:19], v[18:19], v[22:23]
	v_add_f64 v[52:53], v[60:61], v[18:19]
	v_cvt_i32_f64_e32 v23, v[52:53]
	v_cvt_f64_i32_e32 v[52:53], v23
	v_add_f64 v[18:19], v[18:19], -v[52:53]
	v_add_f64 v[52:53], v[60:61], v[18:19]
	v_add_f64 v[18:19], v[52:53], -v[18:19]
	v_cmp_le_f64_e32 vcc, 0.5, v[52:53]
	v_add_f64 v[18:19], v[60:61], -v[18:19]
	v_addc_co_u32_e64 v58, s[0:1], 0, v23, vcc
	v_cndmask_b32_e32 v23, 0, v27, vcc
	v_add_f64 v[10:11], v[10:11], v[18:19]
	v_add_f64 v[18:19], v[52:53], -v[22:23]
	v_add_f64 v[52:53], v[18:19], v[10:11]
	v_add_f64 v[18:19], v[52:53], -v[18:19]
	s_mov_b32 s26, s28
	v_add_f64 v[10:11], v[10:11], -v[18:19]
	v_mul_f64 v[18:19], v[52:53], s[26:27]
	v_fma_f64 v[54:55], v[52:53], s[26:27], -v[18:19]
	s_mov_b32 s35, s31
	v_fmac_f64_e32 v[54:55], s[34:35], v[52:53]
	v_fmac_f64_e32 v[54:55], s[26:27], v[10:11]
	v_add_f64 v[10:11], v[18:19], v[54:55]
	v_add_f64 v[18:19], v[10:11], -v[18:19]
	v_add_f64 v[18:19], v[54:55], -v[18:19]
	s_andn2_saveexec_b64 s[0:1], s[86:87]
	s_cbranch_execz .LBB132_128
	s_branch .LBB132_127
.LBB132_126:                            ;   in Loop: Header=BB132_4 Depth=1
	s_andn2_saveexec_b64 s[0:1], s[86:87]
	s_cbranch_execz .LBB132_128
.LBB132_127:                            ;   in Loop: Header=BB132_4 Depth=1
	v_mul_f64 v[10:11], |v[12:13]|, s[36:37]
	v_rndne_f64_e32 v[52:53], v[10:11]
	v_fma_f64 v[10:11], v[52:53], s[28:29], |v[12:13]|
	v_mul_f64 v[54:55], v[52:53], s[38:39]
	v_add_f64 v[62:63], v[10:11], v[54:55]
	v_fma_f64 v[18:19], s[38:39], v[52:53], v[10:11]
	s_mov_b32 s30, s38
	v_add_f64 v[10:11], v[10:11], -v[62:63]
	v_fma_f64 v[60:61], s[30:31], v[52:53], v[54:55]
	v_add_f64 v[10:11], v[10:11], v[54:55]
	v_add_f64 v[54:55], v[62:63], -v[18:19]
	v_add_f64 v[10:11], v[54:55], v[10:11]
	v_add_f64 v[54:55], v[10:11], -v[60:61]
	v_fmac_f64_e32 v[54:55], s[40:41], v[52:53]
	v_add_f64 v[10:11], v[18:19], v[54:55]
	v_add_f64 v[18:19], v[10:11], -v[18:19]
	v_add_f64 v[18:19], v[54:55], -v[18:19]
	v_cvt_i32_f64_e32 v58, v[52:53]
.LBB132_128:                            ;   in Loop: Header=BB132_4 Depth=1
	s_or_b64 exec, exec, s[0:1]
                                        ; implicit-def: $vgpr60
                                        ; implicit-def: $vgpr52_vgpr53
                                        ; implicit-def: $vgpr54_vgpr55
	s_and_saveexec_b64 s[0:1], s[84:85]
	s_xor_b64 s[84:85], exec, s[0:1]
	s_cbranch_execz .LBB132_130
; %bb.129:                              ;   in Loop: Header=BB132_4 Depth=1
	v_cmp_ge_f64_e64 vcc, |v[12:13]|, s[22:23]
	v_cndmask_b32_e32 v51, v59, v51, vcc
	v_cndmask_b32_e32 v50, v12, v50, vcc
	v_mul_f64 v[54:55], v[48:49], v[50:51]
	v_mul_f64 v[52:53], v[46:47], v[50:51]
	v_fma_f64 v[48:49], v[48:49], v[50:51], -v[54:55]
	v_add_f64 v[60:61], v[52:53], v[48:49]
	v_add_f64 v[62:63], v[54:55], v[60:61]
	v_ldexp_f64 v[64:65], v[62:63], -2
	v_fract_f64_e32 v[66:67], v[64:65]
	v_cmp_neq_f64_e64 vcc, |v[64:65]|, s[24:25]
	v_cndmask_b32_e32 v65, 0, v67, vcc
	v_cndmask_b32_e32 v64, 0, v66, vcc
	v_add_f64 v[66:67], v[60:61], -v[52:53]
	v_add_f64 v[48:49], v[48:49], -v[66:67]
	;; [unrolled: 1-line block ×4, first 2 shown]
	v_fma_f64 v[46:47], v[46:47], v[50:51], -v[52:53]
	v_mul_f64 v[52:53], v[20:21], v[50:51]
	v_add_f64 v[48:49], v[48:49], v[66:67]
	v_add_f64 v[66:67], v[52:53], v[46:47]
	;; [unrolled: 1-line block ×3, first 2 shown]
	v_add_f64 v[54:55], v[62:63], -v[54:55]
	v_add_f64 v[62:63], v[68:69], -v[66:67]
	;; [unrolled: 1-line block ×5, first 2 shown]
	v_add_f64 v[48:49], v[48:49], v[62:63]
	v_add_f64 v[62:63], v[66:67], -v[52:53]
	v_add_f64 v[46:47], v[46:47], -v[62:63]
	;; [unrolled: 1-line block ×4, first 2 shown]
	v_add_f64 v[46:47], v[46:47], v[62:63]
	v_add_f64 v[54:55], v[60:61], -v[54:55]
	v_add_f64 v[46:47], v[46:47], v[48:49]
	v_fma_f64 v[20:21], v[20:21], v[50:51], -v[52:53]
	v_add_f64 v[60:61], v[54:55], v[68:69]
	v_add_f64 v[20:21], v[20:21], v[46:47]
	v_ldexp_f64 v[46:47], v[64:65], 2
	v_add_f64 v[48:49], v[60:61], v[46:47]
	v_cmp_gt_f64_e32 vcc, 0, v[48:49]
	v_cndmask_b32_e32 v23, 0, v1, vcc
	v_add_f64 v[46:47], v[46:47], v[22:23]
	v_add_f64 v[48:49], v[60:61], v[46:47]
	v_cvt_i32_f64_e32 v23, v[48:49]
	v_cvt_f64_i32_e32 v[48:49], v23
	v_add_f64 v[46:47], v[46:47], -v[48:49]
	v_add_f64 v[54:55], v[60:61], -v[54:55]
	v_add_f64 v[48:49], v[60:61], v[46:47]
	v_add_f64 v[54:55], v[68:69], -v[54:55]
	v_add_f64 v[46:47], v[48:49], -v[46:47]
	v_cmp_le_f64_e32 vcc, 0.5, v[48:49]
	v_add_f64 v[20:21], v[54:55], v[20:21]
	v_add_f64 v[46:47], v[60:61], -v[46:47]
	v_addc_co_u32_e64 v60, s[0:1], 0, v23, vcc
	v_cndmask_b32_e32 v23, 0, v27, vcc
	v_add_f64 v[20:21], v[20:21], v[46:47]
	v_add_f64 v[46:47], v[48:49], -v[22:23]
	v_add_f64 v[48:49], v[46:47], v[20:21]
	v_add_f64 v[46:47], v[48:49], -v[46:47]
	s_mov_b32 s26, s28
	v_add_f64 v[20:21], v[20:21], -v[46:47]
	v_mul_f64 v[46:47], v[48:49], s[26:27]
	v_fma_f64 v[50:51], v[48:49], s[26:27], -v[46:47]
	s_mov_b32 s35, s31
	v_fmac_f64_e32 v[50:51], s[34:35], v[48:49]
	v_fmac_f64_e32 v[50:51], s[26:27], v[20:21]
	v_add_f64 v[52:53], v[46:47], v[50:51]
	v_add_f64 v[20:21], v[52:53], -v[46:47]
	v_add_f64 v[54:55], v[50:51], -v[20:21]
	s_andn2_saveexec_b64 s[0:1], s[84:85]
	s_cbranch_execnz .LBB132_131
	s_branch .LBB132_132
.LBB132_130:                            ;   in Loop: Header=BB132_4 Depth=1
	s_andn2_saveexec_b64 s[0:1], s[84:85]
	s_cbranch_execz .LBB132_132
.LBB132_131:                            ;   in Loop: Header=BB132_4 Depth=1
	v_mul_f64 v[20:21], |v[12:13]|, s[36:37]
	v_rndne_f64_e32 v[20:21], v[20:21]
	v_fma_f64 v[46:47], v[20:21], s[28:29], |v[12:13]|
	v_mul_f64 v[50:51], v[20:21], s[38:39]
	v_add_f64 v[54:55], v[46:47], v[50:51]
	v_fma_f64 v[48:49], s[38:39], v[20:21], v[46:47]
	s_mov_b32 s30, s38
	v_add_f64 v[46:47], v[46:47], -v[54:55]
	v_fma_f64 v[52:53], s[30:31], v[20:21], v[50:51]
	v_add_f64 v[46:47], v[46:47], v[50:51]
	v_add_f64 v[50:51], v[54:55], -v[48:49]
	v_add_f64 v[46:47], v[50:51], v[46:47]
	v_add_f64 v[46:47], v[46:47], -v[52:53]
	v_fmac_f64_e32 v[46:47], s[40:41], v[20:21]
	v_add_f64 v[52:53], v[48:49], v[46:47]
	v_add_f64 v[48:49], v[52:53], -v[48:49]
	v_add_f64 v[54:55], v[46:47], -v[48:49]
	v_cvt_i32_f64_e32 v60, v[20:21]
.LBB132_132:                            ;   in Loop: Header=BB132_4 Depth=1
	s_or_b64 exec, exec, s[0:1]
	v_mul_f64 v[20:21], v[10:11], v[10:11]
	v_pk_mov_b32 v[62:63], s[58:59], s[58:59] op_sel:[0,1]
	v_mul_f64 v[46:47], v[20:21], 0.5
	v_fma_f64 v[64:65], s[60:61], v[20:21], v[62:63]
	v_add_f64 v[48:49], -v[46:47], 1.0
	v_fma_f64 v[64:65], v[20:21], v[64:65], s[62:63]
	v_add_f64 v[50:51], -v[48:49], 1.0
	v_fma_f64 v[64:65], v[20:21], v[64:65], s[64:65]
	v_add_f64 v[46:47], v[50:51], -v[46:47]
	v_fma_f64 v[64:65], v[20:21], v[64:65], s[66:67]
	v_mul_f64 v[50:51], v[20:21], v[20:21]
	v_fma_f64 v[64:65], v[20:21], v[64:65], s[52:53]
	v_fma_f64 v[46:47], v[10:11], -v[18:19], v[46:47]
	v_fmac_f64_e32 v[46:47], v[50:51], v[64:65]
	v_add_f64 v[46:47], v[48:49], v[46:47]
	v_pk_mov_b32 v[48:49], s[68:69], s[68:69] op_sel:[0,1]
	v_fma_f64 v[50:51], s[70:71], v[20:21], v[48:49]
	v_fma_f64 v[50:51], v[20:21], v[50:51], s[72:73]
	;; [unrolled: 1-line block ×4, first 2 shown]
	v_mul_f64 v[64:65], v[10:11], -v[20:21]
	v_mul_f64 v[66:67], v[18:19], 0.5
	v_fmac_f64_e32 v[66:67], v[64:65], v[50:51]
	v_fma_f64 v[18:19], v[20:21], v[66:67], -v[18:19]
	s_mov_b32 s76, s52
	v_fmac_f64_e32 v[18:19], s[76:77], v[64:65]
	v_add_f64 v[10:11], v[10:11], -v[18:19]
	v_and_b32_e32 v18, 1, v58
	v_xor_b32_e32 v11, 0x80000000, v11
	v_cmp_eq_u32_e32 vcc, 0, v18
	v_lshlrev_b32_e32 v18, 30, v58
	v_cndmask_b32_e32 v11, v11, v47, vcc
	v_and_b32_e32 v18, 0x80000000, v18
	v_cndmask_b32_e32 v10, v10, v46, vcc
	v_xor_b32_e32 v11, v11, v18
	v_cmp_class_f64_e64 vcc, v[12:13], s17
	v_cndmask_b32_e32 v18, 0, v10, vcc
	v_cndmask_b32_e32 v19, v57, v11, vcc
	v_mul_f64 v[10:11], v[52:53], v[52:53]
	v_mul_f64 v[20:21], v[10:11], 0.5
	v_fmac_f64_e32 v[62:63], s[60:61], v[10:11]
	v_add_f64 v[46:47], -v[20:21], 1.0
	v_fma_f64 v[58:59], v[10:11], v[62:63], s[62:63]
	v_add_f64 v[50:51], -v[46:47], 1.0
	v_fma_f64 v[58:59], v[10:11], v[58:59], s[64:65]
	v_add_f64 v[20:21], v[50:51], -v[20:21]
	v_fma_f64 v[58:59], v[10:11], v[58:59], s[66:67]
	v_mul_f64 v[50:51], v[10:11], v[10:11]
	v_fma_f64 v[58:59], v[10:11], v[58:59], s[52:53]
	v_fma_f64 v[20:21], v[52:53], -v[54:55], v[20:21]
	v_fmac_f64_e32 v[20:21], v[50:51], v[58:59]
	v_fmac_f64_e32 v[48:49], s[70:71], v[10:11]
	v_add_f64 v[20:21], v[46:47], v[20:21]
	v_fma_f64 v[46:47], v[10:11], v[48:49], s[72:73]
	v_fma_f64 v[46:47], v[10:11], v[46:47], s[74:75]
	;; [unrolled: 1-line block ×3, first 2 shown]
	v_mul_f64 v[48:49], v[52:53], -v[10:11]
	v_mul_f64 v[50:51], v[54:55], 0.5
	v_fmac_f64_e32 v[50:51], v[48:49], v[46:47]
	v_fma_f64 v[10:11], v[10:11], v[50:51], -v[54:55]
	v_and_b32_e32 v12, 1, v60
	v_fmac_f64_e32 v[10:11], s[76:77], v[48:49]
	v_cmp_eq_u32_e64 s[0:1], 0, v12
	v_lshlrev_b32_e32 v12, 30, v60
	v_add_f64 v[10:11], v[52:53], -v[10:11]
	v_xor_b32_e32 v12, v12, v13
	v_cndmask_b32_e64 v11, v21, v11, s[0:1]
	v_and_b32_e32 v12, 0x80000000, v12
	v_cndmask_b32_e64 v10, v20, v10, s[0:1]
	v_xor_b32_e32 v11, v11, v12
	v_cndmask_b32_e32 v20, 0, v10, vcc
	v_cndmask_b32_e32 v21, v57, v11, vcc
.LBB132_133:                            ;   in Loop: Header=BB132_4 Depth=1
	s_or_b64 exec, exec, s[2:3]
                                        ; implicit-def: $vgpr10_vgpr11
.LBB132_134:                            ;   in Loop: Header=BB132_4 Depth=1
	s_andn2_saveexec_b64 s[2:3], s[82:83]
	s_cbranch_execz .LBB132_136
; %bb.135:                              ;   in Loop: Header=BB132_4 Depth=1
	v_mul_f64 v[18:19], v[10:11], s[42:43]
	v_rndne_f64_e32 v[18:19], v[18:19]
	v_fma_f64 v[20:21], s[44:45], v[18:19], v[10:11]
	v_fmac_f64_e32 v[20:21], s[46:47], v[18:19]
	v_pk_mov_b32 v[46:47], v[28:29], v[28:29] op_sel:[0,1]
	v_fmac_f64_e32 v[46:47], s[48:49], v[20:21]
	v_pk_mov_b32 v[48:49], v[30:31], v[30:31] op_sel:[0,1]
	;; [unrolled: 2-line block ×9, first 2 shown]
	v_fmac_f64_e32 v[46:47], v[20:21], v[48:49]
	v_fma_f64 v[46:47], v[20:21], v[46:47], 1.0
	v_fma_f64 v[20:21], v[20:21], v[46:47], 1.0
	v_cvt_i32_f64_e32 v18, v[18:19]
	v_ldexp_f64 v[18:19], v[20:21], v18
	v_cmp_nlt_f64_e32 vcc, s[54:55], v[10:11]
	v_cmp_ngt_f64_e64 s[0:1], s[56:57], v[10:11]
	v_cndmask_b32_e32 v19, v56, v19, vcc
	s_and_b64 vcc, s[0:1], vcc
	v_cndmask_b32_e64 v19, 0, v19, s[0:1]
	v_cndmask_b32_e32 v18, 0, v18, vcc
	v_pk_mov_b32 v[20:21], v[12:13], v[12:13] op_sel:[0,1]
.LBB132_136:                            ;   in Loop: Header=BB132_4 Depth=1
	s_or_b64 exec, exec, s[2:3]
	v_and_b32_e32 v10, 0x7fffffff, v5
	v_or_b32_e32 v11, v10, v4
	v_cmp_ne_u32_e32 vcc, 0, v11
                                        ; implicit-def: $vgpr12_vgpr13
	s_and_saveexec_b64 s[0:1], vcc
	s_xor_b64 s[82:83], exec, s[0:1]
	s_cbranch_execz .LBB132_178
; %bb.137:                              ;   in Loop: Header=BB132_4 Depth=1
	v_and_b32_e32 v23, 0x7fffffff, v3
	v_or_b32_e32 v11, v23, v2
	v_cmp_ne_u32_e32 vcc, 0, v11
                                        ; implicit-def: $vgpr12_vgpr13
	s_and_saveexec_b64 s[0:1], vcc
	s_xor_b64 s[84:85], exec, s[0:1]
	s_cbranch_execz .LBB132_167
; %bb.138:                              ;   in Loop: Header=BB132_4 Depth=1
	v_cmp_gt_u32_e32 vcc, s78, v10
                                        ; implicit-def: $vgpr12_vgpr13
	s_and_saveexec_b64 s[0:1], vcc
	s_xor_b64 s[86:87], exec, s[0:1]
	s_cbranch_execz .LBB132_160
; %bb.139:                              ;   in Loop: Header=BB132_4 Depth=1
	v_add_u32_e32 v10, 0xbf79d1be, v3
	v_cmp_lt_u32_e32 vcc, s79, v10
                                        ; implicit-def: $vgpr12_vgpr13
	s_and_saveexec_b64 s[0:1], vcc
	s_xor_b64 s[2:3], exec, s[0:1]
	s_cbranch_execz .LBB132_149
; %bb.140:                              ;   in Loop: Header=BB132_4 Depth=1
	v_cmp_nlt_f64_e64 s[88:89], |v[4:5]|, s[20:21]
                                        ; implicit-def: $vgpr50
                                        ; implicit-def: $vgpr10_vgpr11
                                        ; implicit-def: $vgpr12_vgpr13
	s_and_saveexec_b64 s[0:1], s[88:89]
	s_xor_b64 s[90:91], exec, s[0:1]
	s_cbranch_execz .LBB132_142
; %bb.141:                              ;   in Loop: Header=BB132_4 Depth=1
	v_and_b32_e32 v23, 0x7fffffff, v5
	v_ldexp_f64 v[46:47], |v[4:5]|, s16
	v_cmp_ge_f64_e64 vcc, |v[4:5]|, s[22:23]
	v_trig_preop_f64 v[10:11], |v[4:5]|, 0
	v_cndmask_b32_e32 v47, v23, v47, vcc
	v_cndmask_b32_e32 v46, v4, v46, vcc
	v_trig_preop_f64 v[12:13], |v[4:5]|, 1
	v_mul_f64 v[50:51], v[10:11], v[46:47]
	v_mul_f64 v[48:49], v[12:13], v[46:47]
	v_fma_f64 v[10:11], v[10:11], v[46:47], -v[50:51]
	v_add_f64 v[52:53], v[48:49], v[10:11]
	v_add_f64 v[54:55], v[50:51], v[52:53]
	v_ldexp_f64 v[58:59], v[54:55], -2
	v_fract_f64_e32 v[60:61], v[58:59]
	v_cmp_neq_f64_e64 vcc, |v[58:59]|, s[24:25]
	v_cndmask_b32_e32 v59, 0, v61, vcc
	v_cndmask_b32_e32 v58, 0, v60, vcc
	v_add_f64 v[60:61], v[52:53], -v[48:49]
	v_add_f64 v[10:11], v[10:11], -v[60:61]
	;; [unrolled: 1-line block ×4, first 2 shown]
	v_fma_f64 v[12:13], v[12:13], v[46:47], -v[48:49]
	v_trig_preop_f64 v[48:49], |v[4:5]|, 2
	v_add_f64 v[10:11], v[10:11], v[60:61]
	v_mul_f64 v[60:61], v[48:49], v[46:47]
	v_add_f64 v[62:63], v[60:61], v[12:13]
	v_add_f64 v[64:65], v[62:63], v[10:11]
	v_add_f64 v[50:51], v[54:55], -v[50:51]
	v_add_f64 v[54:55], v[64:65], -v[62:63]
	;; [unrolled: 1-line block ×5, first 2 shown]
	v_add_f64 v[10:11], v[10:11], v[54:55]
	v_add_f64 v[54:55], v[62:63], -v[60:61]
	v_add_f64 v[12:13], v[12:13], -v[54:55]
	;; [unrolled: 1-line block ×4, first 2 shown]
	v_add_f64 v[12:13], v[12:13], v[54:55]
	v_add_f64 v[50:51], v[52:53], -v[50:51]
	v_add_f64 v[10:11], v[12:13], v[10:11]
	v_fma_f64 v[12:13], v[48:49], v[46:47], -v[60:61]
	v_add_f64 v[52:53], v[50:51], v[64:65]
	v_add_f64 v[10:11], v[12:13], v[10:11]
	v_ldexp_f64 v[12:13], v[58:59], 2
	v_add_f64 v[46:47], v[52:53], v[12:13]
	v_cmp_gt_f64_e32 vcc, 0, v[46:47]
	v_cndmask_b32_e32 v23, 0, v1, vcc
	v_add_f64 v[12:13], v[12:13], v[22:23]
	v_add_f64 v[46:47], v[52:53], v[12:13]
	v_cvt_i32_f64_e32 v23, v[46:47]
	v_cvt_f64_i32_e32 v[46:47], v23
	v_add_f64 v[12:13], v[12:13], -v[46:47]
	v_add_f64 v[50:51], v[52:53], -v[50:51]
	v_add_f64 v[46:47], v[52:53], v[12:13]
	v_add_f64 v[50:51], v[64:65], -v[50:51]
	v_add_f64 v[12:13], v[46:47], -v[12:13]
	v_cmp_le_f64_e32 vcc, 0.5, v[46:47]
	v_add_f64 v[10:11], v[50:51], v[10:11]
	v_add_f64 v[12:13], v[52:53], -v[12:13]
	v_addc_co_u32_e64 v50, s[0:1], 0, v23, vcc
	v_cndmask_b32_e32 v23, 0, v27, vcc
	v_add_f64 v[10:11], v[10:11], v[12:13]
	v_add_f64 v[12:13], v[46:47], -v[22:23]
	v_add_f64 v[46:47], v[12:13], v[10:11]
	v_add_f64 v[12:13], v[46:47], -v[12:13]
	s_mov_b32 s26, s28
	v_add_f64 v[10:11], v[10:11], -v[12:13]
	v_mul_f64 v[12:13], v[46:47], s[26:27]
	v_fma_f64 v[48:49], v[46:47], s[26:27], -v[12:13]
	s_mov_b32 s35, s31
	v_fmac_f64_e32 v[48:49], s[34:35], v[46:47]
	v_fmac_f64_e32 v[48:49], s[26:27], v[10:11]
	v_add_f64 v[10:11], v[12:13], v[48:49]
	v_add_f64 v[12:13], v[10:11], -v[12:13]
	v_add_f64 v[12:13], v[48:49], -v[12:13]
	s_andn2_saveexec_b64 s[0:1], s[90:91]
	s_cbranch_execz .LBB132_144
	s_branch .LBB132_143
.LBB132_142:                            ;   in Loop: Header=BB132_4 Depth=1
	s_andn2_saveexec_b64 s[0:1], s[90:91]
	s_cbranch_execz .LBB132_144
.LBB132_143:                            ;   in Loop: Header=BB132_4 Depth=1
	v_mul_f64 v[10:11], |v[4:5]|, s[36:37]
	v_rndne_f64_e32 v[46:47], v[10:11]
	v_fma_f64 v[10:11], v[46:47], s[28:29], |v[4:5]|
	v_mul_f64 v[48:49], v[46:47], s[38:39]
	v_add_f64 v[52:53], v[10:11], v[48:49]
	v_fma_f64 v[12:13], s[38:39], v[46:47], v[10:11]
	s_mov_b32 s30, s38
	v_add_f64 v[10:11], v[10:11], -v[52:53]
	v_fma_f64 v[50:51], s[30:31], v[46:47], v[48:49]
	v_add_f64 v[10:11], v[10:11], v[48:49]
	v_add_f64 v[48:49], v[52:53], -v[12:13]
	v_add_f64 v[10:11], v[48:49], v[10:11]
	v_add_f64 v[48:49], v[10:11], -v[50:51]
	v_fmac_f64_e32 v[48:49], s[40:41], v[46:47]
	v_add_f64 v[10:11], v[12:13], v[48:49]
	v_add_f64 v[12:13], v[10:11], -v[12:13]
	v_add_f64 v[12:13], v[48:49], -v[12:13]
	v_cvt_i32_f64_e32 v50, v[46:47]
.LBB132_144:                            ;   in Loop: Header=BB132_4 Depth=1
	s_or_b64 exec, exec, s[0:1]
                                        ; implicit-def: $vgpr51
                                        ; implicit-def: $vgpr46_vgpr47
                                        ; implicit-def: $vgpr48_vgpr49
	s_and_saveexec_b64 s[0:1], s[88:89]
	s_xor_b64 s[88:89], exec, s[0:1]
	s_cbranch_execz .LBB132_146
; %bb.145:                              ;   in Loop: Header=BB132_4 Depth=1
	v_and_b32_e32 v23, 0x7fffffff, v5
	v_ldexp_f64 v[52:53], |v[4:5]|, s16
	v_cmp_ge_f64_e64 vcc, |v[4:5]|, s[22:23]
	v_trig_preop_f64 v[46:47], |v[4:5]|, 0
	v_cndmask_b32_e32 v53, v23, v53, vcc
	v_cndmask_b32_e32 v52, v4, v52, vcc
	v_trig_preop_f64 v[48:49], |v[4:5]|, 1
	v_mul_f64 v[58:59], v[46:47], v[52:53]
	v_mul_f64 v[54:55], v[48:49], v[52:53]
	v_fma_f64 v[46:47], v[46:47], v[52:53], -v[58:59]
	v_add_f64 v[60:61], v[54:55], v[46:47]
	v_add_f64 v[62:63], v[58:59], v[60:61]
	v_ldexp_f64 v[64:65], v[62:63], -2
	v_fract_f64_e32 v[66:67], v[64:65]
	v_cmp_neq_f64_e64 vcc, |v[64:65]|, s[24:25]
	v_cndmask_b32_e32 v65, 0, v67, vcc
	v_cndmask_b32_e32 v64, 0, v66, vcc
	v_add_f64 v[66:67], v[60:61], -v[54:55]
	v_add_f64 v[46:47], v[46:47], -v[66:67]
	;; [unrolled: 1-line block ×4, first 2 shown]
	v_fma_f64 v[48:49], v[48:49], v[52:53], -v[54:55]
	v_trig_preop_f64 v[54:55], |v[4:5]|, 2
	v_add_f64 v[46:47], v[46:47], v[66:67]
	v_mul_f64 v[66:67], v[54:55], v[52:53]
	v_add_f64 v[68:69], v[66:67], v[48:49]
	v_add_f64 v[70:71], v[68:69], v[46:47]
	v_add_f64 v[58:59], v[62:63], -v[58:59]
	v_add_f64 v[62:63], v[70:71], -v[68:69]
	;; [unrolled: 1-line block ×5, first 2 shown]
	v_add_f64 v[46:47], v[46:47], v[62:63]
	v_add_f64 v[62:63], v[68:69], -v[66:67]
	v_add_f64 v[48:49], v[48:49], -v[62:63]
	;; [unrolled: 1-line block ×4, first 2 shown]
	v_add_f64 v[48:49], v[48:49], v[62:63]
	v_add_f64 v[58:59], v[60:61], -v[58:59]
	v_add_f64 v[46:47], v[48:49], v[46:47]
	v_fma_f64 v[48:49], v[54:55], v[52:53], -v[66:67]
	v_add_f64 v[60:61], v[58:59], v[70:71]
	v_add_f64 v[46:47], v[48:49], v[46:47]
	v_ldexp_f64 v[48:49], v[64:65], 2
	v_add_f64 v[52:53], v[60:61], v[48:49]
	v_cmp_gt_f64_e32 vcc, 0, v[52:53]
	v_cndmask_b32_e32 v23, 0, v1, vcc
	v_add_f64 v[48:49], v[48:49], v[22:23]
	v_add_f64 v[52:53], v[60:61], v[48:49]
	v_cvt_i32_f64_e32 v23, v[52:53]
	v_cvt_f64_i32_e32 v[52:53], v23
	v_add_f64 v[48:49], v[48:49], -v[52:53]
	v_add_f64 v[58:59], v[60:61], -v[58:59]
	v_add_f64 v[52:53], v[60:61], v[48:49]
	v_add_f64 v[58:59], v[70:71], -v[58:59]
	v_add_f64 v[48:49], v[52:53], -v[48:49]
	v_cmp_le_f64_e32 vcc, 0.5, v[52:53]
	v_add_f64 v[46:47], v[58:59], v[46:47]
	v_add_f64 v[48:49], v[60:61], -v[48:49]
	v_addc_co_u32_e64 v51, s[0:1], 0, v23, vcc
	v_cndmask_b32_e32 v23, 0, v27, vcc
	v_add_f64 v[46:47], v[46:47], v[48:49]
	v_add_f64 v[48:49], v[52:53], -v[22:23]
	v_add_f64 v[52:53], v[48:49], v[46:47]
	v_add_f64 v[48:49], v[52:53], -v[48:49]
	s_mov_b32 s26, s28
	v_add_f64 v[46:47], v[46:47], -v[48:49]
	v_mul_f64 v[48:49], v[52:53], s[26:27]
	v_fma_f64 v[54:55], v[52:53], s[26:27], -v[48:49]
	s_mov_b32 s35, s31
	v_fmac_f64_e32 v[54:55], s[34:35], v[52:53]
	v_fmac_f64_e32 v[54:55], s[26:27], v[46:47]
	v_add_f64 v[46:47], v[48:49], v[54:55]
	v_add_f64 v[48:49], v[46:47], -v[48:49]
	v_add_f64 v[48:49], v[54:55], -v[48:49]
	s_andn2_saveexec_b64 s[0:1], s[88:89]
	s_cbranch_execnz .LBB132_147
	s_branch .LBB132_148
.LBB132_146:                            ;   in Loop: Header=BB132_4 Depth=1
	s_andn2_saveexec_b64 s[0:1], s[88:89]
	s_cbranch_execz .LBB132_148
.LBB132_147:                            ;   in Loop: Header=BB132_4 Depth=1
	v_mul_f64 v[46:47], |v[4:5]|, s[36:37]
	v_rndne_f64_e32 v[52:53], v[46:47]
	v_fma_f64 v[46:47], v[52:53], s[28:29], |v[4:5]|
	v_mul_f64 v[54:55], v[52:53], s[38:39]
	v_add_f64 v[60:61], v[46:47], v[54:55]
	v_fma_f64 v[48:49], s[38:39], v[52:53], v[46:47]
	s_mov_b32 s30, s38
	v_add_f64 v[46:47], v[46:47], -v[60:61]
	v_fma_f64 v[58:59], s[30:31], v[52:53], v[54:55]
	v_add_f64 v[46:47], v[46:47], v[54:55]
	v_add_f64 v[54:55], v[60:61], -v[48:49]
	v_add_f64 v[46:47], v[54:55], v[46:47]
	v_add_f64 v[54:55], v[46:47], -v[58:59]
	v_fmac_f64_e32 v[54:55], s[40:41], v[52:53]
	v_add_f64 v[46:47], v[48:49], v[54:55]
	v_add_f64 v[48:49], v[46:47], -v[48:49]
	v_add_f64 v[48:49], v[54:55], -v[48:49]
	v_cvt_i32_f64_e32 v51, v[52:53]
.LBB132_148:                            ;   in Loop: Header=BB132_4 Depth=1
	s_or_b64 exec, exec, s[0:1]
	v_mul_f64 v[52:53], v[2:3], s[42:43]
	v_rndne_f64_e32 v[52:53], v[52:53]
	v_fma_f64 v[54:55], s[44:45], v[52:53], v[2:3]
	v_fmac_f64_e32 v[54:55], s[46:47], v[52:53]
	v_pk_mov_b32 v[58:59], v[28:29], v[28:29] op_sel:[0,1]
	v_fmac_f64_e32 v[58:59], s[48:49], v[54:55]
	v_pk_mov_b32 v[60:61], v[30:31], v[30:31] op_sel:[0,1]
	;; [unrolled: 2-line block ×9, first 2 shown]
	v_fmac_f64_e32 v[58:59], v[54:55], v[60:61]
	v_fma_f64 v[58:59], v[54:55], v[58:59], 1.0
	v_fma_f64 v[54:55], v[54:55], v[58:59], 1.0
	v_cvt_i32_f64_e32 v23, v[52:53]
	v_ldexp_f64 v[52:53], v[54:55], v23
	v_cmp_nlt_f64_e32 vcc, s[54:55], v[2:3]
	v_cmp_ngt_f64_e64 s[0:1], s[56:57], v[2:3]
	v_cndmask_b32_e32 v23, v56, v53, vcc
	s_and_b64 vcc, s[0:1], vcc
	v_cndmask_b32_e32 v2, 0, v52, vcc
	v_mul_f64 v[52:53], v[10:11], v[10:11]
	v_pk_mov_b32 v[62:63], s[58:59], s[58:59] op_sel:[0,1]
	v_mul_f64 v[54:55], v[52:53], 0.5
	v_fma_f64 v[64:65], s[60:61], v[52:53], v[62:63]
	v_add_f64 v[58:59], -v[54:55], 1.0
	v_fma_f64 v[64:65], v[52:53], v[64:65], s[62:63]
	v_add_f64 v[60:61], -v[58:59], 1.0
	v_fma_f64 v[64:65], v[52:53], v[64:65], s[64:65]
	v_add_f64 v[54:55], v[60:61], -v[54:55]
	v_fma_f64 v[64:65], v[52:53], v[64:65], s[66:67]
	v_mul_f64 v[60:61], v[52:53], v[52:53]
	v_fma_f64 v[64:65], v[52:53], v[64:65], s[52:53]
	v_fma_f64 v[54:55], v[10:11], -v[12:13], v[54:55]
	v_fmac_f64_e32 v[54:55], v[60:61], v[64:65]
	v_add_f64 v[54:55], v[58:59], v[54:55]
	v_pk_mov_b32 v[58:59], s[68:69], s[68:69] op_sel:[0,1]
	v_fma_f64 v[60:61], s[70:71], v[52:53], v[58:59]
	v_fma_f64 v[60:61], v[52:53], v[60:61], s[72:73]
	;; [unrolled: 1-line block ×4, first 2 shown]
	v_mul_f64 v[64:65], v[10:11], -v[52:53]
	v_mul_f64 v[66:67], v[12:13], 0.5
	v_fmac_f64_e32 v[66:67], v[64:65], v[60:61]
	v_fma_f64 v[12:13], v[52:53], v[66:67], -v[12:13]
	s_mov_b32 s76, s52
	v_fmac_f64_e32 v[12:13], s[76:77], v[64:65]
	v_add_f64 v[10:11], v[10:11], -v[12:13]
	v_and_b32_e32 v12, 1, v50
	v_xor_b32_e32 v11, 0x80000000, v11
	v_cmp_eq_u32_e32 vcc, 0, v12
	v_lshlrev_b32_e32 v12, 30, v50
	v_cndmask_b32_e32 v11, v11, v55, vcc
	v_and_b32_e32 v12, 0x80000000, v12
	v_xor_b32_e32 v11, v11, v12
	v_mul_f64 v[12:13], v[46:47], v[46:47]
	v_mul_f64 v[52:53], v[12:13], 0.5
	v_fmac_f64_e32 v[62:63], s[60:61], v[12:13]
	v_cndmask_b32_e32 v10, v10, v54, vcc
	v_add_f64 v[54:55], -v[52:53], 1.0
	v_fma_f64 v[62:63], v[12:13], v[62:63], s[62:63]
	v_add_f64 v[60:61], -v[54:55], 1.0
	v_fma_f64 v[62:63], v[12:13], v[62:63], s[64:65]
	v_add_f64 v[52:53], v[60:61], -v[52:53]
	v_fma_f64 v[62:63], v[12:13], v[62:63], s[66:67]
	v_mul_f64 v[60:61], v[12:13], v[12:13]
	v_fma_f64 v[62:63], v[12:13], v[62:63], s[52:53]
	v_fma_f64 v[52:53], v[46:47], -v[48:49], v[52:53]
	v_fmac_f64_e32 v[52:53], v[60:61], v[62:63]
	v_fmac_f64_e32 v[58:59], s[70:71], v[12:13]
	v_add_f64 v[52:53], v[54:55], v[52:53]
	v_fma_f64 v[54:55], v[12:13], v[58:59], s[72:73]
	v_fma_f64 v[54:55], v[12:13], v[54:55], s[74:75]
	;; [unrolled: 1-line block ×3, first 2 shown]
	v_mul_f64 v[58:59], v[46:47], -v[12:13]
	v_mul_f64 v[60:61], v[48:49], 0.5
	v_fmac_f64_e32 v[60:61], v[58:59], v[54:55]
	v_fma_f64 v[12:13], v[12:13], v[60:61], -v[48:49]
	v_cmp_class_f64_e64 vcc, v[4:5], s17
	v_fmac_f64_e32 v[12:13], s[76:77], v[58:59]
	v_and_b32_e32 v4, 1, v51
	v_cndmask_b32_e64 v3, 0, v23, s[0:1]
	v_add_f64 v[12:13], v[46:47], -v[12:13]
	v_cmp_eq_u32_e64 s[0:1], 0, v4
	v_cndmask_b32_e64 v4, v52, v12, s[0:1]
	v_cndmask_b32_e64 v12, v53, v13, s[0:1]
	v_lshlrev_b32_e32 v13, 30, v51
	v_xor_b32_e32 v5, v13, v5
	v_and_b32_e32 v5, 0x80000000, v5
	v_xor_b32_e32 v5, v12, v5
	v_cndmask_b32_e32 v10, 0, v10, vcc
	v_cndmask_b32_e32 v11, v57, v11, vcc
	;; [unrolled: 1-line block ×4, first 2 shown]
	v_mul_f64 v[10:11], v[2:3], v[10:11]
	v_mul_f64 v[12:13], v[2:3], v[4:5]
                                        ; implicit-def: $vgpr4_vgpr5
.LBB132_149:                            ;   in Loop: Header=BB132_4 Depth=1
	s_andn2_saveexec_b64 s[88:89], s[2:3]
	s_cbranch_execz .LBB132_159
; %bb.150:                              ;   in Loop: Header=BB132_4 Depth=1
	v_cmp_nlt_f64_e64 s[2:3], |v[4:5]|, s[20:21]
                                        ; implicit-def: $vgpr50
                                        ; implicit-def: $vgpr10_vgpr11
                                        ; implicit-def: $vgpr12_vgpr13
	s_and_saveexec_b64 s[0:1], s[2:3]
	s_xor_b64 s[90:91], exec, s[0:1]
	s_cbranch_execz .LBB132_152
; %bb.151:                              ;   in Loop: Header=BB132_4 Depth=1
	v_and_b32_e32 v23, 0x7fffffff, v5
	v_ldexp_f64 v[46:47], |v[4:5]|, s16
	v_cmp_ge_f64_e64 vcc, |v[4:5]|, s[22:23]
	v_trig_preop_f64 v[10:11], |v[4:5]|, 0
	v_cndmask_b32_e32 v47, v23, v47, vcc
	v_cndmask_b32_e32 v46, v4, v46, vcc
	v_trig_preop_f64 v[12:13], |v[4:5]|, 1
	v_mul_f64 v[50:51], v[10:11], v[46:47]
	v_mul_f64 v[48:49], v[12:13], v[46:47]
	v_fma_f64 v[10:11], v[10:11], v[46:47], -v[50:51]
	v_add_f64 v[52:53], v[48:49], v[10:11]
	v_add_f64 v[54:55], v[50:51], v[52:53]
	v_ldexp_f64 v[58:59], v[54:55], -2
	v_fract_f64_e32 v[60:61], v[58:59]
	v_cmp_neq_f64_e64 vcc, |v[58:59]|, s[24:25]
	v_cndmask_b32_e32 v59, 0, v61, vcc
	v_cndmask_b32_e32 v58, 0, v60, vcc
	v_add_f64 v[60:61], v[52:53], -v[48:49]
	v_add_f64 v[10:11], v[10:11], -v[60:61]
	;; [unrolled: 1-line block ×4, first 2 shown]
	v_fma_f64 v[12:13], v[12:13], v[46:47], -v[48:49]
	v_trig_preop_f64 v[48:49], |v[4:5]|, 2
	v_add_f64 v[10:11], v[10:11], v[60:61]
	v_mul_f64 v[60:61], v[48:49], v[46:47]
	v_add_f64 v[62:63], v[60:61], v[12:13]
	v_add_f64 v[64:65], v[62:63], v[10:11]
	v_add_f64 v[50:51], v[54:55], -v[50:51]
	v_add_f64 v[54:55], v[64:65], -v[62:63]
	;; [unrolled: 1-line block ×5, first 2 shown]
	v_add_f64 v[10:11], v[10:11], v[54:55]
	v_add_f64 v[54:55], v[62:63], -v[60:61]
	v_add_f64 v[12:13], v[12:13], -v[54:55]
	;; [unrolled: 1-line block ×4, first 2 shown]
	v_add_f64 v[12:13], v[12:13], v[54:55]
	v_add_f64 v[50:51], v[52:53], -v[50:51]
	v_add_f64 v[10:11], v[12:13], v[10:11]
	v_fma_f64 v[12:13], v[48:49], v[46:47], -v[60:61]
	v_add_f64 v[52:53], v[50:51], v[64:65]
	v_add_f64 v[10:11], v[12:13], v[10:11]
	v_ldexp_f64 v[12:13], v[58:59], 2
	v_add_f64 v[46:47], v[52:53], v[12:13]
	v_cmp_gt_f64_e32 vcc, 0, v[46:47]
	v_cndmask_b32_e32 v23, 0, v1, vcc
	v_add_f64 v[12:13], v[12:13], v[22:23]
	v_add_f64 v[46:47], v[52:53], v[12:13]
	v_cvt_i32_f64_e32 v23, v[46:47]
	v_cvt_f64_i32_e32 v[46:47], v23
	v_add_f64 v[12:13], v[12:13], -v[46:47]
	v_add_f64 v[50:51], v[52:53], -v[50:51]
	v_add_f64 v[46:47], v[52:53], v[12:13]
	v_add_f64 v[50:51], v[64:65], -v[50:51]
	v_add_f64 v[12:13], v[46:47], -v[12:13]
	v_cmp_le_f64_e32 vcc, 0.5, v[46:47]
	v_add_f64 v[10:11], v[50:51], v[10:11]
	v_add_f64 v[12:13], v[52:53], -v[12:13]
	v_addc_co_u32_e64 v50, s[0:1], 0, v23, vcc
	v_cndmask_b32_e32 v23, 0, v27, vcc
	v_add_f64 v[10:11], v[10:11], v[12:13]
	v_add_f64 v[12:13], v[46:47], -v[22:23]
	v_add_f64 v[46:47], v[12:13], v[10:11]
	v_add_f64 v[12:13], v[46:47], -v[12:13]
	s_mov_b32 s26, s28
	v_add_f64 v[10:11], v[10:11], -v[12:13]
	v_mul_f64 v[12:13], v[46:47], s[26:27]
	v_fma_f64 v[48:49], v[46:47], s[26:27], -v[12:13]
	s_mov_b32 s35, s31
	v_fmac_f64_e32 v[48:49], s[34:35], v[46:47]
	v_fmac_f64_e32 v[48:49], s[26:27], v[10:11]
	v_add_f64 v[10:11], v[12:13], v[48:49]
	v_add_f64 v[12:13], v[10:11], -v[12:13]
	v_add_f64 v[12:13], v[48:49], -v[12:13]
	s_andn2_saveexec_b64 s[0:1], s[90:91]
	s_cbranch_execz .LBB132_154
	s_branch .LBB132_153
.LBB132_152:                            ;   in Loop: Header=BB132_4 Depth=1
	s_andn2_saveexec_b64 s[0:1], s[90:91]
	s_cbranch_execz .LBB132_154
.LBB132_153:                            ;   in Loop: Header=BB132_4 Depth=1
	v_mul_f64 v[10:11], |v[4:5]|, s[36:37]
	v_rndne_f64_e32 v[46:47], v[10:11]
	v_fma_f64 v[10:11], v[46:47], s[28:29], |v[4:5]|
	v_mul_f64 v[48:49], v[46:47], s[38:39]
	v_add_f64 v[52:53], v[10:11], v[48:49]
	v_fma_f64 v[12:13], s[38:39], v[46:47], v[10:11]
	s_mov_b32 s30, s38
	v_add_f64 v[10:11], v[10:11], -v[52:53]
	v_fma_f64 v[50:51], s[30:31], v[46:47], v[48:49]
	v_add_f64 v[10:11], v[10:11], v[48:49]
	v_add_f64 v[48:49], v[52:53], -v[12:13]
	v_add_f64 v[10:11], v[48:49], v[10:11]
	v_add_f64 v[48:49], v[10:11], -v[50:51]
	v_fmac_f64_e32 v[48:49], s[40:41], v[46:47]
	v_add_f64 v[10:11], v[12:13], v[48:49]
	v_add_f64 v[12:13], v[10:11], -v[12:13]
	v_add_f64 v[12:13], v[48:49], -v[12:13]
	v_cvt_i32_f64_e32 v50, v[46:47]
.LBB132_154:                            ;   in Loop: Header=BB132_4 Depth=1
	s_or_b64 exec, exec, s[0:1]
                                        ; implicit-def: $vgpr51
                                        ; implicit-def: $vgpr46_vgpr47
                                        ; implicit-def: $vgpr48_vgpr49
	s_and_saveexec_b64 s[0:1], s[2:3]
	s_xor_b64 s[2:3], exec, s[0:1]
	s_cbranch_execz .LBB132_156
; %bb.155:                              ;   in Loop: Header=BB132_4 Depth=1
	v_and_b32_e32 v23, 0x7fffffff, v5
	v_ldexp_f64 v[52:53], |v[4:5]|, s16
	v_cmp_ge_f64_e64 vcc, |v[4:5]|, s[22:23]
	v_trig_preop_f64 v[46:47], |v[4:5]|, 0
	v_cndmask_b32_e32 v53, v23, v53, vcc
	v_cndmask_b32_e32 v52, v4, v52, vcc
	v_trig_preop_f64 v[48:49], |v[4:5]|, 1
	v_mul_f64 v[58:59], v[46:47], v[52:53]
	v_mul_f64 v[54:55], v[48:49], v[52:53]
	v_fma_f64 v[46:47], v[46:47], v[52:53], -v[58:59]
	v_add_f64 v[60:61], v[54:55], v[46:47]
	v_add_f64 v[62:63], v[58:59], v[60:61]
	v_ldexp_f64 v[64:65], v[62:63], -2
	v_fract_f64_e32 v[66:67], v[64:65]
	v_cmp_neq_f64_e64 vcc, |v[64:65]|, s[24:25]
	v_cndmask_b32_e32 v65, 0, v67, vcc
	v_cndmask_b32_e32 v64, 0, v66, vcc
	v_add_f64 v[66:67], v[60:61], -v[54:55]
	v_add_f64 v[46:47], v[46:47], -v[66:67]
	;; [unrolled: 1-line block ×4, first 2 shown]
	v_fma_f64 v[48:49], v[48:49], v[52:53], -v[54:55]
	v_trig_preop_f64 v[54:55], |v[4:5]|, 2
	v_add_f64 v[46:47], v[46:47], v[66:67]
	v_mul_f64 v[66:67], v[54:55], v[52:53]
	v_add_f64 v[68:69], v[66:67], v[48:49]
	v_add_f64 v[70:71], v[68:69], v[46:47]
	v_add_f64 v[58:59], v[62:63], -v[58:59]
	v_add_f64 v[62:63], v[70:71], -v[68:69]
	;; [unrolled: 1-line block ×5, first 2 shown]
	v_add_f64 v[46:47], v[46:47], v[62:63]
	v_add_f64 v[62:63], v[68:69], -v[66:67]
	v_add_f64 v[48:49], v[48:49], -v[62:63]
	;; [unrolled: 1-line block ×4, first 2 shown]
	v_add_f64 v[48:49], v[48:49], v[62:63]
	v_add_f64 v[58:59], v[60:61], -v[58:59]
	v_add_f64 v[46:47], v[48:49], v[46:47]
	v_fma_f64 v[48:49], v[54:55], v[52:53], -v[66:67]
	v_add_f64 v[60:61], v[58:59], v[70:71]
	v_add_f64 v[46:47], v[48:49], v[46:47]
	v_ldexp_f64 v[48:49], v[64:65], 2
	v_add_f64 v[52:53], v[60:61], v[48:49]
	v_cmp_gt_f64_e32 vcc, 0, v[52:53]
	v_cndmask_b32_e32 v23, 0, v1, vcc
	v_add_f64 v[48:49], v[48:49], v[22:23]
	v_add_f64 v[52:53], v[60:61], v[48:49]
	v_cvt_i32_f64_e32 v23, v[52:53]
	v_cvt_f64_i32_e32 v[52:53], v23
	v_add_f64 v[48:49], v[48:49], -v[52:53]
	v_add_f64 v[58:59], v[60:61], -v[58:59]
	v_add_f64 v[52:53], v[60:61], v[48:49]
	v_add_f64 v[58:59], v[70:71], -v[58:59]
	v_add_f64 v[48:49], v[52:53], -v[48:49]
	v_cmp_le_f64_e32 vcc, 0.5, v[52:53]
	v_add_f64 v[46:47], v[58:59], v[46:47]
	v_add_f64 v[48:49], v[60:61], -v[48:49]
	v_addc_co_u32_e64 v51, s[0:1], 0, v23, vcc
	v_cndmask_b32_e32 v23, 0, v27, vcc
	v_add_f64 v[46:47], v[46:47], v[48:49]
	v_add_f64 v[48:49], v[52:53], -v[22:23]
	v_add_f64 v[52:53], v[48:49], v[46:47]
	v_add_f64 v[48:49], v[52:53], -v[48:49]
	s_mov_b32 s26, s28
	v_add_f64 v[46:47], v[46:47], -v[48:49]
	v_mul_f64 v[48:49], v[52:53], s[26:27]
	v_fma_f64 v[54:55], v[52:53], s[26:27], -v[48:49]
	s_mov_b32 s35, s31
	v_fmac_f64_e32 v[54:55], s[34:35], v[52:53]
	v_fmac_f64_e32 v[54:55], s[26:27], v[46:47]
	v_add_f64 v[46:47], v[48:49], v[54:55]
	v_add_f64 v[48:49], v[46:47], -v[48:49]
	v_add_f64 v[48:49], v[54:55], -v[48:49]
	s_andn2_saveexec_b64 s[0:1], s[2:3]
	s_cbranch_execnz .LBB132_157
	s_branch .LBB132_158
.LBB132_156:                            ;   in Loop: Header=BB132_4 Depth=1
	s_andn2_saveexec_b64 s[0:1], s[2:3]
	s_cbranch_execz .LBB132_158
.LBB132_157:                            ;   in Loop: Header=BB132_4 Depth=1
	v_mul_f64 v[46:47], |v[4:5]|, s[36:37]
	v_rndne_f64_e32 v[52:53], v[46:47]
	v_fma_f64 v[46:47], v[52:53], s[28:29], |v[4:5]|
	v_mul_f64 v[54:55], v[52:53], s[38:39]
	v_add_f64 v[60:61], v[46:47], v[54:55]
	v_fma_f64 v[48:49], s[38:39], v[52:53], v[46:47]
	s_mov_b32 s30, s38
	v_add_f64 v[46:47], v[46:47], -v[60:61]
	v_fma_f64 v[58:59], s[30:31], v[52:53], v[54:55]
	v_add_f64 v[46:47], v[46:47], v[54:55]
	v_add_f64 v[54:55], v[60:61], -v[48:49]
	v_add_f64 v[46:47], v[54:55], v[46:47]
	v_add_f64 v[54:55], v[46:47], -v[58:59]
	v_fmac_f64_e32 v[54:55], s[40:41], v[52:53]
	v_add_f64 v[46:47], v[48:49], v[54:55]
	v_add_f64 v[48:49], v[46:47], -v[48:49]
	v_add_f64 v[48:49], v[54:55], -v[48:49]
	v_cvt_i32_f64_e32 v51, v[52:53]
.LBB132_158:                            ;   in Loop: Header=BB132_4 Depth=1
	s_or_b64 exec, exec, s[0:1]
	v_mul_f64 v[52:53], v[10:11], v[10:11]
	v_pk_mov_b32 v[62:63], s[58:59], s[58:59] op_sel:[0,1]
	v_mul_f64 v[54:55], v[52:53], 0.5
	v_fma_f64 v[64:65], s[60:61], v[52:53], v[62:63]
	v_add_f64 v[58:59], -v[54:55], 1.0
	v_fma_f64 v[64:65], v[52:53], v[64:65], s[62:63]
	v_fma_f64 v[64:65], v[52:53], v[64:65], s[64:65]
	v_add_f64 v[66:67], -v[58:59], 1.0
	v_fma_f64 v[64:65], v[52:53], v[64:65], s[66:67]
	v_add_f64 v[54:55], v[66:67], -v[54:55]
	v_mul_f64 v[60:61], v[52:53], v[52:53]
	v_fma_f64 v[64:65], v[52:53], v[64:65], s[52:53]
	v_fma_f64 v[54:55], v[10:11], -v[12:13], v[54:55]
	v_fmac_f64_e32 v[54:55], v[60:61], v[64:65]
	v_pk_mov_b32 v[60:61], s[68:69], s[68:69] op_sel:[0,1]
	v_fma_f64 v[64:65], s[70:71], v[52:53], v[60:61]
	v_fma_f64 v[64:65], v[52:53], v[64:65], s[72:73]
	;; [unrolled: 1-line block ×3, first 2 shown]
	v_add_f64 v[54:55], v[58:59], v[54:55]
	v_mul_f64 v[58:59], v[10:11], -v[52:53]
	v_fma_f64 v[64:65], v[52:53], v[64:65], s[50:51]
	v_mul_f64 v[66:67], v[12:13], 0.5
	v_fmac_f64_e32 v[66:67], v[58:59], v[64:65]
	v_fma_f64 v[12:13], v[52:53], v[66:67], -v[12:13]
	s_mov_b32 s76, s52
	v_fmac_f64_e32 v[12:13], s[76:77], v[58:59]
	v_and_b32_e32 v23, 1, v50
	v_add_f64 v[10:11], v[10:11], -v[12:13]
	s_mov_b32 s0, 0x19ba0da4
	v_xor_b32_e32 v11, 0x80000000, v11
	v_cmp_eq_u32_e32 vcc, 0, v23
	v_lshlrev_b32_e32 v12, 30, v50
	s_mov_b32 s1, 0xc0937be3
	v_cndmask_b32_e32 v11, v11, v55, vcc
	v_and_b32_e32 v12, 0x80000000, v12
	v_add_f64 v[2:3], v[2:3], s[0:1]
	v_xor_b32_e32 v11, v11, v12
	v_mul_f64 v[12:13], v[2:3], s[42:43]
	v_rndne_f64_e32 v[12:13], v[12:13]
	v_fma_f64 v[52:53], s[44:45], v[12:13], v[2:3]
	v_cndmask_b32_e32 v10, v10, v54, vcc
	v_fmac_f64_e32 v[52:53], s[46:47], v[12:13]
	v_pk_mov_b32 v[54:55], v[28:29], v[28:29] op_sel:[0,1]
	v_fmac_f64_e32 v[54:55], s[48:49], v[52:53]
	v_pk_mov_b32 v[58:59], v[30:31], v[30:31] op_sel:[0,1]
	;; [unrolled: 2-line block ×9, first 2 shown]
	v_fmac_f64_e32 v[54:55], v[52:53], v[58:59]
	v_fma_f64 v[54:55], v[52:53], v[54:55], 1.0
	v_cmp_class_f64_e64 vcc, v[4:5], s17
	v_fma_f64 v[52:53], v[52:53], v[54:55], 1.0
	v_cvt_i32_f64_e32 v4, v[12:13]
	v_ldexp_f64 v[12:13], v[52:53], v4
	v_mul_f64 v[52:53], v[46:47], v[46:47]
	v_mul_f64 v[54:55], v[52:53], 0.5
	v_fmac_f64_e32 v[62:63], s[60:61], v[52:53]
	v_cmp_nlt_f64_e64 s[0:1], s[54:55], v[2:3]
	v_add_f64 v[58:59], -v[54:55], 1.0
	v_fma_f64 v[62:63], v[52:53], v[62:63], s[62:63]
	v_cndmask_b32_e64 v4, v56, v13, s[0:1]
	v_cmp_ngt_f64_e64 s[2:3], s[56:57], v[2:3]
	v_add_f64 v[64:65], -v[58:59], 1.0
	v_fma_f64 v[62:63], v[52:53], v[62:63], s[64:65]
	v_cndmask_b32_e64 v4, 0, v4, s[2:3]
	v_add_f64 v[54:55], v[64:65], -v[54:55]
	v_fma_f64 v[62:63], v[52:53], v[62:63], s[66:67]
	v_and_b32_e32 v3, 0xfffff, v4
	v_lshrrev_b32_e32 v4, 20, v4
	v_mul_f64 v[64:65], v[52:53], v[52:53]
	v_fma_f64 v[62:63], v[52:53], v[62:63], s[52:53]
	v_fma_f64 v[54:55], v[46:47], -v[48:49], v[54:55]
	s_and_b64 s[0:1], s[2:3], s[0:1]
	v_add_u32_e32 v4, 0xffffff09, v4
	v_fmac_f64_e32 v[54:55], v[64:65], v[62:63]
	v_fmac_f64_e32 v[60:61], s[70:71], v[52:53]
	v_cndmask_b32_e64 v2, 0, v12, s[0:1]
	v_lshrrev_b16_e32 v12, 15, v4
	v_add_f64 v[54:55], v[58:59], v[54:55]
	v_fma_f64 v[58:59], v[52:53], v[60:61], s[72:73]
	v_add_u16_e32 v12, v4, v12
	v_fma_f64 v[58:59], v[52:53], v[58:59], s[74:75]
	v_ashrrev_i16_e32 v12, 1, v12
	v_fma_f64 v[58:59], v[52:53], v[58:59], s[50:51]
	v_mul_f64 v[60:61], v[46:47], -v[52:53]
	v_mul_f64 v[62:63], v[48:49], 0.5
	v_bfe_i32 v12, v12, 0, 16
	v_fmac_f64_e32 v[62:63], v[60:61], v[58:59]
	v_sub_u32_e32 v4, v4, v12
	v_fma_f64 v[48:49], v[52:53], v[62:63], -v[48:49]
	v_lshl_add_u32 v13, v4, 20, v27
	v_fmac_f64_e32 v[48:49], s[76:77], v[60:61]
	v_and_b32_e32 v4, 1, v51
	v_add_f64 v[46:47], v[46:47], -v[48:49]
	v_cmp_eq_u32_e64 s[0:1], 0, v4
	v_cndmask_b32_e64 v4, v54, v46, s[0:1]
	v_cndmask_b32_e64 v46, v55, v47, s[0:1]
	v_lshlrev_b32_e32 v47, 30, v51
	v_xor_b32_e32 v5, v47, v5
	v_and_b32_e32 v5, 0x80000000, v5
	v_xor_b32_e32 v5, v46, v5
	v_cndmask_b32_e32 v10, 0, v10, vcc
	v_cndmask_b32_e32 v11, v57, v11, vcc
	v_or_b32_e32 v3, 0x7fe00000, v3
	v_cndmask_b32_e32 v4, 0, v4, vcc
	v_cndmask_b32_e32 v5, v57, v5, vcc
	v_mul_f64 v[10:11], v[2:3], v[10:11]
	v_lshl_add_u32 v23, v12, 20, v27
	v_mul_f64 v[2:3], v[2:3], v[4:5]
	v_mul_f64 v[10:11], v[10:11], v[22:23]
	v_mov_b32_e32 v12, v22
	v_mul_f64 v[2:3], v[2:3], v[22:23]
	v_mul_f64 v[10:11], v[10:11], v[12:13]
	;; [unrolled: 1-line block ×3, first 2 shown]
.LBB132_159:                            ;   in Loop: Header=BB132_4 Depth=1
	s_or_b64 exec, exec, s[88:89]
                                        ; implicit-def: $vgpr2_vgpr3
                                        ; implicit-def: $vgpr23
.LBB132_160:                            ;   in Loop: Header=BB132_4 Depth=1
	s_andn2_saveexec_b64 s[2:3], s[86:87]
	s_cbranch_execz .LBB132_166
; %bb.161:                              ;   in Loop: Header=BB132_4 Depth=1
	v_cmp_ne_u32_e32 vcc, 0, v2
	v_cmp_ne_u32_e64 s[0:1], s78, v23
	s_or_b64 s[0:1], vcc, s[0:1]
	v_add_f64 v[12:13], v[4:5], -v[4:5]
	s_and_saveexec_b64 s[86:87], s[0:1]
	s_xor_b64 s[0:1], exec, s[86:87]
; %bb.162:                              ;   in Loop: Header=BB132_4 Depth=1
                                        ; implicit-def: $vgpr2_vgpr3
; %bb.163:                              ;   in Loop: Header=BB132_4 Depth=1
	s_or_saveexec_b64 s[0:1], s[0:1]
	v_pk_mov_b32 v[10:11], v[12:13], v[12:13] op_sel:[0,1]
	s_xor_b64 exec, exec, s[0:1]
; %bb.164:                              ;   in Loop: Header=BB132_4 Depth=1
	v_cmp_lt_i64_e32 vcc, -1, v[2:3]
	v_cndmask_b32_e32 v11, 0, v3, vcc
	v_cndmask_b32_e32 v10, 0, v2, vcc
	;; [unrolled: 1-line block ×4, first 2 shown]
; %bb.165:                              ;   in Loop: Header=BB132_4 Depth=1
	s_or_b64 exec, exec, s[0:1]
.LBB132_166:                            ;   in Loop: Header=BB132_4 Depth=1
	s_or_b64 exec, exec, s[2:3]
                                        ; implicit-def: $vgpr4_vgpr5
.LBB132_167:                            ;   in Loop: Header=BB132_4 Depth=1
	s_andn2_saveexec_b64 s[2:3], s[84:85]
	s_cbranch_execz .LBB132_177
; %bb.168:                              ;   in Loop: Header=BB132_4 Depth=1
	v_cmp_nlt_f64_e64 s[84:85], |v[4:5]|, s[20:21]
	v_trig_preop_f64 v[48:49], |v[4:5]|, 0
	v_trig_preop_f64 v[46:47], |v[4:5]|, 1
	v_ldexp_f64 v[50:51], |v[4:5]|, s16
	v_trig_preop_f64 v[12:13], |v[4:5]|, 2
	v_and_b32_e32 v59, 0x7fffffff, v5
                                        ; implicit-def: $vgpr58
                                        ; implicit-def: $vgpr2_vgpr3
                                        ; implicit-def: $vgpr10_vgpr11
	s_and_saveexec_b64 s[0:1], s[84:85]
	s_xor_b64 s[86:87], exec, s[0:1]
	s_cbranch_execz .LBB132_170
; %bb.169:                              ;   in Loop: Header=BB132_4 Depth=1
	v_cmp_ge_f64_e64 vcc, |v[4:5]|, s[22:23]
	v_cndmask_b32_e32 v3, v59, v51, vcc
	v_cndmask_b32_e32 v2, v4, v50, vcc
	v_mul_f64 v[52:53], v[48:49], v[2:3]
	v_mul_f64 v[10:11], v[46:47], v[2:3]
	v_fma_f64 v[54:55], v[48:49], v[2:3], -v[52:53]
	v_add_f64 v[60:61], v[10:11], v[54:55]
	v_add_f64 v[62:63], v[52:53], v[60:61]
	v_ldexp_f64 v[64:65], v[62:63], -2
	v_fract_f64_e32 v[66:67], v[64:65]
	v_cmp_neq_f64_e64 vcc, |v[64:65]|, s[24:25]
	v_cndmask_b32_e32 v65, 0, v67, vcc
	v_cndmask_b32_e32 v64, 0, v66, vcc
	v_add_f64 v[66:67], v[60:61], -v[10:11]
	v_add_f64 v[54:55], v[54:55], -v[66:67]
	;; [unrolled: 1-line block ×4, first 2 shown]
	v_add_f64 v[54:55], v[54:55], v[66:67]
	v_fma_f64 v[10:11], v[46:47], v[2:3], -v[10:11]
	v_mul_f64 v[66:67], v[12:13], v[2:3]
	v_add_f64 v[68:69], v[66:67], v[10:11]
	v_add_f64 v[70:71], v[68:69], v[54:55]
	v_add_f64 v[52:53], v[62:63], -v[52:53]
	v_add_f64 v[62:63], v[70:71], -v[68:69]
	;; [unrolled: 1-line block ×5, first 2 shown]
	v_add_f64 v[54:55], v[54:55], v[62:63]
	v_add_f64 v[62:63], v[68:69], -v[66:67]
	v_add_f64 v[10:11], v[10:11], -v[62:63]
	;; [unrolled: 1-line block ×5, first 2 shown]
	v_add_f64 v[60:61], v[52:53], v[70:71]
	v_add_f64 v[10:11], v[10:11], v[62:63]
	v_add_f64 v[52:53], v[60:61], -v[52:53]
	v_add_f64 v[10:11], v[10:11], v[54:55]
	v_fma_f64 v[2:3], v[12:13], v[2:3], -v[66:67]
	v_add_f64 v[52:53], v[70:71], -v[52:53]
	v_add_f64 v[2:3], v[2:3], v[10:11]
	v_ldexp_f64 v[10:11], v[64:65], 2
	v_add_f64 v[2:3], v[52:53], v[2:3]
	v_add_f64 v[52:53], v[60:61], v[10:11]
	v_cmp_gt_f64_e32 vcc, 0, v[52:53]
	v_cndmask_b32_e32 v23, 0, v1, vcc
	v_add_f64 v[10:11], v[10:11], v[22:23]
	v_add_f64 v[52:53], v[60:61], v[10:11]
	v_cvt_i32_f64_e32 v23, v[52:53]
	v_cvt_f64_i32_e32 v[52:53], v23
	v_add_f64 v[10:11], v[10:11], -v[52:53]
	v_add_f64 v[52:53], v[60:61], v[10:11]
	v_add_f64 v[10:11], v[52:53], -v[10:11]
	v_cmp_le_f64_e32 vcc, 0.5, v[52:53]
	v_add_f64 v[10:11], v[60:61], -v[10:11]
	v_addc_co_u32_e64 v58, s[0:1], 0, v23, vcc
	v_cndmask_b32_e32 v23, 0, v27, vcc
	v_add_f64 v[2:3], v[2:3], v[10:11]
	v_add_f64 v[10:11], v[52:53], -v[22:23]
	v_add_f64 v[52:53], v[10:11], v[2:3]
	v_add_f64 v[10:11], v[52:53], -v[10:11]
	s_mov_b32 s26, s28
	v_add_f64 v[2:3], v[2:3], -v[10:11]
	v_mul_f64 v[10:11], v[52:53], s[26:27]
	v_fma_f64 v[54:55], v[52:53], s[26:27], -v[10:11]
	s_mov_b32 s35, s31
	v_fmac_f64_e32 v[54:55], s[34:35], v[52:53]
	v_fmac_f64_e32 v[54:55], s[26:27], v[2:3]
	v_add_f64 v[2:3], v[10:11], v[54:55]
	v_add_f64 v[10:11], v[2:3], -v[10:11]
	v_add_f64 v[10:11], v[54:55], -v[10:11]
	s_andn2_saveexec_b64 s[0:1], s[86:87]
	s_cbranch_execz .LBB132_172
	s_branch .LBB132_171
.LBB132_170:                            ;   in Loop: Header=BB132_4 Depth=1
	s_andn2_saveexec_b64 s[0:1], s[86:87]
	s_cbranch_execz .LBB132_172
.LBB132_171:                            ;   in Loop: Header=BB132_4 Depth=1
	v_mul_f64 v[2:3], |v[4:5]|, s[36:37]
	v_rndne_f64_e32 v[52:53], v[2:3]
	v_fma_f64 v[2:3], v[52:53], s[28:29], |v[4:5]|
	v_mul_f64 v[54:55], v[52:53], s[38:39]
	v_add_f64 v[62:63], v[2:3], v[54:55]
	v_fma_f64 v[10:11], s[38:39], v[52:53], v[2:3]
	s_mov_b32 s30, s38
	v_add_f64 v[2:3], v[2:3], -v[62:63]
	v_fma_f64 v[60:61], s[30:31], v[52:53], v[54:55]
	v_add_f64 v[2:3], v[2:3], v[54:55]
	v_add_f64 v[54:55], v[62:63], -v[10:11]
	v_add_f64 v[2:3], v[54:55], v[2:3]
	v_add_f64 v[54:55], v[2:3], -v[60:61]
	v_fmac_f64_e32 v[54:55], s[40:41], v[52:53]
	v_add_f64 v[2:3], v[10:11], v[54:55]
	v_add_f64 v[10:11], v[2:3], -v[10:11]
	v_add_f64 v[10:11], v[54:55], -v[10:11]
	v_cvt_i32_f64_e32 v58, v[52:53]
.LBB132_172:                            ;   in Loop: Header=BB132_4 Depth=1
	s_or_b64 exec, exec, s[0:1]
                                        ; implicit-def: $vgpr60
                                        ; implicit-def: $vgpr52_vgpr53
                                        ; implicit-def: $vgpr54_vgpr55
	s_and_saveexec_b64 s[0:1], s[84:85]
	s_xor_b64 s[84:85], exec, s[0:1]
	s_cbranch_execz .LBB132_174
; %bb.173:                              ;   in Loop: Header=BB132_4 Depth=1
	v_cmp_ge_f64_e64 vcc, |v[4:5]|, s[22:23]
	v_cndmask_b32_e32 v51, v59, v51, vcc
	v_cndmask_b32_e32 v50, v4, v50, vcc
	v_mul_f64 v[54:55], v[48:49], v[50:51]
	v_mul_f64 v[52:53], v[46:47], v[50:51]
	v_fma_f64 v[48:49], v[48:49], v[50:51], -v[54:55]
	v_add_f64 v[60:61], v[52:53], v[48:49]
	v_add_f64 v[62:63], v[54:55], v[60:61]
	v_ldexp_f64 v[64:65], v[62:63], -2
	v_fract_f64_e32 v[66:67], v[64:65]
	v_cmp_neq_f64_e64 vcc, |v[64:65]|, s[24:25]
	v_cndmask_b32_e32 v65, 0, v67, vcc
	v_cndmask_b32_e32 v64, 0, v66, vcc
	v_add_f64 v[66:67], v[60:61], -v[52:53]
	v_add_f64 v[48:49], v[48:49], -v[66:67]
	;; [unrolled: 1-line block ×4, first 2 shown]
	v_fma_f64 v[46:47], v[46:47], v[50:51], -v[52:53]
	v_mul_f64 v[52:53], v[12:13], v[50:51]
	v_add_f64 v[48:49], v[48:49], v[66:67]
	v_add_f64 v[66:67], v[52:53], v[46:47]
	;; [unrolled: 1-line block ×3, first 2 shown]
	v_add_f64 v[54:55], v[62:63], -v[54:55]
	v_add_f64 v[62:63], v[68:69], -v[66:67]
	;; [unrolled: 1-line block ×5, first 2 shown]
	v_add_f64 v[48:49], v[48:49], v[62:63]
	v_add_f64 v[62:63], v[66:67], -v[52:53]
	v_add_f64 v[46:47], v[46:47], -v[62:63]
	;; [unrolled: 1-line block ×4, first 2 shown]
	v_add_f64 v[46:47], v[46:47], v[62:63]
	v_add_f64 v[54:55], v[60:61], -v[54:55]
	v_add_f64 v[46:47], v[46:47], v[48:49]
	v_fma_f64 v[12:13], v[12:13], v[50:51], -v[52:53]
	v_add_f64 v[60:61], v[54:55], v[68:69]
	v_add_f64 v[12:13], v[12:13], v[46:47]
	v_ldexp_f64 v[46:47], v[64:65], 2
	v_add_f64 v[48:49], v[60:61], v[46:47]
	v_cmp_gt_f64_e32 vcc, 0, v[48:49]
	v_cndmask_b32_e32 v23, 0, v1, vcc
	v_add_f64 v[46:47], v[46:47], v[22:23]
	v_add_f64 v[48:49], v[60:61], v[46:47]
	v_cvt_i32_f64_e32 v23, v[48:49]
	v_cvt_f64_i32_e32 v[48:49], v23
	v_add_f64 v[46:47], v[46:47], -v[48:49]
	v_add_f64 v[54:55], v[60:61], -v[54:55]
	v_add_f64 v[48:49], v[60:61], v[46:47]
	v_add_f64 v[54:55], v[68:69], -v[54:55]
	v_add_f64 v[46:47], v[48:49], -v[46:47]
	v_cmp_le_f64_e32 vcc, 0.5, v[48:49]
	v_add_f64 v[12:13], v[54:55], v[12:13]
	v_add_f64 v[46:47], v[60:61], -v[46:47]
	v_addc_co_u32_e64 v60, s[0:1], 0, v23, vcc
	v_cndmask_b32_e32 v23, 0, v27, vcc
	v_add_f64 v[12:13], v[12:13], v[46:47]
	v_add_f64 v[46:47], v[48:49], -v[22:23]
	v_add_f64 v[48:49], v[46:47], v[12:13]
	v_add_f64 v[46:47], v[48:49], -v[46:47]
	s_mov_b32 s26, s28
	v_add_f64 v[12:13], v[12:13], -v[46:47]
	v_mul_f64 v[46:47], v[48:49], s[26:27]
	v_fma_f64 v[50:51], v[48:49], s[26:27], -v[46:47]
	s_mov_b32 s35, s31
	v_fmac_f64_e32 v[50:51], s[34:35], v[48:49]
	v_fmac_f64_e32 v[50:51], s[26:27], v[12:13]
	v_add_f64 v[52:53], v[46:47], v[50:51]
	v_add_f64 v[12:13], v[52:53], -v[46:47]
	v_add_f64 v[54:55], v[50:51], -v[12:13]
	s_andn2_saveexec_b64 s[0:1], s[84:85]
	s_cbranch_execnz .LBB132_175
	s_branch .LBB132_176
.LBB132_174:                            ;   in Loop: Header=BB132_4 Depth=1
	s_andn2_saveexec_b64 s[0:1], s[84:85]
	s_cbranch_execz .LBB132_176
.LBB132_175:                            ;   in Loop: Header=BB132_4 Depth=1
	v_mul_f64 v[12:13], |v[4:5]|, s[36:37]
	v_rndne_f64_e32 v[12:13], v[12:13]
	v_fma_f64 v[46:47], v[12:13], s[28:29], |v[4:5]|
	v_mul_f64 v[50:51], v[12:13], s[38:39]
	v_add_f64 v[54:55], v[46:47], v[50:51]
	v_fma_f64 v[48:49], s[38:39], v[12:13], v[46:47]
	s_mov_b32 s30, s38
	v_add_f64 v[46:47], v[46:47], -v[54:55]
	v_fma_f64 v[52:53], s[30:31], v[12:13], v[50:51]
	v_add_f64 v[46:47], v[46:47], v[50:51]
	v_add_f64 v[50:51], v[54:55], -v[48:49]
	v_add_f64 v[46:47], v[50:51], v[46:47]
	v_add_f64 v[46:47], v[46:47], -v[52:53]
	v_fmac_f64_e32 v[46:47], s[40:41], v[12:13]
	v_add_f64 v[52:53], v[48:49], v[46:47]
	v_add_f64 v[48:49], v[52:53], -v[48:49]
	v_add_f64 v[54:55], v[46:47], -v[48:49]
	v_cvt_i32_f64_e32 v60, v[12:13]
.LBB132_176:                            ;   in Loop: Header=BB132_4 Depth=1
	s_or_b64 exec, exec, s[0:1]
	v_mul_f64 v[12:13], v[2:3], v[2:3]
	v_pk_mov_b32 v[62:63], s[58:59], s[58:59] op_sel:[0,1]
	v_mul_f64 v[46:47], v[12:13], 0.5
	v_fma_f64 v[64:65], s[60:61], v[12:13], v[62:63]
	v_add_f64 v[48:49], -v[46:47], 1.0
	v_fma_f64 v[64:65], v[12:13], v[64:65], s[62:63]
	v_add_f64 v[50:51], -v[48:49], 1.0
	v_fma_f64 v[64:65], v[12:13], v[64:65], s[64:65]
	v_add_f64 v[46:47], v[50:51], -v[46:47]
	v_fma_f64 v[64:65], v[12:13], v[64:65], s[66:67]
	v_mul_f64 v[50:51], v[12:13], v[12:13]
	v_fma_f64 v[64:65], v[12:13], v[64:65], s[52:53]
	v_fma_f64 v[46:47], v[2:3], -v[10:11], v[46:47]
	v_fmac_f64_e32 v[46:47], v[50:51], v[64:65]
	v_add_f64 v[46:47], v[48:49], v[46:47]
	v_pk_mov_b32 v[48:49], s[68:69], s[68:69] op_sel:[0,1]
	v_fma_f64 v[50:51], s[70:71], v[12:13], v[48:49]
	v_fma_f64 v[50:51], v[12:13], v[50:51], s[72:73]
	;; [unrolled: 1-line block ×4, first 2 shown]
	v_mul_f64 v[64:65], v[2:3], -v[12:13]
	v_mul_f64 v[66:67], v[10:11], 0.5
	v_fmac_f64_e32 v[66:67], v[64:65], v[50:51]
	v_fma_f64 v[10:11], v[12:13], v[66:67], -v[10:11]
	s_mov_b32 s76, s52
	v_fmac_f64_e32 v[10:11], s[76:77], v[64:65]
	v_add_f64 v[2:3], v[2:3], -v[10:11]
	v_and_b32_e32 v10, 1, v58
	v_xor_b32_e32 v3, 0x80000000, v3
	v_cmp_eq_u32_e32 vcc, 0, v10
	v_lshlrev_b32_e32 v10, 30, v58
	v_cndmask_b32_e32 v3, v3, v47, vcc
	v_and_b32_e32 v10, 0x80000000, v10
	v_cndmask_b32_e32 v2, v2, v46, vcc
	v_xor_b32_e32 v3, v3, v10
	v_cmp_class_f64_e64 vcc, v[4:5], s17
	v_cndmask_b32_e32 v10, 0, v2, vcc
	v_cndmask_b32_e32 v11, v57, v3, vcc
	v_mul_f64 v[2:3], v[52:53], v[52:53]
	v_mul_f64 v[12:13], v[2:3], 0.5
	v_fmac_f64_e32 v[62:63], s[60:61], v[2:3]
	v_add_f64 v[46:47], -v[12:13], 1.0
	v_fma_f64 v[58:59], v[2:3], v[62:63], s[62:63]
	v_add_f64 v[50:51], -v[46:47], 1.0
	v_fma_f64 v[58:59], v[2:3], v[58:59], s[64:65]
	v_add_f64 v[12:13], v[50:51], -v[12:13]
	v_fma_f64 v[58:59], v[2:3], v[58:59], s[66:67]
	v_mul_f64 v[50:51], v[2:3], v[2:3]
	v_fma_f64 v[58:59], v[2:3], v[58:59], s[52:53]
	v_fma_f64 v[12:13], v[52:53], -v[54:55], v[12:13]
	v_fmac_f64_e32 v[12:13], v[50:51], v[58:59]
	v_fmac_f64_e32 v[48:49], s[70:71], v[2:3]
	v_add_f64 v[12:13], v[46:47], v[12:13]
	v_fma_f64 v[46:47], v[2:3], v[48:49], s[72:73]
	v_fma_f64 v[46:47], v[2:3], v[46:47], s[74:75]
	;; [unrolled: 1-line block ×3, first 2 shown]
	v_mul_f64 v[48:49], v[52:53], -v[2:3]
	v_mul_f64 v[50:51], v[54:55], 0.5
	v_fmac_f64_e32 v[50:51], v[48:49], v[46:47]
	v_fma_f64 v[2:3], v[2:3], v[50:51], -v[54:55]
	v_and_b32_e32 v4, 1, v60
	v_fmac_f64_e32 v[2:3], s[76:77], v[48:49]
	v_cmp_eq_u32_e64 s[0:1], 0, v4
	v_lshlrev_b32_e32 v4, 30, v60
	v_add_f64 v[2:3], v[52:53], -v[2:3]
	v_xor_b32_e32 v4, v4, v5
	v_cndmask_b32_e64 v3, v13, v3, s[0:1]
	v_and_b32_e32 v4, 0x80000000, v4
	v_cndmask_b32_e64 v2, v12, v2, s[0:1]
	v_xor_b32_e32 v3, v3, v4
	v_cndmask_b32_e32 v12, 0, v2, vcc
	v_cndmask_b32_e32 v13, v57, v3, vcc
.LBB132_177:                            ;   in Loop: Header=BB132_4 Depth=1
	s_or_b64 exec, exec, s[2:3]
                                        ; implicit-def: $vgpr2_vgpr3
.LBB132_178:                            ;   in Loop: Header=BB132_4 Depth=1
	s_andn2_saveexec_b64 s[2:3], s[82:83]
	s_cbranch_execz .LBB132_3
; %bb.179:                              ;   in Loop: Header=BB132_4 Depth=1
	v_mul_f64 v[10:11], v[2:3], s[42:43]
	v_rndne_f64_e32 v[10:11], v[10:11]
	v_fma_f64 v[12:13], s[44:45], v[10:11], v[2:3]
	v_fmac_f64_e32 v[12:13], s[46:47], v[10:11]
	v_pk_mov_b32 v[46:47], v[28:29], v[28:29] op_sel:[0,1]
	v_fmac_f64_e32 v[46:47], s[48:49], v[12:13]
	v_pk_mov_b32 v[48:49], v[30:31], v[30:31] op_sel:[0,1]
	v_fmac_f64_e32 v[48:49], v[12:13], v[46:47]
	v_pk_mov_b32 v[46:47], v[32:33], v[32:33] op_sel:[0,1]
	v_fmac_f64_e32 v[46:47], v[12:13], v[48:49]
	v_pk_mov_b32 v[48:49], v[34:35], v[34:35] op_sel:[0,1]
	v_fmac_f64_e32 v[48:49], v[12:13], v[46:47]
	v_pk_mov_b32 v[46:47], v[36:37], v[36:37] op_sel:[0,1]
	v_fmac_f64_e32 v[46:47], v[12:13], v[48:49]
	v_pk_mov_b32 v[48:49], v[38:39], v[38:39] op_sel:[0,1]
	v_fmac_f64_e32 v[48:49], v[12:13], v[46:47]
	v_pk_mov_b32 v[46:47], v[40:41], v[40:41] op_sel:[0,1]
	v_fmac_f64_e32 v[46:47], v[12:13], v[48:49]
	v_pk_mov_b32 v[48:49], v[42:43], v[42:43] op_sel:[0,1]
	v_fmac_f64_e32 v[48:49], v[12:13], v[46:47]
	v_pk_mov_b32 v[46:47], v[44:45], v[44:45] op_sel:[0,1]
	v_fmac_f64_e32 v[46:47], v[12:13], v[48:49]
	v_fma_f64 v[46:47], v[12:13], v[46:47], 1.0
	v_fma_f64 v[12:13], v[12:13], v[46:47], 1.0
	v_cvt_i32_f64_e32 v10, v[10:11]
	v_ldexp_f64 v[10:11], v[12:13], v10
	v_cmp_nlt_f64_e32 vcc, s[54:55], v[2:3]
	v_cmp_ngt_f64_e64 s[0:1], s[56:57], v[2:3]
	v_cndmask_b32_e32 v11, v56, v11, vcc
	s_and_b64 vcc, s[0:1], vcc
	v_cndmask_b32_e64 v11, 0, v11, s[0:1]
	v_cndmask_b32_e32 v10, 0, v10, vcc
	v_pk_mov_b32 v[12:13], v[4:5], v[4:5] op_sel:[0,1]
	s_branch .LBB132_3
.LBB132_180:
	v_readlane_b32 s0, v86, 0
	v_readlane_b32 s1, v86, 1
	s_or_b64 exec, exec, s[0:1]
	s_mov_b64 s[0:1], 0
.LBB132_181:
	s_andn2_b64 vcc, exec, s[0:1]
	s_cbranch_vccnz .LBB132_377
; %bb.182:
	v_cmp_lt_i64_e64 s[0:1], s[14:15], 1
	s_and_b64 vcc, exec, s[0:1]
	s_cbranch_vccnz .LBB132_377
; %bb.183:
	s_load_dword s0, s[4:5], 0xc5c
	v_mov_b32_e32 v2, 0x10000
	v_mov_b32_e32 v3, 0
	v_cmp_lt_u64_e32 vcc, s[14:15], v[2:3]
	v_lshl_or_b32 v2, v0, 4, 8
	s_waitcnt lgkmcnt(0)
	s_and_b32 s92, s0, 0xffff
	s_and_b64 s[0:1], vcc, exec
	v_mov_b32_e32 v6, s9
	v_add_co_u32_e32 v24, vcc, s8, v2
	v_addc_co_u32_e32 v25, vcc, 0, v6, vcc
	v_mov_b32_e32 v7, s7
	v_add_co_u32_e32 v26, vcc, s6, v2
	v_mov_b32_e32 v22, 0
	v_addc_co_u32_e32 v27, vcc, 0, v7, vcc
	v_add_lshl_u32 v8, v0, s92, 4
	v_mov_b32_e32 v3, v22
	v_add_co_u32_e32 v28, vcc, s6, v8
	v_addc_co_u32_e32 v29, vcc, 0, v7, vcc
	v_mad_u64_u32 v[4:5], s[0:1], s92, 48, v[2:3]
	v_add_co_u32_e32 v30, vcc, s8, v4
	v_addc_co_u32_e32 v31, vcc, v6, v5, vcc
	v_add_co_u32_e32 v32, vcc, s8, v8
	v_addc_co_u32_e32 v33, vcc, 0, v6, vcc
	v_add_co_u32_e32 v34, vcc, s6, v4
	s_cselect_b32 s17, s15, 0
	s_cselect_b32 s16, s14, 0x10000
	v_addc_co_u32_e32 v35, vcc, v7, v5, vcc
	s_lshl_b32 s0, s92, 5
	v_add_co_u32_e32 v2, vcc, s0, v2
	v_addc_co_u32_e64 v3, s[0:1], 0, 0, vcc
	v_add_co_u32_e32 v36, vcc, s8, v2
	s_mov_b32 s21, 0
	v_addc_co_u32_e32 v37, vcc, v6, v3, vcc
	s_lshl_b32 s18, s92, 2
	s_mov_b32 s19, s21
	v_add_co_u32_e32 v38, vcc, s6, v2
	s_mov_b32 s22, 0
	s_mov_b32 s24, 0
	s_mov_b32 s28, 0x54442d18
	s_mov_b32 s36, 0x6dc9c883
	s_mov_b32 s38, 0x33145c00
	s_mov_b32 s40, 0x252049c0
	s_mov_b32 s42, 0x652b82fe
	s_mov_b32 s44, 0xfefa39ef
	s_mov_b32 s46, 0x3b39803f
	s_mov_b32 s48, 0x6a5dcb37
	s_mov_b32 s50, 0x11110bb3
	s_mov_b32 s52, 0x55555555
	s_mov_b32 s54, 0
	s_mov_b32 s56, 0
	s_mov_b32 s58, 0x9037ab78
	s_mov_b32 s60, 0x46cc5e42
	s_mov_b32 s62, 0xa17f65f6
	s_mov_b32 s64, 0x19f4ec90
	s_mov_b32 s66, 0x16c16967
	s_mov_b32 s68, 0xb42fdfa7
	s_mov_b32 s70, 0xf9a43bb8
	s_mov_b32 s72, 0x796cde01
	s_mov_b32 s74, 0x19e83e5c
	v_mov_b32_e32 v1, v22
	s_lshl_b32 s93, s92, 1
	s_mov_b32 s94, s21
	s_mov_b32 s33, s21
	s_lshl_b32 s79, s92, 6
	s_mov_b32 s78, s21
	v_addc_co_u32_e32 v39, vcc, v7, v3, vcc
	s_mov_b32 s23, 0x7b000000
	s_movk_i32 s95, 0xff80
	s_mov_b32 s25, 0x7ff00000
	s_mov_b32 s27, 0x3ff921fb
	;; [unrolled: 1-line block ×26, first 2 shown]
	s_movk_i32 s20, 0x1f8
	v_mov_b32_e32 v62, 0x40100000
	v_mov_b32_e32 v63, 0x3ff00000
	;; [unrolled: 1-line block ×22, first 2 shown]
	s_mov_b64 s[80:81], s[18:19]
	s_branch .LBB132_185
.LBB132_184:                            ;   in Loop: Header=BB132_185 Depth=1
	s_or_b64 exec, exec, s[0:1]
	v_pk_mov_b32 v[2:3], s[14:15], s[14:15] op_sel:[0,1]
	v_cmp_ge_i64_e32 vcc, s[80:81], v[2:3]
	v_mov_b32_e32 v2, 0xffff
	v_mov_b32_e32 v3, 0
	v_cmp_gt_u64_e64 s[0:1], s[80:81], v[2:3]
	s_or_b64 s[0:1], vcc, s[0:1]
	v_mov_b32_e32 v2, s19
	v_add_co_u32_e32 v0, vcc, s18, v0
	v_addc_co_u32_e32 v1, vcc, v1, v2, vcc
	v_mov_b32_e32 v2, s78
	v_add_co_u32_e32 v24, vcc, s79, v24
	v_addc_co_u32_e32 v25, vcc, v25, v2, vcc
	v_add_co_u32_e32 v26, vcc, s79, v26
	v_addc_co_u32_e32 v27, vcc, v27, v2, vcc
	;; [unrolled: 2-line block ×7, first 2 shown]
	v_add_co_u32_e32 v38, vcc, s79, v38
	s_add_u32 s80, s80, s18
	v_addc_co_u32_e32 v39, vcc, v39, v2, vcc
	s_addc_u32 s81, s81, 0
	s_and_b64 vcc, exec, s[0:1]
	s_cbranch_vccnz .LBB132_377
.LBB132_185:                            ; =>This Inner Loop Header: Depth=1
	v_pk_mov_b32 v[20:21], 0, 0
	v_cmp_gt_u64_e32 vcc, s[16:17], v[0:1]
	v_pk_mov_b32 v[16:17], v[20:21], v[20:21] op_sel:[0,1]
	v_pk_mov_b32 v[14:15], v[20:21], v[20:21] op_sel:[0,1]
	s_and_saveexec_b64 s[2:3], vcc
	s_cbranch_execz .LBB132_187
; %bb.186:                              ;   in Loop: Header=BB132_185 Depth=1
	v_mov_b32_e32 v3, s13
	v_add_co_u32_e64 v2, s[0:1], s12, v24
	v_addc_co_u32_e64 v3, s[0:1], v25, v3, s[0:1]
	global_load_dwordx4 v[14:17], v[2:3], off offset:-8
.LBB132_187:                            ;   in Loop: Header=BB132_185 Depth=1
	s_or_b64 exec, exec, s[2:3]
	v_mov_b32_e32 v3, s21
	v_add_co_u32_e64 v2, s[0:1], s92, v0
	v_addc_co_u32_e64 v3, s[0:1], v3, v1, s[0:1]
	v_cmp_gt_u64_e64 s[0:1], s[16:17], v[2:3]
	v_pk_mov_b32 v[18:19], v[20:21], v[20:21] op_sel:[0,1]
	s_and_saveexec_b64 s[4:5], s[0:1]
	s_cbranch_execz .LBB132_189
; %bb.188:                              ;   in Loop: Header=BB132_185 Depth=1
	v_mov_b32_e32 v3, s13
	v_add_co_u32_e64 v2, s[2:3], s12, v32
	v_addc_co_u32_e64 v3, s[2:3], v33, v3, s[2:3]
	global_load_dwordx4 v[18:21], v[2:3], off
.LBB132_189:                            ;   in Loop: Header=BB132_185 Depth=1
	s_or_b64 exec, exec, s[4:5]
	v_mov_b32_e32 v3, s94
	v_add_co_u32_e64 v2, s[2:3], s93, v0
	v_addc_co_u32_e64 v3, s[2:3], v3, v1, s[2:3]
	v_pk_mov_b32 v[4:5], 0, 0
	v_cmp_gt_u64_e64 s[2:3], s[16:17], v[2:3]
	v_pk_mov_b32 v[12:13], v[4:5], v[4:5] op_sel:[0,1]
	v_pk_mov_b32 v[10:11], v[4:5], v[4:5] op_sel:[0,1]
	s_and_saveexec_b64 s[6:7], s[2:3]
	s_cbranch_execz .LBB132_191
; %bb.190:                              ;   in Loop: Header=BB132_185 Depth=1
	v_mov_b32_e32 v3, s13
	v_add_co_u32_e64 v2, s[4:5], s12, v36
	v_addc_co_u32_e64 v3, s[4:5], v37, v3, s[4:5]
	global_load_dwordx4 v[10:13], v[2:3], off offset:-8
.LBB132_191:                            ;   in Loop: Header=BB132_185 Depth=1
	s_or_b64 exec, exec, s[6:7]
	s_mul_i32 s4, s92, 3
	v_mov_b32_e32 v3, s33
	v_add_co_u32_e64 v2, s[4:5], s4, v0
	v_addc_co_u32_e64 v3, s[4:5], v3, v1, s[4:5]
	v_cmp_gt_u64_e64 s[4:5], s[16:17], v[2:3]
	v_pk_mov_b32 v[2:3], v[4:5], v[4:5] op_sel:[0,1]
	s_and_saveexec_b64 s[8:9], s[4:5]
	s_cbranch_execz .LBB132_193
; %bb.192:                              ;   in Loop: Header=BB132_185 Depth=1
	v_mov_b32_e32 v3, s13
	v_add_co_u32_e64 v2, s[6:7], s12, v30
	v_addc_co_u32_e64 v3, s[6:7], v31, v3, s[6:7]
	global_load_dwordx4 v[2:5], v[2:3], off offset:-8
.LBB132_193:                            ;   in Loop: Header=BB132_185 Depth=1
	s_or_b64 exec, exec, s[8:9]
	s_waitcnt vmcnt(0)
	v_and_b32_e32 v66, 0x7fffffff, v17
	v_or_b32_e32 v6, v66, v16
	v_cmp_ne_u32_e64 s[6:7], 0, v6
                                        ; implicit-def: $vgpr8_vgpr9
	s_and_saveexec_b64 s[8:9], s[6:7]
	s_xor_b64 s[82:83], exec, s[8:9]
	s_cbranch_execz .LBB132_234
; %bb.194:                              ;   in Loop: Header=BB132_185 Depth=1
	v_and_b32_e32 v23, 0x7fffffff, v15
	v_or_b32_e32 v6, v23, v14
	v_cmp_ne_u32_e64 s[6:7], 0, v6
                                        ; implicit-def: $vgpr8_vgpr9
	s_and_saveexec_b64 s[8:9], s[6:7]
	s_xor_b64 s[84:85], exec, s[8:9]
	s_cbranch_execz .LBB132_223
; %bb.195:                              ;   in Loop: Header=BB132_185 Depth=1
	s_mov_b32 s6, 0x7ff00000
	v_cmp_gt_u32_e64 s[6:7], s6, v66
                                        ; implicit-def: $vgpr8_vgpr9
	s_and_saveexec_b64 s[8:9], s[6:7]
	s_xor_b64 s[86:87], exec, s[8:9]
	s_cbranch_execz .LBB132_216
; %bb.196:                              ;   in Loop: Header=BB132_185 Depth=1
	v_add_u32_e32 v6, 0xbf79d1be, v15
	s_mov_b32 s6, 0x108aa2
	v_cmp_lt_u32_e64 s[6:7], s6, v6
                                        ; implicit-def: $vgpr8_vgpr9
	s_and_saveexec_b64 s[8:9], s[6:7]
	s_xor_b64 s[10:11], exec, s[8:9]
	s_cbranch_execz .LBB132_206
; %bb.197:                              ;   in Loop: Header=BB132_185 Depth=1
	s_mov_b32 s6, 0
	s_mov_b32 s7, 0x41d00000
	v_cmp_nlt_f64_e64 s[88:89], |v[16:17]|, s[6:7]
                                        ; implicit-def: $vgpr67
                                        ; implicit-def: $vgpr6_vgpr7
                                        ; implicit-def: $vgpr8_vgpr9
	s_and_saveexec_b64 s[6:7], s[88:89]
	s_xor_b64 s[90:91], exec, s[6:7]
	s_cbranch_execz .LBB132_199
; %bb.198:                              ;   in Loop: Header=BB132_185 Depth=1
	v_ldexp_f64 v[58:59], |v[16:17]|, s95
	v_cmp_ge_f64_e64 s[6:7], |v[16:17]|, s[22:23]
	v_trig_preop_f64 v[6:7], |v[16:17]|, 0
	v_cndmask_b32_e64 v59, v66, v59, s[6:7]
	v_cndmask_b32_e64 v58, v16, v58, s[6:7]
	v_trig_preop_f64 v[8:9], |v[16:17]|, 1
	v_mul_f64 v[68:69], v[6:7], v[58:59]
	v_mul_f64 v[60:61], v[8:9], v[58:59]
	v_fma_f64 v[6:7], v[6:7], v[58:59], -v[68:69]
	v_add_f64 v[70:71], v[60:61], v[6:7]
	v_add_f64 v[72:73], v[68:69], v[70:71]
	v_ldexp_f64 v[74:75], v[72:73], -2
	v_fract_f64_e32 v[76:77], v[74:75]
	v_cmp_neq_f64_e64 s[6:7], |v[74:75]|, s[24:25]
	v_cndmask_b32_e64 v75, 0, v77, s[6:7]
	v_cndmask_b32_e64 v74, 0, v76, s[6:7]
	v_add_f64 v[76:77], v[70:71], -v[60:61]
	v_add_f64 v[6:7], v[6:7], -v[76:77]
	;; [unrolled: 1-line block ×4, first 2 shown]
	v_fma_f64 v[8:9], v[8:9], v[58:59], -v[60:61]
	v_trig_preop_f64 v[60:61], |v[16:17]|, 2
	v_add_f64 v[6:7], v[6:7], v[76:77]
	v_mul_f64 v[76:77], v[60:61], v[58:59]
	v_add_f64 v[78:79], v[76:77], v[8:9]
	v_add_f64 v[80:81], v[78:79], v[6:7]
	v_add_f64 v[68:69], v[72:73], -v[68:69]
	v_add_f64 v[72:73], v[80:81], -v[78:79]
	;; [unrolled: 1-line block ×5, first 2 shown]
	v_add_f64 v[6:7], v[6:7], v[72:73]
	v_add_f64 v[72:73], v[78:79], -v[76:77]
	v_add_f64 v[8:9], v[8:9], -v[72:73]
	;; [unrolled: 1-line block ×4, first 2 shown]
	v_add_f64 v[8:9], v[8:9], v[72:73]
	v_add_f64 v[68:69], v[70:71], -v[68:69]
	v_add_f64 v[6:7], v[8:9], v[6:7]
	v_fma_f64 v[8:9], v[60:61], v[58:59], -v[76:77]
	v_add_f64 v[70:71], v[68:69], v[80:81]
	v_add_f64 v[6:7], v[8:9], v[6:7]
	v_ldexp_f64 v[8:9], v[74:75], 2
	v_add_f64 v[58:59], v[70:71], v[8:9]
	v_cmp_gt_f64_e64 s[6:7], 0, v[58:59]
	v_cndmask_b32_e64 v23, 0, v62, s[6:7]
	v_add_f64 v[8:9], v[8:9], v[22:23]
	v_add_f64 v[58:59], v[70:71], v[8:9]
	v_cvt_i32_f64_e32 v23, v[58:59]
	v_cvt_f64_i32_e32 v[58:59], v23
	v_add_f64 v[8:9], v[8:9], -v[58:59]
	v_add_f64 v[68:69], v[70:71], -v[68:69]
	v_add_f64 v[58:59], v[70:71], v[8:9]
	v_add_f64 v[68:69], v[80:81], -v[68:69]
	v_add_f64 v[8:9], v[58:59], -v[8:9]
	v_cmp_le_f64_e64 s[6:7], 0.5, v[58:59]
	v_add_f64 v[6:7], v[68:69], v[6:7]
	v_add_f64 v[8:9], v[70:71], -v[8:9]
	v_addc_co_u32_e64 v67, s[8:9], 0, v23, s[6:7]
	v_cndmask_b32_e64 v23, 0, v63, s[6:7]
	v_add_f64 v[6:7], v[6:7], v[8:9]
	v_add_f64 v[8:9], v[58:59], -v[22:23]
	v_add_f64 v[58:59], v[8:9], v[6:7]
	v_add_f64 v[8:9], v[58:59], -v[8:9]
	s_mov_b32 s26, s28
	v_add_f64 v[6:7], v[6:7], -v[8:9]
	v_mul_f64 v[8:9], v[58:59], s[26:27]
	v_fma_f64 v[60:61], v[58:59], s[26:27], -v[8:9]
	s_mov_b32 s35, s31
	v_fmac_f64_e32 v[60:61], s[34:35], v[58:59]
	v_fmac_f64_e32 v[60:61], s[26:27], v[6:7]
	v_add_f64 v[6:7], v[8:9], v[60:61]
	v_add_f64 v[8:9], v[6:7], -v[8:9]
	v_add_f64 v[8:9], v[60:61], -v[8:9]
	s_andn2_saveexec_b64 s[6:7], s[90:91]
	s_cbranch_execz .LBB132_201
	s_branch .LBB132_200
.LBB132_199:                            ;   in Loop: Header=BB132_185 Depth=1
	s_andn2_saveexec_b64 s[6:7], s[90:91]
	s_cbranch_execz .LBB132_201
.LBB132_200:                            ;   in Loop: Header=BB132_185 Depth=1
	v_mul_f64 v[6:7], |v[16:17]|, s[36:37]
	v_rndne_f64_e32 v[58:59], v[6:7]
	v_fma_f64 v[6:7], v[58:59], s[28:29], |v[16:17]|
	v_mul_f64 v[60:61], v[58:59], s[38:39]
	v_add_f64 v[70:71], v[6:7], v[60:61]
	v_fma_f64 v[8:9], s[38:39], v[58:59], v[6:7]
	s_mov_b32 s30, s38
	v_add_f64 v[6:7], v[6:7], -v[70:71]
	v_fma_f64 v[68:69], s[30:31], v[58:59], v[60:61]
	v_add_f64 v[6:7], v[6:7], v[60:61]
	v_add_f64 v[60:61], v[70:71], -v[8:9]
	v_add_f64 v[6:7], v[60:61], v[6:7]
	v_add_f64 v[60:61], v[6:7], -v[68:69]
	v_fmac_f64_e32 v[60:61], s[40:41], v[58:59]
	v_add_f64 v[6:7], v[8:9], v[60:61]
	v_add_f64 v[8:9], v[6:7], -v[8:9]
	v_add_f64 v[8:9], v[60:61], -v[8:9]
	v_cvt_i32_f64_e32 v67, v[58:59]
.LBB132_201:                            ;   in Loop: Header=BB132_185 Depth=1
	s_or_b64 exec, exec, s[6:7]
                                        ; implicit-def: $vgpr68
                                        ; implicit-def: $vgpr58_vgpr59
                                        ; implicit-def: $vgpr60_vgpr61
	s_and_saveexec_b64 s[6:7], s[88:89]
	s_xor_b64 s[88:89], exec, s[6:7]
	s_cbranch_execz .LBB132_203
; %bb.202:                              ;   in Loop: Header=BB132_185 Depth=1
	v_ldexp_f64 v[68:69], |v[16:17]|, s95
	v_cmp_ge_f64_e64 s[6:7], |v[16:17]|, s[22:23]
	v_trig_preop_f64 v[58:59], |v[16:17]|, 0
	v_cndmask_b32_e64 v69, v66, v69, s[6:7]
	v_cndmask_b32_e64 v68, v16, v68, s[6:7]
	v_trig_preop_f64 v[60:61], |v[16:17]|, 1
	v_mul_f64 v[72:73], v[58:59], v[68:69]
	v_mul_f64 v[70:71], v[60:61], v[68:69]
	v_fma_f64 v[58:59], v[58:59], v[68:69], -v[72:73]
	v_add_f64 v[74:75], v[70:71], v[58:59]
	v_add_f64 v[76:77], v[72:73], v[74:75]
	v_ldexp_f64 v[78:79], v[76:77], -2
	v_fract_f64_e32 v[80:81], v[78:79]
	v_cmp_neq_f64_e64 s[6:7], |v[78:79]|, s[24:25]
	v_cndmask_b32_e64 v79, 0, v81, s[6:7]
	v_cndmask_b32_e64 v78, 0, v80, s[6:7]
	v_add_f64 v[80:81], v[74:75], -v[70:71]
	v_add_f64 v[58:59], v[58:59], -v[80:81]
	;; [unrolled: 1-line block ×4, first 2 shown]
	v_fma_f64 v[60:61], v[60:61], v[68:69], -v[70:71]
	v_trig_preop_f64 v[70:71], |v[16:17]|, 2
	v_add_f64 v[58:59], v[58:59], v[80:81]
	v_mul_f64 v[80:81], v[70:71], v[68:69]
	v_add_f64 v[82:83], v[80:81], v[60:61]
	v_add_f64 v[84:85], v[82:83], v[58:59]
	v_add_f64 v[72:73], v[76:77], -v[72:73]
	v_add_f64 v[76:77], v[84:85], -v[82:83]
	;; [unrolled: 1-line block ×5, first 2 shown]
	v_add_f64 v[58:59], v[58:59], v[76:77]
	v_add_f64 v[76:77], v[82:83], -v[80:81]
	v_add_f64 v[60:61], v[60:61], -v[76:77]
	;; [unrolled: 1-line block ×4, first 2 shown]
	v_add_f64 v[60:61], v[60:61], v[76:77]
	v_add_f64 v[72:73], v[74:75], -v[72:73]
	v_add_f64 v[58:59], v[60:61], v[58:59]
	v_fma_f64 v[60:61], v[70:71], v[68:69], -v[80:81]
	v_add_f64 v[74:75], v[72:73], v[84:85]
	v_add_f64 v[58:59], v[60:61], v[58:59]
	v_ldexp_f64 v[60:61], v[78:79], 2
	v_add_f64 v[68:69], v[74:75], v[60:61]
	v_cmp_gt_f64_e64 s[6:7], 0, v[68:69]
	v_cndmask_b32_e64 v23, 0, v62, s[6:7]
	v_add_f64 v[60:61], v[60:61], v[22:23]
	v_add_f64 v[68:69], v[74:75], v[60:61]
	v_cvt_i32_f64_e32 v23, v[68:69]
	v_cvt_f64_i32_e32 v[68:69], v23
	v_add_f64 v[60:61], v[60:61], -v[68:69]
	v_add_f64 v[72:73], v[74:75], -v[72:73]
	v_add_f64 v[70:71], v[74:75], v[60:61]
	v_add_f64 v[72:73], v[84:85], -v[72:73]
	v_add_f64 v[60:61], v[70:71], -v[60:61]
	v_cmp_le_f64_e64 s[6:7], 0.5, v[70:71]
	v_add_f64 v[58:59], v[72:73], v[58:59]
	v_add_f64 v[60:61], v[74:75], -v[60:61]
	v_addc_co_u32_e64 v68, s[8:9], 0, v23, s[6:7]
	v_cndmask_b32_e64 v23, 0, v63, s[6:7]
	v_add_f64 v[58:59], v[58:59], v[60:61]
	v_add_f64 v[60:61], v[70:71], -v[22:23]
	v_add_f64 v[70:71], v[60:61], v[58:59]
	v_add_f64 v[60:61], v[70:71], -v[60:61]
	s_mov_b32 s26, s28
	v_add_f64 v[58:59], v[58:59], -v[60:61]
	v_mul_f64 v[60:61], v[70:71], s[26:27]
	v_fma_f64 v[72:73], v[70:71], s[26:27], -v[60:61]
	s_mov_b32 s35, s31
	v_fmac_f64_e32 v[72:73], s[34:35], v[70:71]
	v_fmac_f64_e32 v[72:73], s[26:27], v[58:59]
	v_add_f64 v[58:59], v[60:61], v[72:73]
	v_add_f64 v[60:61], v[58:59], -v[60:61]
	v_add_f64 v[60:61], v[72:73], -v[60:61]
	s_andn2_saveexec_b64 s[6:7], s[88:89]
	s_cbranch_execnz .LBB132_204
	s_branch .LBB132_205
.LBB132_203:                            ;   in Loop: Header=BB132_185 Depth=1
	s_andn2_saveexec_b64 s[6:7], s[88:89]
	s_cbranch_execz .LBB132_205
.LBB132_204:                            ;   in Loop: Header=BB132_185 Depth=1
	v_mul_f64 v[58:59], |v[16:17]|, s[36:37]
	v_rndne_f64_e32 v[68:69], v[58:59]
	v_fma_f64 v[58:59], v[68:69], s[28:29], |v[16:17]|
	v_mul_f64 v[70:71], v[68:69], s[38:39]
	v_add_f64 v[74:75], v[58:59], v[70:71]
	v_fma_f64 v[60:61], s[38:39], v[68:69], v[58:59]
	s_mov_b32 s30, s38
	v_add_f64 v[58:59], v[58:59], -v[74:75]
	v_fma_f64 v[72:73], s[30:31], v[68:69], v[70:71]
	v_add_f64 v[58:59], v[58:59], v[70:71]
	v_add_f64 v[70:71], v[74:75], -v[60:61]
	v_add_f64 v[58:59], v[70:71], v[58:59]
	v_add_f64 v[70:71], v[58:59], -v[72:73]
	v_fmac_f64_e32 v[70:71], s[40:41], v[68:69]
	v_add_f64 v[58:59], v[60:61], v[70:71]
	v_add_f64 v[60:61], v[58:59], -v[60:61]
	v_add_f64 v[60:61], v[70:71], -v[60:61]
	v_cvt_i32_f64_e32 v68, v[68:69]
.LBB132_205:                            ;   in Loop: Header=BB132_185 Depth=1
	s_or_b64 exec, exec, s[6:7]
	v_mul_f64 v[70:71], v[14:15], s[42:43]
	v_rndne_f64_e32 v[70:71], v[70:71]
	v_fma_f64 v[72:73], s[44:45], v[70:71], v[14:15]
	v_fmac_f64_e32 v[72:73], s[46:47], v[70:71]
	v_pk_mov_b32 v[74:75], v[40:41], v[40:41] op_sel:[0,1]
	v_fmac_f64_e32 v[74:75], s[48:49], v[72:73]
	v_pk_mov_b32 v[76:77], v[42:43], v[42:43] op_sel:[0,1]
	;; [unrolled: 2-line block ×9, first 2 shown]
	v_fmac_f64_e32 v[74:75], v[72:73], v[76:77]
	v_fma_f64 v[74:75], v[72:73], v[74:75], 1.0
	v_fma_f64 v[72:73], v[72:73], v[74:75], 1.0
	v_cvt_i32_f64_e32 v23, v[70:71]
	v_ldexp_f64 v[70:71], v[72:73], v23
	v_cmp_nlt_f64_e64 s[6:7], s[54:55], v[14:15]
	v_cmp_ngt_f64_e64 s[8:9], s[56:57], v[14:15]
	v_cndmask_b32_e64 v23, v64, v71, s[6:7]
	s_and_b64 s[6:7], s[8:9], s[6:7]
	v_cndmask_b32_e64 v14, 0, v70, s[6:7]
	v_mul_f64 v[70:71], v[6:7], v[6:7]
	v_pk_mov_b32 v[78:79], s[58:59], s[58:59] op_sel:[0,1]
	v_mul_f64 v[72:73], v[70:71], 0.5
	v_fma_f64 v[80:81], s[60:61], v[70:71], v[78:79]
	v_add_f64 v[74:75], -v[72:73], 1.0
	v_fma_f64 v[80:81], v[70:71], v[80:81], s[62:63]
	v_add_f64 v[76:77], -v[74:75], 1.0
	v_fma_f64 v[80:81], v[70:71], v[80:81], s[64:65]
	v_add_f64 v[72:73], v[76:77], -v[72:73]
	v_fma_f64 v[80:81], v[70:71], v[80:81], s[66:67]
	v_mul_f64 v[76:77], v[70:71], v[70:71]
	v_fma_f64 v[80:81], v[70:71], v[80:81], s[52:53]
	v_fma_f64 v[72:73], v[6:7], -v[8:9], v[72:73]
	v_fmac_f64_e32 v[72:73], v[76:77], v[80:81]
	v_add_f64 v[72:73], v[74:75], v[72:73]
	v_pk_mov_b32 v[74:75], s[68:69], s[68:69] op_sel:[0,1]
	v_fma_f64 v[76:77], s[70:71], v[70:71], v[74:75]
	v_fma_f64 v[76:77], v[70:71], v[76:77], s[72:73]
	;; [unrolled: 1-line block ×4, first 2 shown]
	v_mul_f64 v[80:81], v[6:7], -v[70:71]
	v_mul_f64 v[82:83], v[8:9], 0.5
	v_fmac_f64_e32 v[82:83], v[80:81], v[76:77]
	v_fma_f64 v[8:9], v[70:71], v[82:83], -v[8:9]
	s_mov_b32 s76, s52
	v_fmac_f64_e32 v[8:9], s[76:77], v[80:81]
	v_add_f64 v[6:7], v[6:7], -v[8:9]
	v_and_b32_e32 v8, 1, v67
	v_xor_b32_e32 v7, 0x80000000, v7
	v_cmp_eq_u32_e64 s[6:7], 0, v8
	v_lshlrev_b32_e32 v8, 30, v67
	v_cndmask_b32_e64 v7, v7, v73, s[6:7]
	v_and_b32_e32 v8, 0x80000000, v8
	v_xor_b32_e32 v7, v7, v8
	v_mul_f64 v[8:9], v[58:59], v[58:59]
	v_mul_f64 v[66:67], v[8:9], 0.5
	v_fmac_f64_e32 v[78:79], s[60:61], v[8:9]
	v_add_f64 v[70:71], -v[66:67], 1.0
	v_fma_f64 v[76:77], v[8:9], v[78:79], s[62:63]
	v_cndmask_b32_e64 v6, v6, v72, s[6:7]
	v_add_f64 v[72:73], -v[70:71], 1.0
	v_fma_f64 v[76:77], v[8:9], v[76:77], s[64:65]
	v_add_f64 v[66:67], v[72:73], -v[66:67]
	v_fma_f64 v[76:77], v[8:9], v[76:77], s[66:67]
	v_mul_f64 v[72:73], v[8:9], v[8:9]
	v_fma_f64 v[76:77], v[8:9], v[76:77], s[52:53]
	v_fma_f64 v[66:67], v[58:59], -v[60:61], v[66:67]
	v_fmac_f64_e32 v[66:67], v[72:73], v[76:77]
	v_fmac_f64_e32 v[74:75], s[70:71], v[8:9]
	v_add_f64 v[66:67], v[70:71], v[66:67]
	v_fma_f64 v[70:71], v[8:9], v[74:75], s[72:73]
	v_fma_f64 v[70:71], v[8:9], v[70:71], s[74:75]
	v_fma_f64 v[70:71], v[8:9], v[70:71], s[50:51]
	v_mul_f64 v[72:73], v[58:59], -v[8:9]
	v_mul_f64 v[74:75], v[60:61], 0.5
	v_fmac_f64_e32 v[74:75], v[72:73], v[70:71]
	v_cmp_class_f64_e64 s[6:7], v[16:17], s20
	v_fma_f64 v[8:9], v[8:9], v[74:75], -v[60:61]
	v_and_b32_e32 v16, 1, v68
	v_cndmask_b32_e64 v15, 0, v23, s[8:9]
	v_fmac_f64_e32 v[8:9], s[76:77], v[72:73]
	v_cmp_eq_u32_e64 s[8:9], 0, v16
	v_lshlrev_b32_e32 v16, 30, v68
	v_add_f64 v[8:9], v[58:59], -v[8:9]
	v_xor_b32_e32 v16, v16, v17
	v_cndmask_b32_e64 v9, v67, v9, s[8:9]
	v_and_b32_e32 v16, 0x80000000, v16
	v_cndmask_b32_e64 v8, v66, v8, s[8:9]
	v_xor_b32_e32 v9, v9, v16
	v_cndmask_b32_e64 v6, 0, v6, s[6:7]
	v_cndmask_b32_e64 v7, v65, v7, s[6:7]
	;; [unrolled: 1-line block ×4, first 2 shown]
	v_mul_f64 v[6:7], v[14:15], v[6:7]
	v_mul_f64 v[8:9], v[14:15], v[8:9]
                                        ; implicit-def: $vgpr16_vgpr17
                                        ; implicit-def: $vgpr66
.LBB132_206:                            ;   in Loop: Header=BB132_185 Depth=1
	s_andn2_saveexec_b64 s[88:89], s[10:11]
	s_cbranch_execz .LBB132_242
; %bb.207:                              ;   in Loop: Header=BB132_185 Depth=1
	s_mov_b32 s6, 0
	s_mov_b32 s7, 0x41d00000
	v_cmp_nlt_f64_e64 s[10:11], |v[16:17]|, s[6:7]
                                        ; implicit-def: $vgpr67
                                        ; implicit-def: $vgpr6_vgpr7
                                        ; implicit-def: $vgpr8_vgpr9
	s_and_saveexec_b64 s[6:7], s[10:11]
	s_xor_b64 s[90:91], exec, s[6:7]
	s_cbranch_execz .LBB132_209
; %bb.208:                              ;   in Loop: Header=BB132_185 Depth=1
	v_ldexp_f64 v[58:59], |v[16:17]|, s95
	v_cmp_ge_f64_e64 s[6:7], |v[16:17]|, s[22:23]
	v_trig_preop_f64 v[6:7], |v[16:17]|, 0
	v_cndmask_b32_e64 v59, v66, v59, s[6:7]
	v_cndmask_b32_e64 v58, v16, v58, s[6:7]
	v_trig_preop_f64 v[8:9], |v[16:17]|, 1
	v_mul_f64 v[68:69], v[6:7], v[58:59]
	v_mul_f64 v[60:61], v[8:9], v[58:59]
	v_fma_f64 v[6:7], v[6:7], v[58:59], -v[68:69]
	v_add_f64 v[70:71], v[60:61], v[6:7]
	v_add_f64 v[72:73], v[68:69], v[70:71]
	v_ldexp_f64 v[74:75], v[72:73], -2
	v_fract_f64_e32 v[76:77], v[74:75]
	v_cmp_neq_f64_e64 s[6:7], |v[74:75]|, s[24:25]
	v_cndmask_b32_e64 v75, 0, v77, s[6:7]
	v_cndmask_b32_e64 v74, 0, v76, s[6:7]
	v_add_f64 v[76:77], v[70:71], -v[60:61]
	v_add_f64 v[6:7], v[6:7], -v[76:77]
	;; [unrolled: 1-line block ×4, first 2 shown]
	v_fma_f64 v[8:9], v[8:9], v[58:59], -v[60:61]
	v_trig_preop_f64 v[60:61], |v[16:17]|, 2
	v_add_f64 v[6:7], v[6:7], v[76:77]
	v_mul_f64 v[76:77], v[60:61], v[58:59]
	v_add_f64 v[78:79], v[76:77], v[8:9]
	v_add_f64 v[80:81], v[78:79], v[6:7]
	v_add_f64 v[68:69], v[72:73], -v[68:69]
	v_add_f64 v[72:73], v[80:81], -v[78:79]
	;; [unrolled: 1-line block ×5, first 2 shown]
	v_add_f64 v[6:7], v[6:7], v[72:73]
	v_add_f64 v[72:73], v[78:79], -v[76:77]
	v_add_f64 v[8:9], v[8:9], -v[72:73]
	v_add_f64 v[72:73], v[78:79], -v[72:73]
	v_add_f64 v[72:73], v[76:77], -v[72:73]
	v_add_f64 v[8:9], v[8:9], v[72:73]
	v_add_f64 v[68:69], v[70:71], -v[68:69]
	v_add_f64 v[6:7], v[8:9], v[6:7]
	v_fma_f64 v[8:9], v[60:61], v[58:59], -v[76:77]
	v_add_f64 v[70:71], v[68:69], v[80:81]
	v_add_f64 v[6:7], v[8:9], v[6:7]
	v_ldexp_f64 v[8:9], v[74:75], 2
	v_add_f64 v[58:59], v[70:71], v[8:9]
	v_cmp_gt_f64_e64 s[6:7], 0, v[58:59]
	v_cndmask_b32_e64 v23, 0, v62, s[6:7]
	v_add_f64 v[8:9], v[8:9], v[22:23]
	v_add_f64 v[58:59], v[70:71], v[8:9]
	v_cvt_i32_f64_e32 v23, v[58:59]
	v_cvt_f64_i32_e32 v[58:59], v23
	v_add_f64 v[8:9], v[8:9], -v[58:59]
	v_add_f64 v[68:69], v[70:71], -v[68:69]
	v_add_f64 v[58:59], v[70:71], v[8:9]
	v_add_f64 v[68:69], v[80:81], -v[68:69]
	v_add_f64 v[8:9], v[58:59], -v[8:9]
	v_cmp_le_f64_e64 s[6:7], 0.5, v[58:59]
	v_add_f64 v[6:7], v[68:69], v[6:7]
	v_add_f64 v[8:9], v[70:71], -v[8:9]
	v_addc_co_u32_e64 v67, s[8:9], 0, v23, s[6:7]
	v_cndmask_b32_e64 v23, 0, v63, s[6:7]
	v_add_f64 v[6:7], v[6:7], v[8:9]
	v_add_f64 v[8:9], v[58:59], -v[22:23]
	v_add_f64 v[58:59], v[8:9], v[6:7]
	v_add_f64 v[8:9], v[58:59], -v[8:9]
	s_mov_b32 s26, s28
	v_add_f64 v[6:7], v[6:7], -v[8:9]
	v_mul_f64 v[8:9], v[58:59], s[26:27]
	v_fma_f64 v[60:61], v[58:59], s[26:27], -v[8:9]
	s_mov_b32 s35, s31
	v_fmac_f64_e32 v[60:61], s[34:35], v[58:59]
	v_fmac_f64_e32 v[60:61], s[26:27], v[6:7]
	v_add_f64 v[6:7], v[8:9], v[60:61]
	v_add_f64 v[8:9], v[6:7], -v[8:9]
	v_add_f64 v[8:9], v[60:61], -v[8:9]
	s_andn2_saveexec_b64 s[6:7], s[90:91]
	s_cbranch_execz .LBB132_211
	s_branch .LBB132_210
.LBB132_209:                            ;   in Loop: Header=BB132_185 Depth=1
	s_andn2_saveexec_b64 s[6:7], s[90:91]
	s_cbranch_execz .LBB132_211
.LBB132_210:                            ;   in Loop: Header=BB132_185 Depth=1
	v_mul_f64 v[6:7], |v[16:17]|, s[36:37]
	v_rndne_f64_e32 v[58:59], v[6:7]
	v_fma_f64 v[6:7], v[58:59], s[28:29], |v[16:17]|
	v_mul_f64 v[60:61], v[58:59], s[38:39]
	v_add_f64 v[70:71], v[6:7], v[60:61]
	v_fma_f64 v[8:9], s[38:39], v[58:59], v[6:7]
	s_mov_b32 s30, s38
	v_add_f64 v[6:7], v[6:7], -v[70:71]
	v_fma_f64 v[68:69], s[30:31], v[58:59], v[60:61]
	v_add_f64 v[6:7], v[6:7], v[60:61]
	v_add_f64 v[60:61], v[70:71], -v[8:9]
	v_add_f64 v[6:7], v[60:61], v[6:7]
	v_add_f64 v[60:61], v[6:7], -v[68:69]
	v_fmac_f64_e32 v[60:61], s[40:41], v[58:59]
	v_add_f64 v[6:7], v[8:9], v[60:61]
	v_add_f64 v[8:9], v[6:7], -v[8:9]
	v_add_f64 v[8:9], v[60:61], -v[8:9]
	v_cvt_i32_f64_e32 v67, v[58:59]
.LBB132_211:                            ;   in Loop: Header=BB132_185 Depth=1
	s_or_b64 exec, exec, s[6:7]
                                        ; implicit-def: $vgpr68
                                        ; implicit-def: $vgpr58_vgpr59
                                        ; implicit-def: $vgpr60_vgpr61
	s_and_saveexec_b64 s[6:7], s[10:11]
	s_xor_b64 s[10:11], exec, s[6:7]
	s_cbranch_execz .LBB132_213
; %bb.212:                              ;   in Loop: Header=BB132_185 Depth=1
	v_ldexp_f64 v[68:69], |v[16:17]|, s95
	v_cmp_ge_f64_e64 s[6:7], |v[16:17]|, s[22:23]
	v_trig_preop_f64 v[58:59], |v[16:17]|, 0
	v_cndmask_b32_e64 v69, v66, v69, s[6:7]
	v_cndmask_b32_e64 v68, v16, v68, s[6:7]
	v_trig_preop_f64 v[60:61], |v[16:17]|, 1
	v_mul_f64 v[72:73], v[58:59], v[68:69]
	v_mul_f64 v[70:71], v[60:61], v[68:69]
	v_fma_f64 v[58:59], v[58:59], v[68:69], -v[72:73]
	v_add_f64 v[74:75], v[70:71], v[58:59]
	v_add_f64 v[76:77], v[72:73], v[74:75]
	v_ldexp_f64 v[78:79], v[76:77], -2
	v_fract_f64_e32 v[80:81], v[78:79]
	v_cmp_neq_f64_e64 s[6:7], |v[78:79]|, s[24:25]
	v_cndmask_b32_e64 v79, 0, v81, s[6:7]
	v_cndmask_b32_e64 v78, 0, v80, s[6:7]
	v_add_f64 v[80:81], v[74:75], -v[70:71]
	v_add_f64 v[58:59], v[58:59], -v[80:81]
	;; [unrolled: 1-line block ×4, first 2 shown]
	v_fma_f64 v[60:61], v[60:61], v[68:69], -v[70:71]
	v_trig_preop_f64 v[70:71], |v[16:17]|, 2
	v_add_f64 v[58:59], v[58:59], v[80:81]
	v_mul_f64 v[80:81], v[70:71], v[68:69]
	v_add_f64 v[82:83], v[80:81], v[60:61]
	v_add_f64 v[84:85], v[82:83], v[58:59]
	v_add_f64 v[72:73], v[76:77], -v[72:73]
	v_add_f64 v[76:77], v[84:85], -v[82:83]
	;; [unrolled: 1-line block ×5, first 2 shown]
	v_add_f64 v[58:59], v[58:59], v[76:77]
	v_add_f64 v[76:77], v[82:83], -v[80:81]
	v_add_f64 v[60:61], v[60:61], -v[76:77]
	;; [unrolled: 1-line block ×4, first 2 shown]
	v_add_f64 v[60:61], v[60:61], v[76:77]
	v_add_f64 v[72:73], v[74:75], -v[72:73]
	v_add_f64 v[58:59], v[60:61], v[58:59]
	v_fma_f64 v[60:61], v[70:71], v[68:69], -v[80:81]
	v_add_f64 v[74:75], v[72:73], v[84:85]
	v_add_f64 v[58:59], v[60:61], v[58:59]
	v_ldexp_f64 v[60:61], v[78:79], 2
	v_add_f64 v[68:69], v[74:75], v[60:61]
	v_cmp_gt_f64_e64 s[6:7], 0, v[68:69]
	v_cndmask_b32_e64 v23, 0, v62, s[6:7]
	v_add_f64 v[60:61], v[60:61], v[22:23]
	v_add_f64 v[68:69], v[74:75], v[60:61]
	v_cvt_i32_f64_e32 v23, v[68:69]
	v_cvt_f64_i32_e32 v[68:69], v23
	v_add_f64 v[60:61], v[60:61], -v[68:69]
	v_add_f64 v[72:73], v[74:75], -v[72:73]
	v_add_f64 v[70:71], v[74:75], v[60:61]
	v_add_f64 v[72:73], v[84:85], -v[72:73]
	v_add_f64 v[60:61], v[70:71], -v[60:61]
	v_cmp_le_f64_e64 s[6:7], 0.5, v[70:71]
	v_add_f64 v[58:59], v[72:73], v[58:59]
	v_add_f64 v[60:61], v[74:75], -v[60:61]
	v_addc_co_u32_e64 v68, s[8:9], 0, v23, s[6:7]
	v_cndmask_b32_e64 v23, 0, v63, s[6:7]
	v_add_f64 v[58:59], v[58:59], v[60:61]
	v_add_f64 v[60:61], v[70:71], -v[22:23]
	v_add_f64 v[70:71], v[60:61], v[58:59]
	v_add_f64 v[60:61], v[70:71], -v[60:61]
	s_mov_b32 s26, s28
	v_add_f64 v[58:59], v[58:59], -v[60:61]
	v_mul_f64 v[60:61], v[70:71], s[26:27]
	v_fma_f64 v[72:73], v[70:71], s[26:27], -v[60:61]
	s_mov_b32 s35, s31
	v_fmac_f64_e32 v[72:73], s[34:35], v[70:71]
	v_fmac_f64_e32 v[72:73], s[26:27], v[58:59]
	v_add_f64 v[58:59], v[60:61], v[72:73]
	v_add_f64 v[60:61], v[58:59], -v[60:61]
	v_add_f64 v[60:61], v[72:73], -v[60:61]
	s_andn2_saveexec_b64 s[6:7], s[10:11]
	s_cbranch_execnz .LBB132_214
	s_branch .LBB132_215
.LBB132_213:                            ;   in Loop: Header=BB132_185 Depth=1
	s_andn2_saveexec_b64 s[6:7], s[10:11]
	s_cbranch_execz .LBB132_215
.LBB132_214:                            ;   in Loop: Header=BB132_185 Depth=1
	v_mul_f64 v[58:59], |v[16:17]|, s[36:37]
	v_rndne_f64_e32 v[68:69], v[58:59]
	v_fma_f64 v[58:59], v[68:69], s[28:29], |v[16:17]|
	v_mul_f64 v[70:71], v[68:69], s[38:39]
	v_add_f64 v[74:75], v[58:59], v[70:71]
	v_fma_f64 v[60:61], s[38:39], v[68:69], v[58:59]
	s_mov_b32 s30, s38
	v_add_f64 v[58:59], v[58:59], -v[74:75]
	v_fma_f64 v[72:73], s[30:31], v[68:69], v[70:71]
	v_add_f64 v[58:59], v[58:59], v[70:71]
	v_add_f64 v[70:71], v[74:75], -v[60:61]
	v_add_f64 v[58:59], v[70:71], v[58:59]
	v_add_f64 v[70:71], v[58:59], -v[72:73]
	v_fmac_f64_e32 v[70:71], s[40:41], v[68:69]
	v_add_f64 v[58:59], v[60:61], v[70:71]
	v_add_f64 v[60:61], v[58:59], -v[60:61]
	v_add_f64 v[60:61], v[70:71], -v[60:61]
	v_cvt_i32_f64_e32 v68, v[68:69]
.LBB132_215:                            ;   in Loop: Header=BB132_185 Depth=1
	s_or_b64 exec, exec, s[6:7]
	v_mul_f64 v[70:71], v[6:7], v[6:7]
	v_pk_mov_b32 v[78:79], s[58:59], s[58:59] op_sel:[0,1]
	v_mul_f64 v[72:73], v[70:71], 0.5
	v_fma_f64 v[80:81], s[60:61], v[70:71], v[78:79]
	v_add_f64 v[74:75], -v[72:73], 1.0
	v_fma_f64 v[80:81], v[70:71], v[80:81], s[62:63]
	v_fma_f64 v[80:81], v[70:71], v[80:81], s[64:65]
	v_add_f64 v[82:83], -v[74:75], 1.0
	v_fma_f64 v[80:81], v[70:71], v[80:81], s[66:67]
	v_add_f64 v[72:73], v[82:83], -v[72:73]
	v_mul_f64 v[76:77], v[70:71], v[70:71]
	v_fma_f64 v[80:81], v[70:71], v[80:81], s[52:53]
	v_fma_f64 v[72:73], v[6:7], -v[8:9], v[72:73]
	v_fmac_f64_e32 v[72:73], v[76:77], v[80:81]
	v_pk_mov_b32 v[76:77], s[68:69], s[68:69] op_sel:[0,1]
	v_fma_f64 v[80:81], s[70:71], v[70:71], v[76:77]
	v_fma_f64 v[80:81], v[70:71], v[80:81], s[72:73]
	v_fma_f64 v[80:81], v[70:71], v[80:81], s[74:75]
	v_add_f64 v[72:73], v[74:75], v[72:73]
	v_mul_f64 v[74:75], v[6:7], -v[70:71]
	v_fma_f64 v[80:81], v[70:71], v[80:81], s[50:51]
	v_mul_f64 v[82:83], v[8:9], 0.5
	v_fmac_f64_e32 v[82:83], v[74:75], v[80:81]
	v_fma_f64 v[8:9], v[70:71], v[82:83], -v[8:9]
	s_mov_b32 s76, s52
	v_fmac_f64_e32 v[8:9], s[76:77], v[74:75]
	v_and_b32_e32 v23, 1, v67
	v_add_f64 v[6:7], v[6:7], -v[8:9]
	v_xor_b32_e32 v7, 0x80000000, v7
	v_cmp_eq_u32_e64 s[6:7], 0, v23
	v_lshlrev_b32_e32 v8, 30, v67
	s_mov_b32 s8, 0x19ba0da4
	v_cndmask_b32_e64 v7, v7, v73, s[6:7]
	v_and_b32_e32 v8, 0x80000000, v8
	s_mov_b32 s9, 0xc0937be3
	v_xor_b32_e32 v7, v7, v8
	v_add_f64 v[8:9], v[14:15], s[8:9]
	v_mul_f64 v[14:15], v[8:9], s[42:43]
	v_rndne_f64_e32 v[14:15], v[14:15]
	v_fma_f64 v[66:67], s[44:45], v[14:15], v[8:9]
	v_fmac_f64_e32 v[66:67], s[46:47], v[14:15]
	v_pk_mov_b32 v[70:71], v[40:41], v[40:41] op_sel:[0,1]
	v_cndmask_b32_e64 v6, v6, v72, s[6:7]
	v_fmac_f64_e32 v[70:71], s[48:49], v[66:67]
	v_pk_mov_b32 v[72:73], v[42:43], v[42:43] op_sel:[0,1]
	v_fmac_f64_e32 v[72:73], v[66:67], v[70:71]
	v_pk_mov_b32 v[70:71], v[44:45], v[44:45] op_sel:[0,1]
	;; [unrolled: 2-line block ×8, first 2 shown]
	v_fmac_f64_e32 v[70:71], v[66:67], v[72:73]
	v_fma_f64 v[70:71], v[66:67], v[70:71], 1.0
	v_fma_f64 v[66:67], v[66:67], v[70:71], 1.0
	v_cvt_i32_f64_e32 v14, v[14:15]
	v_ldexp_f64 v[14:15], v[66:67], v14
	v_mul_f64 v[66:67], v[58:59], v[58:59]
	v_mul_f64 v[70:71], v[66:67], 0.5
	v_fmac_f64_e32 v[78:79], s[60:61], v[66:67]
	v_add_f64 v[72:73], -v[70:71], 1.0
	v_fma_f64 v[78:79], v[66:67], v[78:79], s[62:63]
	v_add_f64 v[74:75], -v[72:73], 1.0
	v_fma_f64 v[78:79], v[66:67], v[78:79], s[64:65]
	v_add_f64 v[70:71], v[74:75], -v[70:71]
	v_fma_f64 v[78:79], v[66:67], v[78:79], s[66:67]
	v_mul_f64 v[74:75], v[66:67], v[66:67]
	v_fma_f64 v[78:79], v[66:67], v[78:79], s[52:53]
	v_fma_f64 v[70:71], v[58:59], -v[60:61], v[70:71]
	v_fmac_f64_e32 v[70:71], v[74:75], v[78:79]
	v_fmac_f64_e32 v[76:77], s[70:71], v[66:67]
	v_add_f64 v[70:71], v[72:73], v[70:71]
	v_fma_f64 v[72:73], v[66:67], v[76:77], s[72:73]
	v_fma_f64 v[72:73], v[66:67], v[72:73], s[74:75]
	;; [unrolled: 1-line block ×3, first 2 shown]
	v_mul_f64 v[74:75], v[58:59], -v[66:67]
	v_mul_f64 v[76:77], v[60:61], 0.5
	v_cmp_nlt_f64_e64 s[8:9], s[54:55], v[8:9]
	v_fmac_f64_e32 v[76:77], v[74:75], v[72:73]
	v_cndmask_b32_e64 v15, v64, v15, s[8:9]
	v_cmp_ngt_f64_e64 s[10:11], s[56:57], v[8:9]
	v_fma_f64 v[60:61], v[66:67], v[76:77], -v[60:61]
	v_cmp_class_f64_e64 s[6:7], v[16:17], s20
	v_cndmask_b32_e64 v15, 0, v15, s[10:11]
	s_and_b64 s[8:9], s[10:11], s[8:9]
	v_fmac_f64_e32 v[60:61], s[76:77], v[74:75]
	v_and_b32_e32 v16, 1, v68
	v_cndmask_b32_e64 v8, 0, v14, s[8:9]
	v_lshrrev_b32_e32 v14, 20, v15
	v_add_f64 v[58:59], v[58:59], -v[60:61]
	v_cmp_eq_u32_e64 s[8:9], 0, v16
	v_add_u32_e32 v14, 0xffffff09, v14
	v_cndmask_b32_e64 v16, v70, v58, s[8:9]
	v_cndmask_b32_e64 v58, v71, v59, s[8:9]
	v_lshlrev_b32_e32 v59, 30, v68
	v_and_b32_e32 v9, 0xfffff, v15
	v_lshrrev_b16_e32 v15, 15, v14
	v_xor_b32_e32 v17, v59, v17
	v_add_u16_e32 v15, v14, v15
	v_and_b32_e32 v17, 0x80000000, v17
	v_ashrrev_i16_e32 v15, 1, v15
	v_xor_b32_e32 v17, v58, v17
	v_cndmask_b32_e64 v6, 0, v6, s[6:7]
	v_cndmask_b32_e64 v7, v65, v7, s[6:7]
	v_or_b32_e32 v9, 0x7fe00000, v9
	v_bfe_i32 v15, v15, 0, 16
	v_cndmask_b32_e64 v16, 0, v16, s[6:7]
	v_cndmask_b32_e64 v17, v65, v17, s[6:7]
	v_mul_f64 v[6:7], v[8:9], v[6:7]
	v_lshl_add_u32 v23, v15, 20, v63
	v_sub_u32_e32 v14, v14, v15
	v_mul_f64 v[8:9], v[8:9], v[16:17]
	v_mul_f64 v[6:7], v[6:7], v[22:23]
	v_lshl_add_u32 v15, v14, 20, v63
	v_mov_b32_e32 v14, v22
	v_mul_f64 v[8:9], v[8:9], v[22:23]
	v_mul_f64 v[6:7], v[6:7], v[14:15]
	;; [unrolled: 1-line block ×3, first 2 shown]
	s_or_b64 exec, exec, s[88:89]
                                        ; implicit-def: $vgpr14_vgpr15
                                        ; implicit-def: $vgpr23
.LBB132_216:                            ;   in Loop: Header=BB132_185 Depth=1
	s_andn2_saveexec_b64 s[10:11], s[86:87]
	s_cbranch_execz .LBB132_222
.LBB132_217:                            ;   in Loop: Header=BB132_185 Depth=1
	s_mov_b32 s8, 0x7ff00000
	v_cmp_ne_u32_e64 s[6:7], 0, v14
	v_cmp_ne_u32_e64 s[8:9], s8, v23
	s_or_b64 s[6:7], s[6:7], s[8:9]
                                        ; implicit-def: $vgpr8_vgpr9
	s_and_saveexec_b64 s[8:9], s[6:7]
	s_xor_b64 s[6:7], exec, s[8:9]
; %bb.218:                              ;   in Loop: Header=BB132_185 Depth=1
	v_add_f64 v[8:9], v[16:17], -v[16:17]
                                        ; implicit-def: $vgpr14_vgpr15
; %bb.219:                              ;   in Loop: Header=BB132_185 Depth=1
	s_or_saveexec_b64 s[8:9], s[6:7]
	v_pk_mov_b32 v[6:7], v[8:9], v[8:9] op_sel:[0,1]
	s_xor_b64 exec, exec, s[8:9]
; %bb.220:                              ;   in Loop: Header=BB132_185 Depth=1
	v_add_f64 v[8:9], v[16:17], -v[16:17]
	v_cmp_lt_i64_e64 s[6:7], -1, v[14:15]
	v_cndmask_b32_e64 v7, 0, v15, s[6:7]
	v_cndmask_b32_e64 v6, 0, v14, s[6:7]
	;; [unrolled: 1-line block ×4, first 2 shown]
; %bb.221:                              ;   in Loop: Header=BB132_185 Depth=1
	s_or_b64 exec, exec, s[8:9]
.LBB132_222:                            ;   in Loop: Header=BB132_185 Depth=1
	s_or_b64 exec, exec, s[10:11]
                                        ; implicit-def: $vgpr16_vgpr17
                                        ; implicit-def: $vgpr66
.LBB132_223:                            ;   in Loop: Header=BB132_185 Depth=1
	s_andn2_saveexec_b64 s[10:11], s[84:85]
	s_cbranch_execz .LBB132_233
; %bb.224:                              ;   in Loop: Header=BB132_185 Depth=1
	s_mov_b32 s6, 0
	s_mov_b32 s7, 0x41d00000
	v_cmp_nlt_f64_e64 s[84:85], |v[16:17]|, s[6:7]
                                        ; implicit-def: $vgpr60
                                        ; implicit-def: $vgpr6_vgpr7
                                        ; implicit-def: $vgpr8_vgpr9
	s_and_saveexec_b64 s[6:7], s[84:85]
	s_xor_b64 s[86:87], exec, s[6:7]
	s_cbranch_execz .LBB132_226
; %bb.225:                              ;   in Loop: Header=BB132_185 Depth=1
	v_ldexp_f64 v[14:15], |v[16:17]|, s95
	v_cmp_ge_f64_e64 s[6:7], |v[16:17]|, s[22:23]
	v_trig_preop_f64 v[6:7], |v[16:17]|, 0
	v_cndmask_b32_e64 v15, v66, v15, s[6:7]
	v_cndmask_b32_e64 v14, v16, v14, s[6:7]
	v_trig_preop_f64 v[8:9], |v[16:17]|, 1
	v_mul_f64 v[60:61], v[6:7], v[14:15]
	v_mul_f64 v[58:59], v[8:9], v[14:15]
	v_fma_f64 v[6:7], v[6:7], v[14:15], -v[60:61]
	v_add_f64 v[68:69], v[58:59], v[6:7]
	v_add_f64 v[70:71], v[60:61], v[68:69]
	v_ldexp_f64 v[72:73], v[70:71], -2
	v_fract_f64_e32 v[74:75], v[72:73]
	v_cmp_neq_f64_e64 s[6:7], |v[72:73]|, s[24:25]
	v_cndmask_b32_e64 v73, 0, v75, s[6:7]
	v_cndmask_b32_e64 v72, 0, v74, s[6:7]
	v_add_f64 v[74:75], v[68:69], -v[58:59]
	v_add_f64 v[6:7], v[6:7], -v[74:75]
	;; [unrolled: 1-line block ×4, first 2 shown]
	v_fma_f64 v[8:9], v[8:9], v[14:15], -v[58:59]
	v_trig_preop_f64 v[58:59], |v[16:17]|, 2
	v_add_f64 v[6:7], v[6:7], v[74:75]
	v_mul_f64 v[74:75], v[58:59], v[14:15]
	v_add_f64 v[76:77], v[74:75], v[8:9]
	v_add_f64 v[78:79], v[76:77], v[6:7]
	v_add_f64 v[60:61], v[70:71], -v[60:61]
	v_add_f64 v[70:71], v[78:79], -v[76:77]
	;; [unrolled: 1-line block ×5, first 2 shown]
	v_add_f64 v[6:7], v[6:7], v[70:71]
	v_add_f64 v[70:71], v[76:77], -v[74:75]
	v_add_f64 v[8:9], v[8:9], -v[70:71]
	;; [unrolled: 1-line block ×4, first 2 shown]
	v_add_f64 v[8:9], v[8:9], v[70:71]
	v_add_f64 v[60:61], v[68:69], -v[60:61]
	v_add_f64 v[6:7], v[8:9], v[6:7]
	v_fma_f64 v[8:9], v[58:59], v[14:15], -v[74:75]
	v_add_f64 v[68:69], v[60:61], v[78:79]
	v_add_f64 v[6:7], v[8:9], v[6:7]
	v_ldexp_f64 v[8:9], v[72:73], 2
	v_add_f64 v[14:15], v[68:69], v[8:9]
	v_cmp_gt_f64_e64 s[6:7], 0, v[14:15]
	v_cndmask_b32_e64 v23, 0, v62, s[6:7]
	v_add_f64 v[8:9], v[8:9], v[22:23]
	v_add_f64 v[14:15], v[68:69], v[8:9]
	v_cvt_i32_f64_e32 v23, v[14:15]
	v_cvt_f64_i32_e32 v[14:15], v23
	v_add_f64 v[8:9], v[8:9], -v[14:15]
	v_add_f64 v[60:61], v[68:69], -v[60:61]
	v_add_f64 v[14:15], v[68:69], v[8:9]
	v_add_f64 v[60:61], v[78:79], -v[60:61]
	v_add_f64 v[8:9], v[14:15], -v[8:9]
	v_cmp_le_f64_e64 s[6:7], 0.5, v[14:15]
	v_add_f64 v[6:7], v[60:61], v[6:7]
	v_add_f64 v[8:9], v[68:69], -v[8:9]
	v_addc_co_u32_e64 v60, s[8:9], 0, v23, s[6:7]
	v_cndmask_b32_e64 v23, 0, v63, s[6:7]
	v_add_f64 v[6:7], v[6:7], v[8:9]
	v_add_f64 v[8:9], v[14:15], -v[22:23]
	v_add_f64 v[14:15], v[8:9], v[6:7]
	v_add_f64 v[8:9], v[14:15], -v[8:9]
	s_mov_b32 s26, s28
	v_add_f64 v[6:7], v[6:7], -v[8:9]
	v_mul_f64 v[8:9], v[14:15], s[26:27]
	v_fma_f64 v[58:59], v[14:15], s[26:27], -v[8:9]
	s_mov_b32 s35, s31
	v_fmac_f64_e32 v[58:59], s[34:35], v[14:15]
	v_fmac_f64_e32 v[58:59], s[26:27], v[6:7]
	v_add_f64 v[6:7], v[8:9], v[58:59]
	v_add_f64 v[8:9], v[6:7], -v[8:9]
	v_add_f64 v[8:9], v[58:59], -v[8:9]
	s_andn2_saveexec_b64 s[6:7], s[86:87]
	s_cbranch_execz .LBB132_228
	s_branch .LBB132_227
.LBB132_226:                            ;   in Loop: Header=BB132_185 Depth=1
	s_andn2_saveexec_b64 s[6:7], s[86:87]
	s_cbranch_execz .LBB132_228
.LBB132_227:                            ;   in Loop: Header=BB132_185 Depth=1
	v_mul_f64 v[6:7], |v[16:17]|, s[36:37]
	v_rndne_f64_e32 v[14:15], v[6:7]
	v_fma_f64 v[6:7], v[14:15], s[28:29], |v[16:17]|
	v_mul_f64 v[58:59], v[14:15], s[38:39]
	v_add_f64 v[68:69], v[6:7], v[58:59]
	v_fma_f64 v[8:9], s[38:39], v[14:15], v[6:7]
	s_mov_b32 s30, s38
	v_add_f64 v[6:7], v[6:7], -v[68:69]
	v_fma_f64 v[60:61], s[30:31], v[14:15], v[58:59]
	v_add_f64 v[6:7], v[6:7], v[58:59]
	v_add_f64 v[58:59], v[68:69], -v[8:9]
	v_add_f64 v[6:7], v[58:59], v[6:7]
	v_add_f64 v[58:59], v[6:7], -v[60:61]
	v_fmac_f64_e32 v[58:59], s[40:41], v[14:15]
	v_add_f64 v[6:7], v[8:9], v[58:59]
	v_add_f64 v[8:9], v[6:7], -v[8:9]
	v_add_f64 v[8:9], v[58:59], -v[8:9]
	v_cvt_i32_f64_e32 v60, v[14:15]
.LBB132_228:                            ;   in Loop: Header=BB132_185 Depth=1
	s_or_b64 exec, exec, s[6:7]
                                        ; implicit-def: $vgpr61
                                        ; implicit-def: $vgpr14_vgpr15
                                        ; implicit-def: $vgpr58_vgpr59
	s_and_saveexec_b64 s[6:7], s[84:85]
	s_xor_b64 s[84:85], exec, s[6:7]
	s_cbranch_execz .LBB132_230
; %bb.229:                              ;   in Loop: Header=BB132_185 Depth=1
	v_ldexp_f64 v[68:69], |v[16:17]|, s95
	v_cmp_ge_f64_e64 s[6:7], |v[16:17]|, s[22:23]
	v_trig_preop_f64 v[14:15], |v[16:17]|, 0
	v_cndmask_b32_e64 v67, v66, v69, s[6:7]
	v_cndmask_b32_e64 v66, v16, v68, s[6:7]
	v_trig_preop_f64 v[58:59], |v[16:17]|, 1
	v_mul_f64 v[70:71], v[14:15], v[66:67]
	v_mul_f64 v[68:69], v[58:59], v[66:67]
	v_fma_f64 v[14:15], v[14:15], v[66:67], -v[70:71]
	v_add_f64 v[72:73], v[68:69], v[14:15]
	v_add_f64 v[74:75], v[70:71], v[72:73]
	v_ldexp_f64 v[76:77], v[74:75], -2
	v_fract_f64_e32 v[78:79], v[76:77]
	v_cmp_neq_f64_e64 s[6:7], |v[76:77]|, s[24:25]
	v_cndmask_b32_e64 v77, 0, v79, s[6:7]
	v_cndmask_b32_e64 v76, 0, v78, s[6:7]
	v_add_f64 v[78:79], v[72:73], -v[68:69]
	v_add_f64 v[14:15], v[14:15], -v[78:79]
	v_add_f64 v[78:79], v[72:73], -v[78:79]
	v_add_f64 v[78:79], v[68:69], -v[78:79]
	v_fma_f64 v[58:59], v[58:59], v[66:67], -v[68:69]
	v_trig_preop_f64 v[68:69], |v[16:17]|, 2
	v_add_f64 v[14:15], v[14:15], v[78:79]
	v_mul_f64 v[78:79], v[68:69], v[66:67]
	v_add_f64 v[80:81], v[78:79], v[58:59]
	v_add_f64 v[82:83], v[80:81], v[14:15]
	v_add_f64 v[70:71], v[74:75], -v[70:71]
	v_add_f64 v[74:75], v[82:83], -v[80:81]
	;; [unrolled: 1-line block ×5, first 2 shown]
	v_add_f64 v[14:15], v[14:15], v[74:75]
	v_add_f64 v[74:75], v[80:81], -v[78:79]
	v_add_f64 v[58:59], v[58:59], -v[74:75]
	;; [unrolled: 1-line block ×4, first 2 shown]
	v_add_f64 v[58:59], v[58:59], v[74:75]
	v_add_f64 v[70:71], v[72:73], -v[70:71]
	v_add_f64 v[14:15], v[58:59], v[14:15]
	v_fma_f64 v[58:59], v[68:69], v[66:67], -v[78:79]
	v_add_f64 v[72:73], v[70:71], v[82:83]
	v_add_f64 v[14:15], v[58:59], v[14:15]
	v_ldexp_f64 v[58:59], v[76:77], 2
	v_add_f64 v[66:67], v[72:73], v[58:59]
	v_cmp_gt_f64_e64 s[6:7], 0, v[66:67]
	v_cndmask_b32_e64 v23, 0, v62, s[6:7]
	v_add_f64 v[58:59], v[58:59], v[22:23]
	v_add_f64 v[66:67], v[72:73], v[58:59]
	v_cvt_i32_f64_e32 v23, v[66:67]
	v_cvt_f64_i32_e32 v[66:67], v23
	v_add_f64 v[58:59], v[58:59], -v[66:67]
	v_add_f64 v[70:71], v[72:73], -v[70:71]
	v_add_f64 v[66:67], v[72:73], v[58:59]
	v_add_f64 v[70:71], v[82:83], -v[70:71]
	v_add_f64 v[58:59], v[66:67], -v[58:59]
	v_cmp_le_f64_e64 s[6:7], 0.5, v[66:67]
	v_add_f64 v[14:15], v[70:71], v[14:15]
	v_add_f64 v[58:59], v[72:73], -v[58:59]
	v_addc_co_u32_e64 v61, s[8:9], 0, v23, s[6:7]
	v_cndmask_b32_e64 v23, 0, v63, s[6:7]
	v_add_f64 v[14:15], v[14:15], v[58:59]
	v_add_f64 v[58:59], v[66:67], -v[22:23]
	v_add_f64 v[66:67], v[58:59], v[14:15]
	v_add_f64 v[58:59], v[66:67], -v[58:59]
	s_mov_b32 s26, s28
	v_add_f64 v[14:15], v[14:15], -v[58:59]
	v_mul_f64 v[58:59], v[66:67], s[26:27]
	v_fma_f64 v[68:69], v[66:67], s[26:27], -v[58:59]
	s_mov_b32 s35, s31
	v_fmac_f64_e32 v[68:69], s[34:35], v[66:67]
	v_fmac_f64_e32 v[68:69], s[26:27], v[14:15]
	v_add_f64 v[14:15], v[58:59], v[68:69]
	v_add_f64 v[58:59], v[14:15], -v[58:59]
	v_add_f64 v[58:59], v[68:69], -v[58:59]
	s_andn2_saveexec_b64 s[6:7], s[84:85]
	s_cbranch_execnz .LBB132_231
	s_branch .LBB132_232
.LBB132_230:                            ;   in Loop: Header=BB132_185 Depth=1
	s_andn2_saveexec_b64 s[6:7], s[84:85]
	s_cbranch_execz .LBB132_232
.LBB132_231:                            ;   in Loop: Header=BB132_185 Depth=1
	v_mul_f64 v[14:15], |v[16:17]|, s[36:37]
	v_rndne_f64_e32 v[66:67], v[14:15]
	v_fma_f64 v[14:15], v[66:67], s[28:29], |v[16:17]|
	v_mul_f64 v[68:69], v[66:67], s[38:39]
	v_add_f64 v[72:73], v[14:15], v[68:69]
	v_fma_f64 v[58:59], s[38:39], v[66:67], v[14:15]
	s_mov_b32 s30, s38
	v_add_f64 v[14:15], v[14:15], -v[72:73]
	v_fma_f64 v[70:71], s[30:31], v[66:67], v[68:69]
	v_add_f64 v[14:15], v[14:15], v[68:69]
	v_add_f64 v[68:69], v[72:73], -v[58:59]
	v_add_f64 v[14:15], v[68:69], v[14:15]
	v_add_f64 v[68:69], v[14:15], -v[70:71]
	v_fmac_f64_e32 v[68:69], s[40:41], v[66:67]
	v_add_f64 v[14:15], v[58:59], v[68:69]
	v_add_f64 v[58:59], v[14:15], -v[58:59]
	v_add_f64 v[58:59], v[68:69], -v[58:59]
	v_cvt_i32_f64_e32 v61, v[66:67]
.LBB132_232:                            ;   in Loop: Header=BB132_185 Depth=1
	s_or_b64 exec, exec, s[6:7]
	v_mul_f64 v[66:67], v[6:7], v[6:7]
	v_pk_mov_b32 v[74:75], s[58:59], s[58:59] op_sel:[0,1]
	v_mul_f64 v[68:69], v[66:67], 0.5
	v_fma_f64 v[76:77], s[60:61], v[66:67], v[74:75]
	v_add_f64 v[70:71], -v[68:69], 1.0
	v_fma_f64 v[76:77], v[66:67], v[76:77], s[62:63]
	v_add_f64 v[72:73], -v[70:71], 1.0
	v_fma_f64 v[76:77], v[66:67], v[76:77], s[64:65]
	v_add_f64 v[68:69], v[72:73], -v[68:69]
	v_fma_f64 v[76:77], v[66:67], v[76:77], s[66:67]
	v_mul_f64 v[72:73], v[66:67], v[66:67]
	v_fma_f64 v[76:77], v[66:67], v[76:77], s[52:53]
	v_fma_f64 v[68:69], v[6:7], -v[8:9], v[68:69]
	v_fmac_f64_e32 v[68:69], v[72:73], v[76:77]
	v_add_f64 v[68:69], v[70:71], v[68:69]
	v_pk_mov_b32 v[70:71], s[68:69], s[68:69] op_sel:[0,1]
	v_fma_f64 v[72:73], s[70:71], v[66:67], v[70:71]
	v_fma_f64 v[72:73], v[66:67], v[72:73], s[72:73]
	;; [unrolled: 1-line block ×4, first 2 shown]
	v_mul_f64 v[76:77], v[6:7], -v[66:67]
	v_mul_f64 v[78:79], v[8:9], 0.5
	v_fmac_f64_e32 v[78:79], v[76:77], v[72:73]
	v_fma_f64 v[8:9], v[66:67], v[78:79], -v[8:9]
	s_mov_b32 s76, s52
	v_fmac_f64_e32 v[8:9], s[76:77], v[76:77]
	v_add_f64 v[6:7], v[6:7], -v[8:9]
	v_and_b32_e32 v8, 1, v60
	v_xor_b32_e32 v7, 0x80000000, v7
	v_cmp_eq_u32_e64 s[6:7], 0, v8
	v_lshlrev_b32_e32 v8, 30, v60
	v_cndmask_b32_e64 v7, v7, v69, s[6:7]
	v_and_b32_e32 v8, 0x80000000, v8
	v_xor_b32_e32 v7, v7, v8
	v_mul_f64 v[8:9], v[14:15], v[14:15]
	v_mul_f64 v[66:67], v[8:9], 0.5
	v_fmac_f64_e32 v[74:75], s[60:61], v[8:9]
	v_cndmask_b32_e64 v6, v6, v68, s[6:7]
	v_add_f64 v[68:69], -v[66:67], 1.0
	v_fma_f64 v[74:75], v[8:9], v[74:75], s[62:63]
	v_add_f64 v[72:73], -v[68:69], 1.0
	v_fma_f64 v[74:75], v[8:9], v[74:75], s[64:65]
	v_add_f64 v[66:67], v[72:73], -v[66:67]
	v_fma_f64 v[74:75], v[8:9], v[74:75], s[66:67]
	v_mul_f64 v[72:73], v[8:9], v[8:9]
	v_fma_f64 v[74:75], v[8:9], v[74:75], s[52:53]
	v_fma_f64 v[66:67], v[14:15], -v[58:59], v[66:67]
	v_fmac_f64_e32 v[66:67], v[72:73], v[74:75]
	v_fmac_f64_e32 v[70:71], s[70:71], v[8:9]
	v_add_f64 v[66:67], v[68:69], v[66:67]
	v_fma_f64 v[68:69], v[8:9], v[70:71], s[72:73]
	v_fma_f64 v[68:69], v[8:9], v[68:69], s[74:75]
	;; [unrolled: 1-line block ×3, first 2 shown]
	v_mul_f64 v[70:71], v[14:15], -v[8:9]
	v_mul_f64 v[72:73], v[58:59], 0.5
	v_fmac_f64_e32 v[72:73], v[70:71], v[68:69]
	v_fma_f64 v[8:9], v[8:9], v[72:73], -v[58:59]
	v_fmac_f64_e32 v[8:9], s[76:77], v[70:71]
	v_add_f64 v[8:9], v[14:15], -v[8:9]
	v_and_b32_e32 v14, 1, v61
	v_cmp_eq_u32_e64 s[8:9], 0, v14
	v_lshlrev_b32_e32 v14, 30, v61
	v_xor_b32_e32 v14, v14, v17
	v_cndmask_b32_e64 v9, v67, v9, s[8:9]
	v_and_b32_e32 v14, 0x80000000, v14
	v_cmp_class_f64_e64 s[6:7], v[16:17], s20
	v_cndmask_b32_e64 v8, v66, v8, s[8:9]
	v_xor_b32_e32 v9, v9, v14
	v_cndmask_b32_e64 v6, 0, v6, s[6:7]
	v_cndmask_b32_e64 v7, v65, v7, s[6:7]
	;; [unrolled: 1-line block ×4, first 2 shown]
.LBB132_233:                            ;   in Loop: Header=BB132_185 Depth=1
	s_or_b64 exec, exec, s[10:11]
                                        ; implicit-def: $vgpr14_vgpr15
.LBB132_234:                            ;   in Loop: Header=BB132_185 Depth=1
	s_andn2_saveexec_b64 s[10:11], s[82:83]
	s_cbranch_execz .LBB132_236
; %bb.235:                              ;   in Loop: Header=BB132_185 Depth=1
	v_mul_f64 v[6:7], v[14:15], s[42:43]
	v_rndne_f64_e32 v[6:7], v[6:7]
	v_fma_f64 v[8:9], s[44:45], v[6:7], v[14:15]
	v_fmac_f64_e32 v[8:9], s[46:47], v[6:7]
	v_pk_mov_b32 v[58:59], v[40:41], v[40:41] op_sel:[0,1]
	v_fmac_f64_e32 v[58:59], s[48:49], v[8:9]
	v_pk_mov_b32 v[60:61], v[42:43], v[42:43] op_sel:[0,1]
	;; [unrolled: 2-line block ×9, first 2 shown]
	v_fmac_f64_e32 v[58:59], v[8:9], v[60:61]
	v_fma_f64 v[58:59], v[8:9], v[58:59], 1.0
	v_fma_f64 v[8:9], v[8:9], v[58:59], 1.0
	v_cvt_i32_f64_e32 v6, v[6:7]
	v_ldexp_f64 v[6:7], v[8:9], v6
	v_cmp_nlt_f64_e64 s[6:7], s[54:55], v[14:15]
	v_cmp_ngt_f64_e64 s[8:9], s[56:57], v[14:15]
	v_cndmask_b32_e64 v7, v64, v7, s[6:7]
	s_and_b64 s[6:7], s[8:9], s[6:7]
	v_cndmask_b32_e64 v7, 0, v7, s[8:9]
	v_cndmask_b32_e64 v6, 0, v6, s[6:7]
	v_pk_mov_b32 v[8:9], v[16:17], v[16:17] op_sel:[0,1]
.LBB132_236:                            ;   in Loop: Header=BB132_185 Depth=1
	s_or_b64 exec, exec, s[10:11]
	v_and_b32_e32 v66, 0x7fffffff, v21
	v_or_b32_e32 v14, v66, v20
	v_cmp_ne_u32_e64 s[6:7], 0, v14
                                        ; implicit-def: $vgpr16_vgpr17
	s_and_saveexec_b64 s[8:9], s[6:7]
	s_xor_b64 s[82:83], exec, s[8:9]
	s_cbranch_execz .LBB132_279
; %bb.237:                              ;   in Loop: Header=BB132_185 Depth=1
	v_and_b32_e32 v23, 0x7fffffff, v19
	v_or_b32_e32 v14, v23, v18
	v_cmp_ne_u32_e64 s[6:7], 0, v14
                                        ; implicit-def: $vgpr16_vgpr17
	s_and_saveexec_b64 s[8:9], s[6:7]
	s_xor_b64 s[84:85], exec, s[8:9]
	s_cbranch_execz .LBB132_268
; %bb.238:                              ;   in Loop: Header=BB132_185 Depth=1
	s_mov_b32 s6, 0x7ff00000
	v_cmp_gt_u32_e64 s[6:7], s6, v66
                                        ; implicit-def: $vgpr16_vgpr17
	s_and_saveexec_b64 s[8:9], s[6:7]
	s_xor_b64 s[86:87], exec, s[8:9]
	s_cbranch_execz .LBB132_261
; %bb.239:                              ;   in Loop: Header=BB132_185 Depth=1
	v_add_u32_e32 v14, 0xbf79d1be, v19
	s_mov_b32 s6, 0x108aa2
	v_cmp_lt_u32_e64 s[6:7], s6, v14
                                        ; implicit-def: $vgpr16_vgpr17
	s_and_saveexec_b64 s[8:9], s[6:7]
	s_xor_b64 s[10:11], exec, s[8:9]
	s_cbranch_execz .LBB132_250
; %bb.240:                              ;   in Loop: Header=BB132_185 Depth=1
	s_mov_b32 s6, 0
	s_mov_b32 s7, 0x41d00000
	v_cmp_nlt_f64_e64 s[88:89], |v[20:21]|, s[6:7]
                                        ; implicit-def: $vgpr67
                                        ; implicit-def: $vgpr14_vgpr15
                                        ; implicit-def: $vgpr16_vgpr17
	s_and_saveexec_b64 s[6:7], s[88:89]
	s_xor_b64 s[90:91], exec, s[6:7]
	s_cbranch_execz .LBB132_243
; %bb.241:                              ;   in Loop: Header=BB132_185 Depth=1
	v_ldexp_f64 v[58:59], |v[20:21]|, s95
	v_cmp_ge_f64_e64 s[6:7], |v[20:21]|, s[22:23]
	v_trig_preop_f64 v[14:15], |v[20:21]|, 0
	v_cndmask_b32_e64 v59, v66, v59, s[6:7]
	v_cndmask_b32_e64 v58, v20, v58, s[6:7]
	v_trig_preop_f64 v[16:17], |v[20:21]|, 1
	v_mul_f64 v[68:69], v[14:15], v[58:59]
	v_mul_f64 v[60:61], v[16:17], v[58:59]
	v_fma_f64 v[14:15], v[14:15], v[58:59], -v[68:69]
	v_add_f64 v[70:71], v[60:61], v[14:15]
	v_add_f64 v[72:73], v[68:69], v[70:71]
	v_ldexp_f64 v[74:75], v[72:73], -2
	v_fract_f64_e32 v[76:77], v[74:75]
	v_cmp_neq_f64_e64 s[6:7], |v[74:75]|, s[24:25]
	v_cndmask_b32_e64 v75, 0, v77, s[6:7]
	v_cndmask_b32_e64 v74, 0, v76, s[6:7]
	v_add_f64 v[76:77], v[70:71], -v[60:61]
	v_add_f64 v[14:15], v[14:15], -v[76:77]
	;; [unrolled: 1-line block ×4, first 2 shown]
	v_fma_f64 v[16:17], v[16:17], v[58:59], -v[60:61]
	v_trig_preop_f64 v[60:61], |v[20:21]|, 2
	v_add_f64 v[14:15], v[14:15], v[76:77]
	v_mul_f64 v[76:77], v[60:61], v[58:59]
	v_add_f64 v[78:79], v[76:77], v[16:17]
	v_add_f64 v[80:81], v[78:79], v[14:15]
	v_add_f64 v[68:69], v[72:73], -v[68:69]
	v_add_f64 v[72:73], v[80:81], -v[78:79]
	;; [unrolled: 1-line block ×5, first 2 shown]
	v_add_f64 v[14:15], v[14:15], v[72:73]
	v_add_f64 v[72:73], v[78:79], -v[76:77]
	v_add_f64 v[16:17], v[16:17], -v[72:73]
	;; [unrolled: 1-line block ×4, first 2 shown]
	v_add_f64 v[16:17], v[16:17], v[72:73]
	v_add_f64 v[68:69], v[70:71], -v[68:69]
	v_add_f64 v[14:15], v[16:17], v[14:15]
	v_fma_f64 v[16:17], v[60:61], v[58:59], -v[76:77]
	v_add_f64 v[70:71], v[68:69], v[80:81]
	v_add_f64 v[14:15], v[16:17], v[14:15]
	v_ldexp_f64 v[16:17], v[74:75], 2
	v_add_f64 v[58:59], v[70:71], v[16:17]
	v_cmp_gt_f64_e64 s[6:7], 0, v[58:59]
	v_cndmask_b32_e64 v23, 0, v62, s[6:7]
	v_add_f64 v[16:17], v[16:17], v[22:23]
	v_add_f64 v[58:59], v[70:71], v[16:17]
	v_cvt_i32_f64_e32 v23, v[58:59]
	v_cvt_f64_i32_e32 v[58:59], v23
	v_add_f64 v[16:17], v[16:17], -v[58:59]
	v_add_f64 v[68:69], v[70:71], -v[68:69]
	v_add_f64 v[58:59], v[70:71], v[16:17]
	v_add_f64 v[68:69], v[80:81], -v[68:69]
	v_add_f64 v[16:17], v[58:59], -v[16:17]
	v_cmp_le_f64_e64 s[6:7], 0.5, v[58:59]
	v_add_f64 v[14:15], v[68:69], v[14:15]
	v_add_f64 v[16:17], v[70:71], -v[16:17]
	v_addc_co_u32_e64 v67, s[8:9], 0, v23, s[6:7]
	v_cndmask_b32_e64 v23, 0, v63, s[6:7]
	v_add_f64 v[14:15], v[14:15], v[16:17]
	v_add_f64 v[16:17], v[58:59], -v[22:23]
	v_add_f64 v[58:59], v[16:17], v[14:15]
	v_add_f64 v[16:17], v[58:59], -v[16:17]
	s_mov_b32 s26, s28
	v_add_f64 v[14:15], v[14:15], -v[16:17]
	v_mul_f64 v[16:17], v[58:59], s[26:27]
	v_fma_f64 v[60:61], v[58:59], s[26:27], -v[16:17]
	s_mov_b32 s35, s31
	v_fmac_f64_e32 v[60:61], s[34:35], v[58:59]
	v_fmac_f64_e32 v[60:61], s[26:27], v[14:15]
	v_add_f64 v[14:15], v[16:17], v[60:61]
	v_add_f64 v[16:17], v[14:15], -v[16:17]
	v_add_f64 v[16:17], v[60:61], -v[16:17]
	s_andn2_saveexec_b64 s[6:7], s[90:91]
	s_cbranch_execz .LBB132_245
	s_branch .LBB132_244
.LBB132_242:                            ;   in Loop: Header=BB132_185 Depth=1
	s_or_b64 exec, exec, s[88:89]
                                        ; implicit-def: $vgpr14_vgpr15
                                        ; implicit-def: $vgpr23
	s_andn2_saveexec_b64 s[10:11], s[86:87]
	s_cbranch_execnz .LBB132_217
	s_branch .LBB132_222
.LBB132_243:                            ;   in Loop: Header=BB132_185 Depth=1
	s_andn2_saveexec_b64 s[6:7], s[90:91]
	s_cbranch_execz .LBB132_245
.LBB132_244:                            ;   in Loop: Header=BB132_185 Depth=1
	v_mul_f64 v[14:15], |v[20:21]|, s[36:37]
	v_rndne_f64_e32 v[58:59], v[14:15]
	v_fma_f64 v[14:15], v[58:59], s[28:29], |v[20:21]|
	v_mul_f64 v[60:61], v[58:59], s[38:39]
	v_add_f64 v[70:71], v[14:15], v[60:61]
	v_fma_f64 v[16:17], s[38:39], v[58:59], v[14:15]
	s_mov_b32 s30, s38
	v_add_f64 v[14:15], v[14:15], -v[70:71]
	v_fma_f64 v[68:69], s[30:31], v[58:59], v[60:61]
	v_add_f64 v[14:15], v[14:15], v[60:61]
	v_add_f64 v[60:61], v[70:71], -v[16:17]
	v_add_f64 v[14:15], v[60:61], v[14:15]
	v_add_f64 v[60:61], v[14:15], -v[68:69]
	v_fmac_f64_e32 v[60:61], s[40:41], v[58:59]
	v_add_f64 v[14:15], v[16:17], v[60:61]
	v_add_f64 v[16:17], v[14:15], -v[16:17]
	v_add_f64 v[16:17], v[60:61], -v[16:17]
	v_cvt_i32_f64_e32 v67, v[58:59]
.LBB132_245:                            ;   in Loop: Header=BB132_185 Depth=1
	s_or_b64 exec, exec, s[6:7]
                                        ; implicit-def: $vgpr68
                                        ; implicit-def: $vgpr58_vgpr59
                                        ; implicit-def: $vgpr60_vgpr61
	s_and_saveexec_b64 s[6:7], s[88:89]
	s_xor_b64 s[88:89], exec, s[6:7]
	s_cbranch_execz .LBB132_247
; %bb.246:                              ;   in Loop: Header=BB132_185 Depth=1
	v_ldexp_f64 v[68:69], |v[20:21]|, s95
	v_cmp_ge_f64_e64 s[6:7], |v[20:21]|, s[22:23]
	v_trig_preop_f64 v[58:59], |v[20:21]|, 0
	v_cndmask_b32_e64 v69, v66, v69, s[6:7]
	v_cndmask_b32_e64 v68, v20, v68, s[6:7]
	v_trig_preop_f64 v[60:61], |v[20:21]|, 1
	v_mul_f64 v[72:73], v[58:59], v[68:69]
	v_mul_f64 v[70:71], v[60:61], v[68:69]
	v_fma_f64 v[58:59], v[58:59], v[68:69], -v[72:73]
	v_add_f64 v[74:75], v[70:71], v[58:59]
	v_add_f64 v[76:77], v[72:73], v[74:75]
	v_ldexp_f64 v[78:79], v[76:77], -2
	v_fract_f64_e32 v[80:81], v[78:79]
	v_cmp_neq_f64_e64 s[6:7], |v[78:79]|, s[24:25]
	v_cndmask_b32_e64 v79, 0, v81, s[6:7]
	v_cndmask_b32_e64 v78, 0, v80, s[6:7]
	v_add_f64 v[80:81], v[74:75], -v[70:71]
	v_add_f64 v[58:59], v[58:59], -v[80:81]
	;; [unrolled: 1-line block ×4, first 2 shown]
	v_fma_f64 v[60:61], v[60:61], v[68:69], -v[70:71]
	v_trig_preop_f64 v[70:71], |v[20:21]|, 2
	v_add_f64 v[58:59], v[58:59], v[80:81]
	v_mul_f64 v[80:81], v[70:71], v[68:69]
	v_add_f64 v[82:83], v[80:81], v[60:61]
	v_add_f64 v[84:85], v[82:83], v[58:59]
	v_add_f64 v[72:73], v[76:77], -v[72:73]
	v_add_f64 v[76:77], v[84:85], -v[82:83]
	;; [unrolled: 1-line block ×5, first 2 shown]
	v_add_f64 v[58:59], v[58:59], v[76:77]
	v_add_f64 v[76:77], v[82:83], -v[80:81]
	v_add_f64 v[60:61], v[60:61], -v[76:77]
	;; [unrolled: 1-line block ×4, first 2 shown]
	v_add_f64 v[60:61], v[60:61], v[76:77]
	v_add_f64 v[72:73], v[74:75], -v[72:73]
	v_add_f64 v[58:59], v[60:61], v[58:59]
	v_fma_f64 v[60:61], v[70:71], v[68:69], -v[80:81]
	v_add_f64 v[74:75], v[72:73], v[84:85]
	v_add_f64 v[58:59], v[60:61], v[58:59]
	v_ldexp_f64 v[60:61], v[78:79], 2
	v_add_f64 v[68:69], v[74:75], v[60:61]
	v_cmp_gt_f64_e64 s[6:7], 0, v[68:69]
	v_cndmask_b32_e64 v23, 0, v62, s[6:7]
	v_add_f64 v[60:61], v[60:61], v[22:23]
	v_add_f64 v[68:69], v[74:75], v[60:61]
	v_cvt_i32_f64_e32 v23, v[68:69]
	v_cvt_f64_i32_e32 v[68:69], v23
	v_add_f64 v[60:61], v[60:61], -v[68:69]
	v_add_f64 v[72:73], v[74:75], -v[72:73]
	v_add_f64 v[70:71], v[74:75], v[60:61]
	v_add_f64 v[72:73], v[84:85], -v[72:73]
	v_add_f64 v[60:61], v[70:71], -v[60:61]
	v_cmp_le_f64_e64 s[6:7], 0.5, v[70:71]
	v_add_f64 v[58:59], v[72:73], v[58:59]
	v_add_f64 v[60:61], v[74:75], -v[60:61]
	v_addc_co_u32_e64 v68, s[8:9], 0, v23, s[6:7]
	v_cndmask_b32_e64 v23, 0, v63, s[6:7]
	v_add_f64 v[58:59], v[58:59], v[60:61]
	v_add_f64 v[60:61], v[70:71], -v[22:23]
	v_add_f64 v[70:71], v[60:61], v[58:59]
	v_add_f64 v[60:61], v[70:71], -v[60:61]
	s_mov_b32 s26, s28
	v_add_f64 v[58:59], v[58:59], -v[60:61]
	v_mul_f64 v[60:61], v[70:71], s[26:27]
	v_fma_f64 v[72:73], v[70:71], s[26:27], -v[60:61]
	s_mov_b32 s35, s31
	v_fmac_f64_e32 v[72:73], s[34:35], v[70:71]
	v_fmac_f64_e32 v[72:73], s[26:27], v[58:59]
	v_add_f64 v[58:59], v[60:61], v[72:73]
	v_add_f64 v[60:61], v[58:59], -v[60:61]
	v_add_f64 v[60:61], v[72:73], -v[60:61]
	s_andn2_saveexec_b64 s[6:7], s[88:89]
	s_cbranch_execnz .LBB132_248
	s_branch .LBB132_249
.LBB132_247:                            ;   in Loop: Header=BB132_185 Depth=1
	s_andn2_saveexec_b64 s[6:7], s[88:89]
	s_cbranch_execz .LBB132_249
.LBB132_248:                            ;   in Loop: Header=BB132_185 Depth=1
	v_mul_f64 v[58:59], |v[20:21]|, s[36:37]
	v_rndne_f64_e32 v[68:69], v[58:59]
	v_fma_f64 v[58:59], v[68:69], s[28:29], |v[20:21]|
	v_mul_f64 v[70:71], v[68:69], s[38:39]
	v_add_f64 v[74:75], v[58:59], v[70:71]
	v_fma_f64 v[60:61], s[38:39], v[68:69], v[58:59]
	s_mov_b32 s30, s38
	v_add_f64 v[58:59], v[58:59], -v[74:75]
	v_fma_f64 v[72:73], s[30:31], v[68:69], v[70:71]
	v_add_f64 v[58:59], v[58:59], v[70:71]
	v_add_f64 v[70:71], v[74:75], -v[60:61]
	v_add_f64 v[58:59], v[70:71], v[58:59]
	v_add_f64 v[70:71], v[58:59], -v[72:73]
	v_fmac_f64_e32 v[70:71], s[40:41], v[68:69]
	v_add_f64 v[58:59], v[60:61], v[70:71]
	v_add_f64 v[60:61], v[58:59], -v[60:61]
	v_add_f64 v[60:61], v[70:71], -v[60:61]
	v_cvt_i32_f64_e32 v68, v[68:69]
.LBB132_249:                            ;   in Loop: Header=BB132_185 Depth=1
	s_or_b64 exec, exec, s[6:7]
	v_mul_f64 v[70:71], v[18:19], s[42:43]
	v_rndne_f64_e32 v[70:71], v[70:71]
	v_fma_f64 v[72:73], s[44:45], v[70:71], v[18:19]
	v_fmac_f64_e32 v[72:73], s[46:47], v[70:71]
	v_pk_mov_b32 v[74:75], v[40:41], v[40:41] op_sel:[0,1]
	v_fmac_f64_e32 v[74:75], s[48:49], v[72:73]
	v_pk_mov_b32 v[76:77], v[42:43], v[42:43] op_sel:[0,1]
	v_fmac_f64_e32 v[76:77], v[72:73], v[74:75]
	v_pk_mov_b32 v[74:75], v[44:45], v[44:45] op_sel:[0,1]
	v_fmac_f64_e32 v[74:75], v[72:73], v[76:77]
	v_pk_mov_b32 v[76:77], v[46:47], v[46:47] op_sel:[0,1]
	v_fmac_f64_e32 v[76:77], v[72:73], v[74:75]
	v_pk_mov_b32 v[74:75], v[48:49], v[48:49] op_sel:[0,1]
	v_fmac_f64_e32 v[74:75], v[72:73], v[76:77]
	v_pk_mov_b32 v[76:77], v[50:51], v[50:51] op_sel:[0,1]
	v_fmac_f64_e32 v[76:77], v[72:73], v[74:75]
	v_pk_mov_b32 v[74:75], v[52:53], v[52:53] op_sel:[0,1]
	v_fmac_f64_e32 v[74:75], v[72:73], v[76:77]
	v_pk_mov_b32 v[76:77], v[54:55], v[54:55] op_sel:[0,1]
	v_fmac_f64_e32 v[76:77], v[72:73], v[74:75]
	v_pk_mov_b32 v[74:75], v[56:57], v[56:57] op_sel:[0,1]
	v_fmac_f64_e32 v[74:75], v[72:73], v[76:77]
	v_fma_f64 v[74:75], v[72:73], v[74:75], 1.0
	v_fma_f64 v[72:73], v[72:73], v[74:75], 1.0
	v_cvt_i32_f64_e32 v23, v[70:71]
	v_ldexp_f64 v[70:71], v[72:73], v23
	v_cmp_nlt_f64_e64 s[6:7], s[54:55], v[18:19]
	v_cmp_ngt_f64_e64 s[8:9], s[56:57], v[18:19]
	v_cndmask_b32_e64 v23, v64, v71, s[6:7]
	s_and_b64 s[6:7], s[8:9], s[6:7]
	v_cndmask_b32_e64 v18, 0, v70, s[6:7]
	v_mul_f64 v[70:71], v[14:15], v[14:15]
	v_pk_mov_b32 v[78:79], s[58:59], s[58:59] op_sel:[0,1]
	v_mul_f64 v[72:73], v[70:71], 0.5
	v_fma_f64 v[80:81], s[60:61], v[70:71], v[78:79]
	v_add_f64 v[74:75], -v[72:73], 1.0
	v_fma_f64 v[80:81], v[70:71], v[80:81], s[62:63]
	v_add_f64 v[76:77], -v[74:75], 1.0
	v_fma_f64 v[80:81], v[70:71], v[80:81], s[64:65]
	v_add_f64 v[72:73], v[76:77], -v[72:73]
	v_fma_f64 v[80:81], v[70:71], v[80:81], s[66:67]
	v_mul_f64 v[76:77], v[70:71], v[70:71]
	v_fma_f64 v[80:81], v[70:71], v[80:81], s[52:53]
	v_fma_f64 v[72:73], v[14:15], -v[16:17], v[72:73]
	v_fmac_f64_e32 v[72:73], v[76:77], v[80:81]
	v_add_f64 v[72:73], v[74:75], v[72:73]
	v_pk_mov_b32 v[74:75], s[68:69], s[68:69] op_sel:[0,1]
	v_fma_f64 v[76:77], s[70:71], v[70:71], v[74:75]
	v_fma_f64 v[76:77], v[70:71], v[76:77], s[72:73]
	;; [unrolled: 1-line block ×4, first 2 shown]
	v_mul_f64 v[80:81], v[14:15], -v[70:71]
	v_mul_f64 v[82:83], v[16:17], 0.5
	v_fmac_f64_e32 v[82:83], v[80:81], v[76:77]
	v_fma_f64 v[16:17], v[70:71], v[82:83], -v[16:17]
	s_mov_b32 s76, s52
	v_fmac_f64_e32 v[16:17], s[76:77], v[80:81]
	v_add_f64 v[14:15], v[14:15], -v[16:17]
	v_and_b32_e32 v16, 1, v67
	v_xor_b32_e32 v15, 0x80000000, v15
	v_cmp_eq_u32_e64 s[6:7], 0, v16
	v_lshlrev_b32_e32 v16, 30, v67
	v_cndmask_b32_e64 v15, v15, v73, s[6:7]
	v_and_b32_e32 v16, 0x80000000, v16
	v_xor_b32_e32 v15, v15, v16
	v_mul_f64 v[16:17], v[58:59], v[58:59]
	v_mul_f64 v[66:67], v[16:17], 0.5
	v_fmac_f64_e32 v[78:79], s[60:61], v[16:17]
	v_add_f64 v[70:71], -v[66:67], 1.0
	v_fma_f64 v[76:77], v[16:17], v[78:79], s[62:63]
	v_cndmask_b32_e64 v14, v14, v72, s[6:7]
	v_add_f64 v[72:73], -v[70:71], 1.0
	v_fma_f64 v[76:77], v[16:17], v[76:77], s[64:65]
	v_add_f64 v[66:67], v[72:73], -v[66:67]
	v_fma_f64 v[76:77], v[16:17], v[76:77], s[66:67]
	v_mul_f64 v[72:73], v[16:17], v[16:17]
	v_fma_f64 v[76:77], v[16:17], v[76:77], s[52:53]
	v_fma_f64 v[66:67], v[58:59], -v[60:61], v[66:67]
	v_fmac_f64_e32 v[66:67], v[72:73], v[76:77]
	v_fmac_f64_e32 v[74:75], s[70:71], v[16:17]
	v_add_f64 v[66:67], v[70:71], v[66:67]
	v_fma_f64 v[70:71], v[16:17], v[74:75], s[72:73]
	v_fma_f64 v[70:71], v[16:17], v[70:71], s[74:75]
	;; [unrolled: 1-line block ×3, first 2 shown]
	v_mul_f64 v[72:73], v[58:59], -v[16:17]
	v_mul_f64 v[74:75], v[60:61], 0.5
	v_fmac_f64_e32 v[74:75], v[72:73], v[70:71]
	v_cmp_class_f64_e64 s[6:7], v[20:21], s20
	v_fma_f64 v[16:17], v[16:17], v[74:75], -v[60:61]
	v_and_b32_e32 v20, 1, v68
	v_cndmask_b32_e64 v19, 0, v23, s[8:9]
	v_fmac_f64_e32 v[16:17], s[76:77], v[72:73]
	v_cmp_eq_u32_e64 s[8:9], 0, v20
	v_lshlrev_b32_e32 v20, 30, v68
	v_add_f64 v[16:17], v[58:59], -v[16:17]
	v_xor_b32_e32 v20, v20, v21
	v_cndmask_b32_e64 v17, v67, v17, s[8:9]
	v_and_b32_e32 v20, 0x80000000, v20
	v_cndmask_b32_e64 v16, v66, v16, s[8:9]
	v_xor_b32_e32 v17, v17, v20
	v_cndmask_b32_e64 v14, 0, v14, s[6:7]
	v_cndmask_b32_e64 v15, v65, v15, s[6:7]
	;; [unrolled: 1-line block ×4, first 2 shown]
	v_mul_f64 v[14:15], v[18:19], v[14:15]
	v_mul_f64 v[16:17], v[18:19], v[16:17]
                                        ; implicit-def: $vgpr20_vgpr21
                                        ; implicit-def: $vgpr66
.LBB132_250:                            ;   in Loop: Header=BB132_185 Depth=1
	s_andn2_saveexec_b64 s[88:89], s[10:11]
	s_cbranch_execz .LBB132_260
; %bb.251:                              ;   in Loop: Header=BB132_185 Depth=1
	s_mov_b32 s6, 0
	s_mov_b32 s7, 0x41d00000
	v_cmp_nlt_f64_e64 s[10:11], |v[20:21]|, s[6:7]
                                        ; implicit-def: $vgpr67
                                        ; implicit-def: $vgpr14_vgpr15
                                        ; implicit-def: $vgpr16_vgpr17
	s_and_saveexec_b64 s[6:7], s[10:11]
	s_xor_b64 s[90:91], exec, s[6:7]
	s_cbranch_execz .LBB132_253
; %bb.252:                              ;   in Loop: Header=BB132_185 Depth=1
	v_ldexp_f64 v[58:59], |v[20:21]|, s95
	v_cmp_ge_f64_e64 s[6:7], |v[20:21]|, s[22:23]
	v_trig_preop_f64 v[14:15], |v[20:21]|, 0
	v_cndmask_b32_e64 v59, v66, v59, s[6:7]
	v_cndmask_b32_e64 v58, v20, v58, s[6:7]
	v_trig_preop_f64 v[16:17], |v[20:21]|, 1
	v_mul_f64 v[68:69], v[14:15], v[58:59]
	v_mul_f64 v[60:61], v[16:17], v[58:59]
	v_fma_f64 v[14:15], v[14:15], v[58:59], -v[68:69]
	v_add_f64 v[70:71], v[60:61], v[14:15]
	v_add_f64 v[72:73], v[68:69], v[70:71]
	v_ldexp_f64 v[74:75], v[72:73], -2
	v_fract_f64_e32 v[76:77], v[74:75]
	v_cmp_neq_f64_e64 s[6:7], |v[74:75]|, s[24:25]
	v_cndmask_b32_e64 v75, 0, v77, s[6:7]
	v_cndmask_b32_e64 v74, 0, v76, s[6:7]
	v_add_f64 v[76:77], v[70:71], -v[60:61]
	v_add_f64 v[14:15], v[14:15], -v[76:77]
	v_add_f64 v[76:77], v[70:71], -v[76:77]
	v_add_f64 v[76:77], v[60:61], -v[76:77]
	v_fma_f64 v[16:17], v[16:17], v[58:59], -v[60:61]
	v_trig_preop_f64 v[60:61], |v[20:21]|, 2
	v_add_f64 v[14:15], v[14:15], v[76:77]
	v_mul_f64 v[76:77], v[60:61], v[58:59]
	v_add_f64 v[78:79], v[76:77], v[16:17]
	v_add_f64 v[80:81], v[78:79], v[14:15]
	v_add_f64 v[68:69], v[72:73], -v[68:69]
	v_add_f64 v[72:73], v[80:81], -v[78:79]
	;; [unrolled: 1-line block ×5, first 2 shown]
	v_add_f64 v[14:15], v[14:15], v[72:73]
	v_add_f64 v[72:73], v[78:79], -v[76:77]
	v_add_f64 v[16:17], v[16:17], -v[72:73]
	;; [unrolled: 1-line block ×4, first 2 shown]
	v_add_f64 v[16:17], v[16:17], v[72:73]
	v_add_f64 v[68:69], v[70:71], -v[68:69]
	v_add_f64 v[14:15], v[16:17], v[14:15]
	v_fma_f64 v[16:17], v[60:61], v[58:59], -v[76:77]
	v_add_f64 v[70:71], v[68:69], v[80:81]
	v_add_f64 v[14:15], v[16:17], v[14:15]
	v_ldexp_f64 v[16:17], v[74:75], 2
	v_add_f64 v[58:59], v[70:71], v[16:17]
	v_cmp_gt_f64_e64 s[6:7], 0, v[58:59]
	v_cndmask_b32_e64 v23, 0, v62, s[6:7]
	v_add_f64 v[16:17], v[16:17], v[22:23]
	v_add_f64 v[58:59], v[70:71], v[16:17]
	v_cvt_i32_f64_e32 v23, v[58:59]
	v_cvt_f64_i32_e32 v[58:59], v23
	v_add_f64 v[16:17], v[16:17], -v[58:59]
	v_add_f64 v[68:69], v[70:71], -v[68:69]
	v_add_f64 v[58:59], v[70:71], v[16:17]
	v_add_f64 v[68:69], v[80:81], -v[68:69]
	v_add_f64 v[16:17], v[58:59], -v[16:17]
	v_cmp_le_f64_e64 s[6:7], 0.5, v[58:59]
	v_add_f64 v[14:15], v[68:69], v[14:15]
	v_add_f64 v[16:17], v[70:71], -v[16:17]
	v_addc_co_u32_e64 v67, s[8:9], 0, v23, s[6:7]
	v_cndmask_b32_e64 v23, 0, v63, s[6:7]
	v_add_f64 v[14:15], v[14:15], v[16:17]
	v_add_f64 v[16:17], v[58:59], -v[22:23]
	v_add_f64 v[58:59], v[16:17], v[14:15]
	v_add_f64 v[16:17], v[58:59], -v[16:17]
	s_mov_b32 s26, s28
	v_add_f64 v[14:15], v[14:15], -v[16:17]
	v_mul_f64 v[16:17], v[58:59], s[26:27]
	v_fma_f64 v[60:61], v[58:59], s[26:27], -v[16:17]
	s_mov_b32 s35, s31
	v_fmac_f64_e32 v[60:61], s[34:35], v[58:59]
	v_fmac_f64_e32 v[60:61], s[26:27], v[14:15]
	v_add_f64 v[14:15], v[16:17], v[60:61]
	v_add_f64 v[16:17], v[14:15], -v[16:17]
	v_add_f64 v[16:17], v[60:61], -v[16:17]
	s_andn2_saveexec_b64 s[6:7], s[90:91]
	s_cbranch_execz .LBB132_255
	s_branch .LBB132_254
.LBB132_253:                            ;   in Loop: Header=BB132_185 Depth=1
	s_andn2_saveexec_b64 s[6:7], s[90:91]
	s_cbranch_execz .LBB132_255
.LBB132_254:                            ;   in Loop: Header=BB132_185 Depth=1
	v_mul_f64 v[14:15], |v[20:21]|, s[36:37]
	v_rndne_f64_e32 v[58:59], v[14:15]
	v_fma_f64 v[14:15], v[58:59], s[28:29], |v[20:21]|
	v_mul_f64 v[60:61], v[58:59], s[38:39]
	v_add_f64 v[70:71], v[14:15], v[60:61]
	v_fma_f64 v[16:17], s[38:39], v[58:59], v[14:15]
	s_mov_b32 s30, s38
	v_add_f64 v[14:15], v[14:15], -v[70:71]
	v_fma_f64 v[68:69], s[30:31], v[58:59], v[60:61]
	v_add_f64 v[14:15], v[14:15], v[60:61]
	v_add_f64 v[60:61], v[70:71], -v[16:17]
	v_add_f64 v[14:15], v[60:61], v[14:15]
	v_add_f64 v[60:61], v[14:15], -v[68:69]
	v_fmac_f64_e32 v[60:61], s[40:41], v[58:59]
	v_add_f64 v[14:15], v[16:17], v[60:61]
	v_add_f64 v[16:17], v[14:15], -v[16:17]
	v_add_f64 v[16:17], v[60:61], -v[16:17]
	v_cvt_i32_f64_e32 v67, v[58:59]
.LBB132_255:                            ;   in Loop: Header=BB132_185 Depth=1
	s_or_b64 exec, exec, s[6:7]
                                        ; implicit-def: $vgpr68
                                        ; implicit-def: $vgpr58_vgpr59
                                        ; implicit-def: $vgpr60_vgpr61
	s_and_saveexec_b64 s[6:7], s[10:11]
	s_xor_b64 s[10:11], exec, s[6:7]
	s_cbranch_execz .LBB132_257
; %bb.256:                              ;   in Loop: Header=BB132_185 Depth=1
	v_ldexp_f64 v[68:69], |v[20:21]|, s95
	v_cmp_ge_f64_e64 s[6:7], |v[20:21]|, s[22:23]
	v_trig_preop_f64 v[58:59], |v[20:21]|, 0
	v_cndmask_b32_e64 v69, v66, v69, s[6:7]
	v_cndmask_b32_e64 v68, v20, v68, s[6:7]
	v_trig_preop_f64 v[60:61], |v[20:21]|, 1
	v_mul_f64 v[72:73], v[58:59], v[68:69]
	v_mul_f64 v[70:71], v[60:61], v[68:69]
	v_fma_f64 v[58:59], v[58:59], v[68:69], -v[72:73]
	v_add_f64 v[74:75], v[70:71], v[58:59]
	v_add_f64 v[76:77], v[72:73], v[74:75]
	v_ldexp_f64 v[78:79], v[76:77], -2
	v_fract_f64_e32 v[80:81], v[78:79]
	v_cmp_neq_f64_e64 s[6:7], |v[78:79]|, s[24:25]
	v_cndmask_b32_e64 v79, 0, v81, s[6:7]
	v_cndmask_b32_e64 v78, 0, v80, s[6:7]
	v_add_f64 v[80:81], v[74:75], -v[70:71]
	v_add_f64 v[58:59], v[58:59], -v[80:81]
	;; [unrolled: 1-line block ×4, first 2 shown]
	v_fma_f64 v[60:61], v[60:61], v[68:69], -v[70:71]
	v_trig_preop_f64 v[70:71], |v[20:21]|, 2
	v_add_f64 v[58:59], v[58:59], v[80:81]
	v_mul_f64 v[80:81], v[70:71], v[68:69]
	v_add_f64 v[82:83], v[80:81], v[60:61]
	v_add_f64 v[84:85], v[82:83], v[58:59]
	v_add_f64 v[72:73], v[76:77], -v[72:73]
	v_add_f64 v[76:77], v[84:85], -v[82:83]
	;; [unrolled: 1-line block ×5, first 2 shown]
	v_add_f64 v[58:59], v[58:59], v[76:77]
	v_add_f64 v[76:77], v[82:83], -v[80:81]
	v_add_f64 v[60:61], v[60:61], -v[76:77]
	;; [unrolled: 1-line block ×4, first 2 shown]
	v_add_f64 v[60:61], v[60:61], v[76:77]
	v_add_f64 v[72:73], v[74:75], -v[72:73]
	v_add_f64 v[58:59], v[60:61], v[58:59]
	v_fma_f64 v[60:61], v[70:71], v[68:69], -v[80:81]
	v_add_f64 v[74:75], v[72:73], v[84:85]
	v_add_f64 v[58:59], v[60:61], v[58:59]
	v_ldexp_f64 v[60:61], v[78:79], 2
	v_add_f64 v[68:69], v[74:75], v[60:61]
	v_cmp_gt_f64_e64 s[6:7], 0, v[68:69]
	v_cndmask_b32_e64 v23, 0, v62, s[6:7]
	v_add_f64 v[60:61], v[60:61], v[22:23]
	v_add_f64 v[68:69], v[74:75], v[60:61]
	v_cvt_i32_f64_e32 v23, v[68:69]
	v_cvt_f64_i32_e32 v[68:69], v23
	v_add_f64 v[60:61], v[60:61], -v[68:69]
	v_add_f64 v[72:73], v[74:75], -v[72:73]
	v_add_f64 v[70:71], v[74:75], v[60:61]
	v_add_f64 v[72:73], v[84:85], -v[72:73]
	v_add_f64 v[60:61], v[70:71], -v[60:61]
	v_cmp_le_f64_e64 s[6:7], 0.5, v[70:71]
	v_add_f64 v[58:59], v[72:73], v[58:59]
	v_add_f64 v[60:61], v[74:75], -v[60:61]
	v_addc_co_u32_e64 v68, s[8:9], 0, v23, s[6:7]
	v_cndmask_b32_e64 v23, 0, v63, s[6:7]
	v_add_f64 v[58:59], v[58:59], v[60:61]
	v_add_f64 v[60:61], v[70:71], -v[22:23]
	v_add_f64 v[70:71], v[60:61], v[58:59]
	v_add_f64 v[60:61], v[70:71], -v[60:61]
	s_mov_b32 s26, s28
	v_add_f64 v[58:59], v[58:59], -v[60:61]
	v_mul_f64 v[60:61], v[70:71], s[26:27]
	v_fma_f64 v[72:73], v[70:71], s[26:27], -v[60:61]
	s_mov_b32 s35, s31
	v_fmac_f64_e32 v[72:73], s[34:35], v[70:71]
	v_fmac_f64_e32 v[72:73], s[26:27], v[58:59]
	v_add_f64 v[58:59], v[60:61], v[72:73]
	v_add_f64 v[60:61], v[58:59], -v[60:61]
	v_add_f64 v[60:61], v[72:73], -v[60:61]
	s_andn2_saveexec_b64 s[6:7], s[10:11]
	s_cbranch_execnz .LBB132_258
	s_branch .LBB132_259
.LBB132_257:                            ;   in Loop: Header=BB132_185 Depth=1
	s_andn2_saveexec_b64 s[6:7], s[10:11]
	s_cbranch_execz .LBB132_259
.LBB132_258:                            ;   in Loop: Header=BB132_185 Depth=1
	v_mul_f64 v[58:59], |v[20:21]|, s[36:37]
	v_rndne_f64_e32 v[68:69], v[58:59]
	v_fma_f64 v[58:59], v[68:69], s[28:29], |v[20:21]|
	v_mul_f64 v[70:71], v[68:69], s[38:39]
	v_add_f64 v[74:75], v[58:59], v[70:71]
	v_fma_f64 v[60:61], s[38:39], v[68:69], v[58:59]
	s_mov_b32 s30, s38
	v_add_f64 v[58:59], v[58:59], -v[74:75]
	v_fma_f64 v[72:73], s[30:31], v[68:69], v[70:71]
	v_add_f64 v[58:59], v[58:59], v[70:71]
	v_add_f64 v[70:71], v[74:75], -v[60:61]
	v_add_f64 v[58:59], v[70:71], v[58:59]
	v_add_f64 v[70:71], v[58:59], -v[72:73]
	v_fmac_f64_e32 v[70:71], s[40:41], v[68:69]
	v_add_f64 v[58:59], v[60:61], v[70:71]
	v_add_f64 v[60:61], v[58:59], -v[60:61]
	v_add_f64 v[60:61], v[70:71], -v[60:61]
	v_cvt_i32_f64_e32 v68, v[68:69]
.LBB132_259:                            ;   in Loop: Header=BB132_185 Depth=1
	s_or_b64 exec, exec, s[6:7]
	v_mul_f64 v[70:71], v[14:15], v[14:15]
	v_pk_mov_b32 v[78:79], s[58:59], s[58:59] op_sel:[0,1]
	v_mul_f64 v[72:73], v[70:71], 0.5
	v_fma_f64 v[80:81], s[60:61], v[70:71], v[78:79]
	v_add_f64 v[74:75], -v[72:73], 1.0
	v_fma_f64 v[80:81], v[70:71], v[80:81], s[62:63]
	v_fma_f64 v[80:81], v[70:71], v[80:81], s[64:65]
	v_add_f64 v[82:83], -v[74:75], 1.0
	v_fma_f64 v[80:81], v[70:71], v[80:81], s[66:67]
	v_add_f64 v[72:73], v[82:83], -v[72:73]
	v_mul_f64 v[76:77], v[70:71], v[70:71]
	v_fma_f64 v[80:81], v[70:71], v[80:81], s[52:53]
	v_fma_f64 v[72:73], v[14:15], -v[16:17], v[72:73]
	v_fmac_f64_e32 v[72:73], v[76:77], v[80:81]
	v_pk_mov_b32 v[76:77], s[68:69], s[68:69] op_sel:[0,1]
	v_fma_f64 v[80:81], s[70:71], v[70:71], v[76:77]
	v_fma_f64 v[80:81], v[70:71], v[80:81], s[72:73]
	;; [unrolled: 1-line block ×3, first 2 shown]
	v_add_f64 v[72:73], v[74:75], v[72:73]
	v_mul_f64 v[74:75], v[14:15], -v[70:71]
	v_fma_f64 v[80:81], v[70:71], v[80:81], s[50:51]
	v_mul_f64 v[82:83], v[16:17], 0.5
	v_fmac_f64_e32 v[82:83], v[74:75], v[80:81]
	v_fma_f64 v[16:17], v[70:71], v[82:83], -v[16:17]
	s_mov_b32 s76, s52
	v_fmac_f64_e32 v[16:17], s[76:77], v[74:75]
	v_and_b32_e32 v23, 1, v67
	v_add_f64 v[14:15], v[14:15], -v[16:17]
	v_xor_b32_e32 v15, 0x80000000, v15
	v_cmp_eq_u32_e64 s[6:7], 0, v23
	v_lshlrev_b32_e32 v16, 30, v67
	s_mov_b32 s8, 0x19ba0da4
	v_cndmask_b32_e64 v15, v15, v73, s[6:7]
	v_and_b32_e32 v16, 0x80000000, v16
	s_mov_b32 s9, 0xc0937be3
	v_xor_b32_e32 v15, v15, v16
	v_add_f64 v[16:17], v[18:19], s[8:9]
	v_mul_f64 v[18:19], v[16:17], s[42:43]
	v_rndne_f64_e32 v[18:19], v[18:19]
	v_fma_f64 v[66:67], s[44:45], v[18:19], v[16:17]
	v_fmac_f64_e32 v[66:67], s[46:47], v[18:19]
	v_pk_mov_b32 v[70:71], v[40:41], v[40:41] op_sel:[0,1]
	v_cndmask_b32_e64 v14, v14, v72, s[6:7]
	v_fmac_f64_e32 v[70:71], s[48:49], v[66:67]
	v_pk_mov_b32 v[72:73], v[42:43], v[42:43] op_sel:[0,1]
	v_fmac_f64_e32 v[72:73], v[66:67], v[70:71]
	v_pk_mov_b32 v[70:71], v[44:45], v[44:45] op_sel:[0,1]
	v_fmac_f64_e32 v[70:71], v[66:67], v[72:73]
	v_pk_mov_b32 v[72:73], v[46:47], v[46:47] op_sel:[0,1]
	v_fmac_f64_e32 v[72:73], v[66:67], v[70:71]
	v_pk_mov_b32 v[70:71], v[48:49], v[48:49] op_sel:[0,1]
	v_fmac_f64_e32 v[70:71], v[66:67], v[72:73]
	v_pk_mov_b32 v[72:73], v[50:51], v[50:51] op_sel:[0,1]
	v_fmac_f64_e32 v[72:73], v[66:67], v[70:71]
	v_pk_mov_b32 v[70:71], v[52:53], v[52:53] op_sel:[0,1]
	v_fmac_f64_e32 v[70:71], v[66:67], v[72:73]
	v_pk_mov_b32 v[72:73], v[54:55], v[54:55] op_sel:[0,1]
	v_fmac_f64_e32 v[72:73], v[66:67], v[70:71]
	v_pk_mov_b32 v[70:71], v[56:57], v[56:57] op_sel:[0,1]
	v_fmac_f64_e32 v[70:71], v[66:67], v[72:73]
	v_fma_f64 v[70:71], v[66:67], v[70:71], 1.0
	v_fma_f64 v[66:67], v[66:67], v[70:71], 1.0
	v_cvt_i32_f64_e32 v18, v[18:19]
	v_ldexp_f64 v[18:19], v[66:67], v18
	v_mul_f64 v[66:67], v[58:59], v[58:59]
	v_mul_f64 v[70:71], v[66:67], 0.5
	v_fmac_f64_e32 v[78:79], s[60:61], v[66:67]
	v_add_f64 v[72:73], -v[70:71], 1.0
	v_fma_f64 v[78:79], v[66:67], v[78:79], s[62:63]
	v_add_f64 v[74:75], -v[72:73], 1.0
	v_fma_f64 v[78:79], v[66:67], v[78:79], s[64:65]
	v_add_f64 v[70:71], v[74:75], -v[70:71]
	v_fma_f64 v[78:79], v[66:67], v[78:79], s[66:67]
	v_mul_f64 v[74:75], v[66:67], v[66:67]
	v_fma_f64 v[78:79], v[66:67], v[78:79], s[52:53]
	v_fma_f64 v[70:71], v[58:59], -v[60:61], v[70:71]
	v_fmac_f64_e32 v[70:71], v[74:75], v[78:79]
	v_fmac_f64_e32 v[76:77], s[70:71], v[66:67]
	v_add_f64 v[70:71], v[72:73], v[70:71]
	v_fma_f64 v[72:73], v[66:67], v[76:77], s[72:73]
	v_fma_f64 v[72:73], v[66:67], v[72:73], s[74:75]
	;; [unrolled: 1-line block ×3, first 2 shown]
	v_mul_f64 v[74:75], v[58:59], -v[66:67]
	v_mul_f64 v[76:77], v[60:61], 0.5
	v_cmp_nlt_f64_e64 s[8:9], s[54:55], v[16:17]
	v_fmac_f64_e32 v[76:77], v[74:75], v[72:73]
	v_cndmask_b32_e64 v19, v64, v19, s[8:9]
	v_cmp_ngt_f64_e64 s[10:11], s[56:57], v[16:17]
	v_fma_f64 v[60:61], v[66:67], v[76:77], -v[60:61]
	v_cmp_class_f64_e64 s[6:7], v[20:21], s20
	v_cndmask_b32_e64 v19, 0, v19, s[10:11]
	s_and_b64 s[8:9], s[10:11], s[8:9]
	v_fmac_f64_e32 v[60:61], s[76:77], v[74:75]
	v_and_b32_e32 v20, 1, v68
	v_cndmask_b32_e64 v16, 0, v18, s[8:9]
	v_lshrrev_b32_e32 v18, 20, v19
	v_add_f64 v[58:59], v[58:59], -v[60:61]
	v_cmp_eq_u32_e64 s[8:9], 0, v20
	v_add_u32_e32 v18, 0xffffff09, v18
	v_cndmask_b32_e64 v20, v70, v58, s[8:9]
	v_cndmask_b32_e64 v58, v71, v59, s[8:9]
	v_lshlrev_b32_e32 v59, 30, v68
	v_and_b32_e32 v17, 0xfffff, v19
	v_lshrrev_b16_e32 v19, 15, v18
	v_xor_b32_e32 v21, v59, v21
	v_add_u16_e32 v19, v18, v19
	v_and_b32_e32 v21, 0x80000000, v21
	v_ashrrev_i16_e32 v19, 1, v19
	v_xor_b32_e32 v21, v58, v21
	v_cndmask_b32_e64 v14, 0, v14, s[6:7]
	v_cndmask_b32_e64 v15, v65, v15, s[6:7]
	v_or_b32_e32 v17, 0x7fe00000, v17
	v_bfe_i32 v19, v19, 0, 16
	v_cndmask_b32_e64 v20, 0, v20, s[6:7]
	v_cndmask_b32_e64 v21, v65, v21, s[6:7]
	v_mul_f64 v[14:15], v[16:17], v[14:15]
	v_lshl_add_u32 v23, v19, 20, v63
	v_sub_u32_e32 v18, v18, v19
	v_mul_f64 v[16:17], v[16:17], v[20:21]
	v_mul_f64 v[14:15], v[14:15], v[22:23]
	v_lshl_add_u32 v19, v18, 20, v63
	v_mov_b32_e32 v18, v22
	v_mul_f64 v[16:17], v[16:17], v[22:23]
	v_mul_f64 v[14:15], v[14:15], v[18:19]
	;; [unrolled: 1-line block ×3, first 2 shown]
.LBB132_260:                            ;   in Loop: Header=BB132_185 Depth=1
	s_or_b64 exec, exec, s[88:89]
                                        ; implicit-def: $vgpr18_vgpr19
                                        ; implicit-def: $vgpr23
.LBB132_261:                            ;   in Loop: Header=BB132_185 Depth=1
	s_andn2_saveexec_b64 s[10:11], s[86:87]
	s_cbranch_execz .LBB132_267
; %bb.262:                              ;   in Loop: Header=BB132_185 Depth=1
	s_mov_b32 s8, 0x7ff00000
	v_cmp_ne_u32_e64 s[6:7], 0, v18
	v_cmp_ne_u32_e64 s[8:9], s8, v23
	s_or_b64 s[6:7], s[6:7], s[8:9]
                                        ; implicit-def: $vgpr16_vgpr17
	s_and_saveexec_b64 s[8:9], s[6:7]
	s_xor_b64 s[6:7], exec, s[8:9]
; %bb.263:                              ;   in Loop: Header=BB132_185 Depth=1
	v_add_f64 v[16:17], v[20:21], -v[20:21]
                                        ; implicit-def: $vgpr18_vgpr19
; %bb.264:                              ;   in Loop: Header=BB132_185 Depth=1
	s_or_saveexec_b64 s[8:9], s[6:7]
	v_pk_mov_b32 v[14:15], v[16:17], v[16:17] op_sel:[0,1]
	s_xor_b64 exec, exec, s[8:9]
; %bb.265:                              ;   in Loop: Header=BB132_185 Depth=1
	v_add_f64 v[16:17], v[20:21], -v[20:21]
	v_cmp_lt_i64_e64 s[6:7], -1, v[18:19]
	v_cndmask_b32_e64 v15, 0, v19, s[6:7]
	v_cndmask_b32_e64 v14, 0, v18, s[6:7]
	;; [unrolled: 1-line block ×4, first 2 shown]
; %bb.266:                              ;   in Loop: Header=BB132_185 Depth=1
	s_or_b64 exec, exec, s[8:9]
.LBB132_267:                            ;   in Loop: Header=BB132_185 Depth=1
	s_or_b64 exec, exec, s[10:11]
                                        ; implicit-def: $vgpr20_vgpr21
                                        ; implicit-def: $vgpr66
.LBB132_268:                            ;   in Loop: Header=BB132_185 Depth=1
	s_andn2_saveexec_b64 s[10:11], s[84:85]
	s_cbranch_execz .LBB132_278
; %bb.269:                              ;   in Loop: Header=BB132_185 Depth=1
	s_mov_b32 s6, 0
	s_mov_b32 s7, 0x41d00000
	v_cmp_nlt_f64_e64 s[84:85], |v[20:21]|, s[6:7]
                                        ; implicit-def: $vgpr60
                                        ; implicit-def: $vgpr14_vgpr15
                                        ; implicit-def: $vgpr16_vgpr17
	s_and_saveexec_b64 s[6:7], s[84:85]
	s_xor_b64 s[86:87], exec, s[6:7]
	s_cbranch_execz .LBB132_271
; %bb.270:                              ;   in Loop: Header=BB132_185 Depth=1
	v_ldexp_f64 v[18:19], |v[20:21]|, s95
	v_cmp_ge_f64_e64 s[6:7], |v[20:21]|, s[22:23]
	v_trig_preop_f64 v[14:15], |v[20:21]|, 0
	v_cndmask_b32_e64 v19, v66, v19, s[6:7]
	v_cndmask_b32_e64 v18, v20, v18, s[6:7]
	v_trig_preop_f64 v[16:17], |v[20:21]|, 1
	v_mul_f64 v[60:61], v[14:15], v[18:19]
	v_mul_f64 v[58:59], v[16:17], v[18:19]
	v_fma_f64 v[14:15], v[14:15], v[18:19], -v[60:61]
	v_add_f64 v[68:69], v[58:59], v[14:15]
	v_add_f64 v[70:71], v[60:61], v[68:69]
	v_ldexp_f64 v[72:73], v[70:71], -2
	v_fract_f64_e32 v[74:75], v[72:73]
	v_cmp_neq_f64_e64 s[6:7], |v[72:73]|, s[24:25]
	v_cndmask_b32_e64 v73, 0, v75, s[6:7]
	v_cndmask_b32_e64 v72, 0, v74, s[6:7]
	v_add_f64 v[74:75], v[68:69], -v[58:59]
	v_add_f64 v[14:15], v[14:15], -v[74:75]
	;; [unrolled: 1-line block ×4, first 2 shown]
	v_fma_f64 v[16:17], v[16:17], v[18:19], -v[58:59]
	v_trig_preop_f64 v[58:59], |v[20:21]|, 2
	v_add_f64 v[14:15], v[14:15], v[74:75]
	v_mul_f64 v[74:75], v[58:59], v[18:19]
	v_add_f64 v[76:77], v[74:75], v[16:17]
	v_add_f64 v[78:79], v[76:77], v[14:15]
	v_add_f64 v[60:61], v[70:71], -v[60:61]
	v_add_f64 v[70:71], v[78:79], -v[76:77]
	;; [unrolled: 1-line block ×5, first 2 shown]
	v_add_f64 v[14:15], v[14:15], v[70:71]
	v_add_f64 v[70:71], v[76:77], -v[74:75]
	v_add_f64 v[16:17], v[16:17], -v[70:71]
	;; [unrolled: 1-line block ×4, first 2 shown]
	v_add_f64 v[16:17], v[16:17], v[70:71]
	v_add_f64 v[60:61], v[68:69], -v[60:61]
	v_add_f64 v[14:15], v[16:17], v[14:15]
	v_fma_f64 v[16:17], v[58:59], v[18:19], -v[74:75]
	v_add_f64 v[68:69], v[60:61], v[78:79]
	v_add_f64 v[14:15], v[16:17], v[14:15]
	v_ldexp_f64 v[16:17], v[72:73], 2
	v_add_f64 v[18:19], v[68:69], v[16:17]
	v_cmp_gt_f64_e64 s[6:7], 0, v[18:19]
	v_cndmask_b32_e64 v23, 0, v62, s[6:7]
	v_add_f64 v[16:17], v[16:17], v[22:23]
	v_add_f64 v[18:19], v[68:69], v[16:17]
	v_cvt_i32_f64_e32 v23, v[18:19]
	v_cvt_f64_i32_e32 v[18:19], v23
	v_add_f64 v[16:17], v[16:17], -v[18:19]
	v_add_f64 v[60:61], v[68:69], -v[60:61]
	v_add_f64 v[18:19], v[68:69], v[16:17]
	v_add_f64 v[60:61], v[78:79], -v[60:61]
	v_add_f64 v[16:17], v[18:19], -v[16:17]
	v_cmp_le_f64_e64 s[6:7], 0.5, v[18:19]
	v_add_f64 v[14:15], v[60:61], v[14:15]
	v_add_f64 v[16:17], v[68:69], -v[16:17]
	v_addc_co_u32_e64 v60, s[8:9], 0, v23, s[6:7]
	v_cndmask_b32_e64 v23, 0, v63, s[6:7]
	v_add_f64 v[14:15], v[14:15], v[16:17]
	v_add_f64 v[16:17], v[18:19], -v[22:23]
	v_add_f64 v[18:19], v[16:17], v[14:15]
	v_add_f64 v[16:17], v[18:19], -v[16:17]
	s_mov_b32 s26, s28
	v_add_f64 v[14:15], v[14:15], -v[16:17]
	v_mul_f64 v[16:17], v[18:19], s[26:27]
	v_fma_f64 v[58:59], v[18:19], s[26:27], -v[16:17]
	s_mov_b32 s35, s31
	v_fmac_f64_e32 v[58:59], s[34:35], v[18:19]
	v_fmac_f64_e32 v[58:59], s[26:27], v[14:15]
	v_add_f64 v[14:15], v[16:17], v[58:59]
	v_add_f64 v[16:17], v[14:15], -v[16:17]
	v_add_f64 v[16:17], v[58:59], -v[16:17]
	s_andn2_saveexec_b64 s[6:7], s[86:87]
	s_cbranch_execz .LBB132_273
	s_branch .LBB132_272
.LBB132_271:                            ;   in Loop: Header=BB132_185 Depth=1
	s_andn2_saveexec_b64 s[6:7], s[86:87]
	s_cbranch_execz .LBB132_273
.LBB132_272:                            ;   in Loop: Header=BB132_185 Depth=1
	v_mul_f64 v[14:15], |v[20:21]|, s[36:37]
	v_rndne_f64_e32 v[18:19], v[14:15]
	v_fma_f64 v[14:15], v[18:19], s[28:29], |v[20:21]|
	v_mul_f64 v[58:59], v[18:19], s[38:39]
	v_add_f64 v[68:69], v[14:15], v[58:59]
	v_fma_f64 v[16:17], s[38:39], v[18:19], v[14:15]
	s_mov_b32 s30, s38
	v_add_f64 v[14:15], v[14:15], -v[68:69]
	v_fma_f64 v[60:61], s[30:31], v[18:19], v[58:59]
	v_add_f64 v[14:15], v[14:15], v[58:59]
	v_add_f64 v[58:59], v[68:69], -v[16:17]
	v_add_f64 v[14:15], v[58:59], v[14:15]
	v_add_f64 v[58:59], v[14:15], -v[60:61]
	v_fmac_f64_e32 v[58:59], s[40:41], v[18:19]
	v_add_f64 v[14:15], v[16:17], v[58:59]
	v_add_f64 v[16:17], v[14:15], -v[16:17]
	v_add_f64 v[16:17], v[58:59], -v[16:17]
	v_cvt_i32_f64_e32 v60, v[18:19]
.LBB132_273:                            ;   in Loop: Header=BB132_185 Depth=1
	s_or_b64 exec, exec, s[6:7]
                                        ; implicit-def: $vgpr61
                                        ; implicit-def: $vgpr18_vgpr19
                                        ; implicit-def: $vgpr58_vgpr59
	s_and_saveexec_b64 s[6:7], s[84:85]
	s_xor_b64 s[84:85], exec, s[6:7]
	s_cbranch_execz .LBB132_275
; %bb.274:                              ;   in Loop: Header=BB132_185 Depth=1
	v_ldexp_f64 v[68:69], |v[20:21]|, s95
	v_cmp_ge_f64_e64 s[6:7], |v[20:21]|, s[22:23]
	v_trig_preop_f64 v[18:19], |v[20:21]|, 0
	v_cndmask_b32_e64 v67, v66, v69, s[6:7]
	v_cndmask_b32_e64 v66, v20, v68, s[6:7]
	v_trig_preop_f64 v[58:59], |v[20:21]|, 1
	v_mul_f64 v[70:71], v[18:19], v[66:67]
	v_mul_f64 v[68:69], v[58:59], v[66:67]
	v_fma_f64 v[18:19], v[18:19], v[66:67], -v[70:71]
	v_add_f64 v[72:73], v[68:69], v[18:19]
	v_add_f64 v[74:75], v[70:71], v[72:73]
	v_ldexp_f64 v[76:77], v[74:75], -2
	v_fract_f64_e32 v[78:79], v[76:77]
	v_cmp_neq_f64_e64 s[6:7], |v[76:77]|, s[24:25]
	v_cndmask_b32_e64 v77, 0, v79, s[6:7]
	v_cndmask_b32_e64 v76, 0, v78, s[6:7]
	v_add_f64 v[78:79], v[72:73], -v[68:69]
	v_add_f64 v[18:19], v[18:19], -v[78:79]
	;; [unrolled: 1-line block ×4, first 2 shown]
	v_fma_f64 v[58:59], v[58:59], v[66:67], -v[68:69]
	v_trig_preop_f64 v[68:69], |v[20:21]|, 2
	v_add_f64 v[18:19], v[18:19], v[78:79]
	v_mul_f64 v[78:79], v[68:69], v[66:67]
	v_add_f64 v[80:81], v[78:79], v[58:59]
	v_add_f64 v[82:83], v[80:81], v[18:19]
	v_add_f64 v[70:71], v[74:75], -v[70:71]
	v_add_f64 v[74:75], v[82:83], -v[80:81]
	;; [unrolled: 1-line block ×5, first 2 shown]
	v_add_f64 v[18:19], v[18:19], v[74:75]
	v_add_f64 v[74:75], v[80:81], -v[78:79]
	v_add_f64 v[58:59], v[58:59], -v[74:75]
	;; [unrolled: 1-line block ×4, first 2 shown]
	v_add_f64 v[58:59], v[58:59], v[74:75]
	v_add_f64 v[70:71], v[72:73], -v[70:71]
	v_add_f64 v[18:19], v[58:59], v[18:19]
	v_fma_f64 v[58:59], v[68:69], v[66:67], -v[78:79]
	v_add_f64 v[72:73], v[70:71], v[82:83]
	v_add_f64 v[18:19], v[58:59], v[18:19]
	v_ldexp_f64 v[58:59], v[76:77], 2
	v_add_f64 v[66:67], v[72:73], v[58:59]
	v_cmp_gt_f64_e64 s[6:7], 0, v[66:67]
	v_cndmask_b32_e64 v23, 0, v62, s[6:7]
	v_add_f64 v[58:59], v[58:59], v[22:23]
	v_add_f64 v[66:67], v[72:73], v[58:59]
	v_cvt_i32_f64_e32 v23, v[66:67]
	v_cvt_f64_i32_e32 v[66:67], v23
	v_add_f64 v[58:59], v[58:59], -v[66:67]
	v_add_f64 v[70:71], v[72:73], -v[70:71]
	v_add_f64 v[66:67], v[72:73], v[58:59]
	v_add_f64 v[70:71], v[82:83], -v[70:71]
	v_add_f64 v[58:59], v[66:67], -v[58:59]
	v_cmp_le_f64_e64 s[6:7], 0.5, v[66:67]
	v_add_f64 v[18:19], v[70:71], v[18:19]
	v_add_f64 v[58:59], v[72:73], -v[58:59]
	v_addc_co_u32_e64 v61, s[8:9], 0, v23, s[6:7]
	v_cndmask_b32_e64 v23, 0, v63, s[6:7]
	v_add_f64 v[18:19], v[18:19], v[58:59]
	v_add_f64 v[58:59], v[66:67], -v[22:23]
	v_add_f64 v[66:67], v[58:59], v[18:19]
	v_add_f64 v[58:59], v[66:67], -v[58:59]
	s_mov_b32 s26, s28
	v_add_f64 v[18:19], v[18:19], -v[58:59]
	v_mul_f64 v[58:59], v[66:67], s[26:27]
	v_fma_f64 v[68:69], v[66:67], s[26:27], -v[58:59]
	s_mov_b32 s35, s31
	v_fmac_f64_e32 v[68:69], s[34:35], v[66:67]
	v_fmac_f64_e32 v[68:69], s[26:27], v[18:19]
	v_add_f64 v[18:19], v[58:59], v[68:69]
	v_add_f64 v[58:59], v[18:19], -v[58:59]
	v_add_f64 v[58:59], v[68:69], -v[58:59]
	s_andn2_saveexec_b64 s[6:7], s[84:85]
	s_cbranch_execnz .LBB132_276
	s_branch .LBB132_277
.LBB132_275:                            ;   in Loop: Header=BB132_185 Depth=1
	s_andn2_saveexec_b64 s[6:7], s[84:85]
	s_cbranch_execz .LBB132_277
.LBB132_276:                            ;   in Loop: Header=BB132_185 Depth=1
	v_mul_f64 v[18:19], |v[20:21]|, s[36:37]
	v_rndne_f64_e32 v[66:67], v[18:19]
	v_fma_f64 v[18:19], v[66:67], s[28:29], |v[20:21]|
	v_mul_f64 v[68:69], v[66:67], s[38:39]
	v_add_f64 v[72:73], v[18:19], v[68:69]
	v_fma_f64 v[58:59], s[38:39], v[66:67], v[18:19]
	s_mov_b32 s30, s38
	v_add_f64 v[18:19], v[18:19], -v[72:73]
	v_fma_f64 v[70:71], s[30:31], v[66:67], v[68:69]
	v_add_f64 v[18:19], v[18:19], v[68:69]
	v_add_f64 v[68:69], v[72:73], -v[58:59]
	v_add_f64 v[18:19], v[68:69], v[18:19]
	v_add_f64 v[68:69], v[18:19], -v[70:71]
	v_fmac_f64_e32 v[68:69], s[40:41], v[66:67]
	v_add_f64 v[18:19], v[58:59], v[68:69]
	v_add_f64 v[58:59], v[18:19], -v[58:59]
	v_add_f64 v[58:59], v[68:69], -v[58:59]
	v_cvt_i32_f64_e32 v61, v[66:67]
.LBB132_277:                            ;   in Loop: Header=BB132_185 Depth=1
	s_or_b64 exec, exec, s[6:7]
	v_mul_f64 v[66:67], v[14:15], v[14:15]
	v_pk_mov_b32 v[74:75], s[58:59], s[58:59] op_sel:[0,1]
	v_mul_f64 v[68:69], v[66:67], 0.5
	v_fma_f64 v[76:77], s[60:61], v[66:67], v[74:75]
	v_add_f64 v[70:71], -v[68:69], 1.0
	v_fma_f64 v[76:77], v[66:67], v[76:77], s[62:63]
	v_add_f64 v[72:73], -v[70:71], 1.0
	v_fma_f64 v[76:77], v[66:67], v[76:77], s[64:65]
	v_add_f64 v[68:69], v[72:73], -v[68:69]
	v_fma_f64 v[76:77], v[66:67], v[76:77], s[66:67]
	v_mul_f64 v[72:73], v[66:67], v[66:67]
	v_fma_f64 v[76:77], v[66:67], v[76:77], s[52:53]
	v_fma_f64 v[68:69], v[14:15], -v[16:17], v[68:69]
	v_fmac_f64_e32 v[68:69], v[72:73], v[76:77]
	v_add_f64 v[68:69], v[70:71], v[68:69]
	v_pk_mov_b32 v[70:71], s[68:69], s[68:69] op_sel:[0,1]
	v_fma_f64 v[72:73], s[70:71], v[66:67], v[70:71]
	v_fma_f64 v[72:73], v[66:67], v[72:73], s[72:73]
	;; [unrolled: 1-line block ×4, first 2 shown]
	v_mul_f64 v[76:77], v[14:15], -v[66:67]
	v_mul_f64 v[78:79], v[16:17], 0.5
	v_fmac_f64_e32 v[78:79], v[76:77], v[72:73]
	v_fma_f64 v[16:17], v[66:67], v[78:79], -v[16:17]
	s_mov_b32 s76, s52
	v_fmac_f64_e32 v[16:17], s[76:77], v[76:77]
	v_add_f64 v[14:15], v[14:15], -v[16:17]
	v_and_b32_e32 v16, 1, v60
	v_xor_b32_e32 v15, 0x80000000, v15
	v_cmp_eq_u32_e64 s[6:7], 0, v16
	v_lshlrev_b32_e32 v16, 30, v60
	v_cndmask_b32_e64 v15, v15, v69, s[6:7]
	v_and_b32_e32 v16, 0x80000000, v16
	v_xor_b32_e32 v15, v15, v16
	v_mul_f64 v[16:17], v[18:19], v[18:19]
	v_mul_f64 v[66:67], v[16:17], 0.5
	v_fmac_f64_e32 v[74:75], s[60:61], v[16:17]
	v_cndmask_b32_e64 v14, v14, v68, s[6:7]
	v_add_f64 v[68:69], -v[66:67], 1.0
	v_fma_f64 v[74:75], v[16:17], v[74:75], s[62:63]
	v_add_f64 v[72:73], -v[68:69], 1.0
	v_fma_f64 v[74:75], v[16:17], v[74:75], s[64:65]
	v_add_f64 v[66:67], v[72:73], -v[66:67]
	v_fma_f64 v[74:75], v[16:17], v[74:75], s[66:67]
	v_mul_f64 v[72:73], v[16:17], v[16:17]
	v_fma_f64 v[74:75], v[16:17], v[74:75], s[52:53]
	v_fma_f64 v[66:67], v[18:19], -v[58:59], v[66:67]
	v_fmac_f64_e32 v[66:67], v[72:73], v[74:75]
	v_fmac_f64_e32 v[70:71], s[70:71], v[16:17]
	v_add_f64 v[66:67], v[68:69], v[66:67]
	v_fma_f64 v[68:69], v[16:17], v[70:71], s[72:73]
	v_fma_f64 v[68:69], v[16:17], v[68:69], s[74:75]
	;; [unrolled: 1-line block ×3, first 2 shown]
	v_mul_f64 v[70:71], v[18:19], -v[16:17]
	v_mul_f64 v[72:73], v[58:59], 0.5
	v_fmac_f64_e32 v[72:73], v[70:71], v[68:69]
	v_fma_f64 v[16:17], v[16:17], v[72:73], -v[58:59]
	v_fmac_f64_e32 v[16:17], s[76:77], v[70:71]
	v_add_f64 v[16:17], v[18:19], -v[16:17]
	v_and_b32_e32 v18, 1, v61
	v_cmp_eq_u32_e64 s[8:9], 0, v18
	v_lshlrev_b32_e32 v18, 30, v61
	v_xor_b32_e32 v18, v18, v21
	v_cndmask_b32_e64 v17, v67, v17, s[8:9]
	v_and_b32_e32 v18, 0x80000000, v18
	v_cmp_class_f64_e64 s[6:7], v[20:21], s20
	v_cndmask_b32_e64 v16, v66, v16, s[8:9]
	v_xor_b32_e32 v17, v17, v18
	v_cndmask_b32_e64 v14, 0, v14, s[6:7]
	v_cndmask_b32_e64 v15, v65, v15, s[6:7]
	;; [unrolled: 1-line block ×4, first 2 shown]
.LBB132_278:                            ;   in Loop: Header=BB132_185 Depth=1
	s_or_b64 exec, exec, s[10:11]
                                        ; implicit-def: $vgpr18_vgpr19
.LBB132_279:                            ;   in Loop: Header=BB132_185 Depth=1
	s_andn2_saveexec_b64 s[10:11], s[82:83]
	s_cbranch_execz .LBB132_281
; %bb.280:                              ;   in Loop: Header=BB132_185 Depth=1
	v_mul_f64 v[14:15], v[18:19], s[42:43]
	v_rndne_f64_e32 v[14:15], v[14:15]
	v_fma_f64 v[16:17], s[44:45], v[14:15], v[18:19]
	v_fmac_f64_e32 v[16:17], s[46:47], v[14:15]
	v_pk_mov_b32 v[58:59], v[40:41], v[40:41] op_sel:[0,1]
	v_fmac_f64_e32 v[58:59], s[48:49], v[16:17]
	v_pk_mov_b32 v[60:61], v[42:43], v[42:43] op_sel:[0,1]
	;; [unrolled: 2-line block ×9, first 2 shown]
	v_fmac_f64_e32 v[58:59], v[16:17], v[60:61]
	v_fma_f64 v[58:59], v[16:17], v[58:59], 1.0
	v_fma_f64 v[16:17], v[16:17], v[58:59], 1.0
	v_cvt_i32_f64_e32 v14, v[14:15]
	v_ldexp_f64 v[14:15], v[16:17], v14
	v_cmp_nlt_f64_e64 s[6:7], s[54:55], v[18:19]
	v_cmp_ngt_f64_e64 s[8:9], s[56:57], v[18:19]
	v_cndmask_b32_e64 v15, v64, v15, s[6:7]
	s_and_b64 s[6:7], s[8:9], s[6:7]
	v_cndmask_b32_e64 v15, 0, v15, s[8:9]
	v_cndmask_b32_e64 v14, 0, v14, s[6:7]
	v_pk_mov_b32 v[16:17], v[20:21], v[20:21] op_sel:[0,1]
.LBB132_281:                            ;   in Loop: Header=BB132_185 Depth=1
	s_or_b64 exec, exec, s[10:11]
	v_and_b32_e32 v66, 0x7fffffff, v13
	v_or_b32_e32 v18, v66, v12
	v_cmp_ne_u32_e64 s[6:7], 0, v18
                                        ; implicit-def: $vgpr20_vgpr21
	s_and_saveexec_b64 s[8:9], s[6:7]
	s_xor_b64 s[82:83], exec, s[8:9]
	s_cbranch_execz .LBB132_323
; %bb.282:                              ;   in Loop: Header=BB132_185 Depth=1
	v_and_b32_e32 v23, 0x7fffffff, v11
	v_or_b32_e32 v18, v23, v10
	v_cmp_ne_u32_e64 s[6:7], 0, v18
                                        ; implicit-def: $vgpr20_vgpr21
	s_and_saveexec_b64 s[8:9], s[6:7]
	s_xor_b64 s[84:85], exec, s[8:9]
	s_cbranch_execz .LBB132_312
; %bb.283:                              ;   in Loop: Header=BB132_185 Depth=1
	s_mov_b32 s6, 0x7ff00000
	v_cmp_gt_u32_e64 s[6:7], s6, v66
                                        ; implicit-def: $vgpr20_vgpr21
	s_and_saveexec_b64 s[8:9], s[6:7]
	s_xor_b64 s[86:87], exec, s[8:9]
	s_cbranch_execz .LBB132_305
; %bb.284:                              ;   in Loop: Header=BB132_185 Depth=1
	v_add_u32_e32 v18, 0xbf79d1be, v11
	s_mov_b32 s6, 0x108aa2
	v_cmp_lt_u32_e64 s[6:7], s6, v18
                                        ; implicit-def: $vgpr20_vgpr21
	s_and_saveexec_b64 s[8:9], s[6:7]
	s_xor_b64 s[10:11], exec, s[8:9]
	s_cbranch_execz .LBB132_294
; %bb.285:                              ;   in Loop: Header=BB132_185 Depth=1
	s_mov_b32 s6, 0
	s_mov_b32 s7, 0x41d00000
	v_cmp_nlt_f64_e64 s[88:89], |v[12:13]|, s[6:7]
                                        ; implicit-def: $vgpr67
                                        ; implicit-def: $vgpr18_vgpr19
                                        ; implicit-def: $vgpr20_vgpr21
	s_and_saveexec_b64 s[6:7], s[88:89]
	s_xor_b64 s[90:91], exec, s[6:7]
	s_cbranch_execz .LBB132_287
; %bb.286:                              ;   in Loop: Header=BB132_185 Depth=1
	v_ldexp_f64 v[58:59], |v[12:13]|, s95
	v_cmp_ge_f64_e64 s[6:7], |v[12:13]|, s[22:23]
	v_trig_preop_f64 v[18:19], |v[12:13]|, 0
	v_cndmask_b32_e64 v59, v66, v59, s[6:7]
	v_cndmask_b32_e64 v58, v12, v58, s[6:7]
	v_trig_preop_f64 v[20:21], |v[12:13]|, 1
	v_mul_f64 v[68:69], v[18:19], v[58:59]
	v_mul_f64 v[60:61], v[20:21], v[58:59]
	v_fma_f64 v[18:19], v[18:19], v[58:59], -v[68:69]
	v_add_f64 v[70:71], v[60:61], v[18:19]
	v_add_f64 v[72:73], v[68:69], v[70:71]
	v_ldexp_f64 v[74:75], v[72:73], -2
	v_fract_f64_e32 v[76:77], v[74:75]
	v_cmp_neq_f64_e64 s[6:7], |v[74:75]|, s[24:25]
	v_cndmask_b32_e64 v75, 0, v77, s[6:7]
	v_cndmask_b32_e64 v74, 0, v76, s[6:7]
	v_add_f64 v[76:77], v[70:71], -v[60:61]
	v_add_f64 v[18:19], v[18:19], -v[76:77]
	;; [unrolled: 1-line block ×4, first 2 shown]
	v_fma_f64 v[20:21], v[20:21], v[58:59], -v[60:61]
	v_trig_preop_f64 v[60:61], |v[12:13]|, 2
	v_add_f64 v[18:19], v[18:19], v[76:77]
	v_mul_f64 v[76:77], v[60:61], v[58:59]
	v_add_f64 v[78:79], v[76:77], v[20:21]
	v_add_f64 v[80:81], v[78:79], v[18:19]
	v_add_f64 v[68:69], v[72:73], -v[68:69]
	v_add_f64 v[72:73], v[80:81], -v[78:79]
	;; [unrolled: 1-line block ×5, first 2 shown]
	v_add_f64 v[18:19], v[18:19], v[72:73]
	v_add_f64 v[72:73], v[78:79], -v[76:77]
	v_add_f64 v[20:21], v[20:21], -v[72:73]
	;; [unrolled: 1-line block ×4, first 2 shown]
	v_add_f64 v[20:21], v[20:21], v[72:73]
	v_add_f64 v[68:69], v[70:71], -v[68:69]
	v_add_f64 v[18:19], v[20:21], v[18:19]
	v_fma_f64 v[20:21], v[60:61], v[58:59], -v[76:77]
	v_add_f64 v[70:71], v[68:69], v[80:81]
	v_add_f64 v[18:19], v[20:21], v[18:19]
	v_ldexp_f64 v[20:21], v[74:75], 2
	v_add_f64 v[58:59], v[70:71], v[20:21]
	v_cmp_gt_f64_e64 s[6:7], 0, v[58:59]
	v_cndmask_b32_e64 v23, 0, v62, s[6:7]
	v_add_f64 v[20:21], v[20:21], v[22:23]
	v_add_f64 v[58:59], v[70:71], v[20:21]
	v_cvt_i32_f64_e32 v23, v[58:59]
	v_cvt_f64_i32_e32 v[58:59], v23
	v_add_f64 v[20:21], v[20:21], -v[58:59]
	v_add_f64 v[68:69], v[70:71], -v[68:69]
	v_add_f64 v[58:59], v[70:71], v[20:21]
	v_add_f64 v[68:69], v[80:81], -v[68:69]
	v_add_f64 v[20:21], v[58:59], -v[20:21]
	v_cmp_le_f64_e64 s[6:7], 0.5, v[58:59]
	v_add_f64 v[18:19], v[68:69], v[18:19]
	v_add_f64 v[20:21], v[70:71], -v[20:21]
	v_addc_co_u32_e64 v67, s[8:9], 0, v23, s[6:7]
	v_cndmask_b32_e64 v23, 0, v63, s[6:7]
	v_add_f64 v[18:19], v[18:19], v[20:21]
	v_add_f64 v[20:21], v[58:59], -v[22:23]
	v_add_f64 v[58:59], v[20:21], v[18:19]
	v_add_f64 v[20:21], v[58:59], -v[20:21]
	s_mov_b32 s26, s28
	v_add_f64 v[18:19], v[18:19], -v[20:21]
	v_mul_f64 v[20:21], v[58:59], s[26:27]
	v_fma_f64 v[60:61], v[58:59], s[26:27], -v[20:21]
	s_mov_b32 s35, s31
	v_fmac_f64_e32 v[60:61], s[34:35], v[58:59]
	v_fmac_f64_e32 v[60:61], s[26:27], v[18:19]
	v_add_f64 v[18:19], v[20:21], v[60:61]
	v_add_f64 v[20:21], v[18:19], -v[20:21]
	v_add_f64 v[20:21], v[60:61], -v[20:21]
	s_andn2_saveexec_b64 s[6:7], s[90:91]
	s_cbranch_execz .LBB132_289
	s_branch .LBB132_288
.LBB132_287:                            ;   in Loop: Header=BB132_185 Depth=1
	s_andn2_saveexec_b64 s[6:7], s[90:91]
	s_cbranch_execz .LBB132_289
.LBB132_288:                            ;   in Loop: Header=BB132_185 Depth=1
	v_mul_f64 v[18:19], |v[12:13]|, s[36:37]
	v_rndne_f64_e32 v[58:59], v[18:19]
	v_fma_f64 v[18:19], v[58:59], s[28:29], |v[12:13]|
	v_mul_f64 v[60:61], v[58:59], s[38:39]
	v_add_f64 v[70:71], v[18:19], v[60:61]
	v_fma_f64 v[20:21], s[38:39], v[58:59], v[18:19]
	s_mov_b32 s30, s38
	v_add_f64 v[18:19], v[18:19], -v[70:71]
	v_fma_f64 v[68:69], s[30:31], v[58:59], v[60:61]
	v_add_f64 v[18:19], v[18:19], v[60:61]
	v_add_f64 v[60:61], v[70:71], -v[20:21]
	v_add_f64 v[18:19], v[60:61], v[18:19]
	v_add_f64 v[60:61], v[18:19], -v[68:69]
	v_fmac_f64_e32 v[60:61], s[40:41], v[58:59]
	v_add_f64 v[18:19], v[20:21], v[60:61]
	v_add_f64 v[20:21], v[18:19], -v[20:21]
	v_add_f64 v[20:21], v[60:61], -v[20:21]
	v_cvt_i32_f64_e32 v67, v[58:59]
.LBB132_289:                            ;   in Loop: Header=BB132_185 Depth=1
	s_or_b64 exec, exec, s[6:7]
                                        ; implicit-def: $vgpr68
                                        ; implicit-def: $vgpr58_vgpr59
                                        ; implicit-def: $vgpr60_vgpr61
	s_and_saveexec_b64 s[6:7], s[88:89]
	s_xor_b64 s[88:89], exec, s[6:7]
	s_cbranch_execz .LBB132_291
; %bb.290:                              ;   in Loop: Header=BB132_185 Depth=1
	v_ldexp_f64 v[68:69], |v[12:13]|, s95
	v_cmp_ge_f64_e64 s[6:7], |v[12:13]|, s[22:23]
	v_trig_preop_f64 v[58:59], |v[12:13]|, 0
	v_cndmask_b32_e64 v69, v66, v69, s[6:7]
	v_cndmask_b32_e64 v68, v12, v68, s[6:7]
	v_trig_preop_f64 v[60:61], |v[12:13]|, 1
	v_mul_f64 v[72:73], v[58:59], v[68:69]
	v_mul_f64 v[70:71], v[60:61], v[68:69]
	v_fma_f64 v[58:59], v[58:59], v[68:69], -v[72:73]
	v_add_f64 v[74:75], v[70:71], v[58:59]
	v_add_f64 v[76:77], v[72:73], v[74:75]
	v_ldexp_f64 v[78:79], v[76:77], -2
	v_fract_f64_e32 v[80:81], v[78:79]
	v_cmp_neq_f64_e64 s[6:7], |v[78:79]|, s[24:25]
	v_cndmask_b32_e64 v79, 0, v81, s[6:7]
	v_cndmask_b32_e64 v78, 0, v80, s[6:7]
	v_add_f64 v[80:81], v[74:75], -v[70:71]
	v_add_f64 v[58:59], v[58:59], -v[80:81]
	;; [unrolled: 1-line block ×4, first 2 shown]
	v_fma_f64 v[60:61], v[60:61], v[68:69], -v[70:71]
	v_trig_preop_f64 v[70:71], |v[12:13]|, 2
	v_add_f64 v[58:59], v[58:59], v[80:81]
	v_mul_f64 v[80:81], v[70:71], v[68:69]
	v_add_f64 v[82:83], v[80:81], v[60:61]
	v_add_f64 v[84:85], v[82:83], v[58:59]
	v_add_f64 v[72:73], v[76:77], -v[72:73]
	v_add_f64 v[76:77], v[84:85], -v[82:83]
	;; [unrolled: 1-line block ×5, first 2 shown]
	v_add_f64 v[58:59], v[58:59], v[76:77]
	v_add_f64 v[76:77], v[82:83], -v[80:81]
	v_add_f64 v[60:61], v[60:61], -v[76:77]
	v_add_f64 v[76:77], v[82:83], -v[76:77]
	v_add_f64 v[76:77], v[80:81], -v[76:77]
	v_add_f64 v[60:61], v[60:61], v[76:77]
	v_add_f64 v[72:73], v[74:75], -v[72:73]
	v_add_f64 v[58:59], v[60:61], v[58:59]
	v_fma_f64 v[60:61], v[70:71], v[68:69], -v[80:81]
	v_add_f64 v[74:75], v[72:73], v[84:85]
	v_add_f64 v[58:59], v[60:61], v[58:59]
	v_ldexp_f64 v[60:61], v[78:79], 2
	v_add_f64 v[68:69], v[74:75], v[60:61]
	v_cmp_gt_f64_e64 s[6:7], 0, v[68:69]
	v_cndmask_b32_e64 v23, 0, v62, s[6:7]
	v_add_f64 v[60:61], v[60:61], v[22:23]
	v_add_f64 v[68:69], v[74:75], v[60:61]
	v_cvt_i32_f64_e32 v23, v[68:69]
	v_cvt_f64_i32_e32 v[68:69], v23
	v_add_f64 v[60:61], v[60:61], -v[68:69]
	v_add_f64 v[72:73], v[74:75], -v[72:73]
	v_add_f64 v[70:71], v[74:75], v[60:61]
	v_add_f64 v[72:73], v[84:85], -v[72:73]
	v_add_f64 v[60:61], v[70:71], -v[60:61]
	v_cmp_le_f64_e64 s[6:7], 0.5, v[70:71]
	v_add_f64 v[58:59], v[72:73], v[58:59]
	v_add_f64 v[60:61], v[74:75], -v[60:61]
	v_addc_co_u32_e64 v68, s[8:9], 0, v23, s[6:7]
	v_cndmask_b32_e64 v23, 0, v63, s[6:7]
	v_add_f64 v[58:59], v[58:59], v[60:61]
	v_add_f64 v[60:61], v[70:71], -v[22:23]
	v_add_f64 v[70:71], v[60:61], v[58:59]
	v_add_f64 v[60:61], v[70:71], -v[60:61]
	s_mov_b32 s26, s28
	v_add_f64 v[58:59], v[58:59], -v[60:61]
	v_mul_f64 v[60:61], v[70:71], s[26:27]
	v_fma_f64 v[72:73], v[70:71], s[26:27], -v[60:61]
	s_mov_b32 s35, s31
	v_fmac_f64_e32 v[72:73], s[34:35], v[70:71]
	v_fmac_f64_e32 v[72:73], s[26:27], v[58:59]
	v_add_f64 v[58:59], v[60:61], v[72:73]
	v_add_f64 v[60:61], v[58:59], -v[60:61]
	v_add_f64 v[60:61], v[72:73], -v[60:61]
	s_andn2_saveexec_b64 s[6:7], s[88:89]
	s_cbranch_execnz .LBB132_292
	s_branch .LBB132_293
.LBB132_291:                            ;   in Loop: Header=BB132_185 Depth=1
	s_andn2_saveexec_b64 s[6:7], s[88:89]
	s_cbranch_execz .LBB132_293
.LBB132_292:                            ;   in Loop: Header=BB132_185 Depth=1
	v_mul_f64 v[58:59], |v[12:13]|, s[36:37]
	v_rndne_f64_e32 v[68:69], v[58:59]
	v_fma_f64 v[58:59], v[68:69], s[28:29], |v[12:13]|
	v_mul_f64 v[70:71], v[68:69], s[38:39]
	v_add_f64 v[74:75], v[58:59], v[70:71]
	v_fma_f64 v[60:61], s[38:39], v[68:69], v[58:59]
	s_mov_b32 s30, s38
	v_add_f64 v[58:59], v[58:59], -v[74:75]
	v_fma_f64 v[72:73], s[30:31], v[68:69], v[70:71]
	v_add_f64 v[58:59], v[58:59], v[70:71]
	v_add_f64 v[70:71], v[74:75], -v[60:61]
	v_add_f64 v[58:59], v[70:71], v[58:59]
	v_add_f64 v[70:71], v[58:59], -v[72:73]
	v_fmac_f64_e32 v[70:71], s[40:41], v[68:69]
	v_add_f64 v[58:59], v[60:61], v[70:71]
	v_add_f64 v[60:61], v[58:59], -v[60:61]
	v_add_f64 v[60:61], v[70:71], -v[60:61]
	v_cvt_i32_f64_e32 v68, v[68:69]
.LBB132_293:                            ;   in Loop: Header=BB132_185 Depth=1
	s_or_b64 exec, exec, s[6:7]
	v_mul_f64 v[70:71], v[10:11], s[42:43]
	v_rndne_f64_e32 v[70:71], v[70:71]
	v_fma_f64 v[72:73], s[44:45], v[70:71], v[10:11]
	v_fmac_f64_e32 v[72:73], s[46:47], v[70:71]
	v_pk_mov_b32 v[74:75], v[40:41], v[40:41] op_sel:[0,1]
	v_fmac_f64_e32 v[74:75], s[48:49], v[72:73]
	v_pk_mov_b32 v[76:77], v[42:43], v[42:43] op_sel:[0,1]
	;; [unrolled: 2-line block ×9, first 2 shown]
	v_fmac_f64_e32 v[74:75], v[72:73], v[76:77]
	v_fma_f64 v[74:75], v[72:73], v[74:75], 1.0
	v_fma_f64 v[72:73], v[72:73], v[74:75], 1.0
	v_cvt_i32_f64_e32 v23, v[70:71]
	v_ldexp_f64 v[70:71], v[72:73], v23
	v_cmp_nlt_f64_e64 s[6:7], s[54:55], v[10:11]
	v_cmp_ngt_f64_e64 s[8:9], s[56:57], v[10:11]
	v_cndmask_b32_e64 v23, v64, v71, s[6:7]
	s_and_b64 s[6:7], s[8:9], s[6:7]
	v_cndmask_b32_e64 v10, 0, v70, s[6:7]
	v_mul_f64 v[70:71], v[18:19], v[18:19]
	v_pk_mov_b32 v[78:79], s[58:59], s[58:59] op_sel:[0,1]
	v_mul_f64 v[72:73], v[70:71], 0.5
	v_fma_f64 v[80:81], s[60:61], v[70:71], v[78:79]
	v_add_f64 v[74:75], -v[72:73], 1.0
	v_fma_f64 v[80:81], v[70:71], v[80:81], s[62:63]
	v_add_f64 v[76:77], -v[74:75], 1.0
	v_fma_f64 v[80:81], v[70:71], v[80:81], s[64:65]
	v_add_f64 v[72:73], v[76:77], -v[72:73]
	v_fma_f64 v[80:81], v[70:71], v[80:81], s[66:67]
	v_mul_f64 v[76:77], v[70:71], v[70:71]
	v_fma_f64 v[80:81], v[70:71], v[80:81], s[52:53]
	v_fma_f64 v[72:73], v[18:19], -v[20:21], v[72:73]
	v_fmac_f64_e32 v[72:73], v[76:77], v[80:81]
	v_add_f64 v[72:73], v[74:75], v[72:73]
	v_pk_mov_b32 v[74:75], s[68:69], s[68:69] op_sel:[0,1]
	v_fma_f64 v[76:77], s[70:71], v[70:71], v[74:75]
	v_fma_f64 v[76:77], v[70:71], v[76:77], s[72:73]
	;; [unrolled: 1-line block ×4, first 2 shown]
	v_mul_f64 v[80:81], v[18:19], -v[70:71]
	v_mul_f64 v[82:83], v[20:21], 0.5
	v_fmac_f64_e32 v[82:83], v[80:81], v[76:77]
	v_fma_f64 v[20:21], v[70:71], v[82:83], -v[20:21]
	s_mov_b32 s76, s52
	v_fmac_f64_e32 v[20:21], s[76:77], v[80:81]
	v_add_f64 v[18:19], v[18:19], -v[20:21]
	v_and_b32_e32 v20, 1, v67
	v_xor_b32_e32 v19, 0x80000000, v19
	v_cmp_eq_u32_e64 s[6:7], 0, v20
	v_lshlrev_b32_e32 v20, 30, v67
	v_cndmask_b32_e64 v19, v19, v73, s[6:7]
	v_and_b32_e32 v20, 0x80000000, v20
	v_xor_b32_e32 v19, v19, v20
	v_mul_f64 v[20:21], v[58:59], v[58:59]
	v_mul_f64 v[66:67], v[20:21], 0.5
	v_fmac_f64_e32 v[78:79], s[60:61], v[20:21]
	v_add_f64 v[70:71], -v[66:67], 1.0
	v_fma_f64 v[76:77], v[20:21], v[78:79], s[62:63]
	v_cndmask_b32_e64 v18, v18, v72, s[6:7]
	v_add_f64 v[72:73], -v[70:71], 1.0
	v_fma_f64 v[76:77], v[20:21], v[76:77], s[64:65]
	v_add_f64 v[66:67], v[72:73], -v[66:67]
	v_fma_f64 v[76:77], v[20:21], v[76:77], s[66:67]
	v_mul_f64 v[72:73], v[20:21], v[20:21]
	v_fma_f64 v[76:77], v[20:21], v[76:77], s[52:53]
	v_fma_f64 v[66:67], v[58:59], -v[60:61], v[66:67]
	v_fmac_f64_e32 v[66:67], v[72:73], v[76:77]
	v_fmac_f64_e32 v[74:75], s[70:71], v[20:21]
	v_add_f64 v[66:67], v[70:71], v[66:67]
	v_fma_f64 v[70:71], v[20:21], v[74:75], s[72:73]
	v_fma_f64 v[70:71], v[20:21], v[70:71], s[74:75]
	;; [unrolled: 1-line block ×3, first 2 shown]
	v_mul_f64 v[72:73], v[58:59], -v[20:21]
	v_mul_f64 v[74:75], v[60:61], 0.5
	v_fmac_f64_e32 v[74:75], v[72:73], v[70:71]
	v_fma_f64 v[20:21], v[20:21], v[74:75], -v[60:61]
	v_cmp_class_f64_e64 s[6:7], v[12:13], s20
	v_fmac_f64_e32 v[20:21], s[76:77], v[72:73]
	v_and_b32_e32 v12, 1, v68
	v_cndmask_b32_e64 v11, 0, v23, s[8:9]
	v_add_f64 v[20:21], v[58:59], -v[20:21]
	v_cmp_eq_u32_e64 s[8:9], 0, v12
	v_cndmask_b32_e64 v12, v66, v20, s[8:9]
	v_cndmask_b32_e64 v20, v67, v21, s[8:9]
	v_lshlrev_b32_e32 v21, 30, v68
	v_xor_b32_e32 v13, v21, v13
	v_and_b32_e32 v13, 0x80000000, v13
	v_xor_b32_e32 v13, v20, v13
	v_cndmask_b32_e64 v18, 0, v18, s[6:7]
	v_cndmask_b32_e64 v19, v65, v19, s[6:7]
	;; [unrolled: 1-line block ×4, first 2 shown]
	v_mul_f64 v[18:19], v[10:11], v[18:19]
	v_mul_f64 v[20:21], v[10:11], v[12:13]
                                        ; implicit-def: $vgpr12_vgpr13
                                        ; implicit-def: $vgpr66
.LBB132_294:                            ;   in Loop: Header=BB132_185 Depth=1
	s_andn2_saveexec_b64 s[88:89], s[10:11]
	s_cbranch_execz .LBB132_304
; %bb.295:                              ;   in Loop: Header=BB132_185 Depth=1
	s_mov_b32 s6, 0
	s_mov_b32 s7, 0x41d00000
	v_cmp_nlt_f64_e64 s[10:11], |v[12:13]|, s[6:7]
                                        ; implicit-def: $vgpr67
                                        ; implicit-def: $vgpr18_vgpr19
                                        ; implicit-def: $vgpr20_vgpr21
	s_and_saveexec_b64 s[6:7], s[10:11]
	s_xor_b64 s[90:91], exec, s[6:7]
	s_cbranch_execz .LBB132_297
; %bb.296:                              ;   in Loop: Header=BB132_185 Depth=1
	v_ldexp_f64 v[58:59], |v[12:13]|, s95
	v_cmp_ge_f64_e64 s[6:7], |v[12:13]|, s[22:23]
	v_trig_preop_f64 v[18:19], |v[12:13]|, 0
	v_cndmask_b32_e64 v59, v66, v59, s[6:7]
	v_cndmask_b32_e64 v58, v12, v58, s[6:7]
	v_trig_preop_f64 v[20:21], |v[12:13]|, 1
	v_mul_f64 v[68:69], v[18:19], v[58:59]
	v_mul_f64 v[60:61], v[20:21], v[58:59]
	v_fma_f64 v[18:19], v[18:19], v[58:59], -v[68:69]
	v_add_f64 v[70:71], v[60:61], v[18:19]
	v_add_f64 v[72:73], v[68:69], v[70:71]
	v_ldexp_f64 v[74:75], v[72:73], -2
	v_fract_f64_e32 v[76:77], v[74:75]
	v_cmp_neq_f64_e64 s[6:7], |v[74:75]|, s[24:25]
	v_cndmask_b32_e64 v75, 0, v77, s[6:7]
	v_cndmask_b32_e64 v74, 0, v76, s[6:7]
	v_add_f64 v[76:77], v[70:71], -v[60:61]
	v_add_f64 v[18:19], v[18:19], -v[76:77]
	;; [unrolled: 1-line block ×4, first 2 shown]
	v_fma_f64 v[20:21], v[20:21], v[58:59], -v[60:61]
	v_trig_preop_f64 v[60:61], |v[12:13]|, 2
	v_add_f64 v[18:19], v[18:19], v[76:77]
	v_mul_f64 v[76:77], v[60:61], v[58:59]
	v_add_f64 v[78:79], v[76:77], v[20:21]
	v_add_f64 v[80:81], v[78:79], v[18:19]
	v_add_f64 v[68:69], v[72:73], -v[68:69]
	v_add_f64 v[72:73], v[80:81], -v[78:79]
	;; [unrolled: 1-line block ×5, first 2 shown]
	v_add_f64 v[18:19], v[18:19], v[72:73]
	v_add_f64 v[72:73], v[78:79], -v[76:77]
	v_add_f64 v[20:21], v[20:21], -v[72:73]
	;; [unrolled: 1-line block ×4, first 2 shown]
	v_add_f64 v[20:21], v[20:21], v[72:73]
	v_add_f64 v[68:69], v[70:71], -v[68:69]
	v_add_f64 v[18:19], v[20:21], v[18:19]
	v_fma_f64 v[20:21], v[60:61], v[58:59], -v[76:77]
	v_add_f64 v[70:71], v[68:69], v[80:81]
	v_add_f64 v[18:19], v[20:21], v[18:19]
	v_ldexp_f64 v[20:21], v[74:75], 2
	v_add_f64 v[58:59], v[70:71], v[20:21]
	v_cmp_gt_f64_e64 s[6:7], 0, v[58:59]
	v_cndmask_b32_e64 v23, 0, v62, s[6:7]
	v_add_f64 v[20:21], v[20:21], v[22:23]
	v_add_f64 v[58:59], v[70:71], v[20:21]
	v_cvt_i32_f64_e32 v23, v[58:59]
	v_cvt_f64_i32_e32 v[58:59], v23
	v_add_f64 v[20:21], v[20:21], -v[58:59]
	v_add_f64 v[68:69], v[70:71], -v[68:69]
	v_add_f64 v[58:59], v[70:71], v[20:21]
	v_add_f64 v[68:69], v[80:81], -v[68:69]
	v_add_f64 v[20:21], v[58:59], -v[20:21]
	v_cmp_le_f64_e64 s[6:7], 0.5, v[58:59]
	v_add_f64 v[18:19], v[68:69], v[18:19]
	v_add_f64 v[20:21], v[70:71], -v[20:21]
	v_addc_co_u32_e64 v67, s[8:9], 0, v23, s[6:7]
	v_cndmask_b32_e64 v23, 0, v63, s[6:7]
	v_add_f64 v[18:19], v[18:19], v[20:21]
	v_add_f64 v[20:21], v[58:59], -v[22:23]
	v_add_f64 v[58:59], v[20:21], v[18:19]
	v_add_f64 v[20:21], v[58:59], -v[20:21]
	s_mov_b32 s26, s28
	v_add_f64 v[18:19], v[18:19], -v[20:21]
	v_mul_f64 v[20:21], v[58:59], s[26:27]
	v_fma_f64 v[60:61], v[58:59], s[26:27], -v[20:21]
	s_mov_b32 s35, s31
	v_fmac_f64_e32 v[60:61], s[34:35], v[58:59]
	v_fmac_f64_e32 v[60:61], s[26:27], v[18:19]
	v_add_f64 v[18:19], v[20:21], v[60:61]
	v_add_f64 v[20:21], v[18:19], -v[20:21]
	v_add_f64 v[20:21], v[60:61], -v[20:21]
	s_andn2_saveexec_b64 s[6:7], s[90:91]
	s_cbranch_execz .LBB132_299
	s_branch .LBB132_298
.LBB132_297:                            ;   in Loop: Header=BB132_185 Depth=1
	s_andn2_saveexec_b64 s[6:7], s[90:91]
	s_cbranch_execz .LBB132_299
.LBB132_298:                            ;   in Loop: Header=BB132_185 Depth=1
	v_mul_f64 v[18:19], |v[12:13]|, s[36:37]
	v_rndne_f64_e32 v[58:59], v[18:19]
	v_fma_f64 v[18:19], v[58:59], s[28:29], |v[12:13]|
	v_mul_f64 v[60:61], v[58:59], s[38:39]
	v_add_f64 v[70:71], v[18:19], v[60:61]
	v_fma_f64 v[20:21], s[38:39], v[58:59], v[18:19]
	s_mov_b32 s30, s38
	v_add_f64 v[18:19], v[18:19], -v[70:71]
	v_fma_f64 v[68:69], s[30:31], v[58:59], v[60:61]
	v_add_f64 v[18:19], v[18:19], v[60:61]
	v_add_f64 v[60:61], v[70:71], -v[20:21]
	v_add_f64 v[18:19], v[60:61], v[18:19]
	v_add_f64 v[60:61], v[18:19], -v[68:69]
	v_fmac_f64_e32 v[60:61], s[40:41], v[58:59]
	v_add_f64 v[18:19], v[20:21], v[60:61]
	v_add_f64 v[20:21], v[18:19], -v[20:21]
	v_add_f64 v[20:21], v[60:61], -v[20:21]
	v_cvt_i32_f64_e32 v67, v[58:59]
.LBB132_299:                            ;   in Loop: Header=BB132_185 Depth=1
	s_or_b64 exec, exec, s[6:7]
                                        ; implicit-def: $vgpr68
                                        ; implicit-def: $vgpr58_vgpr59
                                        ; implicit-def: $vgpr60_vgpr61
	s_and_saveexec_b64 s[6:7], s[10:11]
	s_xor_b64 s[10:11], exec, s[6:7]
	s_cbranch_execz .LBB132_301
; %bb.300:                              ;   in Loop: Header=BB132_185 Depth=1
	v_ldexp_f64 v[68:69], |v[12:13]|, s95
	v_cmp_ge_f64_e64 s[6:7], |v[12:13]|, s[22:23]
	v_trig_preop_f64 v[58:59], |v[12:13]|, 0
	v_cndmask_b32_e64 v69, v66, v69, s[6:7]
	v_cndmask_b32_e64 v68, v12, v68, s[6:7]
	v_trig_preop_f64 v[60:61], |v[12:13]|, 1
	v_mul_f64 v[72:73], v[58:59], v[68:69]
	v_mul_f64 v[70:71], v[60:61], v[68:69]
	v_fma_f64 v[58:59], v[58:59], v[68:69], -v[72:73]
	v_add_f64 v[74:75], v[70:71], v[58:59]
	v_add_f64 v[76:77], v[72:73], v[74:75]
	v_ldexp_f64 v[78:79], v[76:77], -2
	v_fract_f64_e32 v[80:81], v[78:79]
	v_cmp_neq_f64_e64 s[6:7], |v[78:79]|, s[24:25]
	v_cndmask_b32_e64 v79, 0, v81, s[6:7]
	v_cndmask_b32_e64 v78, 0, v80, s[6:7]
	v_add_f64 v[80:81], v[74:75], -v[70:71]
	v_add_f64 v[58:59], v[58:59], -v[80:81]
	;; [unrolled: 1-line block ×4, first 2 shown]
	v_fma_f64 v[60:61], v[60:61], v[68:69], -v[70:71]
	v_trig_preop_f64 v[70:71], |v[12:13]|, 2
	v_add_f64 v[58:59], v[58:59], v[80:81]
	v_mul_f64 v[80:81], v[70:71], v[68:69]
	v_add_f64 v[82:83], v[80:81], v[60:61]
	v_add_f64 v[84:85], v[82:83], v[58:59]
	v_add_f64 v[72:73], v[76:77], -v[72:73]
	v_add_f64 v[76:77], v[84:85], -v[82:83]
	;; [unrolled: 1-line block ×5, first 2 shown]
	v_add_f64 v[58:59], v[58:59], v[76:77]
	v_add_f64 v[76:77], v[82:83], -v[80:81]
	v_add_f64 v[60:61], v[60:61], -v[76:77]
	;; [unrolled: 1-line block ×4, first 2 shown]
	v_add_f64 v[60:61], v[60:61], v[76:77]
	v_add_f64 v[72:73], v[74:75], -v[72:73]
	v_add_f64 v[58:59], v[60:61], v[58:59]
	v_fma_f64 v[60:61], v[70:71], v[68:69], -v[80:81]
	v_add_f64 v[74:75], v[72:73], v[84:85]
	v_add_f64 v[58:59], v[60:61], v[58:59]
	v_ldexp_f64 v[60:61], v[78:79], 2
	v_add_f64 v[68:69], v[74:75], v[60:61]
	v_cmp_gt_f64_e64 s[6:7], 0, v[68:69]
	v_cndmask_b32_e64 v23, 0, v62, s[6:7]
	v_add_f64 v[60:61], v[60:61], v[22:23]
	v_add_f64 v[68:69], v[74:75], v[60:61]
	v_cvt_i32_f64_e32 v23, v[68:69]
	v_cvt_f64_i32_e32 v[68:69], v23
	v_add_f64 v[60:61], v[60:61], -v[68:69]
	v_add_f64 v[72:73], v[74:75], -v[72:73]
	v_add_f64 v[70:71], v[74:75], v[60:61]
	v_add_f64 v[72:73], v[84:85], -v[72:73]
	v_add_f64 v[60:61], v[70:71], -v[60:61]
	v_cmp_le_f64_e64 s[6:7], 0.5, v[70:71]
	v_add_f64 v[58:59], v[72:73], v[58:59]
	v_add_f64 v[60:61], v[74:75], -v[60:61]
	v_addc_co_u32_e64 v68, s[8:9], 0, v23, s[6:7]
	v_cndmask_b32_e64 v23, 0, v63, s[6:7]
	v_add_f64 v[58:59], v[58:59], v[60:61]
	v_add_f64 v[60:61], v[70:71], -v[22:23]
	v_add_f64 v[70:71], v[60:61], v[58:59]
	v_add_f64 v[60:61], v[70:71], -v[60:61]
	s_mov_b32 s26, s28
	v_add_f64 v[58:59], v[58:59], -v[60:61]
	v_mul_f64 v[60:61], v[70:71], s[26:27]
	v_fma_f64 v[72:73], v[70:71], s[26:27], -v[60:61]
	s_mov_b32 s35, s31
	v_fmac_f64_e32 v[72:73], s[34:35], v[70:71]
	v_fmac_f64_e32 v[72:73], s[26:27], v[58:59]
	v_add_f64 v[58:59], v[60:61], v[72:73]
	v_add_f64 v[60:61], v[58:59], -v[60:61]
	v_add_f64 v[60:61], v[72:73], -v[60:61]
	s_andn2_saveexec_b64 s[6:7], s[10:11]
	s_cbranch_execnz .LBB132_302
	s_branch .LBB132_303
.LBB132_301:                            ;   in Loop: Header=BB132_185 Depth=1
	s_andn2_saveexec_b64 s[6:7], s[10:11]
	s_cbranch_execz .LBB132_303
.LBB132_302:                            ;   in Loop: Header=BB132_185 Depth=1
	v_mul_f64 v[58:59], |v[12:13]|, s[36:37]
	v_rndne_f64_e32 v[68:69], v[58:59]
	v_fma_f64 v[58:59], v[68:69], s[28:29], |v[12:13]|
	v_mul_f64 v[70:71], v[68:69], s[38:39]
	v_add_f64 v[74:75], v[58:59], v[70:71]
	v_fma_f64 v[60:61], s[38:39], v[68:69], v[58:59]
	s_mov_b32 s30, s38
	v_add_f64 v[58:59], v[58:59], -v[74:75]
	v_fma_f64 v[72:73], s[30:31], v[68:69], v[70:71]
	v_add_f64 v[58:59], v[58:59], v[70:71]
	v_add_f64 v[70:71], v[74:75], -v[60:61]
	v_add_f64 v[58:59], v[70:71], v[58:59]
	v_add_f64 v[70:71], v[58:59], -v[72:73]
	v_fmac_f64_e32 v[70:71], s[40:41], v[68:69]
	v_add_f64 v[58:59], v[60:61], v[70:71]
	v_add_f64 v[60:61], v[58:59], -v[60:61]
	v_add_f64 v[60:61], v[70:71], -v[60:61]
	v_cvt_i32_f64_e32 v68, v[68:69]
.LBB132_303:                            ;   in Loop: Header=BB132_185 Depth=1
	s_or_b64 exec, exec, s[6:7]
	v_mul_f64 v[70:71], v[18:19], v[18:19]
	v_pk_mov_b32 v[78:79], s[58:59], s[58:59] op_sel:[0,1]
	v_mul_f64 v[72:73], v[70:71], 0.5
	v_fma_f64 v[80:81], s[60:61], v[70:71], v[78:79]
	v_add_f64 v[74:75], -v[72:73], 1.0
	v_fma_f64 v[80:81], v[70:71], v[80:81], s[62:63]
	v_fma_f64 v[80:81], v[70:71], v[80:81], s[64:65]
	v_add_f64 v[82:83], -v[74:75], 1.0
	v_fma_f64 v[80:81], v[70:71], v[80:81], s[66:67]
	v_add_f64 v[72:73], v[82:83], -v[72:73]
	v_mul_f64 v[76:77], v[70:71], v[70:71]
	v_fma_f64 v[80:81], v[70:71], v[80:81], s[52:53]
	v_fma_f64 v[72:73], v[18:19], -v[20:21], v[72:73]
	v_fmac_f64_e32 v[72:73], v[76:77], v[80:81]
	v_pk_mov_b32 v[76:77], s[68:69], s[68:69] op_sel:[0,1]
	v_fma_f64 v[80:81], s[70:71], v[70:71], v[76:77]
	v_fma_f64 v[80:81], v[70:71], v[80:81], s[72:73]
	;; [unrolled: 1-line block ×3, first 2 shown]
	v_add_f64 v[72:73], v[74:75], v[72:73]
	v_mul_f64 v[74:75], v[18:19], -v[70:71]
	v_fma_f64 v[80:81], v[70:71], v[80:81], s[50:51]
	v_mul_f64 v[82:83], v[20:21], 0.5
	v_fmac_f64_e32 v[82:83], v[74:75], v[80:81]
	v_fma_f64 v[20:21], v[70:71], v[82:83], -v[20:21]
	s_mov_b32 s76, s52
	v_fmac_f64_e32 v[20:21], s[76:77], v[74:75]
	v_and_b32_e32 v23, 1, v67
	v_add_f64 v[18:19], v[18:19], -v[20:21]
	s_mov_b32 s8, 0x19ba0da4
	v_xor_b32_e32 v19, 0x80000000, v19
	v_cmp_eq_u32_e64 s[6:7], 0, v23
	v_lshlrev_b32_e32 v20, 30, v67
	s_mov_b32 s9, 0xc0937be3
	v_cndmask_b32_e64 v19, v19, v73, s[6:7]
	v_and_b32_e32 v20, 0x80000000, v20
	v_add_f64 v[10:11], v[10:11], s[8:9]
	v_xor_b32_e32 v19, v19, v20
	v_mul_f64 v[20:21], v[10:11], s[42:43]
	v_rndne_f64_e32 v[20:21], v[20:21]
	v_fma_f64 v[66:67], s[44:45], v[20:21], v[10:11]
	v_fmac_f64_e32 v[66:67], s[46:47], v[20:21]
	v_pk_mov_b32 v[70:71], v[40:41], v[40:41] op_sel:[0,1]
	v_cndmask_b32_e64 v18, v18, v72, s[6:7]
	v_fmac_f64_e32 v[70:71], s[48:49], v[66:67]
	v_pk_mov_b32 v[72:73], v[42:43], v[42:43] op_sel:[0,1]
	v_fmac_f64_e32 v[72:73], v[66:67], v[70:71]
	v_pk_mov_b32 v[70:71], v[44:45], v[44:45] op_sel:[0,1]
	;; [unrolled: 2-line block ×8, first 2 shown]
	v_fmac_f64_e32 v[70:71], v[66:67], v[72:73]
	v_fma_f64 v[70:71], v[66:67], v[70:71], 1.0
	v_cmp_class_f64_e64 s[6:7], v[12:13], s20
	v_fma_f64 v[66:67], v[66:67], v[70:71], 1.0
	v_cvt_i32_f64_e32 v12, v[20:21]
	v_ldexp_f64 v[20:21], v[66:67], v12
	v_mul_f64 v[66:67], v[58:59], v[58:59]
	v_mul_f64 v[70:71], v[66:67], 0.5
	v_fmac_f64_e32 v[78:79], s[60:61], v[66:67]
	v_cmp_nlt_f64_e64 s[8:9], s[54:55], v[10:11]
	v_add_f64 v[72:73], -v[70:71], 1.0
	v_fma_f64 v[78:79], v[66:67], v[78:79], s[62:63]
	v_cndmask_b32_e64 v12, v64, v21, s[8:9]
	v_cmp_ngt_f64_e64 s[10:11], s[56:57], v[10:11]
	v_add_f64 v[74:75], -v[72:73], 1.0
	v_fma_f64 v[78:79], v[66:67], v[78:79], s[64:65]
	v_cndmask_b32_e64 v12, 0, v12, s[10:11]
	v_add_f64 v[70:71], v[74:75], -v[70:71]
	v_fma_f64 v[78:79], v[66:67], v[78:79], s[66:67]
	v_and_b32_e32 v11, 0xfffff, v12
	v_lshrrev_b32_e32 v12, 20, v12
	v_mul_f64 v[74:75], v[66:67], v[66:67]
	v_fma_f64 v[78:79], v[66:67], v[78:79], s[52:53]
	v_fma_f64 v[70:71], v[58:59], -v[60:61], v[70:71]
	s_and_b64 s[8:9], s[10:11], s[8:9]
	v_add_u32_e32 v12, 0xffffff09, v12
	v_fmac_f64_e32 v[70:71], v[74:75], v[78:79]
	v_fmac_f64_e32 v[76:77], s[70:71], v[66:67]
	v_cndmask_b32_e64 v10, 0, v20, s[8:9]
	v_lshrrev_b16_e32 v20, 15, v12
	v_add_f64 v[70:71], v[72:73], v[70:71]
	v_fma_f64 v[72:73], v[66:67], v[76:77], s[72:73]
	v_add_u16_e32 v20, v12, v20
	v_fma_f64 v[72:73], v[66:67], v[72:73], s[74:75]
	v_ashrrev_i16_e32 v20, 1, v20
	v_fma_f64 v[72:73], v[66:67], v[72:73], s[50:51]
	v_mul_f64 v[74:75], v[58:59], -v[66:67]
	v_mul_f64 v[76:77], v[60:61], 0.5
	v_bfe_i32 v20, v20, 0, 16
	v_fmac_f64_e32 v[76:77], v[74:75], v[72:73]
	v_sub_u32_e32 v12, v12, v20
	v_fma_f64 v[60:61], v[66:67], v[76:77], -v[60:61]
	v_lshl_add_u32 v21, v12, 20, v63
	v_fmac_f64_e32 v[60:61], s[76:77], v[74:75]
	v_and_b32_e32 v12, 1, v68
	v_add_f64 v[58:59], v[58:59], -v[60:61]
	v_cmp_eq_u32_e64 s[8:9], 0, v12
	v_cndmask_b32_e64 v12, v70, v58, s[8:9]
	v_cndmask_b32_e64 v58, v71, v59, s[8:9]
	v_lshlrev_b32_e32 v59, 30, v68
	v_xor_b32_e32 v13, v59, v13
	v_and_b32_e32 v13, 0x80000000, v13
	v_xor_b32_e32 v13, v58, v13
	v_cndmask_b32_e64 v18, 0, v18, s[6:7]
	v_cndmask_b32_e64 v19, v65, v19, s[6:7]
	v_or_b32_e32 v11, 0x7fe00000, v11
	v_cndmask_b32_e64 v12, 0, v12, s[6:7]
	v_cndmask_b32_e64 v13, v65, v13, s[6:7]
	v_mul_f64 v[18:19], v[10:11], v[18:19]
	v_lshl_add_u32 v23, v20, 20, v63
	v_mul_f64 v[10:11], v[10:11], v[12:13]
	v_mul_f64 v[18:19], v[18:19], v[22:23]
	v_mov_b32_e32 v20, v22
	v_mul_f64 v[10:11], v[10:11], v[22:23]
	v_mul_f64 v[18:19], v[18:19], v[20:21]
	v_mul_f64 v[20:21], v[10:11], v[20:21]
.LBB132_304:                            ;   in Loop: Header=BB132_185 Depth=1
	s_or_b64 exec, exec, s[88:89]
                                        ; implicit-def: $vgpr10_vgpr11
                                        ; implicit-def: $vgpr23
.LBB132_305:                            ;   in Loop: Header=BB132_185 Depth=1
	s_andn2_saveexec_b64 s[10:11], s[86:87]
	s_cbranch_execz .LBB132_311
; %bb.306:                              ;   in Loop: Header=BB132_185 Depth=1
	s_mov_b32 s8, 0x7ff00000
	v_cmp_ne_u32_e64 s[6:7], 0, v10
	v_cmp_ne_u32_e64 s[8:9], s8, v23
	s_or_b64 s[6:7], s[6:7], s[8:9]
                                        ; implicit-def: $vgpr20_vgpr21
	s_and_saveexec_b64 s[8:9], s[6:7]
	s_xor_b64 s[6:7], exec, s[8:9]
; %bb.307:                              ;   in Loop: Header=BB132_185 Depth=1
	v_add_f64 v[20:21], v[12:13], -v[12:13]
                                        ; implicit-def: $vgpr10_vgpr11
; %bb.308:                              ;   in Loop: Header=BB132_185 Depth=1
	s_or_saveexec_b64 s[8:9], s[6:7]
	v_pk_mov_b32 v[18:19], v[20:21], v[20:21] op_sel:[0,1]
	s_xor_b64 exec, exec, s[8:9]
; %bb.309:                              ;   in Loop: Header=BB132_185 Depth=1
	v_add_f64 v[12:13], v[12:13], -v[12:13]
	v_cmp_lt_i64_e64 s[6:7], -1, v[10:11]
	v_cndmask_b32_e64 v19, 0, v11, s[6:7]
	v_cndmask_b32_e64 v18, 0, v10, s[6:7]
	;; [unrolled: 1-line block ×4, first 2 shown]
; %bb.310:                              ;   in Loop: Header=BB132_185 Depth=1
	s_or_b64 exec, exec, s[8:9]
.LBB132_311:                            ;   in Loop: Header=BB132_185 Depth=1
	s_or_b64 exec, exec, s[10:11]
                                        ; implicit-def: $vgpr12_vgpr13
                                        ; implicit-def: $vgpr66
.LBB132_312:                            ;   in Loop: Header=BB132_185 Depth=1
	s_andn2_saveexec_b64 s[10:11], s[84:85]
	s_cbranch_execz .LBB132_322
; %bb.313:                              ;   in Loop: Header=BB132_185 Depth=1
	s_mov_b32 s6, 0
	s_mov_b32 s7, 0x41d00000
	v_cmp_nlt_f64_e64 s[84:85], |v[12:13]|, s[6:7]
                                        ; implicit-def: $vgpr60
                                        ; implicit-def: $vgpr10_vgpr11
                                        ; implicit-def: $vgpr18_vgpr19
	s_and_saveexec_b64 s[6:7], s[84:85]
	s_xor_b64 s[86:87], exec, s[6:7]
	s_cbranch_execz .LBB132_315
; %bb.314:                              ;   in Loop: Header=BB132_185 Depth=1
	v_ldexp_f64 v[20:21], |v[12:13]|, s95
	v_cmp_ge_f64_e64 s[6:7], |v[12:13]|, s[22:23]
	v_trig_preop_f64 v[10:11], |v[12:13]|, 0
	v_cndmask_b32_e64 v21, v66, v21, s[6:7]
	v_cndmask_b32_e64 v20, v12, v20, s[6:7]
	v_trig_preop_f64 v[18:19], |v[12:13]|, 1
	v_mul_f64 v[60:61], v[10:11], v[20:21]
	v_mul_f64 v[58:59], v[18:19], v[20:21]
	v_fma_f64 v[10:11], v[10:11], v[20:21], -v[60:61]
	v_add_f64 v[68:69], v[58:59], v[10:11]
	v_add_f64 v[70:71], v[60:61], v[68:69]
	v_ldexp_f64 v[72:73], v[70:71], -2
	v_fract_f64_e32 v[74:75], v[72:73]
	v_cmp_neq_f64_e64 s[6:7], |v[72:73]|, s[24:25]
	v_cndmask_b32_e64 v73, 0, v75, s[6:7]
	v_cndmask_b32_e64 v72, 0, v74, s[6:7]
	v_add_f64 v[74:75], v[68:69], -v[58:59]
	v_add_f64 v[10:11], v[10:11], -v[74:75]
	;; [unrolled: 1-line block ×4, first 2 shown]
	v_fma_f64 v[18:19], v[18:19], v[20:21], -v[58:59]
	v_trig_preop_f64 v[58:59], |v[12:13]|, 2
	v_add_f64 v[10:11], v[10:11], v[74:75]
	v_mul_f64 v[74:75], v[58:59], v[20:21]
	v_add_f64 v[76:77], v[74:75], v[18:19]
	v_add_f64 v[78:79], v[76:77], v[10:11]
	v_add_f64 v[60:61], v[70:71], -v[60:61]
	v_add_f64 v[70:71], v[78:79], -v[76:77]
	;; [unrolled: 1-line block ×5, first 2 shown]
	v_add_f64 v[10:11], v[10:11], v[70:71]
	v_add_f64 v[70:71], v[76:77], -v[74:75]
	v_add_f64 v[18:19], v[18:19], -v[70:71]
	;; [unrolled: 1-line block ×4, first 2 shown]
	v_add_f64 v[18:19], v[18:19], v[70:71]
	v_add_f64 v[60:61], v[68:69], -v[60:61]
	v_add_f64 v[10:11], v[18:19], v[10:11]
	v_fma_f64 v[18:19], v[58:59], v[20:21], -v[74:75]
	v_add_f64 v[68:69], v[60:61], v[78:79]
	v_add_f64 v[10:11], v[18:19], v[10:11]
	v_ldexp_f64 v[18:19], v[72:73], 2
	v_add_f64 v[20:21], v[68:69], v[18:19]
	v_cmp_gt_f64_e64 s[6:7], 0, v[20:21]
	v_cndmask_b32_e64 v23, 0, v62, s[6:7]
	v_add_f64 v[18:19], v[18:19], v[22:23]
	v_add_f64 v[20:21], v[68:69], v[18:19]
	v_cvt_i32_f64_e32 v23, v[20:21]
	v_cvt_f64_i32_e32 v[20:21], v23
	v_add_f64 v[18:19], v[18:19], -v[20:21]
	v_add_f64 v[60:61], v[68:69], -v[60:61]
	v_add_f64 v[20:21], v[68:69], v[18:19]
	v_add_f64 v[60:61], v[78:79], -v[60:61]
	v_add_f64 v[18:19], v[20:21], -v[18:19]
	v_cmp_le_f64_e64 s[6:7], 0.5, v[20:21]
	v_add_f64 v[10:11], v[60:61], v[10:11]
	v_add_f64 v[18:19], v[68:69], -v[18:19]
	v_addc_co_u32_e64 v60, s[8:9], 0, v23, s[6:7]
	v_cndmask_b32_e64 v23, 0, v63, s[6:7]
	v_add_f64 v[10:11], v[10:11], v[18:19]
	v_add_f64 v[18:19], v[20:21], -v[22:23]
	v_add_f64 v[20:21], v[18:19], v[10:11]
	v_add_f64 v[18:19], v[20:21], -v[18:19]
	s_mov_b32 s26, s28
	v_add_f64 v[10:11], v[10:11], -v[18:19]
	v_mul_f64 v[18:19], v[20:21], s[26:27]
	v_fma_f64 v[58:59], v[20:21], s[26:27], -v[18:19]
	s_mov_b32 s35, s31
	v_fmac_f64_e32 v[58:59], s[34:35], v[20:21]
	v_fmac_f64_e32 v[58:59], s[26:27], v[10:11]
	v_add_f64 v[10:11], v[18:19], v[58:59]
	v_add_f64 v[18:19], v[10:11], -v[18:19]
	v_add_f64 v[18:19], v[58:59], -v[18:19]
	s_andn2_saveexec_b64 s[6:7], s[86:87]
	s_cbranch_execz .LBB132_317
	s_branch .LBB132_316
.LBB132_315:                            ;   in Loop: Header=BB132_185 Depth=1
	s_andn2_saveexec_b64 s[6:7], s[86:87]
	s_cbranch_execz .LBB132_317
.LBB132_316:                            ;   in Loop: Header=BB132_185 Depth=1
	v_mul_f64 v[10:11], |v[12:13]|, s[36:37]
	v_rndne_f64_e32 v[20:21], v[10:11]
	v_fma_f64 v[10:11], v[20:21], s[28:29], |v[12:13]|
	v_mul_f64 v[58:59], v[20:21], s[38:39]
	v_add_f64 v[68:69], v[10:11], v[58:59]
	v_fma_f64 v[18:19], s[38:39], v[20:21], v[10:11]
	s_mov_b32 s30, s38
	v_add_f64 v[10:11], v[10:11], -v[68:69]
	v_fma_f64 v[60:61], s[30:31], v[20:21], v[58:59]
	v_add_f64 v[10:11], v[10:11], v[58:59]
	v_add_f64 v[58:59], v[68:69], -v[18:19]
	v_add_f64 v[10:11], v[58:59], v[10:11]
	v_add_f64 v[58:59], v[10:11], -v[60:61]
	v_fmac_f64_e32 v[58:59], s[40:41], v[20:21]
	v_add_f64 v[10:11], v[18:19], v[58:59]
	v_add_f64 v[18:19], v[10:11], -v[18:19]
	v_add_f64 v[18:19], v[58:59], -v[18:19]
	v_cvt_i32_f64_e32 v60, v[20:21]
.LBB132_317:                            ;   in Loop: Header=BB132_185 Depth=1
	s_or_b64 exec, exec, s[6:7]
                                        ; implicit-def: $vgpr61
                                        ; implicit-def: $vgpr20_vgpr21
                                        ; implicit-def: $vgpr58_vgpr59
	s_and_saveexec_b64 s[6:7], s[84:85]
	s_xor_b64 s[84:85], exec, s[6:7]
	s_cbranch_execz .LBB132_319
; %bb.318:                              ;   in Loop: Header=BB132_185 Depth=1
	v_ldexp_f64 v[68:69], |v[12:13]|, s95
	v_cmp_ge_f64_e64 s[6:7], |v[12:13]|, s[22:23]
	v_trig_preop_f64 v[20:21], |v[12:13]|, 0
	v_cndmask_b32_e64 v67, v66, v69, s[6:7]
	v_cndmask_b32_e64 v66, v12, v68, s[6:7]
	v_trig_preop_f64 v[58:59], |v[12:13]|, 1
	v_mul_f64 v[70:71], v[20:21], v[66:67]
	v_mul_f64 v[68:69], v[58:59], v[66:67]
	v_fma_f64 v[20:21], v[20:21], v[66:67], -v[70:71]
	v_add_f64 v[72:73], v[68:69], v[20:21]
	v_add_f64 v[74:75], v[70:71], v[72:73]
	v_ldexp_f64 v[76:77], v[74:75], -2
	v_fract_f64_e32 v[78:79], v[76:77]
	v_cmp_neq_f64_e64 s[6:7], |v[76:77]|, s[24:25]
	v_cndmask_b32_e64 v77, 0, v79, s[6:7]
	v_cndmask_b32_e64 v76, 0, v78, s[6:7]
	v_add_f64 v[78:79], v[72:73], -v[68:69]
	v_add_f64 v[20:21], v[20:21], -v[78:79]
	;; [unrolled: 1-line block ×4, first 2 shown]
	v_fma_f64 v[58:59], v[58:59], v[66:67], -v[68:69]
	v_trig_preop_f64 v[68:69], |v[12:13]|, 2
	v_add_f64 v[20:21], v[20:21], v[78:79]
	v_mul_f64 v[78:79], v[68:69], v[66:67]
	v_add_f64 v[80:81], v[78:79], v[58:59]
	v_add_f64 v[82:83], v[80:81], v[20:21]
	v_add_f64 v[70:71], v[74:75], -v[70:71]
	v_add_f64 v[74:75], v[82:83], -v[80:81]
	v_add_f64 v[20:21], v[20:21], -v[74:75]
	v_add_f64 v[74:75], v[82:83], -v[74:75]
	v_add_f64 v[74:75], v[80:81], -v[74:75]
	v_add_f64 v[20:21], v[20:21], v[74:75]
	v_add_f64 v[74:75], v[80:81], -v[78:79]
	v_add_f64 v[58:59], v[58:59], -v[74:75]
	;; [unrolled: 1-line block ×4, first 2 shown]
	v_add_f64 v[58:59], v[58:59], v[74:75]
	v_add_f64 v[70:71], v[72:73], -v[70:71]
	v_add_f64 v[20:21], v[58:59], v[20:21]
	v_fma_f64 v[58:59], v[68:69], v[66:67], -v[78:79]
	v_add_f64 v[72:73], v[70:71], v[82:83]
	v_add_f64 v[20:21], v[58:59], v[20:21]
	v_ldexp_f64 v[58:59], v[76:77], 2
	v_add_f64 v[66:67], v[72:73], v[58:59]
	v_cmp_gt_f64_e64 s[6:7], 0, v[66:67]
	v_cndmask_b32_e64 v23, 0, v62, s[6:7]
	v_add_f64 v[58:59], v[58:59], v[22:23]
	v_add_f64 v[66:67], v[72:73], v[58:59]
	v_cvt_i32_f64_e32 v23, v[66:67]
	v_cvt_f64_i32_e32 v[66:67], v23
	v_add_f64 v[58:59], v[58:59], -v[66:67]
	v_add_f64 v[70:71], v[72:73], -v[70:71]
	v_add_f64 v[66:67], v[72:73], v[58:59]
	v_add_f64 v[70:71], v[82:83], -v[70:71]
	v_add_f64 v[58:59], v[66:67], -v[58:59]
	v_cmp_le_f64_e64 s[6:7], 0.5, v[66:67]
	v_add_f64 v[20:21], v[70:71], v[20:21]
	v_add_f64 v[58:59], v[72:73], -v[58:59]
	v_addc_co_u32_e64 v61, s[8:9], 0, v23, s[6:7]
	v_cndmask_b32_e64 v23, 0, v63, s[6:7]
	v_add_f64 v[20:21], v[20:21], v[58:59]
	v_add_f64 v[58:59], v[66:67], -v[22:23]
	v_add_f64 v[66:67], v[58:59], v[20:21]
	v_add_f64 v[58:59], v[66:67], -v[58:59]
	s_mov_b32 s26, s28
	v_add_f64 v[20:21], v[20:21], -v[58:59]
	v_mul_f64 v[58:59], v[66:67], s[26:27]
	v_fma_f64 v[68:69], v[66:67], s[26:27], -v[58:59]
	s_mov_b32 s35, s31
	v_fmac_f64_e32 v[68:69], s[34:35], v[66:67]
	v_fmac_f64_e32 v[68:69], s[26:27], v[20:21]
	v_add_f64 v[20:21], v[58:59], v[68:69]
	v_add_f64 v[58:59], v[20:21], -v[58:59]
	v_add_f64 v[58:59], v[68:69], -v[58:59]
	s_andn2_saveexec_b64 s[6:7], s[84:85]
	s_cbranch_execnz .LBB132_320
	s_branch .LBB132_321
.LBB132_319:                            ;   in Loop: Header=BB132_185 Depth=1
	s_andn2_saveexec_b64 s[6:7], s[84:85]
	s_cbranch_execz .LBB132_321
.LBB132_320:                            ;   in Loop: Header=BB132_185 Depth=1
	v_mul_f64 v[20:21], |v[12:13]|, s[36:37]
	v_rndne_f64_e32 v[66:67], v[20:21]
	v_fma_f64 v[20:21], v[66:67], s[28:29], |v[12:13]|
	v_mul_f64 v[68:69], v[66:67], s[38:39]
	v_add_f64 v[72:73], v[20:21], v[68:69]
	v_fma_f64 v[58:59], s[38:39], v[66:67], v[20:21]
	s_mov_b32 s30, s38
	v_add_f64 v[20:21], v[20:21], -v[72:73]
	v_fma_f64 v[70:71], s[30:31], v[66:67], v[68:69]
	v_add_f64 v[20:21], v[20:21], v[68:69]
	v_add_f64 v[68:69], v[72:73], -v[58:59]
	v_add_f64 v[20:21], v[68:69], v[20:21]
	v_add_f64 v[68:69], v[20:21], -v[70:71]
	v_fmac_f64_e32 v[68:69], s[40:41], v[66:67]
	v_add_f64 v[20:21], v[58:59], v[68:69]
	v_add_f64 v[58:59], v[20:21], -v[58:59]
	v_add_f64 v[58:59], v[68:69], -v[58:59]
	v_cvt_i32_f64_e32 v61, v[66:67]
.LBB132_321:                            ;   in Loop: Header=BB132_185 Depth=1
	s_or_b64 exec, exec, s[6:7]
	v_mul_f64 v[66:67], v[10:11], v[10:11]
	v_pk_mov_b32 v[74:75], s[58:59], s[58:59] op_sel:[0,1]
	v_mul_f64 v[68:69], v[66:67], 0.5
	v_fma_f64 v[76:77], s[60:61], v[66:67], v[74:75]
	v_add_f64 v[70:71], -v[68:69], 1.0
	v_fma_f64 v[76:77], v[66:67], v[76:77], s[62:63]
	v_add_f64 v[72:73], -v[70:71], 1.0
	v_fma_f64 v[76:77], v[66:67], v[76:77], s[64:65]
	v_add_f64 v[68:69], v[72:73], -v[68:69]
	v_fma_f64 v[76:77], v[66:67], v[76:77], s[66:67]
	v_mul_f64 v[72:73], v[66:67], v[66:67]
	v_fma_f64 v[76:77], v[66:67], v[76:77], s[52:53]
	v_fma_f64 v[68:69], v[10:11], -v[18:19], v[68:69]
	v_fmac_f64_e32 v[68:69], v[72:73], v[76:77]
	v_add_f64 v[68:69], v[70:71], v[68:69]
	v_pk_mov_b32 v[70:71], s[68:69], s[68:69] op_sel:[0,1]
	v_fma_f64 v[72:73], s[70:71], v[66:67], v[70:71]
	v_fma_f64 v[72:73], v[66:67], v[72:73], s[72:73]
	;; [unrolled: 1-line block ×4, first 2 shown]
	v_mul_f64 v[76:77], v[10:11], -v[66:67]
	v_mul_f64 v[78:79], v[18:19], 0.5
	v_fmac_f64_e32 v[78:79], v[76:77], v[72:73]
	v_fma_f64 v[18:19], v[66:67], v[78:79], -v[18:19]
	s_mov_b32 s76, s52
	v_fmac_f64_e32 v[18:19], s[76:77], v[76:77]
	v_add_f64 v[10:11], v[10:11], -v[18:19]
	v_and_b32_e32 v18, 1, v60
	v_xor_b32_e32 v11, 0x80000000, v11
	v_cmp_eq_u32_e64 s[6:7], 0, v18
	v_lshlrev_b32_e32 v18, 30, v60
	v_cndmask_b32_e64 v11, v11, v69, s[6:7]
	v_and_b32_e32 v18, 0x80000000, v18
	v_cndmask_b32_e64 v10, v10, v68, s[6:7]
	v_xor_b32_e32 v11, v11, v18
	v_cmp_class_f64_e64 s[6:7], v[12:13], s20
	v_cndmask_b32_e64 v18, 0, v10, s[6:7]
	v_cndmask_b32_e64 v19, v65, v11, s[6:7]
	v_mul_f64 v[10:11], v[20:21], v[20:21]
	v_mul_f64 v[66:67], v[10:11], 0.5
	v_fmac_f64_e32 v[74:75], s[60:61], v[10:11]
	v_add_f64 v[68:69], -v[66:67], 1.0
	v_fma_f64 v[74:75], v[10:11], v[74:75], s[62:63]
	v_add_f64 v[72:73], -v[68:69], 1.0
	v_fma_f64 v[74:75], v[10:11], v[74:75], s[64:65]
	v_add_f64 v[66:67], v[72:73], -v[66:67]
	v_fma_f64 v[74:75], v[10:11], v[74:75], s[66:67]
	v_mul_f64 v[72:73], v[10:11], v[10:11]
	v_fma_f64 v[74:75], v[10:11], v[74:75], s[52:53]
	v_fma_f64 v[66:67], v[20:21], -v[58:59], v[66:67]
	v_fmac_f64_e32 v[66:67], v[72:73], v[74:75]
	v_fmac_f64_e32 v[70:71], s[70:71], v[10:11]
	v_add_f64 v[66:67], v[68:69], v[66:67]
	v_fma_f64 v[68:69], v[10:11], v[70:71], s[72:73]
	v_fma_f64 v[68:69], v[10:11], v[68:69], s[74:75]
	;; [unrolled: 1-line block ×3, first 2 shown]
	v_mul_f64 v[70:71], v[20:21], -v[10:11]
	v_mul_f64 v[72:73], v[58:59], 0.5
	v_fmac_f64_e32 v[72:73], v[70:71], v[68:69]
	v_fma_f64 v[10:11], v[10:11], v[72:73], -v[58:59]
	v_and_b32_e32 v12, 1, v61
	v_fmac_f64_e32 v[10:11], s[76:77], v[70:71]
	v_cmp_eq_u32_e64 s[8:9], 0, v12
	v_lshlrev_b32_e32 v12, 30, v61
	v_add_f64 v[10:11], v[20:21], -v[10:11]
	v_xor_b32_e32 v12, v12, v13
	v_cndmask_b32_e64 v11, v67, v11, s[8:9]
	v_and_b32_e32 v12, 0x80000000, v12
	v_cndmask_b32_e64 v10, v66, v10, s[8:9]
	v_xor_b32_e32 v11, v11, v12
	v_cndmask_b32_e64 v20, 0, v10, s[6:7]
	v_cndmask_b32_e64 v21, v65, v11, s[6:7]
.LBB132_322:                            ;   in Loop: Header=BB132_185 Depth=1
	s_or_b64 exec, exec, s[10:11]
                                        ; implicit-def: $vgpr10_vgpr11
.LBB132_323:                            ;   in Loop: Header=BB132_185 Depth=1
	s_andn2_saveexec_b64 s[10:11], s[82:83]
	s_cbranch_execz .LBB132_325
; %bb.324:                              ;   in Loop: Header=BB132_185 Depth=1
	v_mul_f64 v[18:19], v[10:11], s[42:43]
	v_rndne_f64_e32 v[18:19], v[18:19]
	v_fma_f64 v[20:21], s[44:45], v[18:19], v[10:11]
	v_fmac_f64_e32 v[20:21], s[46:47], v[18:19]
	v_pk_mov_b32 v[58:59], v[40:41], v[40:41] op_sel:[0,1]
	v_fmac_f64_e32 v[58:59], s[48:49], v[20:21]
	v_pk_mov_b32 v[60:61], v[42:43], v[42:43] op_sel:[0,1]
	;; [unrolled: 2-line block ×9, first 2 shown]
	v_fmac_f64_e32 v[58:59], v[20:21], v[60:61]
	v_fma_f64 v[58:59], v[20:21], v[58:59], 1.0
	v_fma_f64 v[20:21], v[20:21], v[58:59], 1.0
	v_cvt_i32_f64_e32 v18, v[18:19]
	v_ldexp_f64 v[18:19], v[20:21], v18
	v_cmp_nlt_f64_e64 s[6:7], s[54:55], v[10:11]
	v_cmp_ngt_f64_e64 s[8:9], s[56:57], v[10:11]
	v_cndmask_b32_e64 v19, v64, v19, s[6:7]
	s_and_b64 s[6:7], s[8:9], s[6:7]
	v_cndmask_b32_e64 v19, 0, v19, s[8:9]
	v_cndmask_b32_e64 v18, 0, v18, s[6:7]
	v_pk_mov_b32 v[20:21], v[12:13], v[12:13] op_sel:[0,1]
.LBB132_325:                            ;   in Loop: Header=BB132_185 Depth=1
	s_or_b64 exec, exec, s[10:11]
	v_and_b32_e32 v66, 0x7fffffff, v5
	v_or_b32_e32 v10, v66, v4
	v_cmp_ne_u32_e64 s[6:7], 0, v10
                                        ; implicit-def: $vgpr12_vgpr13
	s_and_saveexec_b64 s[8:9], s[6:7]
	s_xor_b64 s[82:83], exec, s[8:9]
	s_cbranch_execz .LBB132_331
; %bb.326:                              ;   in Loop: Header=BB132_185 Depth=1
	v_and_b32_e32 v23, 0x7fffffff, v3
	v_or_b32_e32 v10, v23, v2
	v_cmp_ne_u32_e64 s[6:7], 0, v10
                                        ; implicit-def: $vgpr12_vgpr13
	s_and_saveexec_b64 s[8:9], s[6:7]
	s_xor_b64 s[84:85], exec, s[8:9]
	s_cbranch_execz .LBB132_361
; %bb.327:                              ;   in Loop: Header=BB132_185 Depth=1
	s_mov_b32 s6, 0x7ff00000
	v_cmp_gt_u32_e64 s[6:7], s6, v66
                                        ; implicit-def: $vgpr12_vgpr13
	s_and_saveexec_b64 s[8:9], s[6:7]
	s_xor_b64 s[86:87], exec, s[8:9]
	s_cbranch_execz .LBB132_354
; %bb.328:                              ;   in Loop: Header=BB132_185 Depth=1
	v_add_u32_e32 v10, 0xbf79d1be, v3
	s_mov_b32 s6, 0x108aa2
	v_cmp_lt_u32_e64 s[6:7], s6, v10
                                        ; implicit-def: $vgpr12_vgpr13
	s_and_saveexec_b64 s[8:9], s[6:7]
	s_xor_b64 s[10:11], exec, s[8:9]
	s_cbranch_execz .LBB132_343
; %bb.329:                              ;   in Loop: Header=BB132_185 Depth=1
	s_mov_b32 s6, 0
	s_mov_b32 s7, 0x41d00000
	v_cmp_nlt_f64_e64 s[88:89], |v[4:5]|, s[6:7]
                                        ; implicit-def: $vgpr67
                                        ; implicit-def: $vgpr10_vgpr11
                                        ; implicit-def: $vgpr12_vgpr13
	s_and_saveexec_b64 s[6:7], s[88:89]
	s_xor_b64 s[90:91], exec, s[6:7]
	s_cbranch_execz .LBB132_336
; %bb.330:                              ;   in Loop: Header=BB132_185 Depth=1
	v_ldexp_f64 v[58:59], |v[4:5]|, s95
	v_cmp_ge_f64_e64 s[6:7], |v[4:5]|, s[22:23]
	v_trig_preop_f64 v[10:11], |v[4:5]|, 0
	v_cndmask_b32_e64 v59, v66, v59, s[6:7]
	v_cndmask_b32_e64 v58, v4, v58, s[6:7]
	v_trig_preop_f64 v[12:13], |v[4:5]|, 1
	v_mul_f64 v[68:69], v[10:11], v[58:59]
	v_mul_f64 v[60:61], v[12:13], v[58:59]
	v_fma_f64 v[10:11], v[10:11], v[58:59], -v[68:69]
	v_add_f64 v[70:71], v[60:61], v[10:11]
	v_add_f64 v[72:73], v[68:69], v[70:71]
	v_ldexp_f64 v[74:75], v[72:73], -2
	v_fract_f64_e32 v[76:77], v[74:75]
	v_cmp_neq_f64_e64 s[6:7], |v[74:75]|, s[24:25]
	v_cndmask_b32_e64 v75, 0, v77, s[6:7]
	v_cndmask_b32_e64 v74, 0, v76, s[6:7]
	v_add_f64 v[76:77], v[70:71], -v[60:61]
	v_add_f64 v[10:11], v[10:11], -v[76:77]
	;; [unrolled: 1-line block ×4, first 2 shown]
	v_fma_f64 v[12:13], v[12:13], v[58:59], -v[60:61]
	v_trig_preop_f64 v[60:61], |v[4:5]|, 2
	v_add_f64 v[10:11], v[10:11], v[76:77]
	v_mul_f64 v[76:77], v[60:61], v[58:59]
	v_add_f64 v[78:79], v[76:77], v[12:13]
	v_add_f64 v[80:81], v[78:79], v[10:11]
	v_add_f64 v[68:69], v[72:73], -v[68:69]
	v_add_f64 v[72:73], v[80:81], -v[78:79]
	;; [unrolled: 1-line block ×5, first 2 shown]
	v_add_f64 v[10:11], v[10:11], v[72:73]
	v_add_f64 v[72:73], v[78:79], -v[76:77]
	v_add_f64 v[12:13], v[12:13], -v[72:73]
	;; [unrolled: 1-line block ×4, first 2 shown]
	v_add_f64 v[12:13], v[12:13], v[72:73]
	v_add_f64 v[68:69], v[70:71], -v[68:69]
	v_add_f64 v[10:11], v[12:13], v[10:11]
	v_fma_f64 v[12:13], v[60:61], v[58:59], -v[76:77]
	v_add_f64 v[70:71], v[68:69], v[80:81]
	v_add_f64 v[10:11], v[12:13], v[10:11]
	v_ldexp_f64 v[12:13], v[74:75], 2
	v_add_f64 v[58:59], v[70:71], v[12:13]
	v_cmp_gt_f64_e64 s[6:7], 0, v[58:59]
	v_cndmask_b32_e64 v23, 0, v62, s[6:7]
	v_add_f64 v[12:13], v[12:13], v[22:23]
	v_add_f64 v[58:59], v[70:71], v[12:13]
	v_cvt_i32_f64_e32 v23, v[58:59]
	v_cvt_f64_i32_e32 v[58:59], v23
	v_add_f64 v[12:13], v[12:13], -v[58:59]
	v_add_f64 v[68:69], v[70:71], -v[68:69]
	v_add_f64 v[58:59], v[70:71], v[12:13]
	v_add_f64 v[68:69], v[80:81], -v[68:69]
	v_add_f64 v[12:13], v[58:59], -v[12:13]
	v_cmp_le_f64_e64 s[6:7], 0.5, v[58:59]
	v_add_f64 v[10:11], v[68:69], v[10:11]
	v_add_f64 v[12:13], v[70:71], -v[12:13]
	v_addc_co_u32_e64 v67, s[8:9], 0, v23, s[6:7]
	v_cndmask_b32_e64 v23, 0, v63, s[6:7]
	v_add_f64 v[10:11], v[10:11], v[12:13]
	v_add_f64 v[12:13], v[58:59], -v[22:23]
	v_add_f64 v[58:59], v[12:13], v[10:11]
	v_add_f64 v[12:13], v[58:59], -v[12:13]
	s_mov_b32 s26, s28
	v_add_f64 v[10:11], v[10:11], -v[12:13]
	v_mul_f64 v[12:13], v[58:59], s[26:27]
	v_fma_f64 v[60:61], v[58:59], s[26:27], -v[12:13]
	s_mov_b32 s35, s31
	v_fmac_f64_e32 v[60:61], s[34:35], v[58:59]
	v_fmac_f64_e32 v[60:61], s[26:27], v[10:11]
	v_add_f64 v[10:11], v[12:13], v[60:61]
	v_add_f64 v[12:13], v[10:11], -v[12:13]
	v_add_f64 v[12:13], v[60:61], -v[12:13]
	s_andn2_saveexec_b64 s[6:7], s[90:91]
	s_cbranch_execz .LBB132_338
	s_branch .LBB132_337
.LBB132_331:                            ;   in Loop: Header=BB132_185 Depth=1
	s_andn2_saveexec_b64 s[10:11], s[82:83]
	s_cbranch_execz .LBB132_372
.LBB132_332:                            ;   in Loop: Header=BB132_185 Depth=1
	v_mul_f64 v[10:11], v[2:3], s[42:43]
	v_rndne_f64_e32 v[10:11], v[10:11]
	v_fma_f64 v[12:13], s[44:45], v[10:11], v[2:3]
	v_fmac_f64_e32 v[12:13], s[46:47], v[10:11]
	v_pk_mov_b32 v[58:59], v[40:41], v[40:41] op_sel:[0,1]
	v_fmac_f64_e32 v[58:59], s[48:49], v[12:13]
	v_pk_mov_b32 v[60:61], v[42:43], v[42:43] op_sel:[0,1]
	;; [unrolled: 2-line block ×9, first 2 shown]
	v_fmac_f64_e32 v[58:59], v[12:13], v[60:61]
	v_fma_f64 v[58:59], v[12:13], v[58:59], 1.0
	v_fma_f64 v[12:13], v[12:13], v[58:59], 1.0
	v_cvt_i32_f64_e32 v10, v[10:11]
	v_ldexp_f64 v[10:11], v[12:13], v10
	v_cmp_nlt_f64_e64 s[6:7], s[54:55], v[2:3]
	v_cmp_ngt_f64_e64 s[8:9], s[56:57], v[2:3]
	v_cndmask_b32_e64 v11, v64, v11, s[6:7]
	s_and_b64 s[6:7], s[8:9], s[6:7]
	v_cndmask_b32_e64 v11, 0, v11, s[8:9]
	v_cndmask_b32_e64 v10, 0, v10, s[6:7]
	v_pk_mov_b32 v[12:13], v[4:5], v[4:5] op_sel:[0,1]
	s_or_b64 exec, exec, s[10:11]
	s_and_saveexec_b64 s[6:7], vcc
	s_xor_b64 s[6:7], exec, s[6:7]
	s_cbranch_execnz .LBB132_373
.LBB132_333:                            ;   in Loop: Header=BB132_185 Depth=1
	s_or_b64 exec, exec, s[6:7]
	s_and_saveexec_b64 s[6:7], s[0:1]
	s_cbranch_execz .LBB132_374
.LBB132_334:                            ;   in Loop: Header=BB132_185 Depth=1
	v_mov_b32_e32 v3, s13
	v_add_co_u32_e32 v2, vcc, s12, v28
	v_addc_co_u32_e32 v3, vcc, v29, v3, vcc
	global_store_dwordx4 v[2:3], v[14:17], off
	s_or_b64 exec, exec, s[6:7]
	s_and_saveexec_b64 s[0:1], s[2:3]
	s_cbranch_execnz .LBB132_375
.LBB132_335:                            ;   in Loop: Header=BB132_185 Depth=1
	s_or_b64 exec, exec, s[0:1]
	s_and_saveexec_b64 s[0:1], s[4:5]
	s_cbranch_execz .LBB132_184
	s_branch .LBB132_376
.LBB132_336:                            ;   in Loop: Header=BB132_185 Depth=1
	s_andn2_saveexec_b64 s[6:7], s[90:91]
	s_cbranch_execz .LBB132_338
.LBB132_337:                            ;   in Loop: Header=BB132_185 Depth=1
	v_mul_f64 v[10:11], |v[4:5]|, s[36:37]
	v_rndne_f64_e32 v[58:59], v[10:11]
	v_fma_f64 v[10:11], v[58:59], s[28:29], |v[4:5]|
	v_mul_f64 v[60:61], v[58:59], s[38:39]
	v_add_f64 v[70:71], v[10:11], v[60:61]
	v_fma_f64 v[12:13], s[38:39], v[58:59], v[10:11]
	s_mov_b32 s30, s38
	v_add_f64 v[10:11], v[10:11], -v[70:71]
	v_fma_f64 v[68:69], s[30:31], v[58:59], v[60:61]
	v_add_f64 v[10:11], v[10:11], v[60:61]
	v_add_f64 v[60:61], v[70:71], -v[12:13]
	v_add_f64 v[10:11], v[60:61], v[10:11]
	v_add_f64 v[60:61], v[10:11], -v[68:69]
	v_fmac_f64_e32 v[60:61], s[40:41], v[58:59]
	v_add_f64 v[10:11], v[12:13], v[60:61]
	v_add_f64 v[12:13], v[10:11], -v[12:13]
	v_add_f64 v[12:13], v[60:61], -v[12:13]
	v_cvt_i32_f64_e32 v67, v[58:59]
.LBB132_338:                            ;   in Loop: Header=BB132_185 Depth=1
	s_or_b64 exec, exec, s[6:7]
                                        ; implicit-def: $vgpr68
                                        ; implicit-def: $vgpr58_vgpr59
                                        ; implicit-def: $vgpr60_vgpr61
	s_and_saveexec_b64 s[6:7], s[88:89]
	s_xor_b64 s[88:89], exec, s[6:7]
	s_cbranch_execz .LBB132_340
; %bb.339:                              ;   in Loop: Header=BB132_185 Depth=1
	v_ldexp_f64 v[68:69], |v[4:5]|, s95
	v_cmp_ge_f64_e64 s[6:7], |v[4:5]|, s[22:23]
	v_trig_preop_f64 v[58:59], |v[4:5]|, 0
	v_cndmask_b32_e64 v69, v66, v69, s[6:7]
	v_cndmask_b32_e64 v68, v4, v68, s[6:7]
	v_trig_preop_f64 v[60:61], |v[4:5]|, 1
	v_mul_f64 v[72:73], v[58:59], v[68:69]
	v_mul_f64 v[70:71], v[60:61], v[68:69]
	v_fma_f64 v[58:59], v[58:59], v[68:69], -v[72:73]
	v_add_f64 v[74:75], v[70:71], v[58:59]
	v_add_f64 v[76:77], v[72:73], v[74:75]
	v_ldexp_f64 v[78:79], v[76:77], -2
	v_fract_f64_e32 v[80:81], v[78:79]
	v_cmp_neq_f64_e64 s[6:7], |v[78:79]|, s[24:25]
	v_cndmask_b32_e64 v79, 0, v81, s[6:7]
	v_cndmask_b32_e64 v78, 0, v80, s[6:7]
	v_add_f64 v[80:81], v[74:75], -v[70:71]
	v_add_f64 v[58:59], v[58:59], -v[80:81]
	;; [unrolled: 1-line block ×4, first 2 shown]
	v_fma_f64 v[60:61], v[60:61], v[68:69], -v[70:71]
	v_trig_preop_f64 v[70:71], |v[4:5]|, 2
	v_add_f64 v[58:59], v[58:59], v[80:81]
	v_mul_f64 v[80:81], v[70:71], v[68:69]
	v_add_f64 v[82:83], v[80:81], v[60:61]
	v_add_f64 v[84:85], v[82:83], v[58:59]
	v_add_f64 v[72:73], v[76:77], -v[72:73]
	v_add_f64 v[76:77], v[84:85], -v[82:83]
	;; [unrolled: 1-line block ×5, first 2 shown]
	v_add_f64 v[58:59], v[58:59], v[76:77]
	v_add_f64 v[76:77], v[82:83], -v[80:81]
	v_add_f64 v[60:61], v[60:61], -v[76:77]
	;; [unrolled: 1-line block ×4, first 2 shown]
	v_add_f64 v[60:61], v[60:61], v[76:77]
	v_add_f64 v[72:73], v[74:75], -v[72:73]
	v_add_f64 v[58:59], v[60:61], v[58:59]
	v_fma_f64 v[60:61], v[70:71], v[68:69], -v[80:81]
	v_add_f64 v[74:75], v[72:73], v[84:85]
	v_add_f64 v[58:59], v[60:61], v[58:59]
	v_ldexp_f64 v[60:61], v[78:79], 2
	v_add_f64 v[68:69], v[74:75], v[60:61]
	v_cmp_gt_f64_e64 s[6:7], 0, v[68:69]
	v_cndmask_b32_e64 v23, 0, v62, s[6:7]
	v_add_f64 v[60:61], v[60:61], v[22:23]
	v_add_f64 v[68:69], v[74:75], v[60:61]
	v_cvt_i32_f64_e32 v23, v[68:69]
	v_cvt_f64_i32_e32 v[68:69], v23
	v_add_f64 v[60:61], v[60:61], -v[68:69]
	v_add_f64 v[72:73], v[74:75], -v[72:73]
	v_add_f64 v[70:71], v[74:75], v[60:61]
	v_add_f64 v[72:73], v[84:85], -v[72:73]
	v_add_f64 v[60:61], v[70:71], -v[60:61]
	v_cmp_le_f64_e64 s[6:7], 0.5, v[70:71]
	v_add_f64 v[58:59], v[72:73], v[58:59]
	v_add_f64 v[60:61], v[74:75], -v[60:61]
	v_addc_co_u32_e64 v68, s[8:9], 0, v23, s[6:7]
	v_cndmask_b32_e64 v23, 0, v63, s[6:7]
	v_add_f64 v[58:59], v[58:59], v[60:61]
	v_add_f64 v[60:61], v[70:71], -v[22:23]
	v_add_f64 v[70:71], v[60:61], v[58:59]
	v_add_f64 v[60:61], v[70:71], -v[60:61]
	s_mov_b32 s26, s28
	v_add_f64 v[58:59], v[58:59], -v[60:61]
	v_mul_f64 v[60:61], v[70:71], s[26:27]
	v_fma_f64 v[72:73], v[70:71], s[26:27], -v[60:61]
	s_mov_b32 s35, s31
	v_fmac_f64_e32 v[72:73], s[34:35], v[70:71]
	v_fmac_f64_e32 v[72:73], s[26:27], v[58:59]
	v_add_f64 v[58:59], v[60:61], v[72:73]
	v_add_f64 v[60:61], v[58:59], -v[60:61]
	v_add_f64 v[60:61], v[72:73], -v[60:61]
	s_andn2_saveexec_b64 s[6:7], s[88:89]
	s_cbranch_execnz .LBB132_341
	s_branch .LBB132_342
.LBB132_340:                            ;   in Loop: Header=BB132_185 Depth=1
	s_andn2_saveexec_b64 s[6:7], s[88:89]
	s_cbranch_execz .LBB132_342
.LBB132_341:                            ;   in Loop: Header=BB132_185 Depth=1
	v_mul_f64 v[58:59], |v[4:5]|, s[36:37]
	v_rndne_f64_e32 v[68:69], v[58:59]
	v_fma_f64 v[58:59], v[68:69], s[28:29], |v[4:5]|
	v_mul_f64 v[70:71], v[68:69], s[38:39]
	v_add_f64 v[74:75], v[58:59], v[70:71]
	v_fma_f64 v[60:61], s[38:39], v[68:69], v[58:59]
	s_mov_b32 s30, s38
	v_add_f64 v[58:59], v[58:59], -v[74:75]
	v_fma_f64 v[72:73], s[30:31], v[68:69], v[70:71]
	v_add_f64 v[58:59], v[58:59], v[70:71]
	v_add_f64 v[70:71], v[74:75], -v[60:61]
	v_add_f64 v[58:59], v[70:71], v[58:59]
	v_add_f64 v[70:71], v[58:59], -v[72:73]
	v_fmac_f64_e32 v[70:71], s[40:41], v[68:69]
	v_add_f64 v[58:59], v[60:61], v[70:71]
	v_add_f64 v[60:61], v[58:59], -v[60:61]
	v_add_f64 v[60:61], v[70:71], -v[60:61]
	v_cvt_i32_f64_e32 v68, v[68:69]
.LBB132_342:                            ;   in Loop: Header=BB132_185 Depth=1
	s_or_b64 exec, exec, s[6:7]
	v_mul_f64 v[70:71], v[2:3], s[42:43]
	v_rndne_f64_e32 v[70:71], v[70:71]
	v_fma_f64 v[72:73], s[44:45], v[70:71], v[2:3]
	v_fmac_f64_e32 v[72:73], s[46:47], v[70:71]
	v_pk_mov_b32 v[74:75], v[40:41], v[40:41] op_sel:[0,1]
	v_fmac_f64_e32 v[74:75], s[48:49], v[72:73]
	v_pk_mov_b32 v[76:77], v[42:43], v[42:43] op_sel:[0,1]
	v_fmac_f64_e32 v[76:77], v[72:73], v[74:75]
	v_pk_mov_b32 v[74:75], v[44:45], v[44:45] op_sel:[0,1]
	v_fmac_f64_e32 v[74:75], v[72:73], v[76:77]
	v_pk_mov_b32 v[76:77], v[46:47], v[46:47] op_sel:[0,1]
	v_fmac_f64_e32 v[76:77], v[72:73], v[74:75]
	v_pk_mov_b32 v[74:75], v[48:49], v[48:49] op_sel:[0,1]
	v_fmac_f64_e32 v[74:75], v[72:73], v[76:77]
	v_pk_mov_b32 v[76:77], v[50:51], v[50:51] op_sel:[0,1]
	v_fmac_f64_e32 v[76:77], v[72:73], v[74:75]
	v_pk_mov_b32 v[74:75], v[52:53], v[52:53] op_sel:[0,1]
	v_fmac_f64_e32 v[74:75], v[72:73], v[76:77]
	v_pk_mov_b32 v[76:77], v[54:55], v[54:55] op_sel:[0,1]
	v_fmac_f64_e32 v[76:77], v[72:73], v[74:75]
	v_pk_mov_b32 v[74:75], v[56:57], v[56:57] op_sel:[0,1]
	v_fmac_f64_e32 v[74:75], v[72:73], v[76:77]
	v_fma_f64 v[74:75], v[72:73], v[74:75], 1.0
	v_fma_f64 v[72:73], v[72:73], v[74:75], 1.0
	v_cvt_i32_f64_e32 v23, v[70:71]
	v_ldexp_f64 v[70:71], v[72:73], v23
	v_cmp_nlt_f64_e64 s[6:7], s[54:55], v[2:3]
	v_cmp_ngt_f64_e64 s[8:9], s[56:57], v[2:3]
	v_cndmask_b32_e64 v23, v64, v71, s[6:7]
	s_and_b64 s[6:7], s[8:9], s[6:7]
	v_cndmask_b32_e64 v2, 0, v70, s[6:7]
	v_mul_f64 v[70:71], v[10:11], v[10:11]
	v_pk_mov_b32 v[78:79], s[58:59], s[58:59] op_sel:[0,1]
	v_mul_f64 v[72:73], v[70:71], 0.5
	v_fma_f64 v[80:81], s[60:61], v[70:71], v[78:79]
	v_add_f64 v[74:75], -v[72:73], 1.0
	v_fma_f64 v[80:81], v[70:71], v[80:81], s[62:63]
	v_add_f64 v[76:77], -v[74:75], 1.0
	v_fma_f64 v[80:81], v[70:71], v[80:81], s[64:65]
	v_add_f64 v[72:73], v[76:77], -v[72:73]
	v_fma_f64 v[80:81], v[70:71], v[80:81], s[66:67]
	v_mul_f64 v[76:77], v[70:71], v[70:71]
	v_fma_f64 v[80:81], v[70:71], v[80:81], s[52:53]
	v_fma_f64 v[72:73], v[10:11], -v[12:13], v[72:73]
	v_fmac_f64_e32 v[72:73], v[76:77], v[80:81]
	v_add_f64 v[72:73], v[74:75], v[72:73]
	v_pk_mov_b32 v[74:75], s[68:69], s[68:69] op_sel:[0,1]
	v_fma_f64 v[76:77], s[70:71], v[70:71], v[74:75]
	v_fma_f64 v[76:77], v[70:71], v[76:77], s[72:73]
	v_fma_f64 v[76:77], v[70:71], v[76:77], s[74:75]
	v_fma_f64 v[76:77], v[70:71], v[76:77], s[50:51]
	v_mul_f64 v[80:81], v[10:11], -v[70:71]
	v_mul_f64 v[82:83], v[12:13], 0.5
	v_fmac_f64_e32 v[82:83], v[80:81], v[76:77]
	v_fma_f64 v[12:13], v[70:71], v[82:83], -v[12:13]
	s_mov_b32 s76, s52
	v_fmac_f64_e32 v[12:13], s[76:77], v[80:81]
	v_add_f64 v[10:11], v[10:11], -v[12:13]
	v_and_b32_e32 v12, 1, v67
	v_xor_b32_e32 v11, 0x80000000, v11
	v_cmp_eq_u32_e64 s[6:7], 0, v12
	v_lshlrev_b32_e32 v12, 30, v67
	v_cndmask_b32_e64 v11, v11, v73, s[6:7]
	v_and_b32_e32 v12, 0x80000000, v12
	v_xor_b32_e32 v11, v11, v12
	v_mul_f64 v[12:13], v[58:59], v[58:59]
	v_mul_f64 v[66:67], v[12:13], 0.5
	v_fmac_f64_e32 v[78:79], s[60:61], v[12:13]
	v_add_f64 v[70:71], -v[66:67], 1.0
	v_fma_f64 v[76:77], v[12:13], v[78:79], s[62:63]
	v_cndmask_b32_e64 v10, v10, v72, s[6:7]
	v_add_f64 v[72:73], -v[70:71], 1.0
	v_fma_f64 v[76:77], v[12:13], v[76:77], s[64:65]
	v_add_f64 v[66:67], v[72:73], -v[66:67]
	v_fma_f64 v[76:77], v[12:13], v[76:77], s[66:67]
	v_mul_f64 v[72:73], v[12:13], v[12:13]
	v_fma_f64 v[76:77], v[12:13], v[76:77], s[52:53]
	v_fma_f64 v[66:67], v[58:59], -v[60:61], v[66:67]
	v_fmac_f64_e32 v[66:67], v[72:73], v[76:77]
	v_fmac_f64_e32 v[74:75], s[70:71], v[12:13]
	v_add_f64 v[66:67], v[70:71], v[66:67]
	v_fma_f64 v[70:71], v[12:13], v[74:75], s[72:73]
	v_fma_f64 v[70:71], v[12:13], v[70:71], s[74:75]
	;; [unrolled: 1-line block ×3, first 2 shown]
	v_mul_f64 v[72:73], v[58:59], -v[12:13]
	v_mul_f64 v[74:75], v[60:61], 0.5
	v_fmac_f64_e32 v[74:75], v[72:73], v[70:71]
	v_fma_f64 v[12:13], v[12:13], v[74:75], -v[60:61]
	v_cmp_class_f64_e64 s[6:7], v[4:5], s20
	v_fmac_f64_e32 v[12:13], s[76:77], v[72:73]
	v_and_b32_e32 v4, 1, v68
	v_cndmask_b32_e64 v3, 0, v23, s[8:9]
	v_add_f64 v[12:13], v[58:59], -v[12:13]
	v_cmp_eq_u32_e64 s[8:9], 0, v4
	v_cndmask_b32_e64 v4, v66, v12, s[8:9]
	v_cndmask_b32_e64 v12, v67, v13, s[8:9]
	v_lshlrev_b32_e32 v13, 30, v68
	v_xor_b32_e32 v5, v13, v5
	v_and_b32_e32 v5, 0x80000000, v5
	v_xor_b32_e32 v5, v12, v5
	v_cndmask_b32_e64 v10, 0, v10, s[6:7]
	v_cndmask_b32_e64 v11, v65, v11, s[6:7]
	;; [unrolled: 1-line block ×4, first 2 shown]
	v_mul_f64 v[10:11], v[2:3], v[10:11]
	v_mul_f64 v[12:13], v[2:3], v[4:5]
                                        ; implicit-def: $vgpr4_vgpr5
                                        ; implicit-def: $vgpr66
.LBB132_343:                            ;   in Loop: Header=BB132_185 Depth=1
	s_andn2_saveexec_b64 s[88:89], s[10:11]
	s_cbranch_execz .LBB132_353
; %bb.344:                              ;   in Loop: Header=BB132_185 Depth=1
	s_mov_b32 s6, 0
	s_mov_b32 s7, 0x41d00000
	v_cmp_nlt_f64_e64 s[10:11], |v[4:5]|, s[6:7]
                                        ; implicit-def: $vgpr67
                                        ; implicit-def: $vgpr10_vgpr11
                                        ; implicit-def: $vgpr12_vgpr13
	s_and_saveexec_b64 s[6:7], s[10:11]
	s_xor_b64 s[90:91], exec, s[6:7]
	s_cbranch_execz .LBB132_346
; %bb.345:                              ;   in Loop: Header=BB132_185 Depth=1
	v_ldexp_f64 v[58:59], |v[4:5]|, s95
	v_cmp_ge_f64_e64 s[6:7], |v[4:5]|, s[22:23]
	v_trig_preop_f64 v[10:11], |v[4:5]|, 0
	v_cndmask_b32_e64 v59, v66, v59, s[6:7]
	v_cndmask_b32_e64 v58, v4, v58, s[6:7]
	v_trig_preop_f64 v[12:13], |v[4:5]|, 1
	v_mul_f64 v[68:69], v[10:11], v[58:59]
	v_mul_f64 v[60:61], v[12:13], v[58:59]
	v_fma_f64 v[10:11], v[10:11], v[58:59], -v[68:69]
	v_add_f64 v[70:71], v[60:61], v[10:11]
	v_add_f64 v[72:73], v[68:69], v[70:71]
	v_ldexp_f64 v[74:75], v[72:73], -2
	v_fract_f64_e32 v[76:77], v[74:75]
	v_cmp_neq_f64_e64 s[6:7], |v[74:75]|, s[24:25]
	v_cndmask_b32_e64 v75, 0, v77, s[6:7]
	v_cndmask_b32_e64 v74, 0, v76, s[6:7]
	v_add_f64 v[76:77], v[70:71], -v[60:61]
	v_add_f64 v[10:11], v[10:11], -v[76:77]
	;; [unrolled: 1-line block ×4, first 2 shown]
	v_fma_f64 v[12:13], v[12:13], v[58:59], -v[60:61]
	v_trig_preop_f64 v[60:61], |v[4:5]|, 2
	v_add_f64 v[10:11], v[10:11], v[76:77]
	v_mul_f64 v[76:77], v[60:61], v[58:59]
	v_add_f64 v[78:79], v[76:77], v[12:13]
	v_add_f64 v[80:81], v[78:79], v[10:11]
	v_add_f64 v[68:69], v[72:73], -v[68:69]
	v_add_f64 v[72:73], v[80:81], -v[78:79]
	;; [unrolled: 1-line block ×5, first 2 shown]
	v_add_f64 v[10:11], v[10:11], v[72:73]
	v_add_f64 v[72:73], v[78:79], -v[76:77]
	v_add_f64 v[12:13], v[12:13], -v[72:73]
	;; [unrolled: 1-line block ×4, first 2 shown]
	v_add_f64 v[12:13], v[12:13], v[72:73]
	v_add_f64 v[68:69], v[70:71], -v[68:69]
	v_add_f64 v[10:11], v[12:13], v[10:11]
	v_fma_f64 v[12:13], v[60:61], v[58:59], -v[76:77]
	v_add_f64 v[70:71], v[68:69], v[80:81]
	v_add_f64 v[10:11], v[12:13], v[10:11]
	v_ldexp_f64 v[12:13], v[74:75], 2
	v_add_f64 v[58:59], v[70:71], v[12:13]
	v_cmp_gt_f64_e64 s[6:7], 0, v[58:59]
	v_cndmask_b32_e64 v23, 0, v62, s[6:7]
	v_add_f64 v[12:13], v[12:13], v[22:23]
	v_add_f64 v[58:59], v[70:71], v[12:13]
	v_cvt_i32_f64_e32 v23, v[58:59]
	v_cvt_f64_i32_e32 v[58:59], v23
	v_add_f64 v[12:13], v[12:13], -v[58:59]
	v_add_f64 v[68:69], v[70:71], -v[68:69]
	v_add_f64 v[58:59], v[70:71], v[12:13]
	v_add_f64 v[68:69], v[80:81], -v[68:69]
	v_add_f64 v[12:13], v[58:59], -v[12:13]
	v_cmp_le_f64_e64 s[6:7], 0.5, v[58:59]
	v_add_f64 v[10:11], v[68:69], v[10:11]
	v_add_f64 v[12:13], v[70:71], -v[12:13]
	v_addc_co_u32_e64 v67, s[8:9], 0, v23, s[6:7]
	v_cndmask_b32_e64 v23, 0, v63, s[6:7]
	v_add_f64 v[10:11], v[10:11], v[12:13]
	v_add_f64 v[12:13], v[58:59], -v[22:23]
	v_add_f64 v[58:59], v[12:13], v[10:11]
	v_add_f64 v[12:13], v[58:59], -v[12:13]
	s_mov_b32 s26, s28
	v_add_f64 v[10:11], v[10:11], -v[12:13]
	v_mul_f64 v[12:13], v[58:59], s[26:27]
	v_fma_f64 v[60:61], v[58:59], s[26:27], -v[12:13]
	s_mov_b32 s35, s31
	v_fmac_f64_e32 v[60:61], s[34:35], v[58:59]
	v_fmac_f64_e32 v[60:61], s[26:27], v[10:11]
	v_add_f64 v[10:11], v[12:13], v[60:61]
	v_add_f64 v[12:13], v[10:11], -v[12:13]
	v_add_f64 v[12:13], v[60:61], -v[12:13]
	s_andn2_saveexec_b64 s[6:7], s[90:91]
	s_cbranch_execz .LBB132_348
	s_branch .LBB132_347
.LBB132_346:                            ;   in Loop: Header=BB132_185 Depth=1
	s_andn2_saveexec_b64 s[6:7], s[90:91]
	s_cbranch_execz .LBB132_348
.LBB132_347:                            ;   in Loop: Header=BB132_185 Depth=1
	v_mul_f64 v[10:11], |v[4:5]|, s[36:37]
	v_rndne_f64_e32 v[58:59], v[10:11]
	v_fma_f64 v[10:11], v[58:59], s[28:29], |v[4:5]|
	v_mul_f64 v[60:61], v[58:59], s[38:39]
	v_add_f64 v[70:71], v[10:11], v[60:61]
	v_fma_f64 v[12:13], s[38:39], v[58:59], v[10:11]
	s_mov_b32 s30, s38
	v_add_f64 v[10:11], v[10:11], -v[70:71]
	v_fma_f64 v[68:69], s[30:31], v[58:59], v[60:61]
	v_add_f64 v[10:11], v[10:11], v[60:61]
	v_add_f64 v[60:61], v[70:71], -v[12:13]
	v_add_f64 v[10:11], v[60:61], v[10:11]
	v_add_f64 v[60:61], v[10:11], -v[68:69]
	v_fmac_f64_e32 v[60:61], s[40:41], v[58:59]
	v_add_f64 v[10:11], v[12:13], v[60:61]
	v_add_f64 v[12:13], v[10:11], -v[12:13]
	v_add_f64 v[12:13], v[60:61], -v[12:13]
	v_cvt_i32_f64_e32 v67, v[58:59]
.LBB132_348:                            ;   in Loop: Header=BB132_185 Depth=1
	s_or_b64 exec, exec, s[6:7]
                                        ; implicit-def: $vgpr68
                                        ; implicit-def: $vgpr58_vgpr59
                                        ; implicit-def: $vgpr60_vgpr61
	s_and_saveexec_b64 s[6:7], s[10:11]
	s_xor_b64 s[10:11], exec, s[6:7]
	s_cbranch_execz .LBB132_350
; %bb.349:                              ;   in Loop: Header=BB132_185 Depth=1
	v_ldexp_f64 v[68:69], |v[4:5]|, s95
	v_cmp_ge_f64_e64 s[6:7], |v[4:5]|, s[22:23]
	v_trig_preop_f64 v[58:59], |v[4:5]|, 0
	v_cndmask_b32_e64 v69, v66, v69, s[6:7]
	v_cndmask_b32_e64 v68, v4, v68, s[6:7]
	v_trig_preop_f64 v[60:61], |v[4:5]|, 1
	v_mul_f64 v[72:73], v[58:59], v[68:69]
	v_mul_f64 v[70:71], v[60:61], v[68:69]
	v_fma_f64 v[58:59], v[58:59], v[68:69], -v[72:73]
	v_add_f64 v[74:75], v[70:71], v[58:59]
	v_add_f64 v[76:77], v[72:73], v[74:75]
	v_ldexp_f64 v[78:79], v[76:77], -2
	v_fract_f64_e32 v[80:81], v[78:79]
	v_cmp_neq_f64_e64 s[6:7], |v[78:79]|, s[24:25]
	v_cndmask_b32_e64 v79, 0, v81, s[6:7]
	v_cndmask_b32_e64 v78, 0, v80, s[6:7]
	v_add_f64 v[80:81], v[74:75], -v[70:71]
	v_add_f64 v[58:59], v[58:59], -v[80:81]
	;; [unrolled: 1-line block ×4, first 2 shown]
	v_fma_f64 v[60:61], v[60:61], v[68:69], -v[70:71]
	v_trig_preop_f64 v[70:71], |v[4:5]|, 2
	v_add_f64 v[58:59], v[58:59], v[80:81]
	v_mul_f64 v[80:81], v[70:71], v[68:69]
	v_add_f64 v[82:83], v[80:81], v[60:61]
	v_add_f64 v[84:85], v[82:83], v[58:59]
	v_add_f64 v[72:73], v[76:77], -v[72:73]
	v_add_f64 v[76:77], v[84:85], -v[82:83]
	;; [unrolled: 1-line block ×5, first 2 shown]
	v_add_f64 v[58:59], v[58:59], v[76:77]
	v_add_f64 v[76:77], v[82:83], -v[80:81]
	v_add_f64 v[60:61], v[60:61], -v[76:77]
	;; [unrolled: 1-line block ×4, first 2 shown]
	v_add_f64 v[60:61], v[60:61], v[76:77]
	v_add_f64 v[72:73], v[74:75], -v[72:73]
	v_add_f64 v[58:59], v[60:61], v[58:59]
	v_fma_f64 v[60:61], v[70:71], v[68:69], -v[80:81]
	v_add_f64 v[74:75], v[72:73], v[84:85]
	v_add_f64 v[58:59], v[60:61], v[58:59]
	v_ldexp_f64 v[60:61], v[78:79], 2
	v_add_f64 v[68:69], v[74:75], v[60:61]
	v_cmp_gt_f64_e64 s[6:7], 0, v[68:69]
	v_cndmask_b32_e64 v23, 0, v62, s[6:7]
	v_add_f64 v[60:61], v[60:61], v[22:23]
	v_add_f64 v[68:69], v[74:75], v[60:61]
	v_cvt_i32_f64_e32 v23, v[68:69]
	v_cvt_f64_i32_e32 v[68:69], v23
	v_add_f64 v[60:61], v[60:61], -v[68:69]
	v_add_f64 v[72:73], v[74:75], -v[72:73]
	v_add_f64 v[70:71], v[74:75], v[60:61]
	v_add_f64 v[72:73], v[84:85], -v[72:73]
	v_add_f64 v[60:61], v[70:71], -v[60:61]
	v_cmp_le_f64_e64 s[6:7], 0.5, v[70:71]
	v_add_f64 v[58:59], v[72:73], v[58:59]
	v_add_f64 v[60:61], v[74:75], -v[60:61]
	v_addc_co_u32_e64 v68, s[8:9], 0, v23, s[6:7]
	v_cndmask_b32_e64 v23, 0, v63, s[6:7]
	v_add_f64 v[58:59], v[58:59], v[60:61]
	v_add_f64 v[60:61], v[70:71], -v[22:23]
	v_add_f64 v[70:71], v[60:61], v[58:59]
	v_add_f64 v[60:61], v[70:71], -v[60:61]
	s_mov_b32 s26, s28
	v_add_f64 v[58:59], v[58:59], -v[60:61]
	v_mul_f64 v[60:61], v[70:71], s[26:27]
	v_fma_f64 v[72:73], v[70:71], s[26:27], -v[60:61]
	s_mov_b32 s35, s31
	v_fmac_f64_e32 v[72:73], s[34:35], v[70:71]
	v_fmac_f64_e32 v[72:73], s[26:27], v[58:59]
	v_add_f64 v[58:59], v[60:61], v[72:73]
	v_add_f64 v[60:61], v[58:59], -v[60:61]
	v_add_f64 v[60:61], v[72:73], -v[60:61]
	s_andn2_saveexec_b64 s[6:7], s[10:11]
	s_cbranch_execnz .LBB132_351
	s_branch .LBB132_352
.LBB132_350:                            ;   in Loop: Header=BB132_185 Depth=1
	s_andn2_saveexec_b64 s[6:7], s[10:11]
	s_cbranch_execz .LBB132_352
.LBB132_351:                            ;   in Loop: Header=BB132_185 Depth=1
	v_mul_f64 v[58:59], |v[4:5]|, s[36:37]
	v_rndne_f64_e32 v[68:69], v[58:59]
	v_fma_f64 v[58:59], v[68:69], s[28:29], |v[4:5]|
	v_mul_f64 v[70:71], v[68:69], s[38:39]
	v_add_f64 v[74:75], v[58:59], v[70:71]
	v_fma_f64 v[60:61], s[38:39], v[68:69], v[58:59]
	s_mov_b32 s30, s38
	v_add_f64 v[58:59], v[58:59], -v[74:75]
	v_fma_f64 v[72:73], s[30:31], v[68:69], v[70:71]
	v_add_f64 v[58:59], v[58:59], v[70:71]
	v_add_f64 v[70:71], v[74:75], -v[60:61]
	v_add_f64 v[58:59], v[70:71], v[58:59]
	v_add_f64 v[70:71], v[58:59], -v[72:73]
	v_fmac_f64_e32 v[70:71], s[40:41], v[68:69]
	v_add_f64 v[58:59], v[60:61], v[70:71]
	v_add_f64 v[60:61], v[58:59], -v[60:61]
	v_add_f64 v[60:61], v[70:71], -v[60:61]
	v_cvt_i32_f64_e32 v68, v[68:69]
.LBB132_352:                            ;   in Loop: Header=BB132_185 Depth=1
	s_or_b64 exec, exec, s[6:7]
	v_mul_f64 v[70:71], v[10:11], v[10:11]
	v_pk_mov_b32 v[78:79], s[58:59], s[58:59] op_sel:[0,1]
	v_mul_f64 v[72:73], v[70:71], 0.5
	v_fma_f64 v[80:81], s[60:61], v[70:71], v[78:79]
	v_add_f64 v[74:75], -v[72:73], 1.0
	v_fma_f64 v[80:81], v[70:71], v[80:81], s[62:63]
	v_fma_f64 v[80:81], v[70:71], v[80:81], s[64:65]
	v_add_f64 v[82:83], -v[74:75], 1.0
	v_fma_f64 v[80:81], v[70:71], v[80:81], s[66:67]
	v_add_f64 v[72:73], v[82:83], -v[72:73]
	v_mul_f64 v[76:77], v[70:71], v[70:71]
	v_fma_f64 v[80:81], v[70:71], v[80:81], s[52:53]
	v_fma_f64 v[72:73], v[10:11], -v[12:13], v[72:73]
	v_fmac_f64_e32 v[72:73], v[76:77], v[80:81]
	v_pk_mov_b32 v[76:77], s[68:69], s[68:69] op_sel:[0,1]
	v_fma_f64 v[80:81], s[70:71], v[70:71], v[76:77]
	v_fma_f64 v[80:81], v[70:71], v[80:81], s[72:73]
	;; [unrolled: 1-line block ×3, first 2 shown]
	v_add_f64 v[72:73], v[74:75], v[72:73]
	v_mul_f64 v[74:75], v[10:11], -v[70:71]
	v_fma_f64 v[80:81], v[70:71], v[80:81], s[50:51]
	v_mul_f64 v[82:83], v[12:13], 0.5
	v_fmac_f64_e32 v[82:83], v[74:75], v[80:81]
	v_fma_f64 v[12:13], v[70:71], v[82:83], -v[12:13]
	s_mov_b32 s76, s52
	v_fmac_f64_e32 v[12:13], s[76:77], v[74:75]
	v_and_b32_e32 v23, 1, v67
	v_add_f64 v[10:11], v[10:11], -v[12:13]
	s_mov_b32 s8, 0x19ba0da4
	v_xor_b32_e32 v11, 0x80000000, v11
	v_cmp_eq_u32_e64 s[6:7], 0, v23
	v_lshlrev_b32_e32 v12, 30, v67
	s_mov_b32 s9, 0xc0937be3
	v_cndmask_b32_e64 v11, v11, v73, s[6:7]
	v_and_b32_e32 v12, 0x80000000, v12
	v_add_f64 v[2:3], v[2:3], s[8:9]
	v_xor_b32_e32 v11, v11, v12
	v_mul_f64 v[12:13], v[2:3], s[42:43]
	v_rndne_f64_e32 v[12:13], v[12:13]
	v_fma_f64 v[66:67], s[44:45], v[12:13], v[2:3]
	v_fmac_f64_e32 v[66:67], s[46:47], v[12:13]
	v_pk_mov_b32 v[70:71], v[40:41], v[40:41] op_sel:[0,1]
	v_cndmask_b32_e64 v10, v10, v72, s[6:7]
	v_fmac_f64_e32 v[70:71], s[48:49], v[66:67]
	v_pk_mov_b32 v[72:73], v[42:43], v[42:43] op_sel:[0,1]
	v_fmac_f64_e32 v[72:73], v[66:67], v[70:71]
	v_pk_mov_b32 v[70:71], v[44:45], v[44:45] op_sel:[0,1]
	;; [unrolled: 2-line block ×8, first 2 shown]
	v_fmac_f64_e32 v[70:71], v[66:67], v[72:73]
	v_fma_f64 v[70:71], v[66:67], v[70:71], 1.0
	v_cmp_class_f64_e64 s[6:7], v[4:5], s20
	v_fma_f64 v[66:67], v[66:67], v[70:71], 1.0
	v_cvt_i32_f64_e32 v4, v[12:13]
	v_ldexp_f64 v[12:13], v[66:67], v4
	v_mul_f64 v[66:67], v[58:59], v[58:59]
	v_mul_f64 v[70:71], v[66:67], 0.5
	v_fmac_f64_e32 v[78:79], s[60:61], v[66:67]
	v_cmp_nlt_f64_e64 s[8:9], s[54:55], v[2:3]
	v_add_f64 v[72:73], -v[70:71], 1.0
	v_fma_f64 v[78:79], v[66:67], v[78:79], s[62:63]
	v_cndmask_b32_e64 v4, v64, v13, s[8:9]
	v_cmp_ngt_f64_e64 s[10:11], s[56:57], v[2:3]
	v_add_f64 v[74:75], -v[72:73], 1.0
	v_fma_f64 v[78:79], v[66:67], v[78:79], s[64:65]
	v_cndmask_b32_e64 v4, 0, v4, s[10:11]
	v_add_f64 v[70:71], v[74:75], -v[70:71]
	v_fma_f64 v[78:79], v[66:67], v[78:79], s[66:67]
	v_and_b32_e32 v3, 0xfffff, v4
	v_lshrrev_b32_e32 v4, 20, v4
	v_mul_f64 v[74:75], v[66:67], v[66:67]
	v_fma_f64 v[78:79], v[66:67], v[78:79], s[52:53]
	v_fma_f64 v[70:71], v[58:59], -v[60:61], v[70:71]
	s_and_b64 s[8:9], s[10:11], s[8:9]
	v_add_u32_e32 v4, 0xffffff09, v4
	v_fmac_f64_e32 v[70:71], v[74:75], v[78:79]
	v_fmac_f64_e32 v[76:77], s[70:71], v[66:67]
	v_cndmask_b32_e64 v2, 0, v12, s[8:9]
	v_lshrrev_b16_e32 v12, 15, v4
	v_add_f64 v[70:71], v[72:73], v[70:71]
	v_fma_f64 v[72:73], v[66:67], v[76:77], s[72:73]
	v_add_u16_e32 v12, v4, v12
	v_fma_f64 v[72:73], v[66:67], v[72:73], s[74:75]
	v_ashrrev_i16_e32 v12, 1, v12
	v_fma_f64 v[72:73], v[66:67], v[72:73], s[50:51]
	v_mul_f64 v[74:75], v[58:59], -v[66:67]
	v_mul_f64 v[76:77], v[60:61], 0.5
	v_bfe_i32 v12, v12, 0, 16
	v_fmac_f64_e32 v[76:77], v[74:75], v[72:73]
	v_sub_u32_e32 v4, v4, v12
	v_fma_f64 v[60:61], v[66:67], v[76:77], -v[60:61]
	v_lshl_add_u32 v13, v4, 20, v63
	v_fmac_f64_e32 v[60:61], s[76:77], v[74:75]
	v_and_b32_e32 v4, 1, v68
	v_add_f64 v[58:59], v[58:59], -v[60:61]
	v_cmp_eq_u32_e64 s[8:9], 0, v4
	v_cndmask_b32_e64 v4, v70, v58, s[8:9]
	v_cndmask_b32_e64 v58, v71, v59, s[8:9]
	v_lshlrev_b32_e32 v59, 30, v68
	v_xor_b32_e32 v5, v59, v5
	v_and_b32_e32 v5, 0x80000000, v5
	v_xor_b32_e32 v5, v58, v5
	v_cndmask_b32_e64 v10, 0, v10, s[6:7]
	v_cndmask_b32_e64 v11, v65, v11, s[6:7]
	v_or_b32_e32 v3, 0x7fe00000, v3
	v_cndmask_b32_e64 v4, 0, v4, s[6:7]
	v_cndmask_b32_e64 v5, v65, v5, s[6:7]
	v_mul_f64 v[10:11], v[2:3], v[10:11]
	v_lshl_add_u32 v23, v12, 20, v63
	v_mul_f64 v[2:3], v[2:3], v[4:5]
	v_mul_f64 v[10:11], v[10:11], v[22:23]
	v_mov_b32_e32 v12, v22
	v_mul_f64 v[2:3], v[2:3], v[22:23]
	v_mul_f64 v[10:11], v[10:11], v[12:13]
	;; [unrolled: 1-line block ×3, first 2 shown]
.LBB132_353:                            ;   in Loop: Header=BB132_185 Depth=1
	s_or_b64 exec, exec, s[88:89]
                                        ; implicit-def: $vgpr2_vgpr3
                                        ; implicit-def: $vgpr23
.LBB132_354:                            ;   in Loop: Header=BB132_185 Depth=1
	s_andn2_saveexec_b64 s[10:11], s[86:87]
	s_cbranch_execz .LBB132_360
; %bb.355:                              ;   in Loop: Header=BB132_185 Depth=1
	s_mov_b32 s8, 0x7ff00000
	v_cmp_ne_u32_e64 s[6:7], 0, v2
	v_cmp_ne_u32_e64 s[8:9], s8, v23
	s_or_b64 s[6:7], s[6:7], s[8:9]
                                        ; implicit-def: $vgpr12_vgpr13
	s_and_saveexec_b64 s[8:9], s[6:7]
	s_xor_b64 s[6:7], exec, s[8:9]
; %bb.356:                              ;   in Loop: Header=BB132_185 Depth=1
	v_add_f64 v[12:13], v[4:5], -v[4:5]
                                        ; implicit-def: $vgpr2_vgpr3
; %bb.357:                              ;   in Loop: Header=BB132_185 Depth=1
	s_or_saveexec_b64 s[8:9], s[6:7]
	v_pk_mov_b32 v[10:11], v[12:13], v[12:13] op_sel:[0,1]
	s_xor_b64 exec, exec, s[8:9]
; %bb.358:                              ;   in Loop: Header=BB132_185 Depth=1
	v_add_f64 v[4:5], v[4:5], -v[4:5]
	v_cmp_lt_i64_e64 s[6:7], -1, v[2:3]
	v_cndmask_b32_e64 v11, 0, v3, s[6:7]
	v_cndmask_b32_e64 v10, 0, v2, s[6:7]
	v_cndmask_b32_e64 v13, 0, v5, s[6:7]
	v_cndmask_b32_e64 v12, 0, v4, s[6:7]
; %bb.359:                              ;   in Loop: Header=BB132_185 Depth=1
	s_or_b64 exec, exec, s[8:9]
.LBB132_360:                            ;   in Loop: Header=BB132_185 Depth=1
	s_or_b64 exec, exec, s[10:11]
                                        ; implicit-def: $vgpr4_vgpr5
                                        ; implicit-def: $vgpr66
.LBB132_361:                            ;   in Loop: Header=BB132_185 Depth=1
	s_andn2_saveexec_b64 s[10:11], s[84:85]
	s_cbranch_execz .LBB132_371
; %bb.362:                              ;   in Loop: Header=BB132_185 Depth=1
	s_mov_b32 s6, 0
	s_mov_b32 s7, 0x41d00000
	v_cmp_nlt_f64_e64 s[84:85], |v[4:5]|, s[6:7]
                                        ; implicit-def: $vgpr60
                                        ; implicit-def: $vgpr2_vgpr3
                                        ; implicit-def: $vgpr10_vgpr11
	s_and_saveexec_b64 s[6:7], s[84:85]
	s_xor_b64 s[86:87], exec, s[6:7]
	s_cbranch_execz .LBB132_364
; %bb.363:                              ;   in Loop: Header=BB132_185 Depth=1
	v_ldexp_f64 v[12:13], |v[4:5]|, s95
	v_cmp_ge_f64_e64 s[6:7], |v[4:5]|, s[22:23]
	v_trig_preop_f64 v[2:3], |v[4:5]|, 0
	v_cndmask_b32_e64 v13, v66, v13, s[6:7]
	v_cndmask_b32_e64 v12, v4, v12, s[6:7]
	v_trig_preop_f64 v[10:11], |v[4:5]|, 1
	v_mul_f64 v[60:61], v[2:3], v[12:13]
	v_mul_f64 v[58:59], v[10:11], v[12:13]
	v_fma_f64 v[2:3], v[2:3], v[12:13], -v[60:61]
	v_add_f64 v[68:69], v[58:59], v[2:3]
	v_add_f64 v[70:71], v[60:61], v[68:69]
	v_ldexp_f64 v[72:73], v[70:71], -2
	v_fract_f64_e32 v[74:75], v[72:73]
	v_cmp_neq_f64_e64 s[6:7], |v[72:73]|, s[24:25]
	v_cndmask_b32_e64 v73, 0, v75, s[6:7]
	v_cndmask_b32_e64 v72, 0, v74, s[6:7]
	v_add_f64 v[74:75], v[68:69], -v[58:59]
	v_add_f64 v[2:3], v[2:3], -v[74:75]
	;; [unrolled: 1-line block ×4, first 2 shown]
	v_fma_f64 v[10:11], v[10:11], v[12:13], -v[58:59]
	v_trig_preop_f64 v[58:59], |v[4:5]|, 2
	v_add_f64 v[2:3], v[2:3], v[74:75]
	v_mul_f64 v[74:75], v[58:59], v[12:13]
	v_add_f64 v[76:77], v[74:75], v[10:11]
	v_add_f64 v[78:79], v[76:77], v[2:3]
	v_add_f64 v[60:61], v[70:71], -v[60:61]
	v_add_f64 v[70:71], v[78:79], -v[76:77]
	;; [unrolled: 1-line block ×5, first 2 shown]
	v_add_f64 v[2:3], v[2:3], v[70:71]
	v_add_f64 v[70:71], v[76:77], -v[74:75]
	v_add_f64 v[10:11], v[10:11], -v[70:71]
	v_add_f64 v[70:71], v[76:77], -v[70:71]
	v_add_f64 v[70:71], v[74:75], -v[70:71]
	v_add_f64 v[10:11], v[10:11], v[70:71]
	v_add_f64 v[60:61], v[68:69], -v[60:61]
	v_add_f64 v[2:3], v[10:11], v[2:3]
	v_fma_f64 v[10:11], v[58:59], v[12:13], -v[74:75]
	v_add_f64 v[68:69], v[60:61], v[78:79]
	v_add_f64 v[2:3], v[10:11], v[2:3]
	v_ldexp_f64 v[10:11], v[72:73], 2
	v_add_f64 v[12:13], v[68:69], v[10:11]
	v_cmp_gt_f64_e64 s[6:7], 0, v[12:13]
	v_cndmask_b32_e64 v23, 0, v62, s[6:7]
	v_add_f64 v[10:11], v[10:11], v[22:23]
	v_add_f64 v[12:13], v[68:69], v[10:11]
	v_cvt_i32_f64_e32 v23, v[12:13]
	v_cvt_f64_i32_e32 v[12:13], v23
	v_add_f64 v[10:11], v[10:11], -v[12:13]
	v_add_f64 v[60:61], v[68:69], -v[60:61]
	v_add_f64 v[12:13], v[68:69], v[10:11]
	v_add_f64 v[60:61], v[78:79], -v[60:61]
	v_add_f64 v[10:11], v[12:13], -v[10:11]
	v_cmp_le_f64_e64 s[6:7], 0.5, v[12:13]
	v_add_f64 v[2:3], v[60:61], v[2:3]
	v_add_f64 v[10:11], v[68:69], -v[10:11]
	v_addc_co_u32_e64 v60, s[8:9], 0, v23, s[6:7]
	v_cndmask_b32_e64 v23, 0, v63, s[6:7]
	v_add_f64 v[2:3], v[2:3], v[10:11]
	v_add_f64 v[10:11], v[12:13], -v[22:23]
	v_add_f64 v[12:13], v[10:11], v[2:3]
	v_add_f64 v[10:11], v[12:13], -v[10:11]
	s_mov_b32 s26, s28
	v_add_f64 v[2:3], v[2:3], -v[10:11]
	v_mul_f64 v[10:11], v[12:13], s[26:27]
	v_fma_f64 v[58:59], v[12:13], s[26:27], -v[10:11]
	s_mov_b32 s35, s31
	v_fmac_f64_e32 v[58:59], s[34:35], v[12:13]
	v_fmac_f64_e32 v[58:59], s[26:27], v[2:3]
	v_add_f64 v[2:3], v[10:11], v[58:59]
	v_add_f64 v[10:11], v[2:3], -v[10:11]
	v_add_f64 v[10:11], v[58:59], -v[10:11]
	s_andn2_saveexec_b64 s[6:7], s[86:87]
	s_cbranch_execz .LBB132_366
	s_branch .LBB132_365
.LBB132_364:                            ;   in Loop: Header=BB132_185 Depth=1
	s_andn2_saveexec_b64 s[6:7], s[86:87]
	s_cbranch_execz .LBB132_366
.LBB132_365:                            ;   in Loop: Header=BB132_185 Depth=1
	v_mul_f64 v[2:3], |v[4:5]|, s[36:37]
	v_rndne_f64_e32 v[12:13], v[2:3]
	v_fma_f64 v[2:3], v[12:13], s[28:29], |v[4:5]|
	v_mul_f64 v[58:59], v[12:13], s[38:39]
	v_add_f64 v[68:69], v[2:3], v[58:59]
	v_fma_f64 v[10:11], s[38:39], v[12:13], v[2:3]
	s_mov_b32 s30, s38
	v_add_f64 v[2:3], v[2:3], -v[68:69]
	v_fma_f64 v[60:61], s[30:31], v[12:13], v[58:59]
	v_add_f64 v[2:3], v[2:3], v[58:59]
	v_add_f64 v[58:59], v[68:69], -v[10:11]
	v_add_f64 v[2:3], v[58:59], v[2:3]
	v_add_f64 v[58:59], v[2:3], -v[60:61]
	v_fmac_f64_e32 v[58:59], s[40:41], v[12:13]
	v_add_f64 v[2:3], v[10:11], v[58:59]
	v_add_f64 v[10:11], v[2:3], -v[10:11]
	v_add_f64 v[10:11], v[58:59], -v[10:11]
	v_cvt_i32_f64_e32 v60, v[12:13]
.LBB132_366:                            ;   in Loop: Header=BB132_185 Depth=1
	s_or_b64 exec, exec, s[6:7]
                                        ; implicit-def: $vgpr61
                                        ; implicit-def: $vgpr12_vgpr13
                                        ; implicit-def: $vgpr58_vgpr59
	s_and_saveexec_b64 s[6:7], s[84:85]
	s_xor_b64 s[84:85], exec, s[6:7]
	s_cbranch_execz .LBB132_368
; %bb.367:                              ;   in Loop: Header=BB132_185 Depth=1
	v_ldexp_f64 v[68:69], |v[4:5]|, s95
	v_cmp_ge_f64_e64 s[6:7], |v[4:5]|, s[22:23]
	v_trig_preop_f64 v[12:13], |v[4:5]|, 0
	v_cndmask_b32_e64 v67, v66, v69, s[6:7]
	v_cndmask_b32_e64 v66, v4, v68, s[6:7]
	v_trig_preop_f64 v[58:59], |v[4:5]|, 1
	v_mul_f64 v[70:71], v[12:13], v[66:67]
	v_mul_f64 v[68:69], v[58:59], v[66:67]
	v_fma_f64 v[12:13], v[12:13], v[66:67], -v[70:71]
	v_add_f64 v[72:73], v[68:69], v[12:13]
	v_add_f64 v[74:75], v[70:71], v[72:73]
	v_ldexp_f64 v[76:77], v[74:75], -2
	v_fract_f64_e32 v[78:79], v[76:77]
	v_cmp_neq_f64_e64 s[6:7], |v[76:77]|, s[24:25]
	v_cndmask_b32_e64 v77, 0, v79, s[6:7]
	v_cndmask_b32_e64 v76, 0, v78, s[6:7]
	v_add_f64 v[78:79], v[72:73], -v[68:69]
	v_add_f64 v[12:13], v[12:13], -v[78:79]
	;; [unrolled: 1-line block ×4, first 2 shown]
	v_fma_f64 v[58:59], v[58:59], v[66:67], -v[68:69]
	v_trig_preop_f64 v[68:69], |v[4:5]|, 2
	v_add_f64 v[12:13], v[12:13], v[78:79]
	v_mul_f64 v[78:79], v[68:69], v[66:67]
	v_add_f64 v[80:81], v[78:79], v[58:59]
	v_add_f64 v[82:83], v[80:81], v[12:13]
	v_add_f64 v[70:71], v[74:75], -v[70:71]
	v_add_f64 v[74:75], v[82:83], -v[80:81]
	;; [unrolled: 1-line block ×5, first 2 shown]
	v_add_f64 v[12:13], v[12:13], v[74:75]
	v_add_f64 v[74:75], v[80:81], -v[78:79]
	v_add_f64 v[58:59], v[58:59], -v[74:75]
	;; [unrolled: 1-line block ×4, first 2 shown]
	v_add_f64 v[58:59], v[58:59], v[74:75]
	v_add_f64 v[70:71], v[72:73], -v[70:71]
	v_add_f64 v[12:13], v[58:59], v[12:13]
	v_fma_f64 v[58:59], v[68:69], v[66:67], -v[78:79]
	v_add_f64 v[72:73], v[70:71], v[82:83]
	v_add_f64 v[12:13], v[58:59], v[12:13]
	v_ldexp_f64 v[58:59], v[76:77], 2
	v_add_f64 v[66:67], v[72:73], v[58:59]
	v_cmp_gt_f64_e64 s[6:7], 0, v[66:67]
	v_cndmask_b32_e64 v23, 0, v62, s[6:7]
	v_add_f64 v[58:59], v[58:59], v[22:23]
	v_add_f64 v[66:67], v[72:73], v[58:59]
	v_cvt_i32_f64_e32 v23, v[66:67]
	v_cvt_f64_i32_e32 v[66:67], v23
	v_add_f64 v[58:59], v[58:59], -v[66:67]
	v_add_f64 v[70:71], v[72:73], -v[70:71]
	v_add_f64 v[66:67], v[72:73], v[58:59]
	v_add_f64 v[70:71], v[82:83], -v[70:71]
	v_add_f64 v[58:59], v[66:67], -v[58:59]
	v_cmp_le_f64_e64 s[6:7], 0.5, v[66:67]
	v_add_f64 v[12:13], v[70:71], v[12:13]
	v_add_f64 v[58:59], v[72:73], -v[58:59]
	v_addc_co_u32_e64 v61, s[8:9], 0, v23, s[6:7]
	v_cndmask_b32_e64 v23, 0, v63, s[6:7]
	v_add_f64 v[12:13], v[12:13], v[58:59]
	v_add_f64 v[58:59], v[66:67], -v[22:23]
	v_add_f64 v[66:67], v[58:59], v[12:13]
	v_add_f64 v[58:59], v[66:67], -v[58:59]
	s_mov_b32 s26, s28
	v_add_f64 v[12:13], v[12:13], -v[58:59]
	v_mul_f64 v[58:59], v[66:67], s[26:27]
	v_fma_f64 v[68:69], v[66:67], s[26:27], -v[58:59]
	s_mov_b32 s35, s31
	v_fmac_f64_e32 v[68:69], s[34:35], v[66:67]
	v_fmac_f64_e32 v[68:69], s[26:27], v[12:13]
	v_add_f64 v[12:13], v[58:59], v[68:69]
	v_add_f64 v[58:59], v[12:13], -v[58:59]
	v_add_f64 v[58:59], v[68:69], -v[58:59]
	s_andn2_saveexec_b64 s[6:7], s[84:85]
	s_cbranch_execnz .LBB132_369
	s_branch .LBB132_370
.LBB132_368:                            ;   in Loop: Header=BB132_185 Depth=1
	s_andn2_saveexec_b64 s[6:7], s[84:85]
	s_cbranch_execz .LBB132_370
.LBB132_369:                            ;   in Loop: Header=BB132_185 Depth=1
	v_mul_f64 v[12:13], |v[4:5]|, s[36:37]
	v_rndne_f64_e32 v[66:67], v[12:13]
	v_fma_f64 v[12:13], v[66:67], s[28:29], |v[4:5]|
	v_mul_f64 v[68:69], v[66:67], s[38:39]
	v_add_f64 v[72:73], v[12:13], v[68:69]
	v_fma_f64 v[58:59], s[38:39], v[66:67], v[12:13]
	s_mov_b32 s30, s38
	v_add_f64 v[12:13], v[12:13], -v[72:73]
	v_fma_f64 v[70:71], s[30:31], v[66:67], v[68:69]
	v_add_f64 v[12:13], v[12:13], v[68:69]
	v_add_f64 v[68:69], v[72:73], -v[58:59]
	v_add_f64 v[12:13], v[68:69], v[12:13]
	v_add_f64 v[68:69], v[12:13], -v[70:71]
	v_fmac_f64_e32 v[68:69], s[40:41], v[66:67]
	v_add_f64 v[12:13], v[58:59], v[68:69]
	v_add_f64 v[58:59], v[12:13], -v[58:59]
	v_add_f64 v[58:59], v[68:69], -v[58:59]
	v_cvt_i32_f64_e32 v61, v[66:67]
.LBB132_370:                            ;   in Loop: Header=BB132_185 Depth=1
	s_or_b64 exec, exec, s[6:7]
	v_mul_f64 v[66:67], v[2:3], v[2:3]
	v_pk_mov_b32 v[74:75], s[58:59], s[58:59] op_sel:[0,1]
	v_mul_f64 v[68:69], v[66:67], 0.5
	v_fma_f64 v[76:77], s[60:61], v[66:67], v[74:75]
	v_add_f64 v[70:71], -v[68:69], 1.0
	v_fma_f64 v[76:77], v[66:67], v[76:77], s[62:63]
	v_add_f64 v[72:73], -v[70:71], 1.0
	v_fma_f64 v[76:77], v[66:67], v[76:77], s[64:65]
	v_add_f64 v[68:69], v[72:73], -v[68:69]
	v_fma_f64 v[76:77], v[66:67], v[76:77], s[66:67]
	v_mul_f64 v[72:73], v[66:67], v[66:67]
	v_fma_f64 v[76:77], v[66:67], v[76:77], s[52:53]
	v_fma_f64 v[68:69], v[2:3], -v[10:11], v[68:69]
	v_fmac_f64_e32 v[68:69], v[72:73], v[76:77]
	v_add_f64 v[68:69], v[70:71], v[68:69]
	v_pk_mov_b32 v[70:71], s[68:69], s[68:69] op_sel:[0,1]
	v_fma_f64 v[72:73], s[70:71], v[66:67], v[70:71]
	v_fma_f64 v[72:73], v[66:67], v[72:73], s[72:73]
	;; [unrolled: 1-line block ×4, first 2 shown]
	v_mul_f64 v[76:77], v[2:3], -v[66:67]
	v_mul_f64 v[78:79], v[10:11], 0.5
	v_fmac_f64_e32 v[78:79], v[76:77], v[72:73]
	v_fma_f64 v[10:11], v[66:67], v[78:79], -v[10:11]
	s_mov_b32 s76, s52
	v_fmac_f64_e32 v[10:11], s[76:77], v[76:77]
	v_add_f64 v[2:3], v[2:3], -v[10:11]
	v_and_b32_e32 v10, 1, v60
	v_xor_b32_e32 v3, 0x80000000, v3
	v_cmp_eq_u32_e64 s[6:7], 0, v10
	v_lshlrev_b32_e32 v10, 30, v60
	v_cndmask_b32_e64 v3, v3, v69, s[6:7]
	v_and_b32_e32 v10, 0x80000000, v10
	v_cndmask_b32_e64 v2, v2, v68, s[6:7]
	v_xor_b32_e32 v3, v3, v10
	v_cmp_class_f64_e64 s[6:7], v[4:5], s20
	v_cndmask_b32_e64 v10, 0, v2, s[6:7]
	v_cndmask_b32_e64 v11, v65, v3, s[6:7]
	v_mul_f64 v[2:3], v[12:13], v[12:13]
	v_mul_f64 v[66:67], v[2:3], 0.5
	v_fmac_f64_e32 v[74:75], s[60:61], v[2:3]
	v_add_f64 v[68:69], -v[66:67], 1.0
	v_fma_f64 v[74:75], v[2:3], v[74:75], s[62:63]
	v_add_f64 v[72:73], -v[68:69], 1.0
	v_fma_f64 v[74:75], v[2:3], v[74:75], s[64:65]
	v_add_f64 v[66:67], v[72:73], -v[66:67]
	v_fma_f64 v[74:75], v[2:3], v[74:75], s[66:67]
	v_mul_f64 v[72:73], v[2:3], v[2:3]
	v_fma_f64 v[74:75], v[2:3], v[74:75], s[52:53]
	v_fma_f64 v[66:67], v[12:13], -v[58:59], v[66:67]
	v_fmac_f64_e32 v[66:67], v[72:73], v[74:75]
	v_fmac_f64_e32 v[70:71], s[70:71], v[2:3]
	v_add_f64 v[66:67], v[68:69], v[66:67]
	v_fma_f64 v[68:69], v[2:3], v[70:71], s[72:73]
	v_fma_f64 v[68:69], v[2:3], v[68:69], s[74:75]
	;; [unrolled: 1-line block ×3, first 2 shown]
	v_mul_f64 v[70:71], v[12:13], -v[2:3]
	v_mul_f64 v[72:73], v[58:59], 0.5
	v_fmac_f64_e32 v[72:73], v[70:71], v[68:69]
	v_fma_f64 v[2:3], v[2:3], v[72:73], -v[58:59]
	v_and_b32_e32 v4, 1, v61
	v_fmac_f64_e32 v[2:3], s[76:77], v[70:71]
	v_cmp_eq_u32_e64 s[8:9], 0, v4
	v_lshlrev_b32_e32 v4, 30, v61
	v_add_f64 v[2:3], v[12:13], -v[2:3]
	v_xor_b32_e32 v4, v4, v5
	v_cndmask_b32_e64 v3, v67, v3, s[8:9]
	v_and_b32_e32 v4, 0x80000000, v4
	v_cndmask_b32_e64 v2, v66, v2, s[8:9]
	v_xor_b32_e32 v3, v3, v4
	v_cndmask_b32_e64 v12, 0, v2, s[6:7]
	v_cndmask_b32_e64 v13, v65, v3, s[6:7]
.LBB132_371:                            ;   in Loop: Header=BB132_185 Depth=1
	s_or_b64 exec, exec, s[10:11]
                                        ; implicit-def: $vgpr2_vgpr3
	s_andn2_saveexec_b64 s[10:11], s[82:83]
	s_cbranch_execnz .LBB132_332
.LBB132_372:                            ;   in Loop: Header=BB132_185 Depth=1
	s_or_b64 exec, exec, s[10:11]
	s_and_saveexec_b64 s[6:7], vcc
	s_xor_b64 s[6:7], exec, s[6:7]
	s_cbranch_execz .LBB132_333
.LBB132_373:                            ;   in Loop: Header=BB132_185 Depth=1
	v_mov_b32_e32 v3, s13
	v_add_co_u32_e32 v2, vcc, s12, v26
	v_addc_co_u32_e32 v3, vcc, v27, v3, vcc
	global_store_dwordx4 v[2:3], v[6:9], off offset:-8
	s_or_b64 exec, exec, s[6:7]
	s_and_saveexec_b64 s[6:7], s[0:1]
	s_cbranch_execnz .LBB132_334
.LBB132_374:                            ;   in Loop: Header=BB132_185 Depth=1
	s_or_b64 exec, exec, s[6:7]
	s_and_saveexec_b64 s[0:1], s[2:3]
	s_cbranch_execz .LBB132_335
.LBB132_375:                            ;   in Loop: Header=BB132_185 Depth=1
	v_mov_b32_e32 v3, s13
	v_add_co_u32_e32 v2, vcc, s12, v38
	v_addc_co_u32_e32 v3, vcc, v39, v3, vcc
	global_store_dwordx4 v[2:3], v[18:21], off offset:-8
	s_or_b64 exec, exec, s[0:1]
	s_and_saveexec_b64 s[0:1], s[4:5]
	s_cbranch_execz .LBB132_184
.LBB132_376:                            ;   in Loop: Header=BB132_185 Depth=1
	v_mov_b32_e32 v3, s13
	v_add_co_u32_e32 v2, vcc, s12, v34
	v_addc_co_u32_e32 v3, vcc, v35, v3, vcc
	global_store_dwordx4 v[2:3], v[10:13], off offset:-8
	s_branch .LBB132_184
.LBB132_377:
	s_endpgm
	.section	.rodata,"a",@progbits
	.p2align	6, 0x0
	.amdhsa_kernel _ZN2at6native12_GLOBAL__N_125multi_tensor_apply_kernelINS1_18TensorListMetadataILi2EEENS1_14UnaryOpFunctorIN3c107complexIdEELi2ELi1ELi1EEEJNS0_3ExpIS8_EEEEEvT_T0_DpT1_
		.amdhsa_group_segment_fixed_size 0
		.amdhsa_private_segment_fixed_size 0
		.amdhsa_kernarg_size 3408
		.amdhsa_user_sgpr_count 6
		.amdhsa_user_sgpr_private_segment_buffer 1
		.amdhsa_user_sgpr_dispatch_ptr 0
		.amdhsa_user_sgpr_queue_ptr 0
		.amdhsa_user_sgpr_kernarg_segment_ptr 1
		.amdhsa_user_sgpr_dispatch_id 0
		.amdhsa_user_sgpr_flat_scratch_init 0
		.amdhsa_user_sgpr_kernarg_preload_length 0
		.amdhsa_user_sgpr_kernarg_preload_offset 0
		.amdhsa_user_sgpr_private_segment_size 0
		.amdhsa_uses_dynamic_stack 0
		.amdhsa_system_sgpr_private_segment_wavefront_offset 0
		.amdhsa_system_sgpr_workgroup_id_x 1
		.amdhsa_system_sgpr_workgroup_id_y 0
		.amdhsa_system_sgpr_workgroup_id_z 0
		.amdhsa_system_sgpr_workgroup_info 0
		.amdhsa_system_vgpr_workitem_id 0
		.amdhsa_next_free_vgpr 87
		.amdhsa_next_free_sgpr 96
		.amdhsa_accum_offset 88
		.amdhsa_reserve_vcc 1
		.amdhsa_reserve_flat_scratch 0
		.amdhsa_float_round_mode_32 0
		.amdhsa_float_round_mode_16_64 0
		.amdhsa_float_denorm_mode_32 3
		.amdhsa_float_denorm_mode_16_64 3
		.amdhsa_dx10_clamp 1
		.amdhsa_ieee_mode 1
		.amdhsa_fp16_overflow 0
		.amdhsa_tg_split 0
		.amdhsa_exception_fp_ieee_invalid_op 0
		.amdhsa_exception_fp_denorm_src 0
		.amdhsa_exception_fp_ieee_div_zero 0
		.amdhsa_exception_fp_ieee_overflow 0
		.amdhsa_exception_fp_ieee_underflow 0
		.amdhsa_exception_fp_ieee_inexact 0
		.amdhsa_exception_int_div_zero 0
	.end_amdhsa_kernel
	.section	.text._ZN2at6native12_GLOBAL__N_125multi_tensor_apply_kernelINS1_18TensorListMetadataILi2EEENS1_14UnaryOpFunctorIN3c107complexIdEELi2ELi1ELi1EEEJNS0_3ExpIS8_EEEEEvT_T0_DpT1_,"axG",@progbits,_ZN2at6native12_GLOBAL__N_125multi_tensor_apply_kernelINS1_18TensorListMetadataILi2EEENS1_14UnaryOpFunctorIN3c107complexIdEELi2ELi1ELi1EEEJNS0_3ExpIS8_EEEEEvT_T0_DpT1_,comdat
.Lfunc_end132:
	.size	_ZN2at6native12_GLOBAL__N_125multi_tensor_apply_kernelINS1_18TensorListMetadataILi2EEENS1_14UnaryOpFunctorIN3c107complexIdEELi2ELi1ELi1EEEJNS0_3ExpIS8_EEEEEvT_T0_DpT1_, .Lfunc_end132-_ZN2at6native12_GLOBAL__N_125multi_tensor_apply_kernelINS1_18TensorListMetadataILi2EEENS1_14UnaryOpFunctorIN3c107complexIdEELi2ELi1ELi1EEEJNS0_3ExpIS8_EEEEEvT_T0_DpT1_
                                        ; -- End function
	.section	.AMDGPU.csdata,"",@progbits
; Kernel info:
; codeLenInByte = 57204
; NumSgprs: 100
; NumVgprs: 87
; NumAgprs: 0
; TotalNumVgprs: 87
; ScratchSize: 0
; MemoryBound: 1
; FloatMode: 240
; IeeeMode: 1
; LDSByteSize: 0 bytes/workgroup (compile time only)
; SGPRBlocks: 12
; VGPRBlocks: 10
; NumSGPRsForWavesPerEU: 100
; NumVGPRsForWavesPerEU: 87
; AccumOffset: 88
; Occupancy: 5
; WaveLimiterHint : 0
; COMPUTE_PGM_RSRC2:SCRATCH_EN: 0
; COMPUTE_PGM_RSRC2:USER_SGPR: 6
; COMPUTE_PGM_RSRC2:TRAP_HANDLER: 0
; COMPUTE_PGM_RSRC2:TGID_X_EN: 1
; COMPUTE_PGM_RSRC2:TGID_Y_EN: 0
; COMPUTE_PGM_RSRC2:TGID_Z_EN: 0
; COMPUTE_PGM_RSRC2:TIDIG_COMP_CNT: 0
; COMPUTE_PGM_RSRC3_GFX90A:ACCUM_OFFSET: 21
; COMPUTE_PGM_RSRC3_GFX90A:TG_SPLIT: 0
	.section	.text._ZN2at6native12_GLOBAL__N_125multi_tensor_apply_kernelINS1_18TensorListMetadataILi2EEENS1_14UnaryOpFunctorIN3c107complexIfEELi2ELi1ELi1EEEJNS0_3ExpIS8_EEEEEvT_T0_DpT1_,"axG",@progbits,_ZN2at6native12_GLOBAL__N_125multi_tensor_apply_kernelINS1_18TensorListMetadataILi2EEENS1_14UnaryOpFunctorIN3c107complexIfEELi2ELi1ELi1EEEJNS0_3ExpIS8_EEEEEvT_T0_DpT1_,comdat
	.globl	_ZN2at6native12_GLOBAL__N_125multi_tensor_apply_kernelINS1_18TensorListMetadataILi2EEENS1_14UnaryOpFunctorIN3c107complexIfEELi2ELi1ELi1EEEJNS0_3ExpIS8_EEEEEvT_T0_DpT1_ ; -- Begin function _ZN2at6native12_GLOBAL__N_125multi_tensor_apply_kernelINS1_18TensorListMetadataILi2EEENS1_14UnaryOpFunctorIN3c107complexIfEELi2ELi1ELi1EEEJNS0_3ExpIS8_EEEEEvT_T0_DpT1_
	.p2align	8
	.type	_ZN2at6native12_GLOBAL__N_125multi_tensor_apply_kernelINS1_18TensorListMetadataILi2EEENS1_14UnaryOpFunctorIN3c107complexIfEELi2ELi1ELi1EEEJNS0_3ExpIS8_EEEEEvT_T0_DpT1_,@function
_ZN2at6native12_GLOBAL__N_125multi_tensor_apply_kernelINS1_18TensorListMetadataILi2EEENS1_14UnaryOpFunctorIN3c107complexIfEELi2ELi1ELi1EEEJNS0_3ExpIS8_EEEEEvT_T0_DpT1_: ; @_ZN2at6native12_GLOBAL__N_125multi_tensor_apply_kernelINS1_18TensorListMetadataILi2EEENS1_14UnaryOpFunctorIN3c107complexIfEELi2ELi1ELi1EEEJNS0_3ExpIS8_EEEEEvT_T0_DpT1_
; %bb.0:
	v_mov_b32_e32 v1, s6
	global_load_ubyte v1, v1, s[4:5] offset:1536
	s_add_u32 s0, s4, s6
	s_mul_hi_u32 s3, s6, 3
	s_mul_i32 s6, s6, 3
	s_addc_u32 s7, s5, 0
	s_add_u32 s2, s0, s6
	s_addc_u32 s3, s7, s3
	s_load_dword s2, s[2:3], 0x740
	s_mov_b32 s13, 0
	s_mov_b32 s1, s13
	;; [unrolled: 1-line block ×3, first 2 shown]
	s_waitcnt lgkmcnt(0)
	s_ashr_i32 s3, s2, 31
	s_lshl_b64 s[14:15], s[2:3], 19
	s_waitcnt vmcnt(0)
	v_readfirstlane_b32 s0, v1
	s_lshl_b32 s0, s0, 3
	s_load_dwordx2 s[8:9], s[4:5], s0 offset:0x0
	s_load_dwordx2 s[6:7], s[4:5], s0 offset:0x400
	;; [unrolled: 1-line block ×3, first 2 shown]
	s_waitcnt lgkmcnt(0)
	s_add_u32 s33, s8, s14
	s_addc_u32 s38, s9, s15
	s_add_u32 s39, s10, s14
	s_addc_u32 s40, s11, s15
	s_and_b32 s0, s33, 31
	s_and_b32 s16, s6, 3
	;; [unrolled: 1-line block ×3, first 2 shown]
	s_or_b64 s[0:1], s[0:1], s[16:17]
	s_lshl_b64 s[2:3], s[2:3], 16
	s_or_b64 s[0:1], s[12:13], s[0:1]
	s_sub_u32 s16, s6, s2
	s_subb_u32 s17, s7, s3
	s_cmp_eq_u64 s[0:1], 0
	s_mov_b64 s[0:1], -1
	s_cbranch_scc0 .LBB133_177
; %bb.1:
	v_mov_b32_e32 v15, 0
	v_lshlrev_b32_e32 v14, 2, v0
	v_cmp_gt_i64_e32 vcc, s[16:17], v[14:15]
	s_and_saveexec_b64 s[18:19], vcc
	s_cbranch_execz .LBB133_176
; %bb.2:
	s_load_dword s0, s[4:5], 0xc5c
	v_lshlrev_b32_e32 v16, 5, v0
	s_mov_b64 s[20:21], 0
	s_mov_b32 s42, 0x7f800000
	s_mov_b32 s43, 0x8e8e5c
	s_waitcnt lgkmcnt(0)
	s_and_b32 s0, s0, 0xffff
	v_add_lshl_u32 v14, v0, s0, 2
	s_lshl_b32 s12, s0, 2
	s_lshl_b32 s41, s0, 5
	s_brev_b32 s44, 18
	s_mov_b32 s45, 0xfe5163ab
	s_mov_b32 s46, 0x3c439041
	;; [unrolled: 1-line block ×13, first 2 shown]
	v_mov_b32_e32 v1, 0xbe2aaa9d
	v_mov_b32_e32 v17, 0x3d2aabf7
	;; [unrolled: 1-line block ×3, first 2 shown]
	s_brev_b32 s58, 1
	s_movk_i32 s59, 0x1f8
	s_mov_b64 s[22:23], 0xffff
	v_not_b32_e32 v21, 63
	v_not_b32_e32 v22, 31
	v_mov_b32_e32 v23, 0x7f800000
	v_mov_b32_e32 v24, 0x7fc00000
	v_pk_mov_b32 v[18:19], v[14:15], v[14:15] op_sel:[0,1]
	s_branch .LBB133_4
.LBB133_3:                              ;   in Loop: Header=BB133_4 Depth=1
	s_or_b64 exec, exec, s[0:1]
	v_mov_b32_e32 v3, s40
	v_add_co_u32_e32 v2, vcc, s39, v16
	v_addc_co_u32_e32 v3, vcc, 0, v3, vcc
	v_cmp_le_i64_e32 vcc, s[16:17], v[18:19]
	v_cmp_lt_u64_e64 s[0:1], s[22:23], v[18:19]
	s_or_b64 s[0:1], vcc, s[0:1]
	s_add_u32 s33, s33, s41
	s_addc_u32 s38, s38, 0
	s_add_u32 s39, s39, s41
	s_addc_u32 s40, s40, 0
	global_store_dwordx4 v[2:3], v[6:9], off
	global_store_dwordx4 v[2:3], v[10:13], off offset:16
	v_mov_b32_e32 v2, s13
	s_and_b64 s[0:1], exec, s[0:1]
	v_add_co_u32_e32 v18, vcc, s12, v18
	s_or_b64 s[20:21], s[0:1], s[20:21]
	v_addc_co_u32_e32 v19, vcc, v19, v2, vcc
	s_andn2_b64 exec, exec, s[20:21]
	s_cbranch_execz .LBB133_176
.LBB133_4:                              ; =>This Inner Loop Header: Depth=1
	v_mov_b32_e32 v2, s38
	v_add_co_u32_e32 v6, vcc, s33, v16
	v_addc_co_u32_e32 v7, vcc, 0, v2, vcc
	global_load_dwordx4 v[10:13], v[6:7], off
	global_load_dwordx4 v[2:5], v[6:7], off offset:16
                                        ; implicit-def: $vgpr7
	s_waitcnt vmcnt(1)
	v_and_b32_e32 v8, 0x7fffffff, v11
	v_cmp_ne_u32_e32 vcc, 0, v8
	s_and_saveexec_b64 s[0:1], vcc
	s_xor_b64 s[24:25], exec, s[0:1]
	s_cbranch_execz .LBB133_44
; %bb.5:                                ;   in Loop: Header=BB133_4 Depth=1
	v_and_b32_e32 v9, 0x7fffffff, v10
	v_cmp_ne_u32_e32 vcc, 0, v9
                                        ; implicit-def: $vgpr7
	s_and_saveexec_b64 s[0:1], vcc
	s_xor_b64 s[26:27], exec, s[0:1]
	s_cbranch_execz .LBB133_33
; %bb.6:                                ;   in Loop: Header=BB133_4 Depth=1
	v_cmp_gt_u32_e32 vcc, s42, v8
                                        ; implicit-def: $vgpr7
	s_and_saveexec_b64 s[0:1], vcc
	s_xor_b64 s[28:29], exec, s[0:1]
	s_cbranch_execz .LBB133_28
; %bb.7:                                ;   in Loop: Header=BB133_4 Depth=1
	v_add_u32_e32 v6, 0xbd4e8de8, v10
	v_cmp_lt_u32_e32 vcc, s43, v6
                                        ; implicit-def: $vgpr7
	s_and_saveexec_b64 s[0:1], vcc
	s_xor_b64 s[30:31], exec, s[0:1]
	s_cbranch_execz .LBB133_17
; %bb.8:                                ;   in Loop: Header=BB133_4 Depth=1
	v_cmp_nlt_f32_e64 s[34:35], |v11|, s44
                                        ; implicit-def: $vgpr6
                                        ; implicit-def: $vgpr7
	s_and_saveexec_b64 s[0:1], s[34:35]
	s_xor_b64 s[36:37], exec, s[0:1]
	s_cbranch_execz .LBB133_10
; %bb.9:                                ;   in Loop: Header=BB133_4 Depth=1
	v_lshrrev_b32_e32 v6, 23, v8
	v_add_u32_e32 v6, 0xffffff88, v6
	v_cmp_lt_u32_e32 vcc, 63, v6
	v_cndmask_b32_e32 v7, 0, v21, vcc
	v_add_u32_e32 v6, v7, v6
	v_cmp_lt_u32_e64 s[0:1], 31, v6
	v_cndmask_b32_e64 v7, 0, v22, s[0:1]
	v_add_u32_e32 v6, v7, v6
	v_cmp_lt_u32_e64 s[2:3], 31, v6
	v_cndmask_b32_e64 v7, 0, v22, s[2:3]
	v_add_u32_e32 v9, v7, v6
	v_and_b32_e32 v6, 0x7fffff, v8
	v_or_b32_e32 v25, 0x800000, v6
	v_mad_u64_u32 v[6:7], s[6:7], v25, s45, 0
	v_mov_b32_e32 v14, v7
	v_mad_u64_u32 v[26:27], s[6:7], v25, s46, v[14:15]
	v_mov_b32_e32 v14, v27
	;; [unrolled: 2-line block ×6, first 2 shown]
	v_mad_u64_u32 v[36:37], s[6:7], v25, s51, v[14:15]
	v_cndmask_b32_e32 v7, v34, v30, vcc
	v_cndmask_b32_e32 v14, v36, v32, vcc
	;; [unrolled: 1-line block ×3, first 2 shown]
	v_cndmask_b32_e64 v25, v14, v7, s[0:1]
	v_cndmask_b32_e64 v14, v27, v14, s[0:1]
	v_cndmask_b32_e32 v27, v32, v28, vcc
	v_cndmask_b32_e64 v7, v7, v27, s[0:1]
	v_cndmask_b32_e64 v14, v14, v25, s[2:3]
	;; [unrolled: 1-line block ×3, first 2 shown]
	v_sub_u32_e32 v29, 32, v9
	v_alignbit_b32 v31, v14, v25, v29
	v_cmp_eq_u32_e64 s[6:7], 0, v9
	v_cndmask_b32_e64 v9, v31, v14, s[6:7]
	v_cndmask_b32_e32 v14, v30, v26, vcc
	v_cndmask_b32_e64 v26, v27, v14, s[0:1]
	v_cndmask_b32_e64 v7, v7, v26, s[2:3]
	v_cndmask_b32_e32 v6, v28, v6, vcc
	v_alignbit_b32 v27, v25, v7, v29
	v_cndmask_b32_e64 v6, v14, v6, s[0:1]
	v_cndmask_b32_e64 v25, v27, v25, s[6:7]
	v_bfe_u32 v31, v9, 29, 1
	v_cndmask_b32_e64 v6, v26, v6, s[2:3]
	v_alignbit_b32 v27, v9, v25, 30
	v_sub_u32_e32 v32, 0, v31
	v_alignbit_b32 v14, v7, v6, v29
	v_xor_b32_e32 v33, v27, v32
	v_cndmask_b32_e64 v7, v14, v7, s[6:7]
	v_alignbit_b32 v14, v25, v7, 30
	v_ffbh_u32_e32 v25, v33
	v_add_u32_e32 v25, 1, v25
	v_cmp_ne_u32_e32 vcc, v27, v32
	v_cndmask_b32_e32 v25, 33, v25, vcc
	v_alignbit_b32 v6, v7, v6, 30
	v_xor_b32_e32 v14, v14, v32
	v_sub_u32_e32 v26, 32, v25
	v_xor_b32_e32 v6, v6, v32
	v_alignbit_b32 v27, v33, v14, v26
	v_alignbit_b32 v6, v14, v6, v26
	;; [unrolled: 1-line block ×3, first 2 shown]
	v_ffbh_u32_e32 v14, v7
	v_min_u32_e32 v14, 32, v14
	v_lshrrev_b32_e32 v30, 29, v9
	v_sub_u32_e32 v26, 31, v14
	v_alignbit_b32 v6, v7, v6, v26
	v_lshlrev_b32_e32 v7, 31, v30
	v_or_b32_e32 v26, 0x33800000, v7
	v_add_lshl_u32 v14, v14, v25, 23
	v_lshrrev_b32_e32 v6, 9, v6
	v_sub_u32_e32 v14, v26, v14
	v_or_b32_e32 v6, v14, v6
	v_alignbit_b32 v14, v25, v27, 9
	v_or_b32_e32 v7, v14, v7
	v_xor_b32_e32 v7, 1.0, v7
	v_mul_f32_e32 v14, 0x3fc90fda, v7
	v_fma_f32 v25, v7, s52, -v14
	v_fmac_f32_e32 v25, 0x33a22168, v7
	v_fmac_f32_e32 v25, 0x3fc90fda, v6
	v_lshrrev_b32_e32 v6, 30, v9
	v_add_f32_e32 v7, v14, v25
	v_add_u32_e32 v6, v31, v6
	s_andn2_saveexec_b64 s[0:1], s[36:37]
	s_branch .LBB133_11
.LBB133_10:                             ;   in Loop: Header=BB133_4 Depth=1
	s_andn2_saveexec_b64 s[0:1], s[36:37]
.LBB133_11:                             ;   in Loop: Header=BB133_4 Depth=1
	v_mul_f32_e64 v6, |v11|, s53
	v_rndne_f32_e32 v9, v6
	v_cvt_i32_f32_e32 v6, v9
	v_fma_f32 v7, v9, s54, |v11|
	v_fmac_f32_e32 v7, 0xb3a22168, v9
	v_fmac_f32_e32 v7, 0xa7c234c4, v9
; %bb.12:                               ;   in Loop: Header=BB133_4 Depth=1
	s_or_b64 exec, exec, s[0:1]
                                        ; implicit-def: $vgpr9
                                        ; implicit-def: $vgpr14
	s_and_saveexec_b64 s[0:1], s[34:35]
	s_xor_b64 s[34:35], exec, s[0:1]
	s_cbranch_execz .LBB133_14
; %bb.13:                               ;   in Loop: Header=BB133_4 Depth=1
	v_lshrrev_b32_e32 v9, 23, v8
	v_add_u32_e32 v9, 0xffffff88, v9
	v_cmp_lt_u32_e32 vcc, 63, v9
	v_cndmask_b32_e32 v14, 0, v21, vcc
	v_add_u32_e32 v9, v14, v9
	v_cmp_lt_u32_e64 s[0:1], 31, v9
	v_cndmask_b32_e64 v14, 0, v22, s[0:1]
	v_add_u32_e32 v9, v14, v9
	v_cmp_lt_u32_e64 s[2:3], 31, v9
	v_cndmask_b32_e64 v14, 0, v22, s[2:3]
	v_add_u32_e32 v9, v14, v9
	v_and_b32_e32 v14, 0x7fffff, v8
	v_or_b32_e32 v25, 0x800000, v14
	v_mad_u64_u32 v[26:27], s[6:7], v25, s45, 0
	v_mov_b32_e32 v14, v27
	v_mad_u64_u32 v[28:29], s[6:7], v25, s46, v[14:15]
	v_mov_b32_e32 v14, v29
	;; [unrolled: 2-line block ×6, first 2 shown]
	v_mad_u64_u32 v[38:39], s[6:7], v25, s51, v[14:15]
	v_cndmask_b32_e32 v27, v36, v32, vcc
	v_cndmask_b32_e32 v14, v38, v34, vcc
	;; [unrolled: 1-line block ×3, first 2 shown]
	v_cndmask_b32_e64 v25, v14, v27, s[0:1]
	v_cndmask_b32_e64 v14, v29, v14, s[0:1]
	v_cndmask_b32_e32 v29, v34, v30, vcc
	v_cndmask_b32_e64 v27, v27, v29, s[0:1]
	v_cndmask_b32_e64 v14, v14, v25, s[2:3]
	;; [unrolled: 1-line block ×3, first 2 shown]
	v_sub_u32_e32 v31, 32, v9
	v_alignbit_b32 v33, v14, v25, v31
	v_cmp_eq_u32_e64 s[6:7], 0, v9
	v_cndmask_b32_e64 v9, v33, v14, s[6:7]
	v_cndmask_b32_e32 v14, v32, v28, vcc
	v_cndmask_b32_e64 v28, v29, v14, s[0:1]
	v_cndmask_b32_e64 v27, v27, v28, s[2:3]
	v_alignbit_b32 v29, v25, v27, v31
	v_cndmask_b32_e32 v26, v30, v26, vcc
	v_cndmask_b32_e64 v25, v29, v25, s[6:7]
	v_bfe_u32 v33, v9, 29, 1
	v_cndmask_b32_e64 v14, v14, v26, s[0:1]
	v_alignbit_b32 v29, v9, v25, 30
	v_sub_u32_e32 v34, 0, v33
	v_cndmask_b32_e64 v14, v28, v14, s[2:3]
	v_xor_b32_e32 v35, v29, v34
	v_alignbit_b32 v26, v27, v14, v31
	v_cndmask_b32_e64 v26, v26, v27, s[6:7]
	v_ffbh_u32_e32 v27, v35
	v_add_u32_e32 v27, 1, v27
	v_cmp_ne_u32_e32 vcc, v29, v34
	v_alignbit_b32 v25, v25, v26, 30
	v_cndmask_b32_e32 v27, 33, v27, vcc
	v_alignbit_b32 v14, v26, v14, 30
	v_xor_b32_e32 v25, v25, v34
	v_sub_u32_e32 v28, 32, v27
	v_xor_b32_e32 v14, v14, v34
	v_alignbit_b32 v29, v35, v25, v28
	v_alignbit_b32 v14, v25, v14, v28
	;; [unrolled: 1-line block ×3, first 2 shown]
	v_ffbh_u32_e32 v26, v25
	v_min_u32_e32 v26, 32, v26
	v_lshrrev_b32_e32 v32, 29, v9
	v_sub_u32_e32 v28, 31, v26
	v_alignbit_b32 v14, v25, v14, v28
	v_lshlrev_b32_e32 v25, 31, v32
	v_or_b32_e32 v28, 0x33800000, v25
	v_add_lshl_u32 v26, v26, v27, 23
	v_lshrrev_b32_e32 v14, 9, v14
	v_sub_u32_e32 v26, v28, v26
	v_or_b32_e32 v14, v26, v14
	v_alignbit_b32 v26, v27, v29, 9
	v_or_b32_e32 v25, v26, v25
	v_xor_b32_e32 v25, 1.0, v25
	v_mul_f32_e32 v26, 0x3fc90fda, v25
	v_fma_f32 v27, v25, s52, -v26
	v_fmac_f32_e32 v27, 0x33a22168, v25
	v_fmac_f32_e32 v27, 0x3fc90fda, v14
	v_lshrrev_b32_e32 v9, 30, v9
	v_add_f32_e32 v14, v26, v27
	v_add_u32_e32 v9, v33, v9
	s_andn2_saveexec_b64 s[0:1], s[34:35]
	s_cbranch_execnz .LBB133_15
	s_branch .LBB133_16
.LBB133_14:                             ;   in Loop: Header=BB133_4 Depth=1
	s_andn2_saveexec_b64 s[0:1], s[34:35]
.LBB133_15:                             ;   in Loop: Header=BB133_4 Depth=1
	v_mul_f32_e64 v9, |v11|, s53
	v_rndne_f32_e32 v25, v9
	v_cvt_i32_f32_e32 v9, v25
	v_fma_f32 v14, v25, s54, |v11|
	v_fmac_f32_e32 v14, 0xb3a22168, v25
	v_fmac_f32_e32 v14, 0xa7c234c4, v25
.LBB133_16:                             ;   in Loop: Header=BB133_4 Depth=1
	s_or_b64 exec, exec, s[0:1]
	v_mul_f32_e32 v25, 0x3fb8aa3b, v10
	v_rndne_f32_e32 v26, v25
	v_sub_f32_e32 v27, v25, v26
	v_fma_f32 v25, v10, s55, -v25
	v_fmac_f32_e32 v25, 0x32a5705f, v10
	v_add_f32_e32 v25, v27, v25
	v_cvt_i32_f32_e32 v26, v26
	v_exp_f32_e32 v25, v25
	v_mov_b32_e32 v27, 0x3c0881c4
	v_cmp_ngt_f32_e32 vcc, s56, v10
	v_ldexp_f32 v25, v25, v26
	v_mul_f32_e32 v26, v7, v7
	v_fmac_f32_e32 v27, 0xb94c1982, v26
	v_fma_f32 v27, v26, v27, v1
	v_mul_f32_e32 v27, v26, v27
	v_fmac_f32_e32 v7, v7, v27
	v_mov_b32_e32 v27, 0xbab64f3b
	v_fmac_f32_e32 v27, 0x37d75334, v26
	v_fma_f32 v27, v26, v27, v17
	v_fma_f32 v27, v26, v27, v20
	v_cndmask_b32_e32 v25, 0, v25, vcc
	v_cmp_nlt_f32_e32 vcc, s57, v10
	v_fma_f32 v26, v26, v27, 1.0
	v_and_b32_e32 v27, 1, v6
	v_cndmask_b32_e32 v25, v23, v25, vcc
	v_cmp_eq_u32_e32 vcc, 0, v27
	v_lshlrev_b32_e32 v6, 30, v6
	v_cndmask_b32_e64 v7, -v7, v26, vcc
	v_and_b32_e32 v6, 0x80000000, v6
	v_xor_b32_e32 v6, v6, v7
	v_mul_f32_e32 v7, v14, v14
	v_mov_b32_e32 v26, 0x3c0881c4
	v_fmac_f32_e32 v26, 0xb94c1982, v7
	v_fma_f32 v26, v7, v26, v1
	v_mul_f32_e32 v26, v7, v26
	v_fmac_f32_e32 v14, v14, v26
	v_mov_b32_e32 v26, 0xbab64f3b
	v_fmac_f32_e32 v26, 0x37d75334, v7
	v_fma_f32 v26, v7, v26, v17
	v_fma_f32 v26, v7, v26, v20
	v_fma_f32 v7, v7, v26, 1.0
	v_and_b32_e32 v26, 1, v9
	v_cmp_eq_u32_e64 s[0:1], 0, v26
	v_lshlrev_b32_e32 v9, 30, v9
	v_cndmask_b32_e64 v7, v7, v14, s[0:1]
	v_and_or_b32 v8, v9, s58, v8
	v_xor_b32_e32 v7, v8, v7
	v_cmp_class_f32_e64 vcc, v11, s59
	v_xor_b32_e32 v7, v7, v11
	v_cndmask_b32_e32 v6, v24, v6, vcc
	v_cndmask_b32_e32 v7, v24, v7, vcc
	v_mul_f32_e32 v6, v25, v6
	v_mul_f32_e32 v7, v25, v7
                                        ; implicit-def: $vgpr8
.LBB133_17:                             ;   in Loop: Header=BB133_4 Depth=1
	s_andn2_saveexec_b64 s[30:31], s[30:31]
	s_cbranch_execz .LBB133_20
; %bb.18:                               ;   in Loop: Header=BB133_4 Depth=1
	v_cmp_nlt_f32_e64 s[34:35], |v11|, s44
                                        ; implicit-def: $vgpr7
                                        ; implicit-def: $vgpr6
	s_and_saveexec_b64 s[0:1], s[34:35]
	s_xor_b64 s[36:37], exec, s[0:1]
	s_cbranch_execz .LBB133_21
; %bb.19:                               ;   in Loop: Header=BB133_4 Depth=1
	v_lshrrev_b32_e32 v6, 23, v8
	v_add_u32_e32 v6, 0xffffff88, v6
	v_cmp_lt_u32_e32 vcc, 63, v6
	v_cndmask_b32_e32 v7, 0, v21, vcc
	v_add_u32_e32 v6, v7, v6
	v_cmp_lt_u32_e64 s[0:1], 31, v6
	v_cndmask_b32_e64 v7, 0, v22, s[0:1]
	v_add_u32_e32 v6, v7, v6
	v_cmp_lt_u32_e64 s[2:3], 31, v6
	v_cndmask_b32_e64 v7, 0, v22, s[2:3]
	v_add_u32_e32 v9, v7, v6
	v_and_b32_e32 v6, 0x7fffff, v8
	v_or_b32_e32 v25, 0x800000, v6
	v_mad_u64_u32 v[6:7], s[6:7], v25, s45, 0
	v_mov_b32_e32 v14, v7
	v_mad_u64_u32 v[26:27], s[6:7], v25, s46, v[14:15]
	v_mov_b32_e32 v14, v27
	;; [unrolled: 2-line block ×6, first 2 shown]
	v_mad_u64_u32 v[36:37], s[6:7], v25, s51, v[14:15]
	v_cndmask_b32_e32 v7, v34, v30, vcc
	v_cndmask_b32_e32 v14, v36, v32, vcc
	;; [unrolled: 1-line block ×3, first 2 shown]
	v_cndmask_b32_e64 v25, v14, v7, s[0:1]
	v_cndmask_b32_e64 v14, v27, v14, s[0:1]
	v_cndmask_b32_e32 v27, v32, v28, vcc
	v_cndmask_b32_e64 v7, v7, v27, s[0:1]
	v_cndmask_b32_e64 v14, v14, v25, s[2:3]
	;; [unrolled: 1-line block ×3, first 2 shown]
	v_sub_u32_e32 v29, 32, v9
	v_alignbit_b32 v31, v14, v25, v29
	v_cmp_eq_u32_e64 s[6:7], 0, v9
	v_cndmask_b32_e64 v9, v31, v14, s[6:7]
	v_cndmask_b32_e32 v14, v30, v26, vcc
	v_cndmask_b32_e64 v26, v27, v14, s[0:1]
	v_cndmask_b32_e64 v7, v7, v26, s[2:3]
	v_cndmask_b32_e32 v6, v28, v6, vcc
	v_alignbit_b32 v27, v25, v7, v29
	v_cndmask_b32_e64 v6, v14, v6, s[0:1]
	v_cndmask_b32_e64 v25, v27, v25, s[6:7]
	v_bfe_u32 v31, v9, 29, 1
	v_cndmask_b32_e64 v6, v26, v6, s[2:3]
	v_alignbit_b32 v27, v9, v25, 30
	v_sub_u32_e32 v32, 0, v31
	v_alignbit_b32 v14, v7, v6, v29
	v_xor_b32_e32 v33, v27, v32
	v_cndmask_b32_e64 v7, v14, v7, s[6:7]
	v_alignbit_b32 v14, v25, v7, 30
	v_ffbh_u32_e32 v25, v33
	v_add_u32_e32 v25, 1, v25
	v_cmp_ne_u32_e32 vcc, v27, v32
	v_cndmask_b32_e32 v25, 33, v25, vcc
	v_alignbit_b32 v6, v7, v6, 30
	v_xor_b32_e32 v14, v14, v32
	v_sub_u32_e32 v26, 32, v25
	v_xor_b32_e32 v6, v6, v32
	v_alignbit_b32 v27, v33, v14, v26
	v_alignbit_b32 v6, v14, v6, v26
	;; [unrolled: 1-line block ×3, first 2 shown]
	v_ffbh_u32_e32 v14, v7
	v_min_u32_e32 v14, 32, v14
	v_lshrrev_b32_e32 v30, 29, v9
	v_sub_u32_e32 v26, 31, v14
	v_alignbit_b32 v6, v7, v6, v26
	v_lshlrev_b32_e32 v7, 31, v30
	v_or_b32_e32 v26, 0x33800000, v7
	v_add_lshl_u32 v14, v14, v25, 23
	v_lshrrev_b32_e32 v6, 9, v6
	v_sub_u32_e32 v14, v26, v14
	v_or_b32_e32 v6, v14, v6
	v_alignbit_b32 v14, v25, v27, 9
	v_or_b32_e32 v7, v14, v7
	v_xor_b32_e32 v7, 1.0, v7
	v_mul_f32_e32 v14, 0x3fc90fda, v7
	v_fma_f32 v25, v7, s52, -v14
	v_fmac_f32_e32 v25, 0x33a22168, v7
	v_fmac_f32_e32 v25, 0x3fc90fda, v6
	v_lshrrev_b32_e32 v7, 30, v9
	v_add_f32_e32 v6, v14, v25
	v_add_u32_e32 v7, v31, v7
	s_andn2_saveexec_b64 s[0:1], s[36:37]
	s_branch .LBB133_22
.LBB133_20:                             ;   in Loop: Header=BB133_4 Depth=1
	s_or_b64 exec, exec, s[30:31]
                                        ; implicit-def: $vgpr9
	s_andn2_saveexec_b64 s[0:1], s[28:29]
	s_cbranch_execnz .LBB133_29
	s_branch .LBB133_32
.LBB133_21:                             ;   in Loop: Header=BB133_4 Depth=1
	s_andn2_saveexec_b64 s[0:1], s[36:37]
.LBB133_22:                             ;   in Loop: Header=BB133_4 Depth=1
	v_mul_f32_e64 v6, |v11|, s53
	v_rndne_f32_e32 v9, v6
	v_cvt_i32_f32_e32 v7, v9
	v_fma_f32 v6, v9, s54, |v11|
	v_fmac_f32_e32 v6, 0xb3a22168, v9
	v_fmac_f32_e32 v6, 0xa7c234c4, v9
; %bb.23:                               ;   in Loop: Header=BB133_4 Depth=1
	s_or_b64 exec, exec, s[0:1]
                                        ; implicit-def: $vgpr9
                                        ; implicit-def: $vgpr14
	s_and_saveexec_b64 s[0:1], s[34:35]
	s_xor_b64 s[34:35], exec, s[0:1]
	s_cbranch_execz .LBB133_25
; %bb.24:                               ;   in Loop: Header=BB133_4 Depth=1
	v_lshrrev_b32_e32 v9, 23, v8
	v_add_u32_e32 v9, 0xffffff88, v9
	v_cmp_lt_u32_e32 vcc, 63, v9
	v_cndmask_b32_e32 v14, 0, v21, vcc
	v_add_u32_e32 v9, v14, v9
	v_cmp_lt_u32_e64 s[0:1], 31, v9
	v_cndmask_b32_e64 v14, 0, v22, s[0:1]
	v_add_u32_e32 v9, v14, v9
	v_cmp_lt_u32_e64 s[2:3], 31, v9
	v_cndmask_b32_e64 v14, 0, v22, s[2:3]
	v_add_u32_e32 v9, v14, v9
	v_and_b32_e32 v14, 0x7fffff, v8
	v_or_b32_e32 v25, 0x800000, v14
	v_mad_u64_u32 v[26:27], s[6:7], v25, s45, 0
	v_mov_b32_e32 v14, v27
	v_mad_u64_u32 v[28:29], s[6:7], v25, s46, v[14:15]
	v_mov_b32_e32 v14, v29
	;; [unrolled: 2-line block ×6, first 2 shown]
	v_mad_u64_u32 v[38:39], s[6:7], v25, s51, v[14:15]
	v_cndmask_b32_e32 v27, v36, v32, vcc
	v_cndmask_b32_e32 v14, v38, v34, vcc
	;; [unrolled: 1-line block ×3, first 2 shown]
	v_cndmask_b32_e64 v25, v14, v27, s[0:1]
	v_cndmask_b32_e64 v14, v29, v14, s[0:1]
	v_cndmask_b32_e32 v29, v34, v30, vcc
	v_cndmask_b32_e64 v27, v27, v29, s[0:1]
	v_cndmask_b32_e64 v14, v14, v25, s[2:3]
	;; [unrolled: 1-line block ×3, first 2 shown]
	v_sub_u32_e32 v31, 32, v9
	v_alignbit_b32 v33, v14, v25, v31
	v_cmp_eq_u32_e64 s[6:7], 0, v9
	v_cndmask_b32_e64 v9, v33, v14, s[6:7]
	v_cndmask_b32_e32 v14, v32, v28, vcc
	v_cndmask_b32_e64 v28, v29, v14, s[0:1]
	v_cndmask_b32_e64 v27, v27, v28, s[2:3]
	v_alignbit_b32 v29, v25, v27, v31
	v_cndmask_b32_e32 v26, v30, v26, vcc
	v_cndmask_b32_e64 v25, v29, v25, s[6:7]
	v_bfe_u32 v33, v9, 29, 1
	v_cndmask_b32_e64 v14, v14, v26, s[0:1]
	v_alignbit_b32 v29, v9, v25, 30
	v_sub_u32_e32 v34, 0, v33
	v_cndmask_b32_e64 v14, v28, v14, s[2:3]
	v_xor_b32_e32 v35, v29, v34
	v_alignbit_b32 v26, v27, v14, v31
	v_cndmask_b32_e64 v26, v26, v27, s[6:7]
	v_ffbh_u32_e32 v27, v35
	v_add_u32_e32 v27, 1, v27
	v_cmp_ne_u32_e32 vcc, v29, v34
	v_alignbit_b32 v25, v25, v26, 30
	v_cndmask_b32_e32 v27, 33, v27, vcc
	v_alignbit_b32 v14, v26, v14, 30
	v_xor_b32_e32 v25, v25, v34
	v_sub_u32_e32 v28, 32, v27
	v_xor_b32_e32 v14, v14, v34
	v_alignbit_b32 v29, v35, v25, v28
	v_alignbit_b32 v14, v25, v14, v28
	;; [unrolled: 1-line block ×3, first 2 shown]
	v_ffbh_u32_e32 v26, v25
	v_min_u32_e32 v26, 32, v26
	v_lshrrev_b32_e32 v32, 29, v9
	v_sub_u32_e32 v28, 31, v26
	v_alignbit_b32 v14, v25, v14, v28
	v_lshlrev_b32_e32 v25, 31, v32
	v_or_b32_e32 v28, 0x33800000, v25
	v_add_lshl_u32 v26, v26, v27, 23
	v_lshrrev_b32_e32 v14, 9, v14
	v_sub_u32_e32 v26, v28, v26
	v_or_b32_e32 v14, v26, v14
	v_alignbit_b32 v26, v27, v29, 9
	v_or_b32_e32 v25, v26, v25
	v_xor_b32_e32 v25, 1.0, v25
	v_mul_f32_e32 v26, 0x3fc90fda, v25
	v_fma_f32 v27, v25, s52, -v26
	v_fmac_f32_e32 v27, 0x33a22168, v25
	v_fmac_f32_e32 v27, 0x3fc90fda, v14
	v_lshrrev_b32_e32 v9, 30, v9
	v_add_f32_e32 v14, v26, v27
	v_add_u32_e32 v9, v33, v9
	s_andn2_saveexec_b64 s[0:1], s[34:35]
	s_cbranch_execnz .LBB133_26
	s_branch .LBB133_27
.LBB133_25:                             ;   in Loop: Header=BB133_4 Depth=1
	s_andn2_saveexec_b64 s[0:1], s[34:35]
.LBB133_26:                             ;   in Loop: Header=BB133_4 Depth=1
	v_mul_f32_e64 v9, |v11|, s53
	v_rndne_f32_e32 v25, v9
	v_cvt_i32_f32_e32 v9, v25
	v_fma_f32 v14, v25, s54, |v11|
	v_fmac_f32_e32 v14, 0xb3a22168, v25
	v_fmac_f32_e32 v14, 0xa7c234c4, v25
.LBB133_27:                             ;   in Loop: Header=BB133_4 Depth=1
	s_or_b64 exec, exec, s[0:1]
	v_mul_f32_e32 v26, v6, v6
	v_mov_b32_e32 v27, 0xbab64f3b
	v_fmac_f32_e32 v27, 0x37d75334, v26
	v_mov_b32_e32 v28, 0x3c0881c4
	v_fma_f32 v27, v26, v27, v17
	v_fmac_f32_e32 v28, 0xb94c1982, v26
	v_lshlrev_b32_e32 v25, 30, v7
	v_and_b32_e32 v7, 1, v7
	v_fma_f32 v27, v26, v27, v20
	v_fma_f32 v28, v26, v28, v1
	v_fma_f32 v27, v26, v27, 1.0
	v_mul_f32_e32 v26, v26, v28
	v_cmp_eq_u32_e32 vcc, 0, v7
	v_add_f32_e32 v7, 0xc322e3bc, v10
	v_fmac_f32_e32 v6, v6, v26
	v_mul_f32_e32 v26, 0x3fb8aa3b, v7
	v_cndmask_b32_e64 v6, -v6, v27, vcc
	v_fma_f32 v27, v7, s55, -v26
	v_rndne_f32_e32 v28, v26
	v_fmac_f32_e32 v27, 0x32a5705f, v7
	v_sub_f32_e32 v26, v26, v28
	v_add_f32_e32 v26, v26, v27
	v_exp_f32_e32 v26, v26
	v_cvt_i32_f32_e32 v27, v28
	v_and_b32_e32 v25, 0x80000000, v25
	v_xor_b32_e32 v6, v25, v6
	v_cmp_ngt_f32_e64 s[0:1], s56, v7
	v_ldexp_f32 v25, v26, v27
	v_cndmask_b32_e64 v25, 0, v25, s[0:1]
	v_cmp_nlt_f32_e64 s[0:1], s57, v7
	v_cndmask_b32_e64 v7, v23, v25, s[0:1]
	v_and_b32_e32 v25, 0x7fffff, v7
	v_lshrrev_b32_e32 v7, 23, v7
	v_subrev_u32_e32 v7, 19, v7
	v_lshrrev_b16_e32 v26, 15, v7
	v_add_u16_e32 v26, v7, v26
	v_ashrrev_i16_e32 v26, 1, v26
	v_bfe_i32 v26, v26, 0, 16
	v_lshl_add_u32 v27, v26, 23, 1.0
	v_sub_u32_e32 v7, v7, v26
	v_mul_f32_e32 v26, v14, v14
	v_mov_b32_e32 v28, 0x3c0881c4
	v_fmac_f32_e32 v28, 0xb94c1982, v26
	v_fma_f32 v28, v26, v28, v1
	v_mul_f32_e32 v28, v26, v28
	v_fmac_f32_e32 v14, v14, v28
	v_mov_b32_e32 v28, 0xbab64f3b
	v_fmac_f32_e32 v28, 0x37d75334, v26
	v_fma_f32 v28, v26, v28, v17
	v_fma_f32 v28, v26, v28, v20
	v_fma_f32 v26, v26, v28, 1.0
	v_and_b32_e32 v28, 1, v9
	v_cmp_eq_u32_e64 s[0:1], 0, v28
	v_lshlrev_b32_e32 v9, 30, v9
	v_cndmask_b32_e64 v14, v26, v14, s[0:1]
	v_and_or_b32 v8, v9, s58, v8
	v_xor_b32_e32 v8, v8, v14
	v_cmp_class_f32_e64 vcc, v11, s59
	v_xor_b32_e32 v8, v8, v11
	v_cndmask_b32_e32 v6, v24, v6, vcc
	v_or_b32_e32 v25, 0x7f000000, v25
	v_cndmask_b32_e32 v8, v24, v8, vcc
	v_mul_f32_e32 v6, v6, v25
	v_mul_f32_e32 v8, v8, v25
	;; [unrolled: 1-line block ×3, first 2 shown]
	v_lshl_add_u32 v7, v7, 23, 1.0
	v_mul_f32_e32 v8, v8, v27
	v_mul_f32_e32 v6, v6, v7
	;; [unrolled: 1-line block ×3, first 2 shown]
	s_or_b64 exec, exec, s[30:31]
                                        ; implicit-def: $vgpr9
.LBB133_28:                             ;   in Loop: Header=BB133_4 Depth=1
	s_andn2_saveexec_b64 s[0:1], s[28:29]
	s_cbranch_execz .LBB133_32
.LBB133_29:                             ;   in Loop: Header=BB133_4 Depth=1
	v_cmp_ne_u32_e32 vcc, s42, v9
	v_sub_f32_e32 v7, v11, v11
	s_and_saveexec_b64 s[2:3], vcc
	s_xor_b64 s[2:3], exec, s[2:3]
	s_or_saveexec_b64 s[2:3], s[2:3]
	v_mov_b32_e32 v6, v7
	s_xor_b64 exec, exec, s[2:3]
; %bb.30:                               ;   in Loop: Header=BB133_4 Depth=1
	v_cmp_lt_i32_e32 vcc, -1, v10
	v_cndmask_b32_e32 v6, 0, v10, vcc
	v_cndmask_b32_e32 v7, 0, v7, vcc
; %bb.31:                               ;   in Loop: Header=BB133_4 Depth=1
	s_or_b64 exec, exec, s[2:3]
.LBB133_32:                             ;   in Loop: Header=BB133_4 Depth=1
	s_or_b64 exec, exec, s[0:1]
                                        ; implicit-def: $vgpr8
.LBB133_33:                             ;   in Loop: Header=BB133_4 Depth=1
	s_andn2_saveexec_b64 s[26:27], s[26:27]
	s_cbranch_execz .LBB133_43
; %bb.34:                               ;   in Loop: Header=BB133_4 Depth=1
	v_lshrrev_b32_e32 v6, 23, v8
	v_and_b32_e32 v7, 0x7fffff, v8
	v_cmp_nlt_f32_e64 s[28:29], |v11|, s44
	v_add_u32_e32 v25, 0xffffff88, v6
	v_or_b32_e32 v9, 0x800000, v7
                                        ; implicit-def: $vgpr6
                                        ; implicit-def: $vgpr7
	s_and_saveexec_b64 s[0:1], s[28:29]
	s_xor_b64 s[30:31], exec, s[0:1]
	s_cbranch_execz .LBB133_36
; %bb.35:                               ;   in Loop: Header=BB133_4 Depth=1
	v_cmp_lt_u32_e32 vcc, 63, v25
	v_cndmask_b32_e32 v6, 0, v21, vcc
	v_add_u32_e32 v6, v6, v25
	v_cmp_lt_u32_e64 s[0:1], 31, v6
	v_cndmask_b32_e64 v7, 0, v22, s[0:1]
	v_add_u32_e32 v6, v7, v6
	v_cmp_lt_u32_e64 s[2:3], 31, v6
	v_cndmask_b32_e64 v7, 0, v22, s[2:3]
	v_add_u32_e32 v38, v7, v6
	v_mad_u64_u32 v[6:7], s[6:7], v9, s45, 0
	v_mov_b32_e32 v14, v7
	v_mad_u64_u32 v[26:27], s[6:7], v9, s46, v[14:15]
	v_mov_b32_e32 v14, v27
	v_mad_u64_u32 v[28:29], s[6:7], v9, s47, v[14:15]
	v_mov_b32_e32 v14, v29
	v_mad_u64_u32 v[30:31], s[6:7], v9, s48, v[14:15]
	v_mov_b32_e32 v14, v31
	v_mad_u64_u32 v[32:33], s[6:7], v9, s49, v[14:15]
	v_mov_b32_e32 v14, v33
	v_mad_u64_u32 v[34:35], s[6:7], v9, s50, v[14:15]
	v_mov_b32_e32 v14, v35
	v_mad_u64_u32 v[36:37], s[6:7], v9, s51, v[14:15]
	v_cndmask_b32_e32 v7, v34, v30, vcc
	v_cndmask_b32_e32 v14, v36, v32, vcc
	;; [unrolled: 1-line block ×3, first 2 shown]
	v_cndmask_b32_e64 v27, v14, v7, s[0:1]
	v_cndmask_b32_e64 v14, v29, v14, s[0:1]
	v_cndmask_b32_e32 v29, v32, v28, vcc
	v_cndmask_b32_e64 v7, v7, v29, s[0:1]
	v_cndmask_b32_e32 v26, v30, v26, vcc
	v_cndmask_b32_e64 v14, v14, v27, s[2:3]
	v_cndmask_b32_e64 v27, v27, v7, s[2:3]
	v_sub_u32_e32 v31, 32, v38
	v_cndmask_b32_e64 v29, v29, v26, s[0:1]
	v_alignbit_b32 v32, v14, v27, v31
	v_cmp_eq_u32_e64 s[6:7], 0, v38
	v_cndmask_b32_e64 v7, v7, v29, s[2:3]
	v_cndmask_b32_e32 v6, v28, v6, vcc
	v_cndmask_b32_e64 v14, v32, v14, s[6:7]
	v_alignbit_b32 v30, v27, v7, v31
	v_cndmask_b32_e64 v6, v26, v6, s[0:1]
	v_cndmask_b32_e64 v27, v30, v27, s[6:7]
	v_bfe_u32 v33, v14, 29, 1
	v_cndmask_b32_e64 v6, v29, v6, s[2:3]
	v_alignbit_b32 v30, v14, v27, 30
	v_sub_u32_e32 v34, 0, v33
	v_alignbit_b32 v26, v7, v6, v31
	v_xor_b32_e32 v35, v30, v34
	v_cndmask_b32_e64 v7, v26, v7, s[6:7]
	v_alignbit_b32 v26, v27, v7, 30
	v_ffbh_u32_e32 v27, v35
	v_add_u32_e32 v27, 1, v27
	v_cmp_ne_u32_e32 vcc, v30, v34
	v_cndmask_b32_e32 v27, 33, v27, vcc
	v_alignbit_b32 v6, v7, v6, 30
	v_xor_b32_e32 v26, v26, v34
	v_sub_u32_e32 v28, 32, v27
	v_xor_b32_e32 v6, v6, v34
	v_alignbit_b32 v29, v35, v26, v28
	v_alignbit_b32 v6, v26, v6, v28
	;; [unrolled: 1-line block ×3, first 2 shown]
	v_ffbh_u32_e32 v26, v7
	v_min_u32_e32 v26, 32, v26
	v_lshrrev_b32_e32 v32, 29, v14
	v_sub_u32_e32 v28, 31, v26
	v_alignbit_b32 v6, v7, v6, v28
	v_lshlrev_b32_e32 v7, 31, v32
	v_or_b32_e32 v28, 0x33800000, v7
	v_add_lshl_u32 v26, v26, v27, 23
	v_lshrrev_b32_e32 v6, 9, v6
	v_sub_u32_e32 v26, v28, v26
	v_or_b32_e32 v6, v26, v6
	v_alignbit_b32 v26, v27, v29, 9
	v_or_b32_e32 v7, v26, v7
	v_xor_b32_e32 v7, 1.0, v7
	v_mul_f32_e32 v26, 0x3fc90fda, v7
	v_fma_f32 v27, v7, s52, -v26
	v_fmac_f32_e32 v27, 0x33a22168, v7
	v_fmac_f32_e32 v27, 0x3fc90fda, v6
	v_lshrrev_b32_e32 v6, 30, v14
	v_add_f32_e32 v7, v26, v27
	v_add_u32_e32 v6, v33, v6
.LBB133_36:                             ;   in Loop: Header=BB133_4 Depth=1
	s_or_saveexec_b64 s[0:1], s[30:31]
	v_mul_f32_e64 v14, |v11|, s53
	v_rndne_f32_e32 v27, v14
	s_xor_b64 exec, exec, s[0:1]
; %bb.37:                               ;   in Loop: Header=BB133_4 Depth=1
	v_cvt_i32_f32_e32 v6, v27
	v_fma_f32 v7, v27, s54, |v11|
	v_fmac_f32_e32 v7, 0xb3a22168, v27
	v_fmac_f32_e32 v7, 0xa7c234c4, v27
; %bb.38:                               ;   in Loop: Header=BB133_4 Depth=1
	s_or_b64 exec, exec, s[0:1]
                                        ; implicit-def: $vgpr14
                                        ; implicit-def: $vgpr26
	s_and_saveexec_b64 s[0:1], s[28:29]
	s_xor_b64 s[28:29], exec, s[0:1]
	s_cbranch_execz .LBB133_40
; %bb.39:                               ;   in Loop: Header=BB133_4 Depth=1
	v_cmp_lt_u32_e32 vcc, 63, v25
	v_cndmask_b32_e32 v14, 0, v21, vcc
	v_add_u32_e32 v14, v14, v25
	v_cmp_lt_u32_e64 s[0:1], 31, v14
	v_cndmask_b32_e64 v25, 0, v22, s[0:1]
	v_add_u32_e32 v14, v25, v14
	v_cmp_lt_u32_e64 s[2:3], 31, v14
	v_cndmask_b32_e64 v25, 0, v22, s[2:3]
	v_mad_u64_u32 v[26:27], s[6:7], v9, s45, 0
	v_add_u32_e32 v25, v25, v14
	v_mov_b32_e32 v14, v27
	v_mad_u64_u32 v[28:29], s[6:7], v9, s46, v[14:15]
	v_mov_b32_e32 v14, v29
	v_mad_u64_u32 v[30:31], s[6:7], v9, s47, v[14:15]
	v_mov_b32_e32 v14, v31
	v_mad_u64_u32 v[32:33], s[6:7], v9, s48, v[14:15]
	v_mov_b32_e32 v14, v33
	v_mad_u64_u32 v[34:35], s[6:7], v9, s49, v[14:15]
	v_mov_b32_e32 v14, v35
	v_mad_u64_u32 v[36:37], s[6:7], v9, s50, v[14:15]
	v_mov_b32_e32 v14, v37
	v_mad_u64_u32 v[38:39], s[6:7], v9, s51, v[14:15]
	v_cndmask_b32_e32 v27, v36, v32, vcc
	v_cndmask_b32_e32 v9, v38, v34, vcc
	;; [unrolled: 1-line block ×3, first 2 shown]
	v_cndmask_b32_e64 v14, v9, v27, s[0:1]
	v_cndmask_b32_e64 v9, v29, v9, s[0:1]
	v_cndmask_b32_e32 v29, v34, v30, vcc
	v_cndmask_b32_e64 v27, v27, v29, s[0:1]
	v_sub_u32_e32 v31, 32, v25
	v_cmp_eq_u32_e64 s[6:7], 0, v25
	v_cndmask_b32_e32 v25, v32, v28, vcc
	v_cndmask_b32_e64 v9, v9, v14, s[2:3]
	v_cndmask_b32_e64 v14, v14, v27, s[2:3]
	;; [unrolled: 1-line block ×3, first 2 shown]
	v_alignbit_b32 v33, v9, v14, v31
	v_cndmask_b32_e64 v27, v27, v28, s[2:3]
	v_cndmask_b32_e64 v9, v33, v9, s[6:7]
	v_alignbit_b32 v29, v14, v27, v31
	v_cndmask_b32_e32 v26, v30, v26, vcc
	v_cndmask_b32_e64 v14, v29, v14, s[6:7]
	v_bfe_u32 v33, v9, 29, 1
	v_cndmask_b32_e64 v25, v25, v26, s[0:1]
	v_alignbit_b32 v29, v9, v14, 30
	v_sub_u32_e32 v34, 0, v33
	v_cndmask_b32_e64 v25, v28, v25, s[2:3]
	v_xor_b32_e32 v35, v29, v34
	v_alignbit_b32 v26, v27, v25, v31
	v_cndmask_b32_e64 v26, v26, v27, s[6:7]
	v_ffbh_u32_e32 v27, v35
	v_add_u32_e32 v27, 1, v27
	v_cmp_ne_u32_e32 vcc, v29, v34
	v_alignbit_b32 v14, v14, v26, 30
	v_cndmask_b32_e32 v27, 33, v27, vcc
	v_alignbit_b32 v25, v26, v25, 30
	v_xor_b32_e32 v14, v14, v34
	v_sub_u32_e32 v28, 32, v27
	v_xor_b32_e32 v25, v25, v34
	v_alignbit_b32 v29, v35, v14, v28
	v_alignbit_b32 v14, v14, v25, v28
	;; [unrolled: 1-line block ×3, first 2 shown]
	v_ffbh_u32_e32 v26, v25
	v_min_u32_e32 v26, 32, v26
	v_lshrrev_b32_e32 v32, 29, v9
	v_sub_u32_e32 v28, 31, v26
	v_alignbit_b32 v14, v25, v14, v28
	v_lshlrev_b32_e32 v25, 31, v32
	v_or_b32_e32 v28, 0x33800000, v25
	v_add_lshl_u32 v26, v26, v27, 23
	v_lshrrev_b32_e32 v14, 9, v14
	v_sub_u32_e32 v26, v28, v26
	v_or_b32_e32 v14, v26, v14
	v_alignbit_b32 v26, v27, v29, 9
	v_or_b32_e32 v25, v26, v25
	v_xor_b32_e32 v25, 1.0, v25
	v_mul_f32_e32 v26, 0x3fc90fda, v25
	v_fma_f32 v27, v25, s52, -v26
	v_fmac_f32_e32 v27, 0x33a22168, v25
	v_fmac_f32_e32 v27, 0x3fc90fda, v14
	v_lshrrev_b32_e32 v9, 30, v9
	v_add_f32_e32 v26, v26, v27
	v_add_u32_e32 v14, v33, v9
                                        ; implicit-def: $vgpr27
	s_andn2_saveexec_b64 s[0:1], s[28:29]
	s_cbranch_execnz .LBB133_41
	s_branch .LBB133_42
.LBB133_40:                             ;   in Loop: Header=BB133_4 Depth=1
	s_andn2_saveexec_b64 s[0:1], s[28:29]
.LBB133_41:                             ;   in Loop: Header=BB133_4 Depth=1
	v_cvt_i32_f32_e32 v14, v27
	v_fma_f32 v26, v27, s54, |v11|
	v_fmac_f32_e32 v26, 0xb3a22168, v27
	v_fmac_f32_e32 v26, 0xa7c234c4, v27
.LBB133_42:                             ;   in Loop: Header=BB133_4 Depth=1
	s_or_b64 exec, exec, s[0:1]
	v_mul_f32_e32 v9, v7, v7
	v_mov_b32_e32 v25, 0x3c0881c4
	v_fmac_f32_e32 v25, 0xb94c1982, v9
	v_fma_f32 v25, v9, v25, v1
	v_mul_f32_e32 v25, v9, v25
	v_fmac_f32_e32 v7, v7, v25
	v_mov_b32_e32 v25, 0xbab64f3b
	v_fmac_f32_e32 v25, 0x37d75334, v9
	v_fma_f32 v25, v9, v25, v17
	v_fma_f32 v25, v9, v25, v20
	v_fma_f32 v9, v9, v25, 1.0
	v_and_b32_e32 v25, 1, v6
	v_cmp_eq_u32_e32 vcc, 0, v25
	v_lshlrev_b32_e32 v6, 30, v6
	v_cndmask_b32_e64 v7, -v7, v9, vcc
	v_and_b32_e32 v6, 0x80000000, v6
	v_xor_b32_e32 v6, v6, v7
	v_mul_f32_e32 v7, v26, v26
	v_mov_b32_e32 v9, 0x3c0881c4
	v_fmac_f32_e32 v9, 0xb94c1982, v7
	v_fma_f32 v9, v7, v9, v1
	v_mul_f32_e32 v9, v7, v9
	v_fmac_f32_e32 v26, v26, v9
	v_mov_b32_e32 v9, 0xbab64f3b
	v_fmac_f32_e32 v9, 0x37d75334, v7
	v_fma_f32 v9, v7, v9, v17
	v_fma_f32 v9, v7, v9, v20
	v_fma_f32 v7, v7, v9, 1.0
	v_and_b32_e32 v9, 1, v14
	v_cmp_eq_u32_e64 s[0:1], 0, v9
	v_lshlrev_b32_e32 v9, 30, v14
	v_cndmask_b32_e64 v7, v7, v26, s[0:1]
	v_and_or_b32 v8, v9, s58, v8
	v_xor_b32_e32 v7, v8, v7
	v_cmp_class_f32_e64 vcc, v11, s59
	v_xor_b32_e32 v7, v7, v11
	v_cndmask_b32_e32 v6, v24, v6, vcc
	v_cndmask_b32_e32 v7, v24, v7, vcc
.LBB133_43:                             ;   in Loop: Header=BB133_4 Depth=1
	s_or_b64 exec, exec, s[26:27]
.LBB133_44:                             ;   in Loop: Header=BB133_4 Depth=1
	s_andn2_saveexec_b64 s[0:1], s[24:25]
	s_cbranch_execz .LBB133_46
; %bb.45:                               ;   in Loop: Header=BB133_4 Depth=1
	v_mul_f32_e32 v6, 0x3fb8aa3b, v10
	v_rndne_f32_e32 v7, v6
	v_sub_f32_e32 v8, v6, v7
	v_fma_f32 v6, v10, s55, -v6
	v_fmac_f32_e32 v6, 0x32a5705f, v10
	v_add_f32_e32 v6, v8, v6
	v_cvt_i32_f32_e32 v7, v7
	v_exp_f32_e32 v6, v6
	v_cmp_ngt_f32_e32 vcc, s56, v10
	v_ldexp_f32 v6, v6, v7
	v_cndmask_b32_e32 v6, 0, v6, vcc
	v_cmp_nlt_f32_e32 vcc, s57, v10
	v_cndmask_b32_e32 v6, v23, v6, vcc
	v_mov_b32_e32 v7, v11
.LBB133_46:                             ;   in Loop: Header=BB133_4 Depth=1
	s_or_b64 exec, exec, s[0:1]
	v_and_b32_e32 v10, 0x7fffffff, v13
	v_cmp_ne_u32_e32 vcc, 0, v10
	s_and_saveexec_b64 s[0:1], vcc
	s_xor_b64 s[24:25], exec, s[0:1]
	s_cbranch_execz .LBB133_88
; %bb.47:                               ;   in Loop: Header=BB133_4 Depth=1
	v_and_b32_e32 v11, 0x7fffffff, v12
	v_cmp_ne_u32_e32 vcc, 0, v11
	s_and_saveexec_b64 s[0:1], vcc
	s_xor_b64 s[26:27], exec, s[0:1]
	s_cbranch_execz .LBB133_77
; %bb.48:                               ;   in Loop: Header=BB133_4 Depth=1
	v_cmp_gt_u32_e32 vcc, s42, v10
	s_and_saveexec_b64 s[0:1], vcc
	s_xor_b64 s[28:29], exec, s[0:1]
	s_cbranch_execz .LBB133_70
; %bb.49:                               ;   in Loop: Header=BB133_4 Depth=1
	v_add_u32_e32 v8, 0xbd4e8de8, v12
	v_cmp_lt_u32_e32 vcc, s43, v8
	s_and_saveexec_b64 s[0:1], vcc
	s_xor_b64 s[30:31], exec, s[0:1]
	s_cbranch_execz .LBB133_59
; %bb.50:                               ;   in Loop: Header=BB133_4 Depth=1
	v_cmp_nlt_f32_e64 s[34:35], |v13|, s44
                                        ; implicit-def: $vgpr8
                                        ; implicit-def: $vgpr9
	s_and_saveexec_b64 s[0:1], s[34:35]
	s_xor_b64 s[36:37], exec, s[0:1]
	s_cbranch_execz .LBB133_52
; %bb.51:                               ;   in Loop: Header=BB133_4 Depth=1
	v_lshrrev_b32_e32 v8, 23, v10
	v_add_u32_e32 v8, 0xffffff88, v8
	v_cmp_lt_u32_e32 vcc, 63, v8
	v_cndmask_b32_e32 v9, 0, v21, vcc
	v_add_u32_e32 v8, v9, v8
	v_cmp_lt_u32_e64 s[0:1], 31, v8
	v_cndmask_b32_e64 v9, 0, v22, s[0:1]
	v_add_u32_e32 v8, v9, v8
	v_cmp_lt_u32_e64 s[2:3], 31, v8
	v_cndmask_b32_e64 v9, 0, v22, s[2:3]
	v_add_u32_e32 v11, v9, v8
	v_and_b32_e32 v8, 0x7fffff, v10
	v_or_b32_e32 v25, 0x800000, v8
	v_mad_u64_u32 v[8:9], s[6:7], v25, s45, 0
	v_mov_b32_e32 v14, v9
	v_mad_u64_u32 v[26:27], s[6:7], v25, s46, v[14:15]
	v_mov_b32_e32 v14, v27
	;; [unrolled: 2-line block ×6, first 2 shown]
	v_mad_u64_u32 v[36:37], s[6:7], v25, s51, v[14:15]
	v_cndmask_b32_e32 v9, v34, v30, vcc
	v_cndmask_b32_e32 v14, v36, v32, vcc
	;; [unrolled: 1-line block ×3, first 2 shown]
	v_cndmask_b32_e64 v25, v14, v9, s[0:1]
	v_cndmask_b32_e64 v14, v27, v14, s[0:1]
	v_cndmask_b32_e32 v27, v32, v28, vcc
	v_cndmask_b32_e64 v9, v9, v27, s[0:1]
	v_cndmask_b32_e64 v14, v14, v25, s[2:3]
	;; [unrolled: 1-line block ×3, first 2 shown]
	v_sub_u32_e32 v29, 32, v11
	v_alignbit_b32 v31, v14, v25, v29
	v_cmp_eq_u32_e64 s[6:7], 0, v11
	v_cndmask_b32_e64 v11, v31, v14, s[6:7]
	v_cndmask_b32_e32 v14, v30, v26, vcc
	v_cndmask_b32_e64 v26, v27, v14, s[0:1]
	v_cndmask_b32_e64 v9, v9, v26, s[2:3]
	v_cndmask_b32_e32 v8, v28, v8, vcc
	v_alignbit_b32 v27, v25, v9, v29
	v_cndmask_b32_e64 v8, v14, v8, s[0:1]
	v_cndmask_b32_e64 v25, v27, v25, s[6:7]
	v_bfe_u32 v31, v11, 29, 1
	v_cndmask_b32_e64 v8, v26, v8, s[2:3]
	v_alignbit_b32 v27, v11, v25, 30
	v_sub_u32_e32 v32, 0, v31
	v_alignbit_b32 v14, v9, v8, v29
	v_xor_b32_e32 v33, v27, v32
	v_cndmask_b32_e64 v9, v14, v9, s[6:7]
	v_alignbit_b32 v14, v25, v9, 30
	v_ffbh_u32_e32 v25, v33
	v_add_u32_e32 v25, 1, v25
	v_cmp_ne_u32_e32 vcc, v27, v32
	v_cndmask_b32_e32 v25, 33, v25, vcc
	v_alignbit_b32 v8, v9, v8, 30
	v_xor_b32_e32 v14, v14, v32
	v_sub_u32_e32 v26, 32, v25
	v_xor_b32_e32 v8, v8, v32
	v_alignbit_b32 v27, v33, v14, v26
	v_alignbit_b32 v8, v14, v8, v26
	;; [unrolled: 1-line block ×3, first 2 shown]
	v_ffbh_u32_e32 v14, v9
	v_min_u32_e32 v14, 32, v14
	v_lshrrev_b32_e32 v30, 29, v11
	v_sub_u32_e32 v26, 31, v14
	v_alignbit_b32 v8, v9, v8, v26
	v_lshlrev_b32_e32 v9, 31, v30
	v_or_b32_e32 v26, 0x33800000, v9
	v_add_lshl_u32 v14, v14, v25, 23
	v_lshrrev_b32_e32 v8, 9, v8
	v_sub_u32_e32 v14, v26, v14
	v_or_b32_e32 v8, v14, v8
	v_alignbit_b32 v14, v25, v27, 9
	v_or_b32_e32 v9, v14, v9
	v_xor_b32_e32 v9, 1.0, v9
	v_mul_f32_e32 v14, 0x3fc90fda, v9
	v_fma_f32 v25, v9, s52, -v14
	v_fmac_f32_e32 v25, 0x33a22168, v9
	v_fmac_f32_e32 v25, 0x3fc90fda, v8
	v_lshrrev_b32_e32 v8, 30, v11
	v_add_f32_e32 v9, v14, v25
	v_add_u32_e32 v8, v31, v8
	s_andn2_saveexec_b64 s[0:1], s[36:37]
	s_branch .LBB133_53
.LBB133_52:                             ;   in Loop: Header=BB133_4 Depth=1
	s_andn2_saveexec_b64 s[0:1], s[36:37]
.LBB133_53:                             ;   in Loop: Header=BB133_4 Depth=1
	v_mul_f32_e64 v8, |v13|, s53
	v_rndne_f32_e32 v11, v8
	v_cvt_i32_f32_e32 v8, v11
	v_fma_f32 v9, v11, s54, |v13|
	v_fmac_f32_e32 v9, 0xb3a22168, v11
	v_fmac_f32_e32 v9, 0xa7c234c4, v11
; %bb.54:                               ;   in Loop: Header=BB133_4 Depth=1
	s_or_b64 exec, exec, s[0:1]
                                        ; implicit-def: $vgpr11
                                        ; implicit-def: $vgpr14
	s_and_saveexec_b64 s[0:1], s[34:35]
	s_xor_b64 s[34:35], exec, s[0:1]
	s_cbranch_execz .LBB133_56
; %bb.55:                               ;   in Loop: Header=BB133_4 Depth=1
	v_lshrrev_b32_e32 v11, 23, v10
	v_add_u32_e32 v11, 0xffffff88, v11
	v_cmp_lt_u32_e32 vcc, 63, v11
	v_cndmask_b32_e32 v14, 0, v21, vcc
	v_add_u32_e32 v11, v14, v11
	v_cmp_lt_u32_e64 s[0:1], 31, v11
	v_cndmask_b32_e64 v14, 0, v22, s[0:1]
	v_add_u32_e32 v11, v14, v11
	v_cmp_lt_u32_e64 s[2:3], 31, v11
	v_cndmask_b32_e64 v14, 0, v22, s[2:3]
	v_add_u32_e32 v11, v14, v11
	v_and_b32_e32 v14, 0x7fffff, v10
	v_or_b32_e32 v25, 0x800000, v14
	v_mad_u64_u32 v[26:27], s[6:7], v25, s45, 0
	v_mov_b32_e32 v14, v27
	v_mad_u64_u32 v[28:29], s[6:7], v25, s46, v[14:15]
	v_mov_b32_e32 v14, v29
	v_mad_u64_u32 v[30:31], s[6:7], v25, s47, v[14:15]
	v_mov_b32_e32 v14, v31
	v_mad_u64_u32 v[32:33], s[6:7], v25, s48, v[14:15]
	v_mov_b32_e32 v14, v33
	v_mad_u64_u32 v[34:35], s[6:7], v25, s49, v[14:15]
	v_mov_b32_e32 v14, v35
	v_mad_u64_u32 v[36:37], s[6:7], v25, s50, v[14:15]
	v_mov_b32_e32 v14, v37
	v_mad_u64_u32 v[38:39], s[6:7], v25, s51, v[14:15]
	v_cndmask_b32_e32 v27, v36, v32, vcc
	v_cndmask_b32_e32 v14, v38, v34, vcc
	;; [unrolled: 1-line block ×3, first 2 shown]
	v_cndmask_b32_e64 v25, v14, v27, s[0:1]
	v_cndmask_b32_e64 v14, v29, v14, s[0:1]
	v_cndmask_b32_e32 v29, v34, v30, vcc
	v_cndmask_b32_e64 v27, v27, v29, s[0:1]
	v_cndmask_b32_e64 v14, v14, v25, s[2:3]
	;; [unrolled: 1-line block ×3, first 2 shown]
	v_sub_u32_e32 v31, 32, v11
	v_alignbit_b32 v33, v14, v25, v31
	v_cmp_eq_u32_e64 s[6:7], 0, v11
	v_cndmask_b32_e64 v11, v33, v14, s[6:7]
	v_cndmask_b32_e32 v14, v32, v28, vcc
	v_cndmask_b32_e64 v28, v29, v14, s[0:1]
	v_cndmask_b32_e64 v27, v27, v28, s[2:3]
	v_alignbit_b32 v29, v25, v27, v31
	v_cndmask_b32_e32 v26, v30, v26, vcc
	v_cndmask_b32_e64 v25, v29, v25, s[6:7]
	v_bfe_u32 v33, v11, 29, 1
	v_cndmask_b32_e64 v14, v14, v26, s[0:1]
	v_alignbit_b32 v29, v11, v25, 30
	v_sub_u32_e32 v34, 0, v33
	v_cndmask_b32_e64 v14, v28, v14, s[2:3]
	v_xor_b32_e32 v35, v29, v34
	v_alignbit_b32 v26, v27, v14, v31
	v_cndmask_b32_e64 v26, v26, v27, s[6:7]
	v_ffbh_u32_e32 v27, v35
	v_add_u32_e32 v27, 1, v27
	v_cmp_ne_u32_e32 vcc, v29, v34
	v_alignbit_b32 v25, v25, v26, 30
	v_cndmask_b32_e32 v27, 33, v27, vcc
	v_alignbit_b32 v14, v26, v14, 30
	v_xor_b32_e32 v25, v25, v34
	v_sub_u32_e32 v28, 32, v27
	v_xor_b32_e32 v14, v14, v34
	v_alignbit_b32 v29, v35, v25, v28
	v_alignbit_b32 v14, v25, v14, v28
	;; [unrolled: 1-line block ×3, first 2 shown]
	v_ffbh_u32_e32 v26, v25
	v_min_u32_e32 v26, 32, v26
	v_lshrrev_b32_e32 v32, 29, v11
	v_sub_u32_e32 v28, 31, v26
	v_alignbit_b32 v14, v25, v14, v28
	v_lshlrev_b32_e32 v25, 31, v32
	v_or_b32_e32 v28, 0x33800000, v25
	v_add_lshl_u32 v26, v26, v27, 23
	v_lshrrev_b32_e32 v14, 9, v14
	v_sub_u32_e32 v26, v28, v26
	v_or_b32_e32 v14, v26, v14
	v_alignbit_b32 v26, v27, v29, 9
	v_or_b32_e32 v25, v26, v25
	v_xor_b32_e32 v25, 1.0, v25
	v_mul_f32_e32 v26, 0x3fc90fda, v25
	v_fma_f32 v27, v25, s52, -v26
	v_fmac_f32_e32 v27, 0x33a22168, v25
	v_fmac_f32_e32 v27, 0x3fc90fda, v14
	v_lshrrev_b32_e32 v11, 30, v11
	v_add_f32_e32 v14, v26, v27
	v_add_u32_e32 v11, v33, v11
	s_andn2_saveexec_b64 s[0:1], s[34:35]
	s_cbranch_execnz .LBB133_57
	s_branch .LBB133_58
.LBB133_56:                             ;   in Loop: Header=BB133_4 Depth=1
	s_andn2_saveexec_b64 s[0:1], s[34:35]
.LBB133_57:                             ;   in Loop: Header=BB133_4 Depth=1
	v_mul_f32_e64 v11, |v13|, s53
	v_rndne_f32_e32 v25, v11
	v_cvt_i32_f32_e32 v11, v25
	v_fma_f32 v14, v25, s54, |v13|
	v_fmac_f32_e32 v14, 0xb3a22168, v25
	v_fmac_f32_e32 v14, 0xa7c234c4, v25
.LBB133_58:                             ;   in Loop: Header=BB133_4 Depth=1
	s_or_b64 exec, exec, s[0:1]
	v_mul_f32_e32 v25, 0x3fb8aa3b, v12
	v_rndne_f32_e32 v26, v25
	v_sub_f32_e32 v27, v25, v26
	v_fma_f32 v25, v12, s55, -v25
	v_fmac_f32_e32 v25, 0x32a5705f, v12
	v_add_f32_e32 v25, v27, v25
	v_cvt_i32_f32_e32 v26, v26
	v_exp_f32_e32 v25, v25
	v_cmp_ngt_f32_e32 vcc, s56, v12
	v_ldexp_f32 v25, v25, v26
	v_cndmask_b32_e32 v25, 0, v25, vcc
	v_cmp_nlt_f32_e32 vcc, s57, v12
	v_cndmask_b32_e32 v12, v23, v25, vcc
	v_mul_f32_e32 v25, v9, v9
	v_mov_b32_e32 v26, 0x3c0881c4
	v_fmac_f32_e32 v26, 0xb94c1982, v25
	v_fma_f32 v26, v25, v26, v1
	v_mul_f32_e32 v26, v25, v26
	v_fmac_f32_e32 v9, v9, v26
	v_mov_b32_e32 v26, 0xbab64f3b
	v_fmac_f32_e32 v26, 0x37d75334, v25
	v_fma_f32 v26, v25, v26, v17
	v_fma_f32 v26, v25, v26, v20
	v_fma_f32 v25, v25, v26, 1.0
	v_and_b32_e32 v26, 1, v8
	v_cmp_eq_u32_e32 vcc, 0, v26
	v_lshlrev_b32_e32 v8, 30, v8
	v_cndmask_b32_e64 v9, -v9, v25, vcc
	v_and_b32_e32 v8, 0x80000000, v8
	v_xor_b32_e32 v8, v8, v9
	v_mul_f32_e32 v9, v14, v14
	v_mov_b32_e32 v25, 0x3c0881c4
	v_fmac_f32_e32 v25, 0xb94c1982, v9
	v_fma_f32 v25, v9, v25, v1
	v_mul_f32_e32 v25, v9, v25
	v_fmac_f32_e32 v14, v14, v25
	v_mov_b32_e32 v25, 0xbab64f3b
	v_fmac_f32_e32 v25, 0x37d75334, v9
	v_fma_f32 v25, v9, v25, v17
	v_fma_f32 v25, v9, v25, v20
	v_fma_f32 v9, v9, v25, 1.0
	v_and_b32_e32 v25, 1, v11
	v_cmp_eq_u32_e64 s[0:1], 0, v25
	v_lshlrev_b32_e32 v11, 30, v11
	v_cndmask_b32_e64 v9, v9, v14, s[0:1]
	v_and_or_b32 v10, v11, s58, v10
	v_xor_b32_e32 v9, v10, v9
	v_cmp_class_f32_e64 vcc, v13, s59
	v_xor_b32_e32 v9, v9, v13
	v_cndmask_b32_e32 v8, v24, v8, vcc
	v_cndmask_b32_e32 v9, v24, v9, vcc
	v_mul_f32_e32 v8, v12, v8
	v_mul_f32_e32 v9, v12, v9
                                        ; implicit-def: $vgpr10_vgpr11_vgpr12_vgpr13
                                        ; implicit-def: $vgpr10
.LBB133_59:                             ;   in Loop: Header=BB133_4 Depth=1
	s_andn2_saveexec_b64 s[30:31], s[30:31]
	s_cbranch_execz .LBB133_69
; %bb.60:                               ;   in Loop: Header=BB133_4 Depth=1
	v_cmp_nlt_f32_e64 s[34:35], |v13|, s44
                                        ; implicit-def: $vgpr9
                                        ; implicit-def: $vgpr8
	s_and_saveexec_b64 s[0:1], s[34:35]
	s_xor_b64 s[36:37], exec, s[0:1]
	s_cbranch_execz .LBB133_62
; %bb.61:                               ;   in Loop: Header=BB133_4 Depth=1
	v_lshrrev_b32_e32 v8, 23, v10
	v_add_u32_e32 v8, 0xffffff88, v8
	v_cmp_lt_u32_e32 vcc, 63, v8
	v_cndmask_b32_e32 v9, 0, v21, vcc
	v_add_u32_e32 v8, v9, v8
	v_cmp_lt_u32_e64 s[0:1], 31, v8
	v_cndmask_b32_e64 v9, 0, v22, s[0:1]
	v_add_u32_e32 v8, v9, v8
	v_cmp_lt_u32_e64 s[2:3], 31, v8
	v_cndmask_b32_e64 v9, 0, v22, s[2:3]
	v_add_u32_e32 v11, v9, v8
	v_and_b32_e32 v8, 0x7fffff, v10
	v_or_b32_e32 v25, 0x800000, v8
	v_mad_u64_u32 v[8:9], s[6:7], v25, s45, 0
	v_mov_b32_e32 v14, v9
	v_mad_u64_u32 v[26:27], s[6:7], v25, s46, v[14:15]
	v_mov_b32_e32 v14, v27
	;; [unrolled: 2-line block ×6, first 2 shown]
	v_mad_u64_u32 v[36:37], s[6:7], v25, s51, v[14:15]
	v_cndmask_b32_e32 v9, v34, v30, vcc
	v_cndmask_b32_e32 v14, v36, v32, vcc
	;; [unrolled: 1-line block ×3, first 2 shown]
	v_cndmask_b32_e64 v25, v14, v9, s[0:1]
	v_cndmask_b32_e64 v14, v27, v14, s[0:1]
	v_cndmask_b32_e32 v27, v32, v28, vcc
	v_cndmask_b32_e64 v9, v9, v27, s[0:1]
	v_cndmask_b32_e64 v14, v14, v25, s[2:3]
	v_cndmask_b32_e64 v25, v25, v9, s[2:3]
	v_sub_u32_e32 v29, 32, v11
	v_alignbit_b32 v31, v14, v25, v29
	v_cmp_eq_u32_e64 s[6:7], 0, v11
	v_cndmask_b32_e64 v11, v31, v14, s[6:7]
	v_cndmask_b32_e32 v14, v30, v26, vcc
	v_cndmask_b32_e64 v26, v27, v14, s[0:1]
	v_cndmask_b32_e64 v9, v9, v26, s[2:3]
	v_cndmask_b32_e32 v8, v28, v8, vcc
	v_alignbit_b32 v27, v25, v9, v29
	v_cndmask_b32_e64 v8, v14, v8, s[0:1]
	v_cndmask_b32_e64 v25, v27, v25, s[6:7]
	v_bfe_u32 v31, v11, 29, 1
	v_cndmask_b32_e64 v8, v26, v8, s[2:3]
	v_alignbit_b32 v27, v11, v25, 30
	v_sub_u32_e32 v32, 0, v31
	v_alignbit_b32 v14, v9, v8, v29
	v_xor_b32_e32 v33, v27, v32
	v_cndmask_b32_e64 v9, v14, v9, s[6:7]
	v_alignbit_b32 v14, v25, v9, 30
	v_ffbh_u32_e32 v25, v33
	v_add_u32_e32 v25, 1, v25
	v_cmp_ne_u32_e32 vcc, v27, v32
	v_cndmask_b32_e32 v25, 33, v25, vcc
	v_alignbit_b32 v8, v9, v8, 30
	v_xor_b32_e32 v14, v14, v32
	v_sub_u32_e32 v26, 32, v25
	v_xor_b32_e32 v8, v8, v32
	v_alignbit_b32 v27, v33, v14, v26
	v_alignbit_b32 v8, v14, v8, v26
	;; [unrolled: 1-line block ×3, first 2 shown]
	v_ffbh_u32_e32 v14, v9
	v_min_u32_e32 v14, 32, v14
	v_lshrrev_b32_e32 v30, 29, v11
	v_sub_u32_e32 v26, 31, v14
	v_alignbit_b32 v8, v9, v8, v26
	v_lshlrev_b32_e32 v9, 31, v30
	v_or_b32_e32 v26, 0x33800000, v9
	v_add_lshl_u32 v14, v14, v25, 23
	v_lshrrev_b32_e32 v8, 9, v8
	v_sub_u32_e32 v14, v26, v14
	v_or_b32_e32 v8, v14, v8
	v_alignbit_b32 v14, v25, v27, 9
	v_or_b32_e32 v9, v14, v9
	v_xor_b32_e32 v9, 1.0, v9
	v_mul_f32_e32 v14, 0x3fc90fda, v9
	v_fma_f32 v25, v9, s52, -v14
	v_fmac_f32_e32 v25, 0x33a22168, v9
	v_fmac_f32_e32 v25, 0x3fc90fda, v8
	v_lshrrev_b32_e32 v9, 30, v11
	v_add_f32_e32 v8, v14, v25
	v_add_u32_e32 v9, v31, v9
	s_andn2_saveexec_b64 s[0:1], s[36:37]
	s_branch .LBB133_63
.LBB133_62:                             ;   in Loop: Header=BB133_4 Depth=1
	s_andn2_saveexec_b64 s[0:1], s[36:37]
.LBB133_63:                             ;   in Loop: Header=BB133_4 Depth=1
	v_mul_f32_e64 v8, |v13|, s53
	v_rndne_f32_e32 v11, v8
	v_cvt_i32_f32_e32 v9, v11
	v_fma_f32 v8, v11, s54, |v13|
	v_fmac_f32_e32 v8, 0xb3a22168, v11
	v_fmac_f32_e32 v8, 0xa7c234c4, v11
; %bb.64:                               ;   in Loop: Header=BB133_4 Depth=1
	s_or_b64 exec, exec, s[0:1]
                                        ; implicit-def: $vgpr11
                                        ; implicit-def: $vgpr14
	s_and_saveexec_b64 s[0:1], s[34:35]
	s_xor_b64 s[34:35], exec, s[0:1]
	s_cbranch_execz .LBB133_66
; %bb.65:                               ;   in Loop: Header=BB133_4 Depth=1
	v_lshrrev_b32_e32 v11, 23, v10
	v_add_u32_e32 v11, 0xffffff88, v11
	v_cmp_lt_u32_e32 vcc, 63, v11
	v_cndmask_b32_e32 v14, 0, v21, vcc
	v_add_u32_e32 v11, v14, v11
	v_cmp_lt_u32_e64 s[0:1], 31, v11
	v_cndmask_b32_e64 v14, 0, v22, s[0:1]
	v_add_u32_e32 v11, v14, v11
	v_cmp_lt_u32_e64 s[2:3], 31, v11
	v_cndmask_b32_e64 v14, 0, v22, s[2:3]
	v_add_u32_e32 v11, v14, v11
	v_and_b32_e32 v14, 0x7fffff, v10
	v_or_b32_e32 v25, 0x800000, v14
	v_mad_u64_u32 v[26:27], s[6:7], v25, s45, 0
	v_mov_b32_e32 v14, v27
	v_mad_u64_u32 v[28:29], s[6:7], v25, s46, v[14:15]
	v_mov_b32_e32 v14, v29
	;; [unrolled: 2-line block ×6, first 2 shown]
	v_mad_u64_u32 v[38:39], s[6:7], v25, s51, v[14:15]
	v_cndmask_b32_e32 v27, v36, v32, vcc
	v_cndmask_b32_e32 v14, v38, v34, vcc
	v_cndmask_b32_e32 v29, v39, v36, vcc
	v_cndmask_b32_e64 v25, v14, v27, s[0:1]
	v_cndmask_b32_e64 v14, v29, v14, s[0:1]
	v_cndmask_b32_e32 v29, v34, v30, vcc
	v_cndmask_b32_e64 v27, v27, v29, s[0:1]
	v_cndmask_b32_e64 v14, v14, v25, s[2:3]
	;; [unrolled: 1-line block ×3, first 2 shown]
	v_sub_u32_e32 v31, 32, v11
	v_alignbit_b32 v33, v14, v25, v31
	v_cmp_eq_u32_e64 s[6:7], 0, v11
	v_cndmask_b32_e64 v11, v33, v14, s[6:7]
	v_cndmask_b32_e32 v14, v32, v28, vcc
	v_cndmask_b32_e64 v28, v29, v14, s[0:1]
	v_cndmask_b32_e64 v27, v27, v28, s[2:3]
	v_alignbit_b32 v29, v25, v27, v31
	v_cndmask_b32_e32 v26, v30, v26, vcc
	v_cndmask_b32_e64 v25, v29, v25, s[6:7]
	v_bfe_u32 v33, v11, 29, 1
	v_cndmask_b32_e64 v14, v14, v26, s[0:1]
	v_alignbit_b32 v29, v11, v25, 30
	v_sub_u32_e32 v34, 0, v33
	v_cndmask_b32_e64 v14, v28, v14, s[2:3]
	v_xor_b32_e32 v35, v29, v34
	v_alignbit_b32 v26, v27, v14, v31
	v_cndmask_b32_e64 v26, v26, v27, s[6:7]
	v_ffbh_u32_e32 v27, v35
	v_add_u32_e32 v27, 1, v27
	v_cmp_ne_u32_e32 vcc, v29, v34
	v_alignbit_b32 v25, v25, v26, 30
	v_cndmask_b32_e32 v27, 33, v27, vcc
	v_alignbit_b32 v14, v26, v14, 30
	v_xor_b32_e32 v25, v25, v34
	v_sub_u32_e32 v28, 32, v27
	v_xor_b32_e32 v14, v14, v34
	v_alignbit_b32 v29, v35, v25, v28
	v_alignbit_b32 v14, v25, v14, v28
	;; [unrolled: 1-line block ×3, first 2 shown]
	v_ffbh_u32_e32 v26, v25
	v_min_u32_e32 v26, 32, v26
	v_lshrrev_b32_e32 v32, 29, v11
	v_sub_u32_e32 v28, 31, v26
	v_alignbit_b32 v14, v25, v14, v28
	v_lshlrev_b32_e32 v25, 31, v32
	v_or_b32_e32 v28, 0x33800000, v25
	v_add_lshl_u32 v26, v26, v27, 23
	v_lshrrev_b32_e32 v14, 9, v14
	v_sub_u32_e32 v26, v28, v26
	v_or_b32_e32 v14, v26, v14
	v_alignbit_b32 v26, v27, v29, 9
	v_or_b32_e32 v25, v26, v25
	v_xor_b32_e32 v25, 1.0, v25
	v_mul_f32_e32 v26, 0x3fc90fda, v25
	v_fma_f32 v27, v25, s52, -v26
	v_fmac_f32_e32 v27, 0x33a22168, v25
	v_fmac_f32_e32 v27, 0x3fc90fda, v14
	v_lshrrev_b32_e32 v11, 30, v11
	v_add_f32_e32 v14, v26, v27
	v_add_u32_e32 v11, v33, v11
	s_andn2_saveexec_b64 s[0:1], s[34:35]
	s_cbranch_execnz .LBB133_67
	s_branch .LBB133_68
.LBB133_66:                             ;   in Loop: Header=BB133_4 Depth=1
	s_andn2_saveexec_b64 s[0:1], s[34:35]
.LBB133_67:                             ;   in Loop: Header=BB133_4 Depth=1
	v_mul_f32_e64 v11, |v13|, s53
	v_rndne_f32_e32 v25, v11
	v_cvt_i32_f32_e32 v11, v25
	v_fma_f32 v14, v25, s54, |v13|
	v_fmac_f32_e32 v14, 0xb3a22168, v25
	v_fmac_f32_e32 v14, 0xa7c234c4, v25
.LBB133_68:                             ;   in Loop: Header=BB133_4 Depth=1
	s_or_b64 exec, exec, s[0:1]
	v_mul_f32_e32 v26, v8, v8
	v_mov_b32_e32 v27, 0xbab64f3b
	v_fmac_f32_e32 v27, 0x37d75334, v26
	v_mov_b32_e32 v28, 0x3c0881c4
	v_fma_f32 v27, v26, v27, v17
	v_fmac_f32_e32 v28, 0xb94c1982, v26
	v_lshlrev_b32_e32 v25, 30, v9
	v_and_b32_e32 v9, 1, v9
	v_fma_f32 v27, v26, v27, v20
	v_fma_f32 v28, v26, v28, v1
	v_fma_f32 v27, v26, v27, 1.0
	v_mul_f32_e32 v26, v26, v28
	v_cmp_eq_u32_e32 vcc, 0, v9
	v_add_f32_e32 v9, 0xc322e3bc, v12
	v_fmac_f32_e32 v8, v8, v26
	v_mul_f32_e32 v12, 0x3fb8aa3b, v9
	v_cndmask_b32_e64 v8, -v8, v27, vcc
	v_fma_f32 v26, v9, s55, -v12
	v_rndne_f32_e32 v27, v12
	v_fmac_f32_e32 v26, 0x32a5705f, v9
	v_sub_f32_e32 v12, v12, v27
	v_add_f32_e32 v12, v12, v26
	v_exp_f32_e32 v12, v12
	v_cvt_i32_f32_e32 v26, v27
	v_cmp_ngt_f32_e64 s[0:1], s56, v9
	v_and_b32_e32 v25, 0x80000000, v25
	v_xor_b32_e32 v8, v25, v8
	v_ldexp_f32 v12, v12, v26
	v_cndmask_b32_e64 v12, 0, v12, s[0:1]
	v_cmp_nlt_f32_e64 s[0:1], s57, v9
	v_cndmask_b32_e64 v9, v23, v12, s[0:1]
	v_and_b32_e32 v12, 0x7fffff, v9
	v_lshrrev_b32_e32 v9, 23, v9
	v_subrev_u32_e32 v9, 19, v9
	v_lshrrev_b16_e32 v25, 15, v9
	v_add_u16_e32 v25, v9, v25
	v_ashrrev_i16_e32 v25, 1, v25
	v_bfe_i32 v25, v25, 0, 16
	v_lshl_add_u32 v26, v25, 23, 1.0
	v_sub_u32_e32 v9, v9, v25
	v_mul_f32_e32 v25, v14, v14
	v_mov_b32_e32 v27, 0x3c0881c4
	v_fmac_f32_e32 v27, 0xb94c1982, v25
	v_fma_f32 v27, v25, v27, v1
	v_mul_f32_e32 v27, v25, v27
	v_fmac_f32_e32 v14, v14, v27
	v_mov_b32_e32 v27, 0xbab64f3b
	v_fmac_f32_e32 v27, 0x37d75334, v25
	v_fma_f32 v27, v25, v27, v17
	v_fma_f32 v27, v25, v27, v20
	v_fma_f32 v25, v25, v27, 1.0
	v_and_b32_e32 v27, 1, v11
	v_cmp_eq_u32_e64 s[0:1], 0, v27
	v_lshlrev_b32_e32 v11, 30, v11
	v_cndmask_b32_e64 v14, v25, v14, s[0:1]
	v_and_or_b32 v10, v11, s58, v10
	v_xor_b32_e32 v10, v10, v14
	v_cmp_class_f32_e64 vcc, v13, s59
	v_xor_b32_e32 v10, v10, v13
	v_cndmask_b32_e32 v8, v24, v8, vcc
	v_or_b32_e32 v12, 0x7f000000, v12
	v_cndmask_b32_e32 v10, v24, v10, vcc
	v_mul_f32_e32 v8, v8, v12
	v_mul_f32_e32 v10, v10, v12
	;; [unrolled: 1-line block ×3, first 2 shown]
	v_lshl_add_u32 v9, v9, 23, 1.0
	v_mul_f32_e32 v10, v10, v26
	v_mul_f32_e32 v8, v8, v9
	;; [unrolled: 1-line block ×3, first 2 shown]
.LBB133_69:                             ;   in Loop: Header=BB133_4 Depth=1
	s_or_b64 exec, exec, s[30:31]
                                        ; implicit-def: $vgpr10_vgpr11_vgpr12_vgpr13
                                        ; implicit-def: $vgpr11
.LBB133_70:                             ;   in Loop: Header=BB133_4 Depth=1
	s_andn2_saveexec_b64 s[0:1], s[28:29]
	s_cbranch_execz .LBB133_76
; %bb.71:                               ;   in Loop: Header=BB133_4 Depth=1
	v_cmp_ne_u32_e32 vcc, s42, v11
	v_sub_f32_e32 v9, v13, v13
	s_and_saveexec_b64 s[2:3], vcc
	s_xor_b64 s[2:3], exec, s[2:3]
; %bb.72:                               ;   in Loop: Header=BB133_4 Depth=1
                                        ; implicit-def: $vgpr10_vgpr11_vgpr12_vgpr13
; %bb.73:                               ;   in Loop: Header=BB133_4 Depth=1
	s_or_saveexec_b64 s[2:3], s[2:3]
	v_mov_b32_e32 v8, v9
	s_xor_b64 exec, exec, s[2:3]
; %bb.74:                               ;   in Loop: Header=BB133_4 Depth=1
	v_cmp_lt_i32_e32 vcc, -1, v12
	v_cndmask_b32_e32 v8, 0, v12, vcc
	v_cndmask_b32_e32 v9, 0, v9, vcc
; %bb.75:                               ;   in Loop: Header=BB133_4 Depth=1
	s_or_b64 exec, exec, s[2:3]
.LBB133_76:                             ;   in Loop: Header=BB133_4 Depth=1
	s_or_b64 exec, exec, s[0:1]
                                        ; implicit-def: $vgpr10_vgpr11_vgpr12_vgpr13
                                        ; implicit-def: $vgpr10
.LBB133_77:                             ;   in Loop: Header=BB133_4 Depth=1
	s_andn2_saveexec_b64 s[26:27], s[26:27]
	s_cbranch_execz .LBB133_87
; %bb.78:                               ;   in Loop: Header=BB133_4 Depth=1
	v_lshrrev_b32_e32 v8, 23, v10
	v_and_b32_e32 v9, 0x7fffff, v10
	v_cmp_nlt_f32_e64 s[28:29], |v13|, s44
	v_add_u32_e32 v12, 0xffffff88, v8
	v_or_b32_e32 v11, 0x800000, v9
                                        ; implicit-def: $vgpr8
                                        ; implicit-def: $vgpr9
	s_and_saveexec_b64 s[0:1], s[28:29]
	s_xor_b64 s[30:31], exec, s[0:1]
	s_cbranch_execz .LBB133_80
; %bb.79:                               ;   in Loop: Header=BB133_4 Depth=1
	v_cmp_lt_u32_e32 vcc, 63, v12
	v_cndmask_b32_e32 v8, 0, v21, vcc
	v_add_u32_e32 v8, v8, v12
	v_cmp_lt_u32_e64 s[0:1], 31, v8
	v_cndmask_b32_e64 v9, 0, v22, s[0:1]
	v_add_u32_e32 v8, v9, v8
	v_cmp_lt_u32_e64 s[2:3], 31, v8
	v_cndmask_b32_e64 v9, 0, v22, s[2:3]
	v_add_u32_e32 v25, v9, v8
	v_mad_u64_u32 v[8:9], s[6:7], v11, s45, 0
	v_mov_b32_e32 v14, v9
	v_mad_u64_u32 v[26:27], s[6:7], v11, s46, v[14:15]
	v_mov_b32_e32 v14, v27
	;; [unrolled: 2-line block ×6, first 2 shown]
	v_mad_u64_u32 v[36:37], s[6:7], v11, s51, v[14:15]
	v_cndmask_b32_e32 v9, v34, v30, vcc
	v_cndmask_b32_e32 v14, v36, v32, vcc
	;; [unrolled: 1-line block ×3, first 2 shown]
	v_cndmask_b32_e64 v27, v14, v9, s[0:1]
	v_cndmask_b32_e64 v14, v29, v14, s[0:1]
	v_cndmask_b32_e32 v29, v32, v28, vcc
	v_cndmask_b32_e64 v9, v9, v29, s[0:1]
	v_sub_u32_e32 v31, 32, v25
	v_cmp_eq_u32_e64 s[6:7], 0, v25
	v_cndmask_b32_e32 v25, v30, v26, vcc
	v_cndmask_b32_e64 v14, v14, v27, s[2:3]
	v_cndmask_b32_e64 v27, v27, v9, s[2:3]
	;; [unrolled: 1-line block ×3, first 2 shown]
	v_alignbit_b32 v32, v14, v27, v31
	v_cndmask_b32_e64 v9, v9, v26, s[2:3]
	v_cndmask_b32_e64 v14, v32, v14, s[6:7]
	v_alignbit_b32 v29, v27, v9, v31
	v_cndmask_b32_e64 v27, v29, v27, s[6:7]
	v_bfe_u32 v32, v14, 29, 1
	v_cndmask_b32_e32 v8, v28, v8, vcc
	v_alignbit_b32 v29, v14, v27, 30
	v_sub_u32_e32 v33, 0, v32
	v_cndmask_b32_e64 v8, v25, v8, s[0:1]
	v_xor_b32_e32 v34, v29, v33
	v_cndmask_b32_e64 v8, v26, v8, s[2:3]
	v_alignbit_b32 v25, v9, v8, v31
	v_ffbh_u32_e32 v26, v34
	v_cndmask_b32_e64 v9, v25, v9, s[6:7]
	v_add_u32_e32 v26, 1, v26
	v_cmp_ne_u32_e32 vcc, v29, v33
	v_alignbit_b32 v25, v27, v9, 30
	v_cndmask_b32_e32 v26, 33, v26, vcc
	v_alignbit_b32 v8, v9, v8, 30
	v_xor_b32_e32 v25, v25, v33
	v_sub_u32_e32 v27, 32, v26
	v_xor_b32_e32 v8, v8, v33
	v_alignbit_b32 v28, v34, v25, v27
	v_alignbit_b32 v8, v25, v8, v27
	v_alignbit_b32 v9, v28, v8, 9
	v_ffbh_u32_e32 v25, v9
	v_min_u32_e32 v25, 32, v25
	v_lshrrev_b32_e32 v30, 29, v14
	v_sub_u32_e32 v27, 31, v25
	v_alignbit_b32 v8, v9, v8, v27
	v_lshlrev_b32_e32 v9, 31, v30
	v_or_b32_e32 v27, 0x33800000, v9
	v_add_lshl_u32 v25, v25, v26, 23
	v_lshrrev_b32_e32 v8, 9, v8
	v_sub_u32_e32 v25, v27, v25
	v_or_b32_e32 v8, v25, v8
	v_alignbit_b32 v25, v26, v28, 9
	v_or_b32_e32 v9, v25, v9
	v_xor_b32_e32 v9, 1.0, v9
	v_mul_f32_e32 v25, 0x3fc90fda, v9
	v_fma_f32 v26, v9, s52, -v25
	v_fmac_f32_e32 v26, 0x33a22168, v9
	v_fmac_f32_e32 v26, 0x3fc90fda, v8
	v_lshrrev_b32_e32 v8, 30, v14
	v_add_f32_e32 v9, v25, v26
	v_add_u32_e32 v8, v32, v8
.LBB133_80:                             ;   in Loop: Header=BB133_4 Depth=1
	s_or_saveexec_b64 s[0:1], s[30:31]
	v_mul_f32_e64 v14, |v13|, s53
	v_rndne_f32_e32 v26, v14
	s_xor_b64 exec, exec, s[0:1]
; %bb.81:                               ;   in Loop: Header=BB133_4 Depth=1
	v_cvt_i32_f32_e32 v8, v26
	v_fma_f32 v9, v26, s54, |v13|
	v_fmac_f32_e32 v9, 0xb3a22168, v26
	v_fmac_f32_e32 v9, 0xa7c234c4, v26
; %bb.82:                               ;   in Loop: Header=BB133_4 Depth=1
	s_or_b64 exec, exec, s[0:1]
                                        ; implicit-def: $vgpr14
                                        ; implicit-def: $vgpr25
	s_and_saveexec_b64 s[0:1], s[28:29]
	s_xor_b64 s[28:29], exec, s[0:1]
	s_cbranch_execz .LBB133_84
; %bb.83:                               ;   in Loop: Header=BB133_4 Depth=1
	v_cmp_lt_u32_e32 vcc, 63, v12
	v_cndmask_b32_e32 v14, 0, v21, vcc
	v_add_u32_e32 v12, v14, v12
	v_cmp_lt_u32_e64 s[0:1], 31, v12
	v_cndmask_b32_e64 v14, 0, v22, s[0:1]
	v_add_u32_e32 v12, v14, v12
	v_cmp_lt_u32_e64 s[2:3], 31, v12
	v_cndmask_b32_e64 v14, 0, v22, s[2:3]
	v_mad_u64_u32 v[26:27], s[6:7], v11, s45, 0
	v_add_u32_e32 v12, v14, v12
	v_mov_b32_e32 v14, v27
	v_mad_u64_u32 v[28:29], s[6:7], v11, s46, v[14:15]
	v_mov_b32_e32 v14, v29
	v_mad_u64_u32 v[30:31], s[6:7], v11, s47, v[14:15]
	;; [unrolled: 2-line block ×6, first 2 shown]
	v_cndmask_b32_e32 v25, v36, v32, vcc
	v_cndmask_b32_e32 v11, v38, v34, vcc
	;; [unrolled: 1-line block ×3, first 2 shown]
	v_cndmask_b32_e64 v14, v11, v25, s[0:1]
	v_cndmask_b32_e64 v11, v27, v11, s[0:1]
	v_cndmask_b32_e32 v27, v34, v30, vcc
	v_cndmask_b32_e64 v25, v25, v27, s[0:1]
	v_sub_u32_e32 v29, 32, v12
	v_cmp_eq_u32_e64 s[6:7], 0, v12
	v_cndmask_b32_e32 v12, v32, v28, vcc
	v_cndmask_b32_e64 v11, v11, v14, s[2:3]
	v_cndmask_b32_e64 v14, v14, v25, s[2:3]
	;; [unrolled: 1-line block ×3, first 2 shown]
	v_alignbit_b32 v31, v11, v14, v29
	v_cndmask_b32_e64 v25, v25, v27, s[2:3]
	v_cndmask_b32_e64 v11, v31, v11, s[6:7]
	v_alignbit_b32 v28, v14, v25, v29
	v_cndmask_b32_e32 v26, v30, v26, vcc
	v_cndmask_b32_e64 v14, v28, v14, s[6:7]
	v_bfe_u32 v32, v11, 29, 1
	v_cndmask_b32_e64 v12, v12, v26, s[0:1]
	v_alignbit_b32 v28, v11, v14, 30
	v_sub_u32_e32 v33, 0, v32
	v_cndmask_b32_e64 v12, v27, v12, s[2:3]
	v_xor_b32_e32 v34, v28, v33
	v_alignbit_b32 v26, v25, v12, v29
	v_cndmask_b32_e64 v25, v26, v25, s[6:7]
	v_ffbh_u32_e32 v26, v34
	v_add_u32_e32 v26, 1, v26
	v_cmp_ne_u32_e32 vcc, v28, v33
	v_alignbit_b32 v14, v14, v25, 30
	v_cndmask_b32_e32 v26, 33, v26, vcc
	v_alignbit_b32 v12, v25, v12, 30
	v_xor_b32_e32 v14, v14, v33
	v_sub_u32_e32 v27, 32, v26
	v_xor_b32_e32 v12, v12, v33
	v_alignbit_b32 v28, v34, v14, v27
	v_alignbit_b32 v12, v14, v12, v27
	;; [unrolled: 1-line block ×3, first 2 shown]
	v_ffbh_u32_e32 v25, v14
	v_min_u32_e32 v25, 32, v25
	v_lshrrev_b32_e32 v31, 29, v11
	v_sub_u32_e32 v27, 31, v25
	v_alignbit_b32 v12, v14, v12, v27
	v_lshlrev_b32_e32 v14, 31, v31
	v_or_b32_e32 v27, 0x33800000, v14
	v_add_lshl_u32 v25, v25, v26, 23
	v_lshrrev_b32_e32 v12, 9, v12
	v_sub_u32_e32 v25, v27, v25
	v_or_b32_e32 v12, v25, v12
	v_alignbit_b32 v25, v26, v28, 9
	v_or_b32_e32 v14, v25, v14
	v_xor_b32_e32 v14, 1.0, v14
	v_mul_f32_e32 v25, 0x3fc90fda, v14
	v_fma_f32 v26, v14, s52, -v25
	v_fmac_f32_e32 v26, 0x33a22168, v14
	v_fmac_f32_e32 v26, 0x3fc90fda, v12
	v_lshrrev_b32_e32 v11, 30, v11
	v_add_f32_e32 v25, v25, v26
	v_add_u32_e32 v14, v32, v11
                                        ; implicit-def: $vgpr26
	s_andn2_saveexec_b64 s[0:1], s[28:29]
	s_cbranch_execnz .LBB133_85
	s_branch .LBB133_86
.LBB133_84:                             ;   in Loop: Header=BB133_4 Depth=1
	s_andn2_saveexec_b64 s[0:1], s[28:29]
.LBB133_85:                             ;   in Loop: Header=BB133_4 Depth=1
	v_cvt_i32_f32_e32 v14, v26
	v_fma_f32 v25, v26, s54, |v13|
	v_fmac_f32_e32 v25, 0xb3a22168, v26
	v_fmac_f32_e32 v25, 0xa7c234c4, v26
.LBB133_86:                             ;   in Loop: Header=BB133_4 Depth=1
	s_or_b64 exec, exec, s[0:1]
	v_mul_f32_e32 v11, v9, v9
	v_mov_b32_e32 v12, 0x3c0881c4
	v_fmac_f32_e32 v12, 0xb94c1982, v11
	v_fma_f32 v12, v11, v12, v1
	v_mul_f32_e32 v12, v11, v12
	v_fmac_f32_e32 v9, v9, v12
	v_mov_b32_e32 v12, 0xbab64f3b
	v_fmac_f32_e32 v12, 0x37d75334, v11
	v_fma_f32 v12, v11, v12, v17
	v_fma_f32 v12, v11, v12, v20
	v_fma_f32 v11, v11, v12, 1.0
	v_and_b32_e32 v12, 1, v8
	v_cmp_eq_u32_e32 vcc, 0, v12
	v_lshlrev_b32_e32 v8, 30, v8
	v_cndmask_b32_e64 v9, -v9, v11, vcc
	v_and_b32_e32 v8, 0x80000000, v8
	v_xor_b32_e32 v8, v8, v9
	v_mul_f32_e32 v9, v25, v25
	v_mov_b32_e32 v11, 0x3c0881c4
	v_fmac_f32_e32 v11, 0xb94c1982, v9
	v_fma_f32 v11, v9, v11, v1
	v_mul_f32_e32 v11, v9, v11
	v_fmac_f32_e32 v25, v25, v11
	v_mov_b32_e32 v11, 0xbab64f3b
	v_fmac_f32_e32 v11, 0x37d75334, v9
	v_fma_f32 v11, v9, v11, v17
	v_fma_f32 v11, v9, v11, v20
	v_fma_f32 v9, v9, v11, 1.0
	v_and_b32_e32 v11, 1, v14
	v_cmp_eq_u32_e64 s[0:1], 0, v11
	v_lshlrev_b32_e32 v11, 30, v14
	v_cndmask_b32_e64 v9, v9, v25, s[0:1]
	v_and_or_b32 v10, v11, s58, v10
	v_xor_b32_e32 v9, v10, v9
	v_cmp_class_f32_e64 vcc, v13, s59
	v_xor_b32_e32 v9, v9, v13
	v_cndmask_b32_e32 v8, v24, v8, vcc
	v_cndmask_b32_e32 v9, v24, v9, vcc
.LBB133_87:                             ;   in Loop: Header=BB133_4 Depth=1
	s_or_b64 exec, exec, s[26:27]
                                        ; implicit-def: $vgpr10_vgpr11_vgpr12_vgpr13
.LBB133_88:                             ;   in Loop: Header=BB133_4 Depth=1
	s_andn2_saveexec_b64 s[0:1], s[24:25]
	s_cbranch_execz .LBB133_90
; %bb.89:                               ;   in Loop: Header=BB133_4 Depth=1
	v_mul_f32_e32 v8, 0x3fb8aa3b, v12
	v_rndne_f32_e32 v9, v8
	v_sub_f32_e32 v10, v8, v9
	v_fma_f32 v8, v12, s55, -v8
	v_fmac_f32_e32 v8, 0x32a5705f, v12
	v_add_f32_e32 v8, v10, v8
	v_cvt_i32_f32_e32 v9, v9
	v_exp_f32_e32 v8, v8
	v_cmp_ngt_f32_e32 vcc, s56, v12
	v_ldexp_f32 v8, v8, v9
	v_cndmask_b32_e32 v8, 0, v8, vcc
	v_cmp_nlt_f32_e32 vcc, s57, v12
	v_cndmask_b32_e32 v8, v23, v8, vcc
	v_mov_b32_e32 v9, v13
.LBB133_90:                             ;   in Loop: Header=BB133_4 Depth=1
	s_or_b64 exec, exec, s[0:1]
	s_waitcnt vmcnt(0)
	v_and_b32_e32 v12, 0x7fffffff, v3
	v_cmp_ne_u32_e32 vcc, 0, v12
                                        ; implicit-def: $vgpr11
	s_and_saveexec_b64 s[0:1], vcc
	s_xor_b64 s[24:25], exec, s[0:1]
	s_cbranch_execz .LBB133_130
; %bb.91:                               ;   in Loop: Header=BB133_4 Depth=1
	v_and_b32_e32 v13, 0x7fffffff, v2
	v_cmp_ne_u32_e32 vcc, 0, v13
                                        ; implicit-def: $vgpr11
	s_and_saveexec_b64 s[0:1], vcc
	s_xor_b64 s[26:27], exec, s[0:1]
	s_cbranch_execz .LBB133_119
; %bb.92:                               ;   in Loop: Header=BB133_4 Depth=1
	v_cmp_gt_u32_e32 vcc, s42, v12
                                        ; implicit-def: $vgpr11
	s_and_saveexec_b64 s[0:1], vcc
	s_xor_b64 s[28:29], exec, s[0:1]
	s_cbranch_execz .LBB133_114
; %bb.93:                               ;   in Loop: Header=BB133_4 Depth=1
	v_add_u32_e32 v10, 0xbd4e8de8, v2
	v_cmp_lt_u32_e32 vcc, s43, v10
                                        ; implicit-def: $vgpr11
	s_and_saveexec_b64 s[0:1], vcc
	s_xor_b64 s[30:31], exec, s[0:1]
	s_cbranch_execz .LBB133_103
; %bb.94:                               ;   in Loop: Header=BB133_4 Depth=1
	v_cmp_nlt_f32_e64 s[34:35], |v3|, s44
                                        ; implicit-def: $vgpr10
                                        ; implicit-def: $vgpr11
	s_and_saveexec_b64 s[0:1], s[34:35]
	s_xor_b64 s[36:37], exec, s[0:1]
	s_cbranch_execz .LBB133_96
; %bb.95:                               ;   in Loop: Header=BB133_4 Depth=1
	v_lshrrev_b32_e32 v10, 23, v12
	v_add_u32_e32 v10, 0xffffff88, v10
	v_cmp_lt_u32_e32 vcc, 63, v10
	v_cndmask_b32_e32 v11, 0, v21, vcc
	v_add_u32_e32 v10, v11, v10
	v_cmp_lt_u32_e64 s[0:1], 31, v10
	v_cndmask_b32_e64 v11, 0, v22, s[0:1]
	v_add_u32_e32 v10, v11, v10
	v_cmp_lt_u32_e64 s[2:3], 31, v10
	v_cndmask_b32_e64 v11, 0, v22, s[2:3]
	v_add_u32_e32 v13, v11, v10
	v_and_b32_e32 v10, 0x7fffff, v12
	v_or_b32_e32 v25, 0x800000, v10
	v_mad_u64_u32 v[10:11], s[6:7], v25, s45, 0
	v_mov_b32_e32 v14, v11
	v_mad_u64_u32 v[26:27], s[6:7], v25, s46, v[14:15]
	v_mov_b32_e32 v14, v27
	;; [unrolled: 2-line block ×6, first 2 shown]
	v_mad_u64_u32 v[36:37], s[6:7], v25, s51, v[14:15]
	v_cndmask_b32_e32 v11, v34, v30, vcc
	v_cndmask_b32_e32 v14, v36, v32, vcc
	;; [unrolled: 1-line block ×3, first 2 shown]
	v_cndmask_b32_e64 v25, v14, v11, s[0:1]
	v_cndmask_b32_e64 v14, v27, v14, s[0:1]
	v_cndmask_b32_e32 v27, v32, v28, vcc
	v_cndmask_b32_e64 v11, v11, v27, s[0:1]
	v_cndmask_b32_e64 v14, v14, v25, s[2:3]
	;; [unrolled: 1-line block ×3, first 2 shown]
	v_sub_u32_e32 v29, 32, v13
	v_alignbit_b32 v31, v14, v25, v29
	v_cmp_eq_u32_e64 s[6:7], 0, v13
	v_cndmask_b32_e64 v13, v31, v14, s[6:7]
	v_cndmask_b32_e32 v14, v30, v26, vcc
	v_cndmask_b32_e64 v26, v27, v14, s[0:1]
	v_cndmask_b32_e64 v11, v11, v26, s[2:3]
	v_cndmask_b32_e32 v10, v28, v10, vcc
	v_alignbit_b32 v27, v25, v11, v29
	v_cndmask_b32_e64 v10, v14, v10, s[0:1]
	v_cndmask_b32_e64 v25, v27, v25, s[6:7]
	v_bfe_u32 v31, v13, 29, 1
	v_cndmask_b32_e64 v10, v26, v10, s[2:3]
	v_alignbit_b32 v27, v13, v25, 30
	v_sub_u32_e32 v32, 0, v31
	v_alignbit_b32 v14, v11, v10, v29
	v_xor_b32_e32 v33, v27, v32
	v_cndmask_b32_e64 v11, v14, v11, s[6:7]
	v_alignbit_b32 v14, v25, v11, 30
	v_ffbh_u32_e32 v25, v33
	v_add_u32_e32 v25, 1, v25
	v_cmp_ne_u32_e32 vcc, v27, v32
	v_cndmask_b32_e32 v25, 33, v25, vcc
	v_alignbit_b32 v10, v11, v10, 30
	v_xor_b32_e32 v14, v14, v32
	v_sub_u32_e32 v26, 32, v25
	v_xor_b32_e32 v10, v10, v32
	v_alignbit_b32 v27, v33, v14, v26
	v_alignbit_b32 v10, v14, v10, v26
	;; [unrolled: 1-line block ×3, first 2 shown]
	v_ffbh_u32_e32 v14, v11
	v_min_u32_e32 v14, 32, v14
	v_lshrrev_b32_e32 v30, 29, v13
	v_sub_u32_e32 v26, 31, v14
	v_alignbit_b32 v10, v11, v10, v26
	v_lshlrev_b32_e32 v11, 31, v30
	v_or_b32_e32 v26, 0x33800000, v11
	v_add_lshl_u32 v14, v14, v25, 23
	v_lshrrev_b32_e32 v10, 9, v10
	v_sub_u32_e32 v14, v26, v14
	v_or_b32_e32 v10, v14, v10
	v_alignbit_b32 v14, v25, v27, 9
	v_or_b32_e32 v11, v14, v11
	v_xor_b32_e32 v11, 1.0, v11
	v_mul_f32_e32 v14, 0x3fc90fda, v11
	v_fma_f32 v25, v11, s52, -v14
	v_fmac_f32_e32 v25, 0x33a22168, v11
	v_fmac_f32_e32 v25, 0x3fc90fda, v10
	v_lshrrev_b32_e32 v10, 30, v13
	v_add_f32_e32 v11, v14, v25
	v_add_u32_e32 v10, v31, v10
	s_andn2_saveexec_b64 s[0:1], s[36:37]
	s_branch .LBB133_97
.LBB133_96:                             ;   in Loop: Header=BB133_4 Depth=1
	s_andn2_saveexec_b64 s[0:1], s[36:37]
.LBB133_97:                             ;   in Loop: Header=BB133_4 Depth=1
	v_mul_f32_e64 v10, |v3|, s53
	v_rndne_f32_e32 v13, v10
	v_cvt_i32_f32_e32 v10, v13
	v_fma_f32 v11, v13, s54, |v3|
	v_fmac_f32_e32 v11, 0xb3a22168, v13
	v_fmac_f32_e32 v11, 0xa7c234c4, v13
; %bb.98:                               ;   in Loop: Header=BB133_4 Depth=1
	s_or_b64 exec, exec, s[0:1]
                                        ; implicit-def: $vgpr13
                                        ; implicit-def: $vgpr14
	s_and_saveexec_b64 s[0:1], s[34:35]
	s_xor_b64 s[34:35], exec, s[0:1]
	s_cbranch_execz .LBB133_100
; %bb.99:                               ;   in Loop: Header=BB133_4 Depth=1
	v_lshrrev_b32_e32 v13, 23, v12
	v_add_u32_e32 v13, 0xffffff88, v13
	v_cmp_lt_u32_e32 vcc, 63, v13
	v_cndmask_b32_e32 v14, 0, v21, vcc
	v_add_u32_e32 v13, v14, v13
	v_cmp_lt_u32_e64 s[0:1], 31, v13
	v_cndmask_b32_e64 v14, 0, v22, s[0:1]
	v_add_u32_e32 v13, v14, v13
	v_cmp_lt_u32_e64 s[2:3], 31, v13
	v_cndmask_b32_e64 v14, 0, v22, s[2:3]
	v_add_u32_e32 v13, v14, v13
	v_and_b32_e32 v14, 0x7fffff, v12
	v_or_b32_e32 v25, 0x800000, v14
	v_mad_u64_u32 v[26:27], s[6:7], v25, s45, 0
	v_mov_b32_e32 v14, v27
	v_mad_u64_u32 v[28:29], s[6:7], v25, s46, v[14:15]
	v_mov_b32_e32 v14, v29
	;; [unrolled: 2-line block ×6, first 2 shown]
	v_mad_u64_u32 v[38:39], s[6:7], v25, s51, v[14:15]
	v_cndmask_b32_e32 v27, v36, v32, vcc
	v_cndmask_b32_e32 v14, v38, v34, vcc
	;; [unrolled: 1-line block ×3, first 2 shown]
	v_cndmask_b32_e64 v25, v14, v27, s[0:1]
	v_cndmask_b32_e64 v14, v29, v14, s[0:1]
	v_cndmask_b32_e32 v29, v34, v30, vcc
	v_cndmask_b32_e64 v27, v27, v29, s[0:1]
	v_cndmask_b32_e64 v14, v14, v25, s[2:3]
	;; [unrolled: 1-line block ×3, first 2 shown]
	v_sub_u32_e32 v31, 32, v13
	v_alignbit_b32 v33, v14, v25, v31
	v_cmp_eq_u32_e64 s[6:7], 0, v13
	v_cndmask_b32_e64 v13, v33, v14, s[6:7]
	v_cndmask_b32_e32 v14, v32, v28, vcc
	v_cndmask_b32_e64 v28, v29, v14, s[0:1]
	v_cndmask_b32_e64 v27, v27, v28, s[2:3]
	v_alignbit_b32 v29, v25, v27, v31
	v_cndmask_b32_e32 v26, v30, v26, vcc
	v_cndmask_b32_e64 v25, v29, v25, s[6:7]
	v_bfe_u32 v33, v13, 29, 1
	v_cndmask_b32_e64 v14, v14, v26, s[0:1]
	v_alignbit_b32 v29, v13, v25, 30
	v_sub_u32_e32 v34, 0, v33
	v_cndmask_b32_e64 v14, v28, v14, s[2:3]
	v_xor_b32_e32 v35, v29, v34
	v_alignbit_b32 v26, v27, v14, v31
	v_cndmask_b32_e64 v26, v26, v27, s[6:7]
	v_ffbh_u32_e32 v27, v35
	v_add_u32_e32 v27, 1, v27
	v_cmp_ne_u32_e32 vcc, v29, v34
	v_alignbit_b32 v25, v25, v26, 30
	v_cndmask_b32_e32 v27, 33, v27, vcc
	v_alignbit_b32 v14, v26, v14, 30
	v_xor_b32_e32 v25, v25, v34
	v_sub_u32_e32 v28, 32, v27
	v_xor_b32_e32 v14, v14, v34
	v_alignbit_b32 v29, v35, v25, v28
	v_alignbit_b32 v14, v25, v14, v28
	;; [unrolled: 1-line block ×3, first 2 shown]
	v_ffbh_u32_e32 v26, v25
	v_min_u32_e32 v26, 32, v26
	v_lshrrev_b32_e32 v32, 29, v13
	v_sub_u32_e32 v28, 31, v26
	v_alignbit_b32 v14, v25, v14, v28
	v_lshlrev_b32_e32 v25, 31, v32
	v_or_b32_e32 v28, 0x33800000, v25
	v_add_lshl_u32 v26, v26, v27, 23
	v_lshrrev_b32_e32 v14, 9, v14
	v_sub_u32_e32 v26, v28, v26
	v_or_b32_e32 v14, v26, v14
	v_alignbit_b32 v26, v27, v29, 9
	v_or_b32_e32 v25, v26, v25
	v_xor_b32_e32 v25, 1.0, v25
	v_mul_f32_e32 v26, 0x3fc90fda, v25
	v_fma_f32 v27, v25, s52, -v26
	v_fmac_f32_e32 v27, 0x33a22168, v25
	v_fmac_f32_e32 v27, 0x3fc90fda, v14
	v_lshrrev_b32_e32 v13, 30, v13
	v_add_f32_e32 v14, v26, v27
	v_add_u32_e32 v13, v33, v13
	s_andn2_saveexec_b64 s[0:1], s[34:35]
	s_cbranch_execnz .LBB133_101
	s_branch .LBB133_102
.LBB133_100:                            ;   in Loop: Header=BB133_4 Depth=1
	s_andn2_saveexec_b64 s[0:1], s[34:35]
.LBB133_101:                            ;   in Loop: Header=BB133_4 Depth=1
	v_mul_f32_e64 v13, |v3|, s53
	v_rndne_f32_e32 v25, v13
	v_cvt_i32_f32_e32 v13, v25
	v_fma_f32 v14, v25, s54, |v3|
	v_fmac_f32_e32 v14, 0xb3a22168, v25
	v_fmac_f32_e32 v14, 0xa7c234c4, v25
.LBB133_102:                            ;   in Loop: Header=BB133_4 Depth=1
	s_or_b64 exec, exec, s[0:1]
	v_mul_f32_e32 v25, 0x3fb8aa3b, v2
	v_rndne_f32_e32 v26, v25
	v_sub_f32_e32 v27, v25, v26
	v_fma_f32 v25, v2, s55, -v25
	v_fmac_f32_e32 v25, 0x32a5705f, v2
	v_add_f32_e32 v25, v27, v25
	v_cvt_i32_f32_e32 v26, v26
	v_exp_f32_e32 v25, v25
	v_mov_b32_e32 v27, 0x3c0881c4
	v_cmp_ngt_f32_e32 vcc, s56, v2
	v_ldexp_f32 v25, v25, v26
	v_mul_f32_e32 v26, v11, v11
	v_fmac_f32_e32 v27, 0xb94c1982, v26
	v_fma_f32 v27, v26, v27, v1
	v_mul_f32_e32 v27, v26, v27
	v_fmac_f32_e32 v11, v11, v27
	v_mov_b32_e32 v27, 0xbab64f3b
	v_fmac_f32_e32 v27, 0x37d75334, v26
	v_fma_f32 v27, v26, v27, v17
	v_fma_f32 v27, v26, v27, v20
	v_cndmask_b32_e32 v25, 0, v25, vcc
	v_cmp_nlt_f32_e32 vcc, s57, v2
	v_fma_f32 v26, v26, v27, 1.0
	v_and_b32_e32 v27, 1, v10
	v_cndmask_b32_e32 v25, v23, v25, vcc
	v_cmp_eq_u32_e32 vcc, 0, v27
	v_lshlrev_b32_e32 v10, 30, v10
	v_cndmask_b32_e64 v11, -v11, v26, vcc
	v_and_b32_e32 v10, 0x80000000, v10
	v_xor_b32_e32 v10, v10, v11
	v_mul_f32_e32 v11, v14, v14
	v_mov_b32_e32 v26, 0x3c0881c4
	v_fmac_f32_e32 v26, 0xb94c1982, v11
	v_fma_f32 v26, v11, v26, v1
	v_mul_f32_e32 v26, v11, v26
	v_fmac_f32_e32 v14, v14, v26
	v_mov_b32_e32 v26, 0xbab64f3b
	v_fmac_f32_e32 v26, 0x37d75334, v11
	v_fma_f32 v26, v11, v26, v17
	v_fma_f32 v26, v11, v26, v20
	v_fma_f32 v11, v11, v26, 1.0
	v_and_b32_e32 v26, 1, v13
	v_cmp_eq_u32_e64 s[0:1], 0, v26
	v_lshlrev_b32_e32 v13, 30, v13
	v_cndmask_b32_e64 v11, v11, v14, s[0:1]
	v_and_or_b32 v12, v13, s58, v12
	v_xor_b32_e32 v11, v12, v11
	v_cmp_class_f32_e64 vcc, v3, s59
	v_xor_b32_e32 v11, v11, v3
	v_cndmask_b32_e32 v10, v24, v10, vcc
	v_cndmask_b32_e32 v11, v24, v11, vcc
	v_mul_f32_e32 v10, v25, v10
	v_mul_f32_e32 v11, v25, v11
                                        ; implicit-def: $vgpr12
.LBB133_103:                            ;   in Loop: Header=BB133_4 Depth=1
	s_andn2_saveexec_b64 s[30:31], s[30:31]
	s_cbranch_execz .LBB133_113
; %bb.104:                              ;   in Loop: Header=BB133_4 Depth=1
	v_cmp_nlt_f32_e64 s[34:35], |v3|, s44
                                        ; implicit-def: $vgpr11
                                        ; implicit-def: $vgpr10
	s_and_saveexec_b64 s[0:1], s[34:35]
	s_xor_b64 s[36:37], exec, s[0:1]
	s_cbranch_execz .LBB133_106
; %bb.105:                              ;   in Loop: Header=BB133_4 Depth=1
	v_lshrrev_b32_e32 v10, 23, v12
	v_add_u32_e32 v10, 0xffffff88, v10
	v_cmp_lt_u32_e32 vcc, 63, v10
	v_cndmask_b32_e32 v11, 0, v21, vcc
	v_add_u32_e32 v10, v11, v10
	v_cmp_lt_u32_e64 s[0:1], 31, v10
	v_cndmask_b32_e64 v11, 0, v22, s[0:1]
	v_add_u32_e32 v10, v11, v10
	v_cmp_lt_u32_e64 s[2:3], 31, v10
	v_cndmask_b32_e64 v11, 0, v22, s[2:3]
	v_add_u32_e32 v13, v11, v10
	v_and_b32_e32 v10, 0x7fffff, v12
	v_or_b32_e32 v25, 0x800000, v10
	v_mad_u64_u32 v[10:11], s[6:7], v25, s45, 0
	v_mov_b32_e32 v14, v11
	v_mad_u64_u32 v[26:27], s[6:7], v25, s46, v[14:15]
	v_mov_b32_e32 v14, v27
	v_mad_u64_u32 v[28:29], s[6:7], v25, s47, v[14:15]
	v_mov_b32_e32 v14, v29
	v_mad_u64_u32 v[30:31], s[6:7], v25, s48, v[14:15]
	v_mov_b32_e32 v14, v31
	v_mad_u64_u32 v[32:33], s[6:7], v25, s49, v[14:15]
	v_mov_b32_e32 v14, v33
	v_mad_u64_u32 v[34:35], s[6:7], v25, s50, v[14:15]
	v_mov_b32_e32 v14, v35
	v_mad_u64_u32 v[36:37], s[6:7], v25, s51, v[14:15]
	v_cndmask_b32_e32 v11, v34, v30, vcc
	v_cndmask_b32_e32 v14, v36, v32, vcc
	;; [unrolled: 1-line block ×3, first 2 shown]
	v_cndmask_b32_e64 v25, v14, v11, s[0:1]
	v_cndmask_b32_e64 v14, v27, v14, s[0:1]
	v_cndmask_b32_e32 v27, v32, v28, vcc
	v_cndmask_b32_e64 v11, v11, v27, s[0:1]
	v_cndmask_b32_e64 v14, v14, v25, s[2:3]
	;; [unrolled: 1-line block ×3, first 2 shown]
	v_sub_u32_e32 v29, 32, v13
	v_alignbit_b32 v31, v14, v25, v29
	v_cmp_eq_u32_e64 s[6:7], 0, v13
	v_cndmask_b32_e64 v13, v31, v14, s[6:7]
	v_cndmask_b32_e32 v14, v30, v26, vcc
	v_cndmask_b32_e64 v26, v27, v14, s[0:1]
	v_cndmask_b32_e64 v11, v11, v26, s[2:3]
	v_cndmask_b32_e32 v10, v28, v10, vcc
	v_alignbit_b32 v27, v25, v11, v29
	v_cndmask_b32_e64 v10, v14, v10, s[0:1]
	v_cndmask_b32_e64 v25, v27, v25, s[6:7]
	v_bfe_u32 v31, v13, 29, 1
	v_cndmask_b32_e64 v10, v26, v10, s[2:3]
	v_alignbit_b32 v27, v13, v25, 30
	v_sub_u32_e32 v32, 0, v31
	v_alignbit_b32 v14, v11, v10, v29
	v_xor_b32_e32 v33, v27, v32
	v_cndmask_b32_e64 v11, v14, v11, s[6:7]
	v_alignbit_b32 v14, v25, v11, 30
	v_ffbh_u32_e32 v25, v33
	v_add_u32_e32 v25, 1, v25
	v_cmp_ne_u32_e32 vcc, v27, v32
	v_cndmask_b32_e32 v25, 33, v25, vcc
	v_alignbit_b32 v10, v11, v10, 30
	v_xor_b32_e32 v14, v14, v32
	v_sub_u32_e32 v26, 32, v25
	v_xor_b32_e32 v10, v10, v32
	v_alignbit_b32 v27, v33, v14, v26
	v_alignbit_b32 v10, v14, v10, v26
	;; [unrolled: 1-line block ×3, first 2 shown]
	v_ffbh_u32_e32 v14, v11
	v_min_u32_e32 v14, 32, v14
	v_lshrrev_b32_e32 v30, 29, v13
	v_sub_u32_e32 v26, 31, v14
	v_alignbit_b32 v10, v11, v10, v26
	v_lshlrev_b32_e32 v11, 31, v30
	v_or_b32_e32 v26, 0x33800000, v11
	v_add_lshl_u32 v14, v14, v25, 23
	v_lshrrev_b32_e32 v10, 9, v10
	v_sub_u32_e32 v14, v26, v14
	v_or_b32_e32 v10, v14, v10
	v_alignbit_b32 v14, v25, v27, 9
	v_or_b32_e32 v11, v14, v11
	v_xor_b32_e32 v11, 1.0, v11
	v_mul_f32_e32 v14, 0x3fc90fda, v11
	v_fma_f32 v25, v11, s52, -v14
	v_fmac_f32_e32 v25, 0x33a22168, v11
	v_fmac_f32_e32 v25, 0x3fc90fda, v10
	v_lshrrev_b32_e32 v11, 30, v13
	v_add_f32_e32 v10, v14, v25
	v_add_u32_e32 v11, v31, v11
	s_andn2_saveexec_b64 s[0:1], s[36:37]
	s_branch .LBB133_107
.LBB133_106:                            ;   in Loop: Header=BB133_4 Depth=1
	s_andn2_saveexec_b64 s[0:1], s[36:37]
.LBB133_107:                            ;   in Loop: Header=BB133_4 Depth=1
	v_mul_f32_e64 v10, |v3|, s53
	v_rndne_f32_e32 v13, v10
	v_cvt_i32_f32_e32 v11, v13
	v_fma_f32 v10, v13, s54, |v3|
	v_fmac_f32_e32 v10, 0xb3a22168, v13
	v_fmac_f32_e32 v10, 0xa7c234c4, v13
; %bb.108:                              ;   in Loop: Header=BB133_4 Depth=1
	s_or_b64 exec, exec, s[0:1]
                                        ; implicit-def: $vgpr13
                                        ; implicit-def: $vgpr14
	s_and_saveexec_b64 s[0:1], s[34:35]
	s_xor_b64 s[34:35], exec, s[0:1]
	s_cbranch_execz .LBB133_110
; %bb.109:                              ;   in Loop: Header=BB133_4 Depth=1
	v_lshrrev_b32_e32 v13, 23, v12
	v_add_u32_e32 v13, 0xffffff88, v13
	v_cmp_lt_u32_e32 vcc, 63, v13
	v_cndmask_b32_e32 v14, 0, v21, vcc
	v_add_u32_e32 v13, v14, v13
	v_cmp_lt_u32_e64 s[0:1], 31, v13
	v_cndmask_b32_e64 v14, 0, v22, s[0:1]
	v_add_u32_e32 v13, v14, v13
	v_cmp_lt_u32_e64 s[2:3], 31, v13
	v_cndmask_b32_e64 v14, 0, v22, s[2:3]
	v_add_u32_e32 v13, v14, v13
	v_and_b32_e32 v14, 0x7fffff, v12
	v_or_b32_e32 v25, 0x800000, v14
	v_mad_u64_u32 v[26:27], s[6:7], v25, s45, 0
	v_mov_b32_e32 v14, v27
	v_mad_u64_u32 v[28:29], s[6:7], v25, s46, v[14:15]
	v_mov_b32_e32 v14, v29
	;; [unrolled: 2-line block ×6, first 2 shown]
	v_mad_u64_u32 v[38:39], s[6:7], v25, s51, v[14:15]
	v_cndmask_b32_e32 v27, v36, v32, vcc
	v_cndmask_b32_e32 v14, v38, v34, vcc
	;; [unrolled: 1-line block ×3, first 2 shown]
	v_cndmask_b32_e64 v25, v14, v27, s[0:1]
	v_cndmask_b32_e64 v14, v29, v14, s[0:1]
	v_cndmask_b32_e32 v29, v34, v30, vcc
	v_cndmask_b32_e64 v27, v27, v29, s[0:1]
	v_cndmask_b32_e64 v14, v14, v25, s[2:3]
	v_cndmask_b32_e64 v25, v25, v27, s[2:3]
	v_sub_u32_e32 v31, 32, v13
	v_alignbit_b32 v33, v14, v25, v31
	v_cmp_eq_u32_e64 s[6:7], 0, v13
	v_cndmask_b32_e64 v13, v33, v14, s[6:7]
	v_cndmask_b32_e32 v14, v32, v28, vcc
	v_cndmask_b32_e64 v28, v29, v14, s[0:1]
	v_cndmask_b32_e64 v27, v27, v28, s[2:3]
	v_alignbit_b32 v29, v25, v27, v31
	v_cndmask_b32_e32 v26, v30, v26, vcc
	v_cndmask_b32_e64 v25, v29, v25, s[6:7]
	v_bfe_u32 v33, v13, 29, 1
	v_cndmask_b32_e64 v14, v14, v26, s[0:1]
	v_alignbit_b32 v29, v13, v25, 30
	v_sub_u32_e32 v34, 0, v33
	v_cndmask_b32_e64 v14, v28, v14, s[2:3]
	v_xor_b32_e32 v35, v29, v34
	v_alignbit_b32 v26, v27, v14, v31
	v_cndmask_b32_e64 v26, v26, v27, s[6:7]
	v_ffbh_u32_e32 v27, v35
	v_add_u32_e32 v27, 1, v27
	v_cmp_ne_u32_e32 vcc, v29, v34
	v_alignbit_b32 v25, v25, v26, 30
	v_cndmask_b32_e32 v27, 33, v27, vcc
	v_alignbit_b32 v14, v26, v14, 30
	v_xor_b32_e32 v25, v25, v34
	v_sub_u32_e32 v28, 32, v27
	v_xor_b32_e32 v14, v14, v34
	v_alignbit_b32 v29, v35, v25, v28
	v_alignbit_b32 v14, v25, v14, v28
	;; [unrolled: 1-line block ×3, first 2 shown]
	v_ffbh_u32_e32 v26, v25
	v_min_u32_e32 v26, 32, v26
	v_lshrrev_b32_e32 v32, 29, v13
	v_sub_u32_e32 v28, 31, v26
	v_alignbit_b32 v14, v25, v14, v28
	v_lshlrev_b32_e32 v25, 31, v32
	v_or_b32_e32 v28, 0x33800000, v25
	v_add_lshl_u32 v26, v26, v27, 23
	v_lshrrev_b32_e32 v14, 9, v14
	v_sub_u32_e32 v26, v28, v26
	v_or_b32_e32 v14, v26, v14
	v_alignbit_b32 v26, v27, v29, 9
	v_or_b32_e32 v25, v26, v25
	v_xor_b32_e32 v25, 1.0, v25
	v_mul_f32_e32 v26, 0x3fc90fda, v25
	v_fma_f32 v27, v25, s52, -v26
	v_fmac_f32_e32 v27, 0x33a22168, v25
	v_fmac_f32_e32 v27, 0x3fc90fda, v14
	v_lshrrev_b32_e32 v13, 30, v13
	v_add_f32_e32 v14, v26, v27
	v_add_u32_e32 v13, v33, v13
	s_andn2_saveexec_b64 s[0:1], s[34:35]
	s_cbranch_execnz .LBB133_111
	s_branch .LBB133_112
.LBB133_110:                            ;   in Loop: Header=BB133_4 Depth=1
	s_andn2_saveexec_b64 s[0:1], s[34:35]
.LBB133_111:                            ;   in Loop: Header=BB133_4 Depth=1
	v_mul_f32_e64 v13, |v3|, s53
	v_rndne_f32_e32 v25, v13
	v_cvt_i32_f32_e32 v13, v25
	v_fma_f32 v14, v25, s54, |v3|
	v_fmac_f32_e32 v14, 0xb3a22168, v25
	v_fmac_f32_e32 v14, 0xa7c234c4, v25
.LBB133_112:                            ;   in Loop: Header=BB133_4 Depth=1
	s_or_b64 exec, exec, s[0:1]
	v_mul_f32_e32 v26, v10, v10
	v_mov_b32_e32 v27, 0xbab64f3b
	v_fmac_f32_e32 v27, 0x37d75334, v26
	v_mov_b32_e32 v28, 0x3c0881c4
	v_fma_f32 v27, v26, v27, v17
	v_fmac_f32_e32 v28, 0xb94c1982, v26
	v_lshlrev_b32_e32 v25, 30, v11
	v_and_b32_e32 v11, 1, v11
	v_fma_f32 v27, v26, v27, v20
	v_fma_f32 v28, v26, v28, v1
	v_fma_f32 v27, v26, v27, 1.0
	v_mul_f32_e32 v26, v26, v28
	v_cmp_eq_u32_e32 vcc, 0, v11
	v_add_f32_e32 v11, 0xc322e3bc, v2
	v_fmac_f32_e32 v10, v10, v26
	v_mul_f32_e32 v26, 0x3fb8aa3b, v11
	v_cndmask_b32_e64 v10, -v10, v27, vcc
	v_fma_f32 v27, v11, s55, -v26
	v_rndne_f32_e32 v28, v26
	v_fmac_f32_e32 v27, 0x32a5705f, v11
	v_sub_f32_e32 v26, v26, v28
	v_add_f32_e32 v26, v26, v27
	v_exp_f32_e32 v26, v26
	v_cvt_i32_f32_e32 v27, v28
	v_and_b32_e32 v25, 0x80000000, v25
	v_xor_b32_e32 v10, v25, v10
	v_cmp_ngt_f32_e64 s[0:1], s56, v11
	v_ldexp_f32 v25, v26, v27
	v_cndmask_b32_e64 v25, 0, v25, s[0:1]
	v_cmp_nlt_f32_e64 s[0:1], s57, v11
	v_cndmask_b32_e64 v11, v23, v25, s[0:1]
	v_and_b32_e32 v25, 0x7fffff, v11
	v_lshrrev_b32_e32 v11, 23, v11
	v_subrev_u32_e32 v11, 19, v11
	v_lshrrev_b16_e32 v26, 15, v11
	v_add_u16_e32 v26, v11, v26
	v_ashrrev_i16_e32 v26, 1, v26
	v_bfe_i32 v26, v26, 0, 16
	v_lshl_add_u32 v27, v26, 23, 1.0
	v_sub_u32_e32 v11, v11, v26
	v_mul_f32_e32 v26, v14, v14
	v_mov_b32_e32 v28, 0x3c0881c4
	v_fmac_f32_e32 v28, 0xb94c1982, v26
	v_fma_f32 v28, v26, v28, v1
	v_mul_f32_e32 v28, v26, v28
	v_fmac_f32_e32 v14, v14, v28
	v_mov_b32_e32 v28, 0xbab64f3b
	v_fmac_f32_e32 v28, 0x37d75334, v26
	v_fma_f32 v28, v26, v28, v17
	v_fma_f32 v28, v26, v28, v20
	v_fma_f32 v26, v26, v28, 1.0
	v_and_b32_e32 v28, 1, v13
	v_cmp_eq_u32_e64 s[0:1], 0, v28
	v_lshlrev_b32_e32 v13, 30, v13
	v_cndmask_b32_e64 v14, v26, v14, s[0:1]
	v_and_or_b32 v12, v13, s58, v12
	v_xor_b32_e32 v12, v12, v14
	v_cmp_class_f32_e64 vcc, v3, s59
	v_xor_b32_e32 v12, v12, v3
	v_cndmask_b32_e32 v10, v24, v10, vcc
	v_or_b32_e32 v25, 0x7f000000, v25
	v_cndmask_b32_e32 v12, v24, v12, vcc
	v_mul_f32_e32 v10, v10, v25
	v_mul_f32_e32 v12, v12, v25
	;; [unrolled: 1-line block ×3, first 2 shown]
	v_lshl_add_u32 v11, v11, 23, 1.0
	v_mul_f32_e32 v12, v12, v27
	v_mul_f32_e32 v10, v10, v11
	;; [unrolled: 1-line block ×3, first 2 shown]
.LBB133_113:                            ;   in Loop: Header=BB133_4 Depth=1
	s_or_b64 exec, exec, s[30:31]
                                        ; implicit-def: $vgpr13
.LBB133_114:                            ;   in Loop: Header=BB133_4 Depth=1
	s_andn2_saveexec_b64 s[0:1], s[28:29]
	s_cbranch_execz .LBB133_118
; %bb.115:                              ;   in Loop: Header=BB133_4 Depth=1
	v_cmp_ne_u32_e32 vcc, s42, v13
	v_sub_f32_e32 v11, v3, v3
	s_and_saveexec_b64 s[2:3], vcc
	s_xor_b64 s[2:3], exec, s[2:3]
	s_or_saveexec_b64 s[2:3], s[2:3]
	v_mov_b32_e32 v10, v11
	s_xor_b64 exec, exec, s[2:3]
; %bb.116:                              ;   in Loop: Header=BB133_4 Depth=1
	v_cmp_lt_i32_e32 vcc, -1, v2
	v_cndmask_b32_e32 v10, 0, v2, vcc
	v_cndmask_b32_e32 v11, 0, v11, vcc
; %bb.117:                              ;   in Loop: Header=BB133_4 Depth=1
	s_or_b64 exec, exec, s[2:3]
.LBB133_118:                            ;   in Loop: Header=BB133_4 Depth=1
	s_or_b64 exec, exec, s[0:1]
                                        ; implicit-def: $vgpr12
.LBB133_119:                            ;   in Loop: Header=BB133_4 Depth=1
	s_andn2_saveexec_b64 s[26:27], s[26:27]
	s_cbranch_execz .LBB133_129
; %bb.120:                              ;   in Loop: Header=BB133_4 Depth=1
	v_lshrrev_b32_e32 v10, 23, v12
	v_and_b32_e32 v11, 0x7fffff, v12
	v_cmp_nlt_f32_e64 s[28:29], |v3|, s44
	v_add_u32_e32 v25, 0xffffff88, v10
	v_or_b32_e32 v13, 0x800000, v11
                                        ; implicit-def: $vgpr10
                                        ; implicit-def: $vgpr11
	s_and_saveexec_b64 s[0:1], s[28:29]
	s_xor_b64 s[30:31], exec, s[0:1]
	s_cbranch_execz .LBB133_122
; %bb.121:                              ;   in Loop: Header=BB133_4 Depth=1
	v_cmp_lt_u32_e32 vcc, 63, v25
	v_cndmask_b32_e32 v10, 0, v21, vcc
	v_add_u32_e32 v10, v10, v25
	v_cmp_lt_u32_e64 s[0:1], 31, v10
	v_cndmask_b32_e64 v11, 0, v22, s[0:1]
	v_add_u32_e32 v10, v11, v10
	v_cmp_lt_u32_e64 s[2:3], 31, v10
	v_cndmask_b32_e64 v11, 0, v22, s[2:3]
	v_add_u32_e32 v38, v11, v10
	v_mad_u64_u32 v[10:11], s[6:7], v13, s45, 0
	v_mov_b32_e32 v14, v11
	v_mad_u64_u32 v[26:27], s[6:7], v13, s46, v[14:15]
	v_mov_b32_e32 v14, v27
	;; [unrolled: 2-line block ×6, first 2 shown]
	v_mad_u64_u32 v[36:37], s[6:7], v13, s51, v[14:15]
	v_cndmask_b32_e32 v11, v34, v30, vcc
	v_cndmask_b32_e32 v14, v36, v32, vcc
	;; [unrolled: 1-line block ×3, first 2 shown]
	v_cndmask_b32_e64 v27, v14, v11, s[0:1]
	v_cndmask_b32_e64 v14, v29, v14, s[0:1]
	v_cndmask_b32_e32 v29, v32, v28, vcc
	v_cndmask_b32_e64 v11, v11, v29, s[0:1]
	v_cndmask_b32_e32 v26, v30, v26, vcc
	v_cndmask_b32_e64 v14, v14, v27, s[2:3]
	v_cndmask_b32_e64 v27, v27, v11, s[2:3]
	v_sub_u32_e32 v31, 32, v38
	v_cndmask_b32_e64 v29, v29, v26, s[0:1]
	v_alignbit_b32 v32, v14, v27, v31
	v_cmp_eq_u32_e64 s[6:7], 0, v38
	v_cndmask_b32_e64 v11, v11, v29, s[2:3]
	v_cndmask_b32_e32 v10, v28, v10, vcc
	v_cndmask_b32_e64 v14, v32, v14, s[6:7]
	v_alignbit_b32 v30, v27, v11, v31
	v_cndmask_b32_e64 v10, v26, v10, s[0:1]
	v_cndmask_b32_e64 v27, v30, v27, s[6:7]
	v_bfe_u32 v33, v14, 29, 1
	v_cndmask_b32_e64 v10, v29, v10, s[2:3]
	v_alignbit_b32 v30, v14, v27, 30
	v_sub_u32_e32 v34, 0, v33
	v_alignbit_b32 v26, v11, v10, v31
	v_xor_b32_e32 v35, v30, v34
	v_cndmask_b32_e64 v11, v26, v11, s[6:7]
	v_alignbit_b32 v26, v27, v11, 30
	v_ffbh_u32_e32 v27, v35
	v_add_u32_e32 v27, 1, v27
	v_cmp_ne_u32_e32 vcc, v30, v34
	v_cndmask_b32_e32 v27, 33, v27, vcc
	v_alignbit_b32 v10, v11, v10, 30
	v_xor_b32_e32 v26, v26, v34
	v_sub_u32_e32 v28, 32, v27
	v_xor_b32_e32 v10, v10, v34
	v_alignbit_b32 v29, v35, v26, v28
	v_alignbit_b32 v10, v26, v10, v28
	v_alignbit_b32 v11, v29, v10, 9
	v_ffbh_u32_e32 v26, v11
	v_min_u32_e32 v26, 32, v26
	v_lshrrev_b32_e32 v32, 29, v14
	v_sub_u32_e32 v28, 31, v26
	v_alignbit_b32 v10, v11, v10, v28
	v_lshlrev_b32_e32 v11, 31, v32
	v_or_b32_e32 v28, 0x33800000, v11
	v_add_lshl_u32 v26, v26, v27, 23
	v_lshrrev_b32_e32 v10, 9, v10
	v_sub_u32_e32 v26, v28, v26
	v_or_b32_e32 v10, v26, v10
	v_alignbit_b32 v26, v27, v29, 9
	v_or_b32_e32 v11, v26, v11
	v_xor_b32_e32 v11, 1.0, v11
	v_mul_f32_e32 v26, 0x3fc90fda, v11
	v_fma_f32 v27, v11, s52, -v26
	v_fmac_f32_e32 v27, 0x33a22168, v11
	v_fmac_f32_e32 v27, 0x3fc90fda, v10
	v_lshrrev_b32_e32 v10, 30, v14
	v_add_f32_e32 v11, v26, v27
	v_add_u32_e32 v10, v33, v10
.LBB133_122:                            ;   in Loop: Header=BB133_4 Depth=1
	s_or_saveexec_b64 s[0:1], s[30:31]
	v_mul_f32_e64 v14, |v3|, s53
	v_rndne_f32_e32 v27, v14
	s_xor_b64 exec, exec, s[0:1]
; %bb.123:                              ;   in Loop: Header=BB133_4 Depth=1
	v_cvt_i32_f32_e32 v10, v27
	v_fma_f32 v11, v27, s54, |v3|
	v_fmac_f32_e32 v11, 0xb3a22168, v27
	v_fmac_f32_e32 v11, 0xa7c234c4, v27
; %bb.124:                              ;   in Loop: Header=BB133_4 Depth=1
	s_or_b64 exec, exec, s[0:1]
                                        ; implicit-def: $vgpr14
                                        ; implicit-def: $vgpr26
	s_and_saveexec_b64 s[0:1], s[28:29]
	s_xor_b64 s[28:29], exec, s[0:1]
	s_cbranch_execz .LBB133_126
; %bb.125:                              ;   in Loop: Header=BB133_4 Depth=1
	v_cmp_lt_u32_e32 vcc, 63, v25
	v_cndmask_b32_e32 v14, 0, v21, vcc
	v_add_u32_e32 v14, v14, v25
	v_cmp_lt_u32_e64 s[0:1], 31, v14
	v_cndmask_b32_e64 v25, 0, v22, s[0:1]
	v_add_u32_e32 v14, v25, v14
	v_cmp_lt_u32_e64 s[2:3], 31, v14
	v_cndmask_b32_e64 v25, 0, v22, s[2:3]
	v_mad_u64_u32 v[26:27], s[6:7], v13, s45, 0
	v_add_u32_e32 v25, v25, v14
	v_mov_b32_e32 v14, v27
	v_mad_u64_u32 v[28:29], s[6:7], v13, s46, v[14:15]
	v_mov_b32_e32 v14, v29
	v_mad_u64_u32 v[30:31], s[6:7], v13, s47, v[14:15]
	;; [unrolled: 2-line block ×6, first 2 shown]
	v_cndmask_b32_e32 v27, v36, v32, vcc
	v_cndmask_b32_e32 v13, v38, v34, vcc
	;; [unrolled: 1-line block ×3, first 2 shown]
	v_cndmask_b32_e64 v14, v13, v27, s[0:1]
	v_cndmask_b32_e64 v13, v29, v13, s[0:1]
	v_cndmask_b32_e32 v29, v34, v30, vcc
	v_cndmask_b32_e64 v27, v27, v29, s[0:1]
	v_sub_u32_e32 v31, 32, v25
	v_cmp_eq_u32_e64 s[6:7], 0, v25
	v_cndmask_b32_e32 v25, v32, v28, vcc
	v_cndmask_b32_e64 v13, v13, v14, s[2:3]
	v_cndmask_b32_e64 v14, v14, v27, s[2:3]
	;; [unrolled: 1-line block ×3, first 2 shown]
	v_alignbit_b32 v33, v13, v14, v31
	v_cndmask_b32_e64 v27, v27, v28, s[2:3]
	v_cndmask_b32_e64 v13, v33, v13, s[6:7]
	v_alignbit_b32 v29, v14, v27, v31
	v_cndmask_b32_e32 v26, v30, v26, vcc
	v_cndmask_b32_e64 v14, v29, v14, s[6:7]
	v_bfe_u32 v33, v13, 29, 1
	v_cndmask_b32_e64 v25, v25, v26, s[0:1]
	v_alignbit_b32 v29, v13, v14, 30
	v_sub_u32_e32 v34, 0, v33
	v_cndmask_b32_e64 v25, v28, v25, s[2:3]
	v_xor_b32_e32 v35, v29, v34
	v_alignbit_b32 v26, v27, v25, v31
	v_cndmask_b32_e64 v26, v26, v27, s[6:7]
	v_ffbh_u32_e32 v27, v35
	v_add_u32_e32 v27, 1, v27
	v_cmp_ne_u32_e32 vcc, v29, v34
	v_alignbit_b32 v14, v14, v26, 30
	v_cndmask_b32_e32 v27, 33, v27, vcc
	v_alignbit_b32 v25, v26, v25, 30
	v_xor_b32_e32 v14, v14, v34
	v_sub_u32_e32 v28, 32, v27
	v_xor_b32_e32 v25, v25, v34
	v_alignbit_b32 v29, v35, v14, v28
	v_alignbit_b32 v14, v14, v25, v28
	;; [unrolled: 1-line block ×3, first 2 shown]
	v_ffbh_u32_e32 v26, v25
	v_min_u32_e32 v26, 32, v26
	v_lshrrev_b32_e32 v32, 29, v13
	v_sub_u32_e32 v28, 31, v26
	v_alignbit_b32 v14, v25, v14, v28
	v_lshlrev_b32_e32 v25, 31, v32
	v_or_b32_e32 v28, 0x33800000, v25
	v_add_lshl_u32 v26, v26, v27, 23
	v_lshrrev_b32_e32 v14, 9, v14
	v_sub_u32_e32 v26, v28, v26
	v_or_b32_e32 v14, v26, v14
	v_alignbit_b32 v26, v27, v29, 9
	v_or_b32_e32 v25, v26, v25
	v_xor_b32_e32 v25, 1.0, v25
	v_mul_f32_e32 v26, 0x3fc90fda, v25
	v_fma_f32 v27, v25, s52, -v26
	v_fmac_f32_e32 v27, 0x33a22168, v25
	v_fmac_f32_e32 v27, 0x3fc90fda, v14
	v_lshrrev_b32_e32 v13, 30, v13
	v_add_f32_e32 v26, v26, v27
	v_add_u32_e32 v14, v33, v13
                                        ; implicit-def: $vgpr27
	s_andn2_saveexec_b64 s[0:1], s[28:29]
	s_cbranch_execnz .LBB133_127
	s_branch .LBB133_128
.LBB133_126:                            ;   in Loop: Header=BB133_4 Depth=1
	s_andn2_saveexec_b64 s[0:1], s[28:29]
.LBB133_127:                            ;   in Loop: Header=BB133_4 Depth=1
	v_cvt_i32_f32_e32 v14, v27
	v_fma_f32 v26, v27, s54, |v3|
	v_fmac_f32_e32 v26, 0xb3a22168, v27
	v_fmac_f32_e32 v26, 0xa7c234c4, v27
.LBB133_128:                            ;   in Loop: Header=BB133_4 Depth=1
	s_or_b64 exec, exec, s[0:1]
	v_mul_f32_e32 v13, v11, v11
	v_mov_b32_e32 v25, 0x3c0881c4
	v_fmac_f32_e32 v25, 0xb94c1982, v13
	v_fma_f32 v25, v13, v25, v1
	v_mul_f32_e32 v25, v13, v25
	v_fmac_f32_e32 v11, v11, v25
	v_mov_b32_e32 v25, 0xbab64f3b
	v_fmac_f32_e32 v25, 0x37d75334, v13
	v_fma_f32 v25, v13, v25, v17
	v_fma_f32 v25, v13, v25, v20
	v_fma_f32 v13, v13, v25, 1.0
	v_and_b32_e32 v25, 1, v10
	v_cmp_eq_u32_e32 vcc, 0, v25
	v_lshlrev_b32_e32 v10, 30, v10
	v_cndmask_b32_e64 v11, -v11, v13, vcc
	v_and_b32_e32 v10, 0x80000000, v10
	v_xor_b32_e32 v10, v10, v11
	v_mul_f32_e32 v11, v26, v26
	v_mov_b32_e32 v13, 0x3c0881c4
	v_fmac_f32_e32 v13, 0xb94c1982, v11
	v_fma_f32 v13, v11, v13, v1
	v_mul_f32_e32 v13, v11, v13
	v_fmac_f32_e32 v26, v26, v13
	v_mov_b32_e32 v13, 0xbab64f3b
	v_fmac_f32_e32 v13, 0x37d75334, v11
	v_fma_f32 v13, v11, v13, v17
	v_fma_f32 v13, v11, v13, v20
	v_fma_f32 v11, v11, v13, 1.0
	v_and_b32_e32 v13, 1, v14
	v_cmp_eq_u32_e64 s[0:1], 0, v13
	v_lshlrev_b32_e32 v13, 30, v14
	v_cndmask_b32_e64 v11, v11, v26, s[0:1]
	v_and_or_b32 v12, v13, s58, v12
	v_xor_b32_e32 v11, v12, v11
	v_cmp_class_f32_e64 vcc, v3, s59
	v_xor_b32_e32 v11, v11, v3
	v_cndmask_b32_e32 v10, v24, v10, vcc
	v_cndmask_b32_e32 v11, v24, v11, vcc
.LBB133_129:                            ;   in Loop: Header=BB133_4 Depth=1
	s_or_b64 exec, exec, s[26:27]
.LBB133_130:                            ;   in Loop: Header=BB133_4 Depth=1
	s_andn2_saveexec_b64 s[0:1], s[24:25]
	s_cbranch_execz .LBB133_132
; %bb.131:                              ;   in Loop: Header=BB133_4 Depth=1
	v_mul_f32_e32 v10, 0x3fb8aa3b, v2
	v_rndne_f32_e32 v11, v10
	v_sub_f32_e32 v12, v10, v11
	v_fma_f32 v10, v2, s55, -v10
	v_fmac_f32_e32 v10, 0x32a5705f, v2
	v_add_f32_e32 v10, v12, v10
	v_cvt_i32_f32_e32 v11, v11
	v_exp_f32_e32 v10, v10
	v_cmp_ngt_f32_e32 vcc, s56, v2
	v_ldexp_f32 v10, v10, v11
	v_cndmask_b32_e32 v10, 0, v10, vcc
	v_cmp_nlt_f32_e32 vcc, s57, v2
	v_cndmask_b32_e32 v10, v23, v10, vcc
	v_mov_b32_e32 v11, v3
.LBB133_132:                            ;   in Loop: Header=BB133_4 Depth=1
	s_or_b64 exec, exec, s[0:1]
	v_and_b32_e32 v2, 0x7fffffff, v5
	v_cmp_ne_u32_e32 vcc, 0, v2
	s_and_saveexec_b64 s[0:1], vcc
	s_xor_b64 s[24:25], exec, s[0:1]
	s_cbranch_execz .LBB133_174
; %bb.133:                              ;   in Loop: Header=BB133_4 Depth=1
	v_and_b32_e32 v3, 0x7fffffff, v4
	v_cmp_ne_u32_e32 vcc, 0, v3
	s_and_saveexec_b64 s[0:1], vcc
	s_xor_b64 s[26:27], exec, s[0:1]
	s_cbranch_execz .LBB133_163
; %bb.134:                              ;   in Loop: Header=BB133_4 Depth=1
	v_cmp_gt_u32_e32 vcc, s42, v2
	s_and_saveexec_b64 s[0:1], vcc
	s_xor_b64 s[28:29], exec, s[0:1]
	s_cbranch_execz .LBB133_156
; %bb.135:                              ;   in Loop: Header=BB133_4 Depth=1
	v_add_u32_e32 v3, 0xbd4e8de8, v4
	v_cmp_lt_u32_e32 vcc, s43, v3
	s_and_saveexec_b64 s[0:1], vcc
	s_xor_b64 s[30:31], exec, s[0:1]
	s_cbranch_execz .LBB133_145
; %bb.136:                              ;   in Loop: Header=BB133_4 Depth=1
	v_cmp_nlt_f32_e64 s[34:35], |v5|, s44
                                        ; implicit-def: $vgpr3
                                        ; implicit-def: $vgpr12
	s_and_saveexec_b64 s[0:1], s[34:35]
	s_xor_b64 s[36:37], exec, s[0:1]
	s_cbranch_execz .LBB133_138
; %bb.137:                              ;   in Loop: Header=BB133_4 Depth=1
	v_lshrrev_b32_e32 v3, 23, v2
	v_add_u32_e32 v3, 0xffffff88, v3
	v_cmp_lt_u32_e32 vcc, 63, v3
	v_cndmask_b32_e32 v12, 0, v21, vcc
	v_add_u32_e32 v3, v12, v3
	v_cmp_lt_u32_e64 s[0:1], 31, v3
	v_cndmask_b32_e64 v12, 0, v22, s[0:1]
	v_add_u32_e32 v3, v12, v3
	v_cmp_lt_u32_e64 s[2:3], 31, v3
	v_cndmask_b32_e64 v12, 0, v22, s[2:3]
	v_add_u32_e32 v3, v12, v3
	v_and_b32_e32 v12, 0x7fffff, v2
	v_or_b32_e32 v25, 0x800000, v12
	v_mad_u64_u32 v[12:13], s[6:7], v25, s45, 0
	v_mov_b32_e32 v14, v13
	v_mad_u64_u32 v[26:27], s[6:7], v25, s46, v[14:15]
	v_mov_b32_e32 v14, v27
	v_mad_u64_u32 v[28:29], s[6:7], v25, s47, v[14:15]
	v_mov_b32_e32 v14, v29
	v_mad_u64_u32 v[30:31], s[6:7], v25, s48, v[14:15]
	v_mov_b32_e32 v14, v31
	v_mad_u64_u32 v[32:33], s[6:7], v25, s49, v[14:15]
	v_mov_b32_e32 v14, v33
	v_mad_u64_u32 v[34:35], s[6:7], v25, s50, v[14:15]
	v_mov_b32_e32 v14, v35
	v_mad_u64_u32 v[36:37], s[6:7], v25, s51, v[14:15]
	v_cndmask_b32_e32 v13, v34, v30, vcc
	v_cndmask_b32_e32 v14, v36, v32, vcc
	;; [unrolled: 1-line block ×3, first 2 shown]
	v_cndmask_b32_e64 v25, v14, v13, s[0:1]
	v_cndmask_b32_e64 v14, v27, v14, s[0:1]
	v_cndmask_b32_e32 v27, v32, v28, vcc
	v_cndmask_b32_e64 v13, v13, v27, s[0:1]
	v_cndmask_b32_e64 v14, v14, v25, s[2:3]
	;; [unrolled: 1-line block ×3, first 2 shown]
	v_sub_u32_e32 v29, 32, v3
	v_alignbit_b32 v31, v14, v25, v29
	v_cmp_eq_u32_e64 s[6:7], 0, v3
	v_cndmask_b32_e64 v3, v31, v14, s[6:7]
	v_cndmask_b32_e32 v14, v30, v26, vcc
	v_cndmask_b32_e64 v26, v27, v14, s[0:1]
	v_cndmask_b32_e64 v13, v13, v26, s[2:3]
	v_cndmask_b32_e32 v12, v28, v12, vcc
	v_alignbit_b32 v27, v25, v13, v29
	v_cndmask_b32_e64 v12, v14, v12, s[0:1]
	v_cndmask_b32_e64 v25, v27, v25, s[6:7]
	v_bfe_u32 v31, v3, 29, 1
	v_cndmask_b32_e64 v12, v26, v12, s[2:3]
	v_alignbit_b32 v27, v3, v25, 30
	v_sub_u32_e32 v32, 0, v31
	v_alignbit_b32 v14, v13, v12, v29
	v_xor_b32_e32 v33, v27, v32
	v_cndmask_b32_e64 v13, v14, v13, s[6:7]
	v_alignbit_b32 v14, v25, v13, 30
	v_ffbh_u32_e32 v25, v33
	v_add_u32_e32 v25, 1, v25
	v_cmp_ne_u32_e32 vcc, v27, v32
	v_cndmask_b32_e32 v25, 33, v25, vcc
	v_alignbit_b32 v12, v13, v12, 30
	v_xor_b32_e32 v14, v14, v32
	v_sub_u32_e32 v26, 32, v25
	v_xor_b32_e32 v12, v12, v32
	v_alignbit_b32 v27, v33, v14, v26
	v_alignbit_b32 v12, v14, v12, v26
	;; [unrolled: 1-line block ×3, first 2 shown]
	v_ffbh_u32_e32 v14, v13
	v_min_u32_e32 v14, 32, v14
	v_lshrrev_b32_e32 v30, 29, v3
	v_sub_u32_e32 v26, 31, v14
	v_alignbit_b32 v12, v13, v12, v26
	v_lshlrev_b32_e32 v13, 31, v30
	v_or_b32_e32 v26, 0x33800000, v13
	v_add_lshl_u32 v14, v14, v25, 23
	v_lshrrev_b32_e32 v12, 9, v12
	v_sub_u32_e32 v14, v26, v14
	v_or_b32_e32 v12, v14, v12
	v_alignbit_b32 v14, v25, v27, 9
	v_or_b32_e32 v13, v14, v13
	v_xor_b32_e32 v13, 1.0, v13
	v_mul_f32_e32 v14, 0x3fc90fda, v13
	v_fma_f32 v25, v13, s52, -v14
	v_fmac_f32_e32 v25, 0x33a22168, v13
	v_fmac_f32_e32 v25, 0x3fc90fda, v12
	v_lshrrev_b32_e32 v3, 30, v3
	v_add_f32_e32 v12, v14, v25
	v_add_u32_e32 v3, v31, v3
	s_andn2_saveexec_b64 s[0:1], s[36:37]
	s_branch .LBB133_139
.LBB133_138:                            ;   in Loop: Header=BB133_4 Depth=1
	s_andn2_saveexec_b64 s[0:1], s[36:37]
.LBB133_139:                            ;   in Loop: Header=BB133_4 Depth=1
	v_mul_f32_e64 v3, |v5|, s53
	v_rndne_f32_e32 v13, v3
	v_cvt_i32_f32_e32 v3, v13
	v_fma_f32 v12, v13, s54, |v5|
	v_fmac_f32_e32 v12, 0xb3a22168, v13
	v_fmac_f32_e32 v12, 0xa7c234c4, v13
; %bb.140:                              ;   in Loop: Header=BB133_4 Depth=1
	s_or_b64 exec, exec, s[0:1]
                                        ; implicit-def: $vgpr13
                                        ; implicit-def: $vgpr14
	s_and_saveexec_b64 s[0:1], s[34:35]
	s_xor_b64 s[34:35], exec, s[0:1]
	s_cbranch_execz .LBB133_142
; %bb.141:                              ;   in Loop: Header=BB133_4 Depth=1
	v_lshrrev_b32_e32 v13, 23, v2
	v_add_u32_e32 v13, 0xffffff88, v13
	v_cmp_lt_u32_e32 vcc, 63, v13
	v_cndmask_b32_e32 v14, 0, v21, vcc
	v_add_u32_e32 v13, v14, v13
	v_cmp_lt_u32_e64 s[0:1], 31, v13
	v_cndmask_b32_e64 v14, 0, v22, s[0:1]
	v_add_u32_e32 v13, v14, v13
	v_cmp_lt_u32_e64 s[2:3], 31, v13
	v_cndmask_b32_e64 v14, 0, v22, s[2:3]
	v_add_u32_e32 v13, v14, v13
	v_and_b32_e32 v14, 0x7fffff, v2
	v_or_b32_e32 v25, 0x800000, v14
	v_mad_u64_u32 v[26:27], s[6:7], v25, s45, 0
	v_mov_b32_e32 v14, v27
	v_mad_u64_u32 v[28:29], s[6:7], v25, s46, v[14:15]
	v_mov_b32_e32 v14, v29
	;; [unrolled: 2-line block ×6, first 2 shown]
	v_mad_u64_u32 v[38:39], s[6:7], v25, s51, v[14:15]
	v_cndmask_b32_e32 v27, v36, v32, vcc
	v_cndmask_b32_e32 v14, v38, v34, vcc
	;; [unrolled: 1-line block ×3, first 2 shown]
	v_cndmask_b32_e64 v25, v14, v27, s[0:1]
	v_cndmask_b32_e64 v14, v29, v14, s[0:1]
	v_cndmask_b32_e32 v29, v34, v30, vcc
	v_cndmask_b32_e64 v27, v27, v29, s[0:1]
	v_cndmask_b32_e64 v14, v14, v25, s[2:3]
	;; [unrolled: 1-line block ×3, first 2 shown]
	v_sub_u32_e32 v31, 32, v13
	v_alignbit_b32 v33, v14, v25, v31
	v_cmp_eq_u32_e64 s[6:7], 0, v13
	v_cndmask_b32_e64 v13, v33, v14, s[6:7]
	v_cndmask_b32_e32 v14, v32, v28, vcc
	v_cndmask_b32_e64 v28, v29, v14, s[0:1]
	v_cndmask_b32_e64 v27, v27, v28, s[2:3]
	v_alignbit_b32 v29, v25, v27, v31
	v_cndmask_b32_e32 v26, v30, v26, vcc
	v_cndmask_b32_e64 v25, v29, v25, s[6:7]
	v_bfe_u32 v33, v13, 29, 1
	v_cndmask_b32_e64 v14, v14, v26, s[0:1]
	v_alignbit_b32 v29, v13, v25, 30
	v_sub_u32_e32 v34, 0, v33
	v_cndmask_b32_e64 v14, v28, v14, s[2:3]
	v_xor_b32_e32 v35, v29, v34
	v_alignbit_b32 v26, v27, v14, v31
	v_cndmask_b32_e64 v26, v26, v27, s[6:7]
	v_ffbh_u32_e32 v27, v35
	v_add_u32_e32 v27, 1, v27
	v_cmp_ne_u32_e32 vcc, v29, v34
	v_alignbit_b32 v25, v25, v26, 30
	v_cndmask_b32_e32 v27, 33, v27, vcc
	v_alignbit_b32 v14, v26, v14, 30
	v_xor_b32_e32 v25, v25, v34
	v_sub_u32_e32 v28, 32, v27
	v_xor_b32_e32 v14, v14, v34
	v_alignbit_b32 v29, v35, v25, v28
	v_alignbit_b32 v14, v25, v14, v28
	;; [unrolled: 1-line block ×3, first 2 shown]
	v_ffbh_u32_e32 v26, v25
	v_min_u32_e32 v26, 32, v26
	v_lshrrev_b32_e32 v32, 29, v13
	v_sub_u32_e32 v28, 31, v26
	v_alignbit_b32 v14, v25, v14, v28
	v_lshlrev_b32_e32 v25, 31, v32
	v_or_b32_e32 v28, 0x33800000, v25
	v_add_lshl_u32 v26, v26, v27, 23
	v_lshrrev_b32_e32 v14, 9, v14
	v_sub_u32_e32 v26, v28, v26
	v_or_b32_e32 v14, v26, v14
	v_alignbit_b32 v26, v27, v29, 9
	v_or_b32_e32 v25, v26, v25
	v_xor_b32_e32 v25, 1.0, v25
	v_mul_f32_e32 v26, 0x3fc90fda, v25
	v_fma_f32 v27, v25, s52, -v26
	v_fmac_f32_e32 v27, 0x33a22168, v25
	v_fmac_f32_e32 v27, 0x3fc90fda, v14
	v_lshrrev_b32_e32 v13, 30, v13
	v_add_f32_e32 v14, v26, v27
	v_add_u32_e32 v13, v33, v13
	s_andn2_saveexec_b64 s[0:1], s[34:35]
	s_cbranch_execnz .LBB133_143
	s_branch .LBB133_144
.LBB133_142:                            ;   in Loop: Header=BB133_4 Depth=1
	s_andn2_saveexec_b64 s[0:1], s[34:35]
.LBB133_143:                            ;   in Loop: Header=BB133_4 Depth=1
	v_mul_f32_e64 v13, |v5|, s53
	v_rndne_f32_e32 v25, v13
	v_cvt_i32_f32_e32 v13, v25
	v_fma_f32 v14, v25, s54, |v5|
	v_fmac_f32_e32 v14, 0xb3a22168, v25
	v_fmac_f32_e32 v14, 0xa7c234c4, v25
.LBB133_144:                            ;   in Loop: Header=BB133_4 Depth=1
	s_or_b64 exec, exec, s[0:1]
	v_mul_f32_e32 v25, 0x3fb8aa3b, v4
	v_rndne_f32_e32 v26, v25
	v_sub_f32_e32 v27, v25, v26
	v_fma_f32 v25, v4, s55, -v25
	v_fmac_f32_e32 v25, 0x32a5705f, v4
	v_add_f32_e32 v25, v27, v25
	v_cvt_i32_f32_e32 v26, v26
	v_exp_f32_e32 v25, v25
	v_cmp_ngt_f32_e32 vcc, s56, v4
	v_ldexp_f32 v25, v25, v26
	v_cndmask_b32_e32 v25, 0, v25, vcc
	v_cmp_nlt_f32_e32 vcc, s57, v4
	v_cndmask_b32_e32 v4, v23, v25, vcc
	v_mul_f32_e32 v25, v12, v12
	v_mov_b32_e32 v26, 0x3c0881c4
	v_fmac_f32_e32 v26, 0xb94c1982, v25
	v_fma_f32 v26, v25, v26, v1
	v_mul_f32_e32 v26, v25, v26
	v_fmac_f32_e32 v12, v12, v26
	v_mov_b32_e32 v26, 0xbab64f3b
	v_fmac_f32_e32 v26, 0x37d75334, v25
	v_fma_f32 v26, v25, v26, v17
	v_fma_f32 v26, v25, v26, v20
	v_fma_f32 v25, v25, v26, 1.0
	v_and_b32_e32 v26, 1, v3
	v_cmp_eq_u32_e32 vcc, 0, v26
	v_lshlrev_b32_e32 v3, 30, v3
	v_cndmask_b32_e64 v12, -v12, v25, vcc
	v_and_b32_e32 v3, 0x80000000, v3
	v_xor_b32_e32 v3, v3, v12
	v_cmp_class_f32_e64 vcc, v5, s59
	v_cndmask_b32_e32 v3, v24, v3, vcc
	v_mul_f32_e32 v12, v4, v3
	v_mul_f32_e32 v3, v14, v14
	v_mov_b32_e32 v25, 0x3c0881c4
	v_fmac_f32_e32 v25, 0xb94c1982, v3
	v_fma_f32 v25, v3, v25, v1
	v_mul_f32_e32 v25, v3, v25
	v_fmac_f32_e32 v14, v14, v25
	v_mov_b32_e32 v25, 0xbab64f3b
	v_fmac_f32_e32 v25, 0x37d75334, v3
	v_fma_f32 v25, v3, v25, v17
	v_fma_f32 v25, v3, v25, v20
	v_fma_f32 v3, v3, v25, 1.0
	v_and_b32_e32 v25, 1, v13
	v_cmp_eq_u32_e64 s[0:1], 0, v25
	v_lshlrev_b32_e32 v13, 30, v13
	v_cndmask_b32_e64 v3, v3, v14, s[0:1]
	v_and_or_b32 v2, v13, s58, v2
	v_xor_b32_e32 v2, v2, v3
	v_xor_b32_e32 v2, v2, v5
	v_cndmask_b32_e32 v2, v24, v2, vcc
	v_mul_f32_e32 v13, v4, v2
                                        ; implicit-def: $vgpr2_vgpr3_vgpr4_vgpr5
                                        ; implicit-def: $vgpr2
.LBB133_145:                            ;   in Loop: Header=BB133_4 Depth=1
	s_andn2_saveexec_b64 s[30:31], s[30:31]
	s_cbranch_execz .LBB133_155
; %bb.146:                              ;   in Loop: Header=BB133_4 Depth=1
	v_cmp_nlt_f32_e64 s[34:35], |v5|, s44
                                        ; implicit-def: $vgpr12
                                        ; implicit-def: $vgpr3
	s_and_saveexec_b64 s[0:1], s[34:35]
	s_xor_b64 s[36:37], exec, s[0:1]
	s_cbranch_execz .LBB133_148
; %bb.147:                              ;   in Loop: Header=BB133_4 Depth=1
	v_lshrrev_b32_e32 v3, 23, v2
	v_add_u32_e32 v3, 0xffffff88, v3
	v_cmp_lt_u32_e32 vcc, 63, v3
	v_cndmask_b32_e32 v12, 0, v21, vcc
	v_add_u32_e32 v3, v12, v3
	v_cmp_lt_u32_e64 s[0:1], 31, v3
	v_cndmask_b32_e64 v12, 0, v22, s[0:1]
	v_add_u32_e32 v3, v12, v3
	v_cmp_lt_u32_e64 s[2:3], 31, v3
	v_cndmask_b32_e64 v12, 0, v22, s[2:3]
	v_add_u32_e32 v3, v12, v3
	v_and_b32_e32 v12, 0x7fffff, v2
	v_or_b32_e32 v25, 0x800000, v12
	v_mad_u64_u32 v[12:13], s[6:7], v25, s45, 0
	v_mov_b32_e32 v14, v13
	v_mad_u64_u32 v[26:27], s[6:7], v25, s46, v[14:15]
	v_mov_b32_e32 v14, v27
	;; [unrolled: 2-line block ×6, first 2 shown]
	v_mad_u64_u32 v[36:37], s[6:7], v25, s51, v[14:15]
	v_cndmask_b32_e32 v13, v34, v30, vcc
	v_cndmask_b32_e32 v14, v36, v32, vcc
	;; [unrolled: 1-line block ×3, first 2 shown]
	v_cndmask_b32_e64 v25, v14, v13, s[0:1]
	v_cndmask_b32_e64 v14, v27, v14, s[0:1]
	v_cndmask_b32_e32 v27, v32, v28, vcc
	v_cndmask_b32_e64 v13, v13, v27, s[0:1]
	v_sub_u32_e32 v29, 32, v3
	v_cmp_eq_u32_e64 s[6:7], 0, v3
	v_cndmask_b32_e32 v3, v30, v26, vcc
	v_cndmask_b32_e64 v14, v14, v25, s[2:3]
	v_cndmask_b32_e64 v25, v25, v13, s[2:3]
	v_cndmask_b32_e64 v26, v27, v3, s[0:1]
	v_alignbit_b32 v31, v14, v25, v29
	v_cndmask_b32_e64 v13, v13, v26, s[2:3]
	v_cndmask_b32_e32 v12, v28, v12, vcc
	v_cndmask_b32_e64 v14, v31, v14, s[6:7]
	v_alignbit_b32 v27, v25, v13, v29
	v_cndmask_b32_e64 v3, v3, v12, s[0:1]
	v_cndmask_b32_e64 v25, v27, v25, s[6:7]
	v_bfe_u32 v31, v14, 29, 1
	v_cndmask_b32_e64 v3, v26, v3, s[2:3]
	v_alignbit_b32 v27, v14, v25, 30
	v_sub_u32_e32 v32, 0, v31
	v_alignbit_b32 v12, v13, v3, v29
	v_xor_b32_e32 v33, v27, v32
	v_cndmask_b32_e64 v12, v12, v13, s[6:7]
	v_alignbit_b32 v13, v25, v12, 30
	v_ffbh_u32_e32 v25, v33
	v_add_u32_e32 v25, 1, v25
	v_cmp_ne_u32_e32 vcc, v27, v32
	v_cndmask_b32_e32 v25, 33, v25, vcc
	v_alignbit_b32 v3, v12, v3, 30
	v_xor_b32_e32 v13, v13, v32
	v_sub_u32_e32 v26, 32, v25
	v_xor_b32_e32 v3, v3, v32
	v_alignbit_b32 v27, v33, v13, v26
	v_alignbit_b32 v3, v13, v3, v26
	;; [unrolled: 1-line block ×3, first 2 shown]
	v_ffbh_u32_e32 v13, v12
	v_min_u32_e32 v13, 32, v13
	v_lshrrev_b32_e32 v30, 29, v14
	v_sub_u32_e32 v26, 31, v13
	v_alignbit_b32 v3, v12, v3, v26
	v_lshlrev_b32_e32 v12, 31, v30
	v_or_b32_e32 v26, 0x33800000, v12
	v_add_lshl_u32 v13, v13, v25, 23
	v_lshrrev_b32_e32 v3, 9, v3
	v_sub_u32_e32 v13, v26, v13
	v_or_b32_e32 v3, v13, v3
	v_alignbit_b32 v13, v25, v27, 9
	v_or_b32_e32 v12, v13, v12
	v_xor_b32_e32 v12, 1.0, v12
	v_mul_f32_e32 v13, 0x3fc90fda, v12
	v_fma_f32 v25, v12, s52, -v13
	v_fmac_f32_e32 v25, 0x33a22168, v12
	v_fmac_f32_e32 v25, 0x3fc90fda, v3
	v_lshrrev_b32_e32 v12, 30, v14
	v_add_f32_e32 v3, v13, v25
	v_add_u32_e32 v12, v31, v12
	s_andn2_saveexec_b64 s[0:1], s[36:37]
	s_branch .LBB133_149
.LBB133_148:                            ;   in Loop: Header=BB133_4 Depth=1
	s_andn2_saveexec_b64 s[0:1], s[36:37]
.LBB133_149:                            ;   in Loop: Header=BB133_4 Depth=1
	v_mul_f32_e64 v3, |v5|, s53
	v_rndne_f32_e32 v13, v3
	v_cvt_i32_f32_e32 v12, v13
	v_fma_f32 v3, v13, s54, |v5|
	v_fmac_f32_e32 v3, 0xb3a22168, v13
	v_fmac_f32_e32 v3, 0xa7c234c4, v13
; %bb.150:                              ;   in Loop: Header=BB133_4 Depth=1
	s_or_b64 exec, exec, s[0:1]
                                        ; implicit-def: $vgpr13
                                        ; implicit-def: $vgpr14
	s_and_saveexec_b64 s[0:1], s[34:35]
	s_xor_b64 s[34:35], exec, s[0:1]
	s_cbranch_execz .LBB133_152
; %bb.151:                              ;   in Loop: Header=BB133_4 Depth=1
	v_lshrrev_b32_e32 v13, 23, v2
	v_add_u32_e32 v13, 0xffffff88, v13
	v_cmp_lt_u32_e32 vcc, 63, v13
	v_cndmask_b32_e32 v14, 0, v21, vcc
	v_add_u32_e32 v13, v14, v13
	v_cmp_lt_u32_e64 s[0:1], 31, v13
	v_cndmask_b32_e64 v14, 0, v22, s[0:1]
	v_add_u32_e32 v13, v14, v13
	v_cmp_lt_u32_e64 s[2:3], 31, v13
	v_cndmask_b32_e64 v14, 0, v22, s[2:3]
	v_add_u32_e32 v13, v14, v13
	v_and_b32_e32 v14, 0x7fffff, v2
	v_or_b32_e32 v25, 0x800000, v14
	v_mad_u64_u32 v[26:27], s[6:7], v25, s45, 0
	v_mov_b32_e32 v14, v27
	v_mad_u64_u32 v[28:29], s[6:7], v25, s46, v[14:15]
	v_mov_b32_e32 v14, v29
	;; [unrolled: 2-line block ×6, first 2 shown]
	v_mad_u64_u32 v[38:39], s[6:7], v25, s51, v[14:15]
	v_cndmask_b32_e32 v27, v36, v32, vcc
	v_cndmask_b32_e32 v14, v38, v34, vcc
	;; [unrolled: 1-line block ×3, first 2 shown]
	v_cndmask_b32_e64 v25, v14, v27, s[0:1]
	v_cndmask_b32_e64 v14, v29, v14, s[0:1]
	v_cndmask_b32_e32 v29, v34, v30, vcc
	v_cndmask_b32_e64 v27, v27, v29, s[0:1]
	v_cndmask_b32_e64 v14, v14, v25, s[2:3]
	;; [unrolled: 1-line block ×3, first 2 shown]
	v_sub_u32_e32 v31, 32, v13
	v_alignbit_b32 v33, v14, v25, v31
	v_cmp_eq_u32_e64 s[6:7], 0, v13
	v_cndmask_b32_e64 v13, v33, v14, s[6:7]
	v_cndmask_b32_e32 v14, v32, v28, vcc
	v_cndmask_b32_e64 v28, v29, v14, s[0:1]
	v_cndmask_b32_e64 v27, v27, v28, s[2:3]
	v_alignbit_b32 v29, v25, v27, v31
	v_cndmask_b32_e32 v26, v30, v26, vcc
	v_cndmask_b32_e64 v25, v29, v25, s[6:7]
	v_bfe_u32 v33, v13, 29, 1
	v_cndmask_b32_e64 v14, v14, v26, s[0:1]
	v_alignbit_b32 v29, v13, v25, 30
	v_sub_u32_e32 v34, 0, v33
	v_cndmask_b32_e64 v14, v28, v14, s[2:3]
	v_xor_b32_e32 v35, v29, v34
	v_alignbit_b32 v26, v27, v14, v31
	v_cndmask_b32_e64 v26, v26, v27, s[6:7]
	v_ffbh_u32_e32 v27, v35
	v_add_u32_e32 v27, 1, v27
	v_cmp_ne_u32_e32 vcc, v29, v34
	v_alignbit_b32 v25, v25, v26, 30
	v_cndmask_b32_e32 v27, 33, v27, vcc
	v_alignbit_b32 v14, v26, v14, 30
	v_xor_b32_e32 v25, v25, v34
	v_sub_u32_e32 v28, 32, v27
	v_xor_b32_e32 v14, v14, v34
	v_alignbit_b32 v29, v35, v25, v28
	v_alignbit_b32 v14, v25, v14, v28
	;; [unrolled: 1-line block ×3, first 2 shown]
	v_ffbh_u32_e32 v26, v25
	v_min_u32_e32 v26, 32, v26
	v_lshrrev_b32_e32 v32, 29, v13
	v_sub_u32_e32 v28, 31, v26
	v_alignbit_b32 v14, v25, v14, v28
	v_lshlrev_b32_e32 v25, 31, v32
	v_or_b32_e32 v28, 0x33800000, v25
	v_add_lshl_u32 v26, v26, v27, 23
	v_lshrrev_b32_e32 v14, 9, v14
	v_sub_u32_e32 v26, v28, v26
	v_or_b32_e32 v14, v26, v14
	v_alignbit_b32 v26, v27, v29, 9
	v_or_b32_e32 v25, v26, v25
	v_xor_b32_e32 v25, 1.0, v25
	v_mul_f32_e32 v26, 0x3fc90fda, v25
	v_fma_f32 v27, v25, s52, -v26
	v_fmac_f32_e32 v27, 0x33a22168, v25
	v_fmac_f32_e32 v27, 0x3fc90fda, v14
	v_lshrrev_b32_e32 v13, 30, v13
	v_add_f32_e32 v14, v26, v27
	v_add_u32_e32 v13, v33, v13
	s_andn2_saveexec_b64 s[0:1], s[34:35]
	s_cbranch_execnz .LBB133_153
	s_branch .LBB133_154
.LBB133_152:                            ;   in Loop: Header=BB133_4 Depth=1
	s_andn2_saveexec_b64 s[0:1], s[34:35]
.LBB133_153:                            ;   in Loop: Header=BB133_4 Depth=1
	v_mul_f32_e64 v13, |v5|, s53
	v_rndne_f32_e32 v25, v13
	v_cvt_i32_f32_e32 v13, v25
	v_fma_f32 v14, v25, s54, |v5|
	v_fmac_f32_e32 v14, 0xb3a22168, v25
	v_fmac_f32_e32 v14, 0xa7c234c4, v25
.LBB133_154:                            ;   in Loop: Header=BB133_4 Depth=1
	s_or_b64 exec, exec, s[0:1]
	v_mul_f32_e32 v26, v3, v3
	v_mov_b32_e32 v27, 0xbab64f3b
	v_fmac_f32_e32 v27, 0x37d75334, v26
	v_mov_b32_e32 v28, 0x3c0881c4
	v_fma_f32 v27, v26, v27, v17
	v_fmac_f32_e32 v28, 0xb94c1982, v26
	v_fma_f32 v27, v26, v27, v20
	v_fma_f32 v28, v26, v28, v1
	v_lshlrev_b32_e32 v25, 30, v12
	v_and_b32_e32 v12, 1, v12
	v_fma_f32 v27, v26, v27, 1.0
	v_mul_f32_e32 v26, v26, v28
	v_add_f32_e32 v4, 0xc322e3bc, v4
	v_fmac_f32_e32 v3, v3, v26
	v_cmp_eq_u32_e32 vcc, 0, v12
	v_mul_f32_e32 v12, 0x3fb8aa3b, v4
	v_cndmask_b32_e64 v3, -v3, v27, vcc
	v_fma_f32 v26, v4, s55, -v12
	v_rndne_f32_e32 v27, v12
	v_fmac_f32_e32 v26, 0x32a5705f, v4
	v_sub_f32_e32 v12, v12, v27
	v_add_f32_e32 v12, v12, v26
	v_exp_f32_e32 v12, v12
	v_cvt_i32_f32_e32 v26, v27
	v_cmp_ngt_f32_e64 s[0:1], s56, v4
	v_and_b32_e32 v25, 0x80000000, v25
	v_xor_b32_e32 v3, v25, v3
	v_ldexp_f32 v12, v12, v26
	v_cndmask_b32_e64 v12, 0, v12, s[0:1]
	v_cmp_nlt_f32_e64 s[0:1], s57, v4
	v_cndmask_b32_e64 v4, v23, v12, s[0:1]
	v_and_b32_e32 v12, 0x7fffff, v4
	v_lshrrev_b32_e32 v4, 23, v4
	v_subrev_u32_e32 v4, 19, v4
	v_or_b32_e32 v25, 0x7f000000, v12
	v_lshrrev_b16_e32 v12, 15, v4
	v_add_u16_e32 v12, v4, v12
	v_cmp_class_f32_e64 vcc, v5, s59
	v_ashrrev_i16_e32 v12, 1, v12
	v_cndmask_b32_e32 v3, v24, v3, vcc
	v_bfe_i32 v12, v12, 0, 16
	v_mul_f32_e32 v3, v3, v25
	v_lshl_add_u32 v26, v12, 23, 1.0
	v_sub_u32_e32 v4, v4, v12
	v_mul_f32_e32 v3, v3, v26
	v_lshl_add_u32 v4, v4, 23, 1.0
	v_mul_f32_e32 v12, v3, v4
	v_mul_f32_e32 v3, v14, v14
	v_mov_b32_e32 v27, 0x3c0881c4
	v_fmac_f32_e32 v27, 0xb94c1982, v3
	v_fma_f32 v27, v3, v27, v1
	v_mul_f32_e32 v27, v3, v27
	v_fmac_f32_e32 v14, v14, v27
	v_mov_b32_e32 v27, 0xbab64f3b
	v_fmac_f32_e32 v27, 0x37d75334, v3
	v_fma_f32 v27, v3, v27, v17
	v_fma_f32 v27, v3, v27, v20
	v_fma_f32 v3, v3, v27, 1.0
	v_and_b32_e32 v27, 1, v13
	v_cmp_eq_u32_e64 s[0:1], 0, v27
	v_lshlrev_b32_e32 v13, 30, v13
	v_cndmask_b32_e64 v3, v3, v14, s[0:1]
	v_and_or_b32 v2, v13, s58, v2
	v_xor_b32_e32 v2, v2, v3
	v_xor_b32_e32 v2, v2, v5
	v_cndmask_b32_e32 v2, v24, v2, vcc
	v_mul_f32_e32 v2, v2, v25
	v_mul_f32_e32 v2, v2, v26
	;; [unrolled: 1-line block ×3, first 2 shown]
.LBB133_155:                            ;   in Loop: Header=BB133_4 Depth=1
	s_or_b64 exec, exec, s[30:31]
                                        ; implicit-def: $vgpr2_vgpr3_vgpr4_vgpr5
                                        ; implicit-def: $vgpr3
.LBB133_156:                            ;   in Loop: Header=BB133_4 Depth=1
	s_andn2_saveexec_b64 s[0:1], s[28:29]
	s_cbranch_execz .LBB133_162
; %bb.157:                              ;   in Loop: Header=BB133_4 Depth=1
	v_cmp_ne_u32_e32 vcc, s42, v3
	v_sub_f32_e32 v13, v5, v5
	s_and_saveexec_b64 s[2:3], vcc
	s_xor_b64 s[2:3], exec, s[2:3]
; %bb.158:                              ;   in Loop: Header=BB133_4 Depth=1
                                        ; implicit-def: $vgpr2_vgpr3_vgpr4_vgpr5
; %bb.159:                              ;   in Loop: Header=BB133_4 Depth=1
	s_or_saveexec_b64 s[2:3], s[2:3]
	v_mov_b32_e32 v12, v13
	s_xor_b64 exec, exec, s[2:3]
; %bb.160:                              ;   in Loop: Header=BB133_4 Depth=1
	v_cmp_lt_i32_e32 vcc, -1, v4
	v_cndmask_b32_e32 v12, 0, v4, vcc
	v_cndmask_b32_e32 v13, 0, v13, vcc
; %bb.161:                              ;   in Loop: Header=BB133_4 Depth=1
	s_or_b64 exec, exec, s[2:3]
.LBB133_162:                            ;   in Loop: Header=BB133_4 Depth=1
	s_or_b64 exec, exec, s[0:1]
                                        ; implicit-def: $vgpr2_vgpr3_vgpr4_vgpr5
                                        ; implicit-def: $vgpr2
.LBB133_163:                            ;   in Loop: Header=BB133_4 Depth=1
	s_andn2_saveexec_b64 s[26:27], s[26:27]
	s_cbranch_execz .LBB133_173
; %bb.164:                              ;   in Loop: Header=BB133_4 Depth=1
	v_lshrrev_b32_e32 v3, 23, v2
	v_and_b32_e32 v4, 0x7fffff, v2
	v_cmp_nlt_f32_e64 s[28:29], |v5|, s44
	v_add_u32_e32 v13, 0xffffff88, v3
	v_or_b32_e32 v12, 0x800000, v4
                                        ; implicit-def: $vgpr3
                                        ; implicit-def: $vgpr4
	s_and_saveexec_b64 s[0:1], s[28:29]
	s_xor_b64 s[30:31], exec, s[0:1]
	s_cbranch_execz .LBB133_166
; %bb.165:                              ;   in Loop: Header=BB133_4 Depth=1
	v_mad_u64_u32 v[26:27], s[6:7], v12, s45, 0
	v_mov_b32_e32 v14, v27
	v_mad_u64_u32 v[28:29], s[6:7], v12, s46, v[14:15]
	v_mov_b32_e32 v14, v29
	v_mad_u64_u32 v[30:31], s[6:7], v12, s47, v[14:15]
	v_cmp_lt_u32_e32 vcc, 63, v13
	v_mov_b32_e32 v14, v31
	v_cndmask_b32_e32 v3, 0, v21, vcc
	v_mad_u64_u32 v[32:33], s[6:7], v12, s48, v[14:15]
	v_add_u32_e32 v3, v3, v13
	v_mov_b32_e32 v14, v33
	v_cmp_lt_u32_e64 s[0:1], 31, v3
	v_mad_u64_u32 v[34:35], s[6:7], v12, s49, v[14:15]
	v_cndmask_b32_e64 v4, 0, v22, s[0:1]
	v_mov_b32_e32 v14, v35
	v_add_u32_e32 v3, v4, v3
	v_mad_u64_u32 v[36:37], s[6:7], v12, s50, v[14:15]
	v_cmp_lt_u32_e64 s[2:3], 31, v3
	v_mov_b32_e32 v14, v37
	v_cndmask_b32_e64 v4, 0, v22, s[2:3]
	v_mad_u64_u32 v[38:39], s[6:7], v12, s51, v[14:15]
	v_add_u32_e32 v3, v4, v3
	v_cndmask_b32_e32 v4, v36, v32, vcc
	v_cndmask_b32_e32 v14, v38, v34, vcc
	;; [unrolled: 1-line block ×3, first 2 shown]
	v_cndmask_b32_e64 v25, v14, v4, s[0:1]
	v_cndmask_b32_e64 v14, v27, v14, s[0:1]
	v_cndmask_b32_e32 v27, v34, v30, vcc
	v_cndmask_b32_e64 v4, v4, v27, s[0:1]
	v_cndmask_b32_e64 v14, v14, v25, s[2:3]
	;; [unrolled: 1-line block ×3, first 2 shown]
	v_sub_u32_e32 v29, 32, v3
	v_alignbit_b32 v31, v14, v25, v29
	v_cmp_eq_u32_e64 s[6:7], 0, v3
	v_cndmask_b32_e64 v3, v31, v14, s[6:7]
	v_cndmask_b32_e32 v14, v32, v28, vcc
	v_cndmask_b32_e64 v27, v27, v14, s[0:1]
	v_cndmask_b32_e64 v4, v4, v27, s[2:3]
	v_alignbit_b32 v28, v25, v4, v29
	v_cndmask_b32_e32 v26, v30, v26, vcc
	v_cndmask_b32_e64 v25, v28, v25, s[6:7]
	v_bfe_u32 v32, v3, 29, 1
	v_cndmask_b32_e64 v14, v14, v26, s[0:1]
	v_alignbit_b32 v28, v3, v25, 30
	v_sub_u32_e32 v33, 0, v32
	v_cndmask_b32_e64 v14, v27, v14, s[2:3]
	v_xor_b32_e32 v34, v28, v33
	v_alignbit_b32 v26, v4, v14, v29
	v_cndmask_b32_e64 v4, v26, v4, s[6:7]
	v_ffbh_u32_e32 v26, v34
	v_add_u32_e32 v26, 1, v26
	v_cmp_ne_u32_e32 vcc, v28, v33
	v_alignbit_b32 v25, v25, v4, 30
	v_cndmask_b32_e32 v26, 33, v26, vcc
	v_alignbit_b32 v4, v4, v14, 30
	v_xor_b32_e32 v25, v25, v33
	v_sub_u32_e32 v27, 32, v26
	v_xor_b32_e32 v4, v4, v33
	v_alignbit_b32 v28, v34, v25, v27
	v_alignbit_b32 v4, v25, v4, v27
	;; [unrolled: 1-line block ×3, first 2 shown]
	v_ffbh_u32_e32 v25, v14
	v_min_u32_e32 v25, 32, v25
	v_lshrrev_b32_e32 v31, 29, v3
	v_sub_u32_e32 v27, 31, v25
	v_alignbit_b32 v4, v14, v4, v27
	v_lshlrev_b32_e32 v14, 31, v31
	v_or_b32_e32 v27, 0x33800000, v14
	v_add_lshl_u32 v25, v25, v26, 23
	v_lshrrev_b32_e32 v4, 9, v4
	v_sub_u32_e32 v25, v27, v25
	v_or_b32_e32 v4, v25, v4
	v_alignbit_b32 v25, v26, v28, 9
	v_or_b32_e32 v14, v25, v14
	v_xor_b32_e32 v14, 1.0, v14
	v_mul_f32_e32 v25, 0x3fc90fda, v14
	v_fma_f32 v26, v14, s52, -v25
	v_fmac_f32_e32 v26, 0x33a22168, v14
	v_fmac_f32_e32 v26, 0x3fc90fda, v4
	v_lshrrev_b32_e32 v3, 30, v3
	v_add_f32_e32 v4, v25, v26
	v_add_u32_e32 v3, v32, v3
.LBB133_166:                            ;   in Loop: Header=BB133_4 Depth=1
	s_or_saveexec_b64 s[0:1], s[30:31]
	v_mul_f32_e64 v14, |v5|, s53
	v_rndne_f32_e32 v26, v14
	s_xor_b64 exec, exec, s[0:1]
; %bb.167:                              ;   in Loop: Header=BB133_4 Depth=1
	v_cvt_i32_f32_e32 v3, v26
	v_fma_f32 v4, v26, s54, |v5|
	v_fmac_f32_e32 v4, 0xb3a22168, v26
	v_fmac_f32_e32 v4, 0xa7c234c4, v26
; %bb.168:                              ;   in Loop: Header=BB133_4 Depth=1
	s_or_b64 exec, exec, s[0:1]
                                        ; implicit-def: $vgpr14
                                        ; implicit-def: $vgpr25
	s_and_saveexec_b64 s[0:1], s[28:29]
	s_xor_b64 s[28:29], exec, s[0:1]
	s_cbranch_execz .LBB133_170
; %bb.169:                              ;   in Loop: Header=BB133_4 Depth=1
	v_cmp_lt_u32_e32 vcc, 63, v13
	v_cndmask_b32_e32 v14, 0, v21, vcc
	v_add_u32_e32 v13, v14, v13
	v_cmp_lt_u32_e64 s[0:1], 31, v13
	v_cndmask_b32_e64 v14, 0, v22, s[0:1]
	v_add_u32_e32 v13, v14, v13
	v_cmp_lt_u32_e64 s[2:3], 31, v13
	v_cndmask_b32_e64 v14, 0, v22, s[2:3]
	v_mad_u64_u32 v[26:27], s[6:7], v12, s45, 0
	v_add_u32_e32 v25, v14, v13
	v_mov_b32_e32 v14, v27
	v_mad_u64_u32 v[28:29], s[6:7], v12, s46, v[14:15]
	v_mov_b32_e32 v14, v29
	v_mad_u64_u32 v[30:31], s[6:7], v12, s47, v[14:15]
	;; [unrolled: 2-line block ×6, first 2 shown]
	v_cndmask_b32_e32 v27, v36, v32, vcc
	v_cndmask_b32_e32 v12, v12, v34, vcc
	;; [unrolled: 1-line block ×3, first 2 shown]
	v_cndmask_b32_e64 v14, v12, v27, s[0:1]
	v_cndmask_b32_e64 v12, v13, v12, s[0:1]
	v_cndmask_b32_e32 v13, v34, v30, vcc
	v_cndmask_b32_e64 v27, v27, v13, s[0:1]
	v_sub_u32_e32 v29, 32, v25
	v_cmp_eq_u32_e64 s[6:7], 0, v25
	v_cndmask_b32_e32 v25, v32, v28, vcc
	v_cndmask_b32_e64 v12, v12, v14, s[2:3]
	v_cndmask_b32_e64 v14, v14, v27, s[2:3]
	;; [unrolled: 1-line block ×3, first 2 shown]
	v_alignbit_b32 v31, v12, v14, v29
	v_cndmask_b32_e64 v27, v27, v13, s[2:3]
	v_cndmask_b32_e64 v12, v31, v12, s[6:7]
	v_alignbit_b32 v28, v14, v27, v29
	v_cndmask_b32_e64 v14, v28, v14, s[6:7]
	v_bfe_u32 v32, v12, 29, 1
	v_cndmask_b32_e32 v26, v30, v26, vcc
	v_alignbit_b32 v28, v12, v14, 30
	v_sub_u32_e32 v33, 0, v32
	v_cndmask_b32_e64 v25, v25, v26, s[0:1]
	v_xor_b32_e32 v34, v28, v33
	v_cndmask_b32_e64 v13, v13, v25, s[2:3]
	v_alignbit_b32 v25, v27, v13, v29
	v_ffbh_u32_e32 v26, v34
	v_cndmask_b32_e64 v25, v25, v27, s[6:7]
	v_add_u32_e32 v26, 1, v26
	v_cmp_ne_u32_e32 vcc, v28, v33
	v_alignbit_b32 v14, v14, v25, 30
	v_cndmask_b32_e32 v26, 33, v26, vcc
	v_alignbit_b32 v13, v25, v13, 30
	v_xor_b32_e32 v14, v14, v33
	v_sub_u32_e32 v27, 32, v26
	v_xor_b32_e32 v13, v13, v33
	v_alignbit_b32 v28, v34, v14, v27
	v_alignbit_b32 v13, v14, v13, v27
	;; [unrolled: 1-line block ×3, first 2 shown]
	v_ffbh_u32_e32 v25, v14
	v_min_u32_e32 v25, 32, v25
	v_lshrrev_b32_e32 v31, 29, v12
	v_sub_u32_e32 v27, 31, v25
	v_alignbit_b32 v13, v14, v13, v27
	v_lshlrev_b32_e32 v14, 31, v31
	v_or_b32_e32 v27, 0x33800000, v14
	v_add_lshl_u32 v25, v25, v26, 23
	v_lshrrev_b32_e32 v13, 9, v13
	v_sub_u32_e32 v25, v27, v25
	v_or_b32_e32 v13, v25, v13
	v_alignbit_b32 v25, v26, v28, 9
	v_or_b32_e32 v14, v25, v14
	v_xor_b32_e32 v14, 1.0, v14
	v_mul_f32_e32 v25, 0x3fc90fda, v14
	v_fma_f32 v26, v14, s52, -v25
	v_fmac_f32_e32 v26, 0x33a22168, v14
	v_fmac_f32_e32 v26, 0x3fc90fda, v13
	v_lshrrev_b32_e32 v12, 30, v12
	v_add_f32_e32 v25, v25, v26
	v_add_u32_e32 v14, v32, v12
                                        ; implicit-def: $vgpr26
	s_andn2_saveexec_b64 s[0:1], s[28:29]
	s_cbranch_execnz .LBB133_171
	s_branch .LBB133_172
.LBB133_170:                            ;   in Loop: Header=BB133_4 Depth=1
	s_andn2_saveexec_b64 s[0:1], s[28:29]
.LBB133_171:                            ;   in Loop: Header=BB133_4 Depth=1
	v_cvt_i32_f32_e32 v14, v26
	v_fma_f32 v25, v26, s54, |v5|
	v_fmac_f32_e32 v25, 0xb3a22168, v26
	v_fmac_f32_e32 v25, 0xa7c234c4, v26
.LBB133_172:                            ;   in Loop: Header=BB133_4 Depth=1
	s_or_b64 exec, exec, s[0:1]
	v_mul_f32_e32 v12, v4, v4
	v_mov_b32_e32 v13, 0x3c0881c4
	v_fmac_f32_e32 v13, 0xb94c1982, v12
	v_fma_f32 v13, v12, v13, v1
	v_mul_f32_e32 v13, v12, v13
	v_fmac_f32_e32 v4, v4, v13
	v_mov_b32_e32 v13, 0xbab64f3b
	v_fmac_f32_e32 v13, 0x37d75334, v12
	v_fma_f32 v13, v12, v13, v17
	v_fma_f32 v13, v12, v13, v20
	v_fma_f32 v12, v12, v13, 1.0
	v_and_b32_e32 v13, 1, v3
	v_cmp_eq_u32_e32 vcc, 0, v13
	v_lshlrev_b32_e32 v3, 30, v3
	v_cndmask_b32_e64 v4, -v4, v12, vcc
	v_and_b32_e32 v3, 0x80000000, v3
	v_xor_b32_e32 v3, v3, v4
	v_cmp_class_f32_e64 vcc, v5, s59
	v_cndmask_b32_e32 v12, v24, v3, vcc
	v_mul_f32_e32 v3, v25, v25
	v_mov_b32_e32 v4, 0x3c0881c4
	v_fmac_f32_e32 v4, 0xb94c1982, v3
	v_fma_f32 v4, v3, v4, v1
	v_mul_f32_e32 v4, v3, v4
	v_fmac_f32_e32 v25, v25, v4
	v_mov_b32_e32 v4, 0xbab64f3b
	v_fmac_f32_e32 v4, 0x37d75334, v3
	v_fma_f32 v4, v3, v4, v17
	v_fma_f32 v4, v3, v4, v20
	v_fma_f32 v3, v3, v4, 1.0
	v_and_b32_e32 v4, 1, v14
	v_cmp_eq_u32_e64 s[0:1], 0, v4
	v_lshlrev_b32_e32 v4, 30, v14
	v_cndmask_b32_e64 v3, v3, v25, s[0:1]
	v_and_or_b32 v2, v4, s58, v2
	v_xor_b32_e32 v2, v2, v3
	v_xor_b32_e32 v2, v2, v5
	v_cndmask_b32_e32 v13, v24, v2, vcc
.LBB133_173:                            ;   in Loop: Header=BB133_4 Depth=1
	s_or_b64 exec, exec, s[26:27]
                                        ; implicit-def: $vgpr2_vgpr3_vgpr4_vgpr5
.LBB133_174:                            ;   in Loop: Header=BB133_4 Depth=1
	s_andn2_saveexec_b64 s[0:1], s[24:25]
	s_cbranch_execz .LBB133_3
; %bb.175:                              ;   in Loop: Header=BB133_4 Depth=1
	v_mul_f32_e32 v2, 0x3fb8aa3b, v4
	v_rndne_f32_e32 v3, v2
	v_sub_f32_e32 v12, v2, v3
	v_fma_f32 v2, v4, s55, -v2
	v_fmac_f32_e32 v2, 0x32a5705f, v4
	v_add_f32_e32 v2, v12, v2
	v_cvt_i32_f32_e32 v3, v3
	v_exp_f32_e32 v2, v2
	v_cmp_ngt_f32_e32 vcc, s56, v4
	v_mov_b32_e32 v13, v5
	v_ldexp_f32 v2, v2, v3
	v_cndmask_b32_e32 v2, 0, v2, vcc
	v_cmp_nlt_f32_e32 vcc, s57, v4
	v_cndmask_b32_e32 v12, v23, v2, vcc
	s_branch .LBB133_3
.LBB133_176:
	s_or_b64 exec, exec, s[18:19]
	s_mov_b64 s[0:1], 0
.LBB133_177:
	s_andn2_b64 vcc, exec, s[0:1]
	s_cbranch_vccnz .LBB133_373
; %bb.178:
	v_cmp_lt_i64_e64 s[0:1], s[16:17], 1
	s_and_b64 vcc, exec, s[0:1]
	s_cbranch_vccnz .LBB133_373
; %bb.179:
	s_load_dword s0, s[4:5], 0xc5c
	v_mov_b32_e32 v2, 0x10000
	v_mov_b32_e32 v3, 0
	v_cmp_lt_u64_e32 vcc, s[16:17], v[2:3]
	v_lshlrev_b32_e32 v10, 3, v0
	s_waitcnt lgkmcnt(0)
	s_and_b32 s38, s0, 0xffff
	s_and_b64 s[0:1], vcc, exec
	v_mov_b32_e32 v17, s9
	v_add_co_u32_e32 v2, vcc, s8, v10
	v_addc_co_u32_e32 v3, vcc, 0, v17, vcc
	v_mov_b32_e32 v14, s11
	v_add_co_u32_e32 v4, vcc, s10, v10
	v_mov_b32_e32 v1, 0
	v_addc_co_u32_e32 v5, vcc, 0, v14, vcc
	v_mov_b32_e32 v11, v1
	v_add_co_u32_e32 v4, vcc, 4, v4
	v_addc_co_u32_e32 v5, vcc, 0, v5, vcc
	v_mad_u64_u32 v[8:9], s[0:1], s38, 24, v[10:11]
	v_add_co_u32_e32 v6, vcc, s8, v8
	v_addc_co_u32_e32 v7, vcc, v17, v9, vcc
	v_add_co_u32_e32 v8, vcc, s10, v8
	v_addc_co_u32_e32 v9, vcc, v9, v14, vcc
	v_add_co_u32_e32 v8, vcc, 4, v8
	s_cselect_b32 s19, s17, 0
	s_cselect_b32 s18, s16, 0x10000
	v_addc_co_u32_e32 v9, vcc, 0, v9, vcc
	s_lshl_b32 s0, s38, 4
	v_add_co_u32_e32 v15, vcc, s0, v10
	v_addc_co_u32_e64 v16, s[0:1], 0, 0, vcc
	v_add_co_u32_e32 v10, vcc, s8, v15
	v_addc_co_u32_e32 v11, vcc, v17, v16, vcc
	v_add_lshl_u32 v18, v0, s38, 3
	v_mov_b32_e32 v13, s11
	v_add_co_u32_e32 v12, vcc, s10, v18
	v_addc_co_u32_e32 v13, vcc, 0, v13, vcc
	v_add_co_u32_e32 v15, vcc, s10, v15
	v_addc_co_u32_e32 v16, vcc, v16, v14, vcc
	v_add_co_u32_e32 v14, vcc, 4, v15
	s_mov_b32 s33, 0
	v_addc_co_u32_e32 v15, vcc, 0, v16, vcc
	s_lshl_b32 s20, s38, 2
	s_mov_b32 s21, s33
	v_add_co_u32_e32 v16, vcc, s8, v18
	s_lshl_b32 s39, s38, 1
	s_mov_b32 s40, s33
	s_mul_i32 s41, s38, 3
	s_mov_b32 s42, s33
	s_lshl_b32 s43, s38, 5
	s_mov_b32 s44, s33
	v_addc_co_u32_e32 v17, vcc, 0, v17, vcc
	s_mov_b32 s45, 0x7f800000
	s_mov_b32 s46, 0x8e8e5c
	s_brev_b32 s47, 18
	s_mov_b32 s48, 0xfe5163ab
	s_mov_b32 s49, 0x3c439041
	;; [unrolled: 1-line block ×13, first 2 shown]
	v_mov_b32_e32 v30, 0xbe2aaa9d
	v_mov_b32_e32 v31, 0x3d2aabf7
	v_mov_b32_e32 v32, 0xbf000004
	s_brev_b32 s61, 1
	s_movk_i32 s62, 0x1f8
	v_not_b32_e32 v33, 63
	v_not_b32_e32 v34, 31
	v_mov_b32_e32 v35, 0x7f800000
	v_mov_b32_e32 v36, 0x7fc00000
	v_pk_mov_b32 v[18:19], v[0:1], v[0:1] op_sel:[0,1]
	s_mov_b64 s[22:23], s[20:21]
	s_branch .LBB133_181
.LBB133_180:                            ;   in Loop: Header=BB133_181 Depth=1
	s_or_b64 exec, exec, s[0:1]
	v_pk_mov_b32 v[20:21], s[16:17], s[16:17] op_sel:[0,1]
	v_cmp_ge_i64_e32 vcc, s[22:23], v[20:21]
	v_mov_b32_e32 v20, 0xffff
	v_mov_b32_e32 v21, 0
	v_cmp_gt_u64_e64 s[0:1], s[22:23], v[20:21]
	s_or_b64 s[0:1], vcc, s[0:1]
	v_mov_b32_e32 v0, s44
	v_add_co_u32_e32 v2, vcc, s43, v2
	v_addc_co_u32_e32 v3, vcc, v3, v0, vcc
	v_mov_b32_e32 v20, s21
	v_add_co_u32_e32 v18, vcc, s20, v18
	v_addc_co_u32_e32 v19, vcc, v19, v20, vcc
	v_add_co_u32_e32 v4, vcc, s43, v4
	v_addc_co_u32_e32 v5, vcc, v5, v0, vcc
	v_add_co_u32_e32 v6, vcc, s43, v6
	v_addc_co_u32_e32 v7, vcc, v7, v0, vcc
	v_add_co_u32_e32 v8, vcc, s43, v8
	v_addc_co_u32_e32 v9, vcc, v9, v0, vcc
	v_add_co_u32_e32 v10, vcc, s43, v10
	v_addc_co_u32_e32 v11, vcc, v11, v0, vcc
	v_add_co_u32_e32 v12, vcc, s43, v12
	v_addc_co_u32_e32 v13, vcc, v13, v0, vcc
	v_add_co_u32_e32 v14, vcc, s43, v14
	v_addc_co_u32_e32 v15, vcc, v15, v0, vcc
	v_add_co_u32_e32 v16, vcc, s43, v16
	s_add_u32 s22, s22, s20
	v_addc_co_u32_e32 v17, vcc, v17, v0, vcc
	s_addc_u32 s23, s23, 0
	s_and_b64 vcc, exec, s[0:1]
	s_cbranch_vccnz .LBB133_373
.LBB133_181:                            ; =>This Inner Loop Header: Depth=1
	v_cmp_gt_u64_e32 vcc, s[18:19], v[18:19]
	v_mov_b32_e32 v26, 0
	v_mov_b32_e32 v27, 0
	s_and_saveexec_b64 s[2:3], vcc
	s_cbranch_execz .LBB133_183
; %bb.182:                              ;   in Loop: Header=BB133_181 Depth=1
	v_mov_b32_e32 v0, s15
	v_add_co_u32_e64 v20, s[0:1], s14, v2
	v_addc_co_u32_e64 v21, s[0:1], v3, v0, s[0:1]
	global_load_dwordx2 v[26:27], v[20:21], off
.LBB133_183:                            ;   in Loop: Header=BB133_181 Depth=1
	s_or_b64 exec, exec, s[2:3]
	v_mov_b32_e32 v0, s33
	v_add_co_u32_e64 v20, s[0:1], s38, v18
	v_addc_co_u32_e64 v21, s[0:1], v0, v19, s[0:1]
	v_cmp_gt_u64_e64 s[0:1], s[18:19], v[20:21]
	v_mov_b32_e32 v24, 0
	v_mov_b32_e32 v28, 0
	;; [unrolled: 1-line block ×3, first 2 shown]
	s_and_saveexec_b64 s[4:5], s[0:1]
	s_cbranch_execz .LBB133_185
; %bb.184:                              ;   in Loop: Header=BB133_181 Depth=1
	v_mov_b32_e32 v0, s15
	v_add_co_u32_e64 v20, s[2:3], s14, v16
	v_addc_co_u32_e64 v21, s[2:3], v17, v0, s[2:3]
	global_load_dwordx2 v[28:29], v[20:21], off
.LBB133_185:                            ;   in Loop: Header=BB133_181 Depth=1
	s_or_b64 exec, exec, s[4:5]
	v_mov_b32_e32 v0, s40
	v_add_co_u32_e64 v20, s[2:3], s39, v18
	v_addc_co_u32_e64 v21, s[2:3], v0, v19, s[2:3]
	v_cmp_gt_u64_e64 s[2:3], s[18:19], v[20:21]
	v_mov_b32_e32 v25, 0
	s_and_saveexec_b64 s[6:7], s[2:3]
	s_cbranch_execz .LBB133_187
; %bb.186:                              ;   in Loop: Header=BB133_181 Depth=1
	v_mov_b32_e32 v0, s15
	v_add_co_u32_e64 v20, s[4:5], s14, v10
	v_addc_co_u32_e64 v21, s[4:5], v11, v0, s[4:5]
	global_load_dwordx2 v[24:25], v[20:21], off
.LBB133_187:                            ;   in Loop: Header=BB133_181 Depth=1
	s_or_b64 exec, exec, s[6:7]
	v_mov_b32_e32 v0, s42
	v_add_co_u32_e64 v20, s[4:5], s41, v18
	v_addc_co_u32_e64 v21, s[4:5], v0, v19, s[4:5]
	v_cmp_gt_u64_e64 s[4:5], s[18:19], v[20:21]
	v_mov_b32_e32 v20, 0
	v_mov_b32_e32 v21, 0
	s_and_saveexec_b64 s[8:9], s[4:5]
	s_cbranch_execz .LBB133_189
; %bb.188:                              ;   in Loop: Header=BB133_181 Depth=1
	v_mov_b32_e32 v0, s15
	v_add_co_u32_e64 v20, s[6:7], s14, v6
	v_addc_co_u32_e64 v21, s[6:7], v7, v0, s[6:7]
	global_load_dwordx2 v[20:21], v[20:21], off
.LBB133_189:                            ;   in Loop: Header=BB133_181 Depth=1
	s_or_b64 exec, exec, s[8:9]
	s_waitcnt vmcnt(0)
	v_and_b32_e32 v37, 0x7fffffff, v27
	v_cmp_ne_u32_e64 s[6:7], 0, v37
                                        ; implicit-def: $vgpr23
	s_and_saveexec_b64 s[8:9], s[6:7]
	s_xor_b64 s[24:25], exec, s[8:9]
	s_cbranch_execz .LBB133_230
; %bb.190:                              ;   in Loop: Header=BB133_181 Depth=1
	v_and_b32_e32 v0, 0x7fffffff, v26
	v_cmp_ne_u32_e64 s[6:7], 0, v0
                                        ; implicit-def: $vgpr23
	s_and_saveexec_b64 s[8:9], s[6:7]
	s_xor_b64 s[26:27], exec, s[8:9]
	s_cbranch_execz .LBB133_219
; %bb.191:                              ;   in Loop: Header=BB133_181 Depth=1
	v_cmp_gt_u32_e64 s[6:7], s45, v37
                                        ; implicit-def: $vgpr23
	s_and_saveexec_b64 s[8:9], s[6:7]
	s_xor_b64 s[28:29], exec, s[8:9]
	s_cbranch_execz .LBB133_212
; %bb.192:                              ;   in Loop: Header=BB133_181 Depth=1
	v_add_u32_e32 v0, 0xbd4e8de8, v26
	v_cmp_lt_u32_e64 s[6:7], s46, v0
                                        ; implicit-def: $vgpr23
	s_and_saveexec_b64 s[8:9], s[6:7]
	s_xor_b64 s[30:31], exec, s[8:9]
	s_cbranch_execz .LBB133_202
; %bb.193:                              ;   in Loop: Header=BB133_181 Depth=1
	v_cmp_nlt_f32_e64 s[34:35], |v27|, s47
                                        ; implicit-def: $vgpr22
                                        ; implicit-def: $vgpr23
	s_and_saveexec_b64 s[6:7], s[34:35]
	s_xor_b64 s[36:37], exec, s[6:7]
	s_cbranch_execz .LBB133_195
; %bb.194:                              ;   in Loop: Header=BB133_181 Depth=1
	v_lshrrev_b32_e32 v0, 23, v37
	v_add_u32_e32 v0, 0xffffff88, v0
	v_cmp_lt_u32_e64 s[6:7], 63, v0
	v_cndmask_b32_e64 v22, 0, v33, s[6:7]
	v_add_u32_e32 v0, v22, v0
	v_cmp_lt_u32_e64 s[8:9], 31, v0
	v_cndmask_b32_e64 v22, 0, v34, s[8:9]
	;; [unrolled: 3-line block ×3, first 2 shown]
	v_add_u32_e32 v50, v22, v0
	v_and_b32_e32 v0, 0x7fffff, v37
	v_or_b32_e32 v48, 0x800000, v0
	v_mad_u64_u32 v[22:23], s[12:13], v48, s48, 0
	v_mov_b32_e32 v0, v23
	v_mad_u64_u32 v[38:39], s[12:13], v48, s49, v[0:1]
	v_mov_b32_e32 v0, v39
	;; [unrolled: 2-line block ×6, first 2 shown]
	v_mad_u64_u32 v[48:49], s[12:13], v48, s54, v[0:1]
	v_cndmask_b32_e64 v23, v46, v42, s[6:7]
	v_cndmask_b32_e64 v0, v48, v44, s[6:7]
	;; [unrolled: 1-line block ×10, first 2 shown]
	v_sub_u32_e32 v43, 32, v50
	v_cndmask_b32_e64 v41, v41, v38, s[8:9]
	v_alignbit_b32 v44, v0, v39, v43
	v_cmp_eq_u32_e64 s[12:13], 0, v50
	v_cndmask_b32_e64 v23, v23, v41, s[10:11]
	v_cndmask_b32_e64 v22, v40, v22, s[6:7]
	;; [unrolled: 1-line block ×3, first 2 shown]
	v_alignbit_b32 v42, v39, v23, v43
	v_cndmask_b32_e64 v22, v38, v22, s[8:9]
	v_cndmask_b32_e64 v39, v42, v39, s[12:13]
	v_bfe_u32 v45, v0, 29, 1
	v_cndmask_b32_e64 v22, v41, v22, s[10:11]
	v_alignbit_b32 v42, v0, v39, 30
	v_sub_u32_e32 v46, 0, v45
	v_alignbit_b32 v38, v23, v22, v43
	v_xor_b32_e32 v47, v42, v46
	v_cndmask_b32_e64 v23, v38, v23, s[12:13]
	v_alignbit_b32 v38, v39, v23, 30
	v_ffbh_u32_e32 v39, v47
	v_add_u32_e32 v39, 1, v39
	v_cmp_ne_u32_e64 s[6:7], v42, v46
	v_cndmask_b32_e64 v39, 33, v39, s[6:7]
	v_alignbit_b32 v22, v23, v22, 30
	v_xor_b32_e32 v38, v38, v46
	v_sub_u32_e32 v40, 32, v39
	v_xor_b32_e32 v22, v22, v46
	v_alignbit_b32 v41, v47, v38, v40
	v_alignbit_b32 v22, v38, v22, v40
	;; [unrolled: 1-line block ×3, first 2 shown]
	v_ffbh_u32_e32 v38, v23
	v_min_u32_e32 v38, 32, v38
	v_lshrrev_b32_e32 v44, 29, v0
	v_sub_u32_e32 v40, 31, v38
	v_alignbit_b32 v22, v23, v22, v40
	v_lshlrev_b32_e32 v23, 31, v44
	v_or_b32_e32 v40, 0x33800000, v23
	v_add_lshl_u32 v38, v38, v39, 23
	v_lshrrev_b32_e32 v22, 9, v22
	v_sub_u32_e32 v38, v40, v38
	v_or_b32_e32 v22, v38, v22
	v_alignbit_b32 v38, v39, v41, 9
	v_or_b32_e32 v23, v38, v23
	v_xor_b32_e32 v23, 1.0, v23
	v_mul_f32_e32 v38, 0x3fc90fda, v23
	v_fma_f32 v39, v23, s55, -v38
	v_fmac_f32_e32 v39, 0x33a22168, v23
	v_fmac_f32_e32 v39, 0x3fc90fda, v22
	v_lshrrev_b32_e32 v0, 30, v0
	v_add_f32_e32 v23, v38, v39
	v_add_u32_e32 v22, v45, v0
	s_andn2_saveexec_b64 s[6:7], s[36:37]
	s_branch .LBB133_196
.LBB133_195:                            ;   in Loop: Header=BB133_181 Depth=1
	s_andn2_saveexec_b64 s[6:7], s[36:37]
.LBB133_196:                            ;   in Loop: Header=BB133_181 Depth=1
	v_mul_f32_e64 v0, |v27|, s56
	v_rndne_f32_e32 v0, v0
	v_cvt_i32_f32_e32 v22, v0
	v_fma_f32 v23, v0, s57, |v27|
	v_fmac_f32_e32 v23, 0xb3a22168, v0
	v_fmac_f32_e32 v23, 0xa7c234c4, v0
; %bb.197:                              ;   in Loop: Header=BB133_181 Depth=1
	s_or_b64 exec, exec, s[6:7]
                                        ; implicit-def: $vgpr0
                                        ; implicit-def: $vgpr38
	s_and_saveexec_b64 s[6:7], s[34:35]
	s_xor_b64 s[34:35], exec, s[6:7]
	s_cbranch_execz .LBB133_199
; %bb.198:                              ;   in Loop: Header=BB133_181 Depth=1
	v_lshrrev_b32_e32 v0, 23, v37
	v_add_u32_e32 v0, 0xffffff88, v0
	v_cmp_lt_u32_e64 s[6:7], 63, v0
	v_cndmask_b32_e64 v38, 0, v33, s[6:7]
	v_add_u32_e32 v0, v38, v0
	v_cmp_lt_u32_e64 s[8:9], 31, v0
	v_cndmask_b32_e64 v38, 0, v34, s[8:9]
	;; [unrolled: 3-line block ×3, first 2 shown]
	v_add_u32_e32 v52, v38, v0
	v_and_b32_e32 v0, 0x7fffff, v37
	v_or_b32_e32 v50, 0x800000, v0
	v_mad_u64_u32 v[38:39], s[12:13], v50, s48, 0
	v_mov_b32_e32 v0, v39
	v_mad_u64_u32 v[40:41], s[12:13], v50, s49, v[0:1]
	v_mov_b32_e32 v0, v41
	v_mad_u64_u32 v[42:43], s[12:13], v50, s50, v[0:1]
	v_mov_b32_e32 v0, v43
	v_mad_u64_u32 v[44:45], s[12:13], v50, s51, v[0:1]
	v_mov_b32_e32 v0, v45
	v_mad_u64_u32 v[46:47], s[12:13], v50, s52, v[0:1]
	v_mov_b32_e32 v0, v47
	v_mad_u64_u32 v[48:49], s[12:13], v50, s53, v[0:1]
	v_mov_b32_e32 v0, v49
	v_mad_u64_u32 v[50:51], s[12:13], v50, s54, v[0:1]
	v_cndmask_b32_e64 v39, v48, v44, s[6:7]
	v_cndmask_b32_e64 v0, v50, v46, s[6:7]
	;; [unrolled: 1-line block ×10, first 2 shown]
	v_sub_u32_e32 v45, 32, v52
	v_cndmask_b32_e64 v43, v43, v40, s[8:9]
	v_alignbit_b32 v46, v0, v41, v45
	v_cmp_eq_u32_e64 s[12:13], 0, v52
	v_cndmask_b32_e64 v39, v39, v43, s[10:11]
	v_cndmask_b32_e64 v38, v42, v38, s[6:7]
	;; [unrolled: 1-line block ×3, first 2 shown]
	v_alignbit_b32 v44, v41, v39, v45
	v_cndmask_b32_e64 v38, v40, v38, s[8:9]
	v_cndmask_b32_e64 v41, v44, v41, s[12:13]
	v_bfe_u32 v47, v0, 29, 1
	v_cndmask_b32_e64 v38, v43, v38, s[10:11]
	v_alignbit_b32 v44, v0, v41, 30
	v_sub_u32_e32 v48, 0, v47
	v_alignbit_b32 v40, v39, v38, v45
	v_xor_b32_e32 v49, v44, v48
	v_cndmask_b32_e64 v39, v40, v39, s[12:13]
	v_alignbit_b32 v40, v41, v39, 30
	v_ffbh_u32_e32 v41, v49
	v_add_u32_e32 v41, 1, v41
	v_cmp_ne_u32_e64 s[6:7], v44, v48
	v_cndmask_b32_e64 v41, 33, v41, s[6:7]
	v_alignbit_b32 v38, v39, v38, 30
	v_xor_b32_e32 v40, v40, v48
	v_sub_u32_e32 v42, 32, v41
	v_xor_b32_e32 v38, v38, v48
	v_alignbit_b32 v43, v49, v40, v42
	v_alignbit_b32 v38, v40, v38, v42
	;; [unrolled: 1-line block ×3, first 2 shown]
	v_ffbh_u32_e32 v40, v39
	v_min_u32_e32 v40, 32, v40
	v_lshrrev_b32_e32 v46, 29, v0
	v_sub_u32_e32 v42, 31, v40
	v_alignbit_b32 v38, v39, v38, v42
	v_lshlrev_b32_e32 v39, 31, v46
	v_or_b32_e32 v42, 0x33800000, v39
	v_add_lshl_u32 v40, v40, v41, 23
	v_lshrrev_b32_e32 v38, 9, v38
	v_sub_u32_e32 v40, v42, v40
	v_or_b32_e32 v38, v40, v38
	v_alignbit_b32 v40, v41, v43, 9
	v_or_b32_e32 v39, v40, v39
	v_xor_b32_e32 v39, 1.0, v39
	v_mul_f32_e32 v40, 0x3fc90fda, v39
	v_fma_f32 v41, v39, s55, -v40
	v_fmac_f32_e32 v41, 0x33a22168, v39
	v_fmac_f32_e32 v41, 0x3fc90fda, v38
	v_lshrrev_b32_e32 v0, 30, v0
	v_add_f32_e32 v38, v40, v41
	v_add_u32_e32 v0, v47, v0
	s_andn2_saveexec_b64 s[6:7], s[34:35]
	s_cbranch_execnz .LBB133_200
	s_branch .LBB133_201
.LBB133_199:                            ;   in Loop: Header=BB133_181 Depth=1
	s_andn2_saveexec_b64 s[6:7], s[34:35]
.LBB133_200:                            ;   in Loop: Header=BB133_181 Depth=1
	v_mul_f32_e64 v0, |v27|, s56
	v_rndne_f32_e32 v39, v0
	v_cvt_i32_f32_e32 v0, v39
	v_fma_f32 v38, v39, s57, |v27|
	v_fmac_f32_e32 v38, 0xb3a22168, v39
	v_fmac_f32_e32 v38, 0xa7c234c4, v39
.LBB133_201:                            ;   in Loop: Header=BB133_181 Depth=1
	s_or_b64 exec, exec, s[6:7]
	v_mul_f32_e32 v39, 0x3fb8aa3b, v26
	v_rndne_f32_e32 v40, v39
	v_sub_f32_e32 v41, v39, v40
	v_fma_f32 v39, v26, s58, -v39
	v_fmac_f32_e32 v39, 0x32a5705f, v26
	v_add_f32_e32 v39, v41, v39
	v_cvt_i32_f32_e32 v40, v40
	v_exp_f32_e32 v39, v39
	v_cmp_ngt_f32_e64 s[6:7], s59, v26
	v_ldexp_f32 v39, v39, v40
	v_cndmask_b32_e64 v39, 0, v39, s[6:7]
	v_cmp_nlt_f32_e64 s[6:7], s60, v26
	v_cndmask_b32_e64 v26, v35, v39, s[6:7]
	v_mul_f32_e32 v39, v23, v23
	v_mov_b32_e32 v40, 0x3c0881c4
	v_fmac_f32_e32 v40, 0xb94c1982, v39
	v_fma_f32 v40, v39, v40, v30
	v_mul_f32_e32 v40, v39, v40
	v_fmac_f32_e32 v23, v23, v40
	v_mov_b32_e32 v40, 0xbab64f3b
	v_fmac_f32_e32 v40, 0x37d75334, v39
	v_fma_f32 v40, v39, v40, v31
	v_fma_f32 v40, v39, v40, v32
	v_fma_f32 v39, v39, v40, 1.0
	v_and_b32_e32 v40, 1, v22
	v_cmp_eq_u32_e64 s[6:7], 0, v40
	v_lshlrev_b32_e32 v22, 30, v22
	v_cndmask_b32_e64 v23, -v23, v39, s[6:7]
	v_and_b32_e32 v22, 0x80000000, v22
	v_xor_b32_e32 v22, v22, v23
	v_mul_f32_e32 v23, v38, v38
	v_mov_b32_e32 v39, 0x3c0881c4
	v_fmac_f32_e32 v39, 0xb94c1982, v23
	v_fma_f32 v39, v23, v39, v30
	v_mul_f32_e32 v39, v23, v39
	v_fmac_f32_e32 v38, v38, v39
	v_mov_b32_e32 v39, 0xbab64f3b
	v_fmac_f32_e32 v39, 0x37d75334, v23
	v_fma_f32 v39, v23, v39, v31
	v_fma_f32 v39, v23, v39, v32
	v_fma_f32 v23, v23, v39, 1.0
	v_and_b32_e32 v39, 1, v0
	v_cmp_eq_u32_e64 s[8:9], 0, v39
	v_lshlrev_b32_e32 v0, 30, v0
	v_cndmask_b32_e64 v23, v23, v38, s[8:9]
	v_and_or_b32 v0, v0, s61, v37
	v_xor_b32_e32 v0, v0, v23
	v_cmp_class_f32_e64 s[6:7], v27, s62
	v_xor_b32_e32 v0, v0, v27
	v_cndmask_b32_e64 v22, v36, v22, s[6:7]
	v_cndmask_b32_e64 v0, v36, v0, s[6:7]
	v_mul_f32_e32 v22, v26, v22
	v_mul_f32_e32 v23, v26, v0
                                        ; implicit-def: $vgpr27
                                        ; implicit-def: $vgpr37
.LBB133_202:                            ;   in Loop: Header=BB133_181 Depth=1
	s_andn2_saveexec_b64 s[30:31], s[30:31]
	s_cbranch_execz .LBB133_238
; %bb.203:                              ;   in Loop: Header=BB133_181 Depth=1
	v_cmp_nlt_f32_e64 s[34:35], |v27|, s47
                                        ; implicit-def: $vgpr23
                                        ; implicit-def: $vgpr22
	s_and_saveexec_b64 s[6:7], s[34:35]
	s_xor_b64 s[36:37], exec, s[6:7]
	s_cbranch_execz .LBB133_205
; %bb.204:                              ;   in Loop: Header=BB133_181 Depth=1
	v_lshrrev_b32_e32 v0, 23, v37
	v_add_u32_e32 v0, 0xffffff88, v0
	v_cmp_lt_u32_e64 s[6:7], 63, v0
	v_cndmask_b32_e64 v22, 0, v33, s[6:7]
	v_add_u32_e32 v0, v22, v0
	v_cmp_lt_u32_e64 s[8:9], 31, v0
	v_cndmask_b32_e64 v22, 0, v34, s[8:9]
	;; [unrolled: 3-line block ×3, first 2 shown]
	v_add_u32_e32 v50, v22, v0
	v_and_b32_e32 v0, 0x7fffff, v37
	v_or_b32_e32 v48, 0x800000, v0
	v_mad_u64_u32 v[22:23], s[12:13], v48, s48, 0
	v_mov_b32_e32 v0, v23
	v_mad_u64_u32 v[38:39], s[12:13], v48, s49, v[0:1]
	v_mov_b32_e32 v0, v39
	;; [unrolled: 2-line block ×6, first 2 shown]
	v_mad_u64_u32 v[48:49], s[12:13], v48, s54, v[0:1]
	v_cndmask_b32_e64 v23, v46, v42, s[6:7]
	v_cndmask_b32_e64 v0, v48, v44, s[6:7]
	;; [unrolled: 1-line block ×10, first 2 shown]
	v_sub_u32_e32 v43, 32, v50
	v_cndmask_b32_e64 v41, v41, v38, s[8:9]
	v_alignbit_b32 v44, v0, v39, v43
	v_cmp_eq_u32_e64 s[12:13], 0, v50
	v_cndmask_b32_e64 v23, v23, v41, s[10:11]
	v_cndmask_b32_e64 v22, v40, v22, s[6:7]
	;; [unrolled: 1-line block ×3, first 2 shown]
	v_alignbit_b32 v42, v39, v23, v43
	v_cndmask_b32_e64 v22, v38, v22, s[8:9]
	v_cndmask_b32_e64 v39, v42, v39, s[12:13]
	v_bfe_u32 v45, v0, 29, 1
	v_cndmask_b32_e64 v22, v41, v22, s[10:11]
	v_alignbit_b32 v42, v0, v39, 30
	v_sub_u32_e32 v46, 0, v45
	v_alignbit_b32 v38, v23, v22, v43
	v_xor_b32_e32 v47, v42, v46
	v_cndmask_b32_e64 v23, v38, v23, s[12:13]
	v_alignbit_b32 v38, v39, v23, 30
	v_ffbh_u32_e32 v39, v47
	v_add_u32_e32 v39, 1, v39
	v_cmp_ne_u32_e64 s[6:7], v42, v46
	v_cndmask_b32_e64 v39, 33, v39, s[6:7]
	v_alignbit_b32 v22, v23, v22, 30
	v_xor_b32_e32 v38, v38, v46
	v_sub_u32_e32 v40, 32, v39
	v_xor_b32_e32 v22, v22, v46
	v_alignbit_b32 v41, v47, v38, v40
	v_alignbit_b32 v22, v38, v22, v40
	;; [unrolled: 1-line block ×3, first 2 shown]
	v_ffbh_u32_e32 v38, v23
	v_min_u32_e32 v38, 32, v38
	v_lshrrev_b32_e32 v44, 29, v0
	v_sub_u32_e32 v40, 31, v38
	v_alignbit_b32 v22, v23, v22, v40
	v_lshlrev_b32_e32 v23, 31, v44
	v_or_b32_e32 v40, 0x33800000, v23
	v_add_lshl_u32 v38, v38, v39, 23
	v_lshrrev_b32_e32 v22, 9, v22
	v_sub_u32_e32 v38, v40, v38
	v_or_b32_e32 v22, v38, v22
	v_alignbit_b32 v38, v39, v41, 9
	v_or_b32_e32 v23, v38, v23
	v_xor_b32_e32 v23, 1.0, v23
	v_mul_f32_e32 v38, 0x3fc90fda, v23
	v_fma_f32 v39, v23, s55, -v38
	v_fmac_f32_e32 v39, 0x33a22168, v23
	v_fmac_f32_e32 v39, 0x3fc90fda, v22
	v_lshrrev_b32_e32 v0, 30, v0
	v_add_f32_e32 v22, v38, v39
	v_add_u32_e32 v23, v45, v0
	s_andn2_saveexec_b64 s[6:7], s[36:37]
	s_branch .LBB133_206
.LBB133_205:                            ;   in Loop: Header=BB133_181 Depth=1
	s_andn2_saveexec_b64 s[6:7], s[36:37]
.LBB133_206:                            ;   in Loop: Header=BB133_181 Depth=1
	v_mul_f32_e64 v0, |v27|, s56
	v_rndne_f32_e32 v0, v0
	v_cvt_i32_f32_e32 v23, v0
	v_fma_f32 v22, v0, s57, |v27|
	v_fmac_f32_e32 v22, 0xb3a22168, v0
	v_fmac_f32_e32 v22, 0xa7c234c4, v0
; %bb.207:                              ;   in Loop: Header=BB133_181 Depth=1
	s_or_b64 exec, exec, s[6:7]
                                        ; implicit-def: $vgpr0
                                        ; implicit-def: $vgpr38
	s_and_saveexec_b64 s[6:7], s[34:35]
	s_xor_b64 s[34:35], exec, s[6:7]
	s_cbranch_execz .LBB133_209
; %bb.208:                              ;   in Loop: Header=BB133_181 Depth=1
	v_lshrrev_b32_e32 v0, 23, v37
	v_add_u32_e32 v0, 0xffffff88, v0
	v_cmp_lt_u32_e64 s[6:7], 63, v0
	v_cndmask_b32_e64 v38, 0, v33, s[6:7]
	v_add_u32_e32 v0, v38, v0
	v_cmp_lt_u32_e64 s[8:9], 31, v0
	v_cndmask_b32_e64 v38, 0, v34, s[8:9]
	;; [unrolled: 3-line block ×3, first 2 shown]
	v_add_u32_e32 v52, v38, v0
	v_and_b32_e32 v0, 0x7fffff, v37
	v_or_b32_e32 v50, 0x800000, v0
	v_mad_u64_u32 v[38:39], s[12:13], v50, s48, 0
	v_mov_b32_e32 v0, v39
	v_mad_u64_u32 v[40:41], s[12:13], v50, s49, v[0:1]
	v_mov_b32_e32 v0, v41
	;; [unrolled: 2-line block ×6, first 2 shown]
	v_mad_u64_u32 v[50:51], s[12:13], v50, s54, v[0:1]
	v_cndmask_b32_e64 v39, v48, v44, s[6:7]
	v_cndmask_b32_e64 v0, v50, v46, s[6:7]
	v_cndmask_b32_e64 v43, v51, v48, s[6:7]
	v_cndmask_b32_e64 v41, v0, v39, s[8:9]
	v_cndmask_b32_e64 v0, v43, v0, s[8:9]
	v_cndmask_b32_e64 v43, v46, v42, s[6:7]
	v_cndmask_b32_e64 v39, v39, v43, s[8:9]
	v_cndmask_b32_e64 v40, v44, v40, s[6:7]
	v_cndmask_b32_e64 v0, v0, v41, s[10:11]
	v_cndmask_b32_e64 v41, v41, v39, s[10:11]
	v_sub_u32_e32 v45, 32, v52
	v_cndmask_b32_e64 v43, v43, v40, s[8:9]
	v_alignbit_b32 v46, v0, v41, v45
	v_cmp_eq_u32_e64 s[12:13], 0, v52
	v_cndmask_b32_e64 v39, v39, v43, s[10:11]
	v_cndmask_b32_e64 v38, v42, v38, s[6:7]
	;; [unrolled: 1-line block ×3, first 2 shown]
	v_alignbit_b32 v44, v41, v39, v45
	v_cndmask_b32_e64 v38, v40, v38, s[8:9]
	v_cndmask_b32_e64 v41, v44, v41, s[12:13]
	v_bfe_u32 v47, v0, 29, 1
	v_cndmask_b32_e64 v38, v43, v38, s[10:11]
	v_alignbit_b32 v44, v0, v41, 30
	v_sub_u32_e32 v48, 0, v47
	v_alignbit_b32 v40, v39, v38, v45
	v_xor_b32_e32 v49, v44, v48
	v_cndmask_b32_e64 v39, v40, v39, s[12:13]
	v_alignbit_b32 v40, v41, v39, 30
	v_ffbh_u32_e32 v41, v49
	v_add_u32_e32 v41, 1, v41
	v_cmp_ne_u32_e64 s[6:7], v44, v48
	v_cndmask_b32_e64 v41, 33, v41, s[6:7]
	v_alignbit_b32 v38, v39, v38, 30
	v_xor_b32_e32 v40, v40, v48
	v_sub_u32_e32 v42, 32, v41
	v_xor_b32_e32 v38, v38, v48
	v_alignbit_b32 v43, v49, v40, v42
	v_alignbit_b32 v38, v40, v38, v42
	;; [unrolled: 1-line block ×3, first 2 shown]
	v_ffbh_u32_e32 v40, v39
	v_min_u32_e32 v40, 32, v40
	v_lshrrev_b32_e32 v46, 29, v0
	v_sub_u32_e32 v42, 31, v40
	v_alignbit_b32 v38, v39, v38, v42
	v_lshlrev_b32_e32 v39, 31, v46
	v_or_b32_e32 v42, 0x33800000, v39
	v_add_lshl_u32 v40, v40, v41, 23
	v_lshrrev_b32_e32 v38, 9, v38
	v_sub_u32_e32 v40, v42, v40
	v_or_b32_e32 v38, v40, v38
	v_alignbit_b32 v40, v41, v43, 9
	v_or_b32_e32 v39, v40, v39
	v_xor_b32_e32 v39, 1.0, v39
	v_mul_f32_e32 v40, 0x3fc90fda, v39
	v_fma_f32 v41, v39, s55, -v40
	v_fmac_f32_e32 v41, 0x33a22168, v39
	v_fmac_f32_e32 v41, 0x3fc90fda, v38
	v_lshrrev_b32_e32 v0, 30, v0
	v_add_f32_e32 v38, v40, v41
	v_add_u32_e32 v0, v47, v0
	s_andn2_saveexec_b64 s[6:7], s[34:35]
	s_cbranch_execnz .LBB133_210
	s_branch .LBB133_211
.LBB133_209:                            ;   in Loop: Header=BB133_181 Depth=1
	s_andn2_saveexec_b64 s[6:7], s[34:35]
.LBB133_210:                            ;   in Loop: Header=BB133_181 Depth=1
	v_mul_f32_e64 v0, |v27|, s56
	v_rndne_f32_e32 v39, v0
	v_cvt_i32_f32_e32 v0, v39
	v_fma_f32 v38, v39, s57, |v27|
	v_fmac_f32_e32 v38, 0xb3a22168, v39
	v_fmac_f32_e32 v38, 0xa7c234c4, v39
.LBB133_211:                            ;   in Loop: Header=BB133_181 Depth=1
	s_or_b64 exec, exec, s[6:7]
	v_mul_f32_e32 v40, v22, v22
	v_mov_b32_e32 v41, 0xbab64f3b
	v_fmac_f32_e32 v41, 0x37d75334, v40
	v_mov_b32_e32 v42, 0x3c0881c4
	v_fma_f32 v41, v40, v41, v31
	v_fmac_f32_e32 v42, 0xb94c1982, v40
	v_lshlrev_b32_e32 v39, 30, v23
	v_and_b32_e32 v23, 1, v23
	v_fma_f32 v41, v40, v41, v32
	v_fma_f32 v42, v40, v42, v30
	v_fma_f32 v41, v40, v41, 1.0
	v_mul_f32_e32 v40, v40, v42
	v_cmp_eq_u32_e64 s[6:7], 0, v23
	v_add_f32_e32 v23, 0xc322e3bc, v26
	v_fmac_f32_e32 v22, v22, v40
	v_mul_f32_e32 v26, 0x3fb8aa3b, v23
	v_cndmask_b32_e64 v22, -v22, v41, s[6:7]
	v_fma_f32 v40, v23, s58, -v26
	v_rndne_f32_e32 v41, v26
	v_fmac_f32_e32 v40, 0x32a5705f, v23
	v_sub_f32_e32 v26, v26, v41
	v_add_f32_e32 v26, v26, v40
	v_exp_f32_e32 v26, v26
	v_cvt_i32_f32_e32 v40, v41
	v_cmp_ngt_f32_e64 s[8:9], s59, v23
	v_and_b32_e32 v39, 0x80000000, v39
	v_xor_b32_e32 v22, v39, v22
	v_ldexp_f32 v26, v26, v40
	v_cndmask_b32_e64 v26, 0, v26, s[8:9]
	v_cmp_nlt_f32_e64 s[8:9], s60, v23
	v_cndmask_b32_e64 v23, v35, v26, s[8:9]
	v_and_b32_e32 v26, 0x7fffff, v23
	v_lshrrev_b32_e32 v23, 23, v23
	v_subrev_u32_e32 v23, 19, v23
	v_lshrrev_b16_e32 v39, 15, v23
	v_add_u16_e32 v39, v23, v39
	v_ashrrev_i16_e32 v39, 1, v39
	v_bfe_i32 v39, v39, 0, 16
	v_lshl_add_u32 v40, v39, 23, 1.0
	v_sub_u32_e32 v23, v23, v39
	v_mul_f32_e32 v39, v38, v38
	v_mov_b32_e32 v41, 0x3c0881c4
	v_fmac_f32_e32 v41, 0xb94c1982, v39
	v_fma_f32 v41, v39, v41, v30
	v_mul_f32_e32 v41, v39, v41
	v_fmac_f32_e32 v38, v38, v41
	v_mov_b32_e32 v41, 0xbab64f3b
	v_fmac_f32_e32 v41, 0x37d75334, v39
	v_fma_f32 v41, v39, v41, v31
	v_fma_f32 v41, v39, v41, v32
	v_fma_f32 v39, v39, v41, 1.0
	v_and_b32_e32 v41, 1, v0
	v_cmp_eq_u32_e64 s[8:9], 0, v41
	v_lshlrev_b32_e32 v0, 30, v0
	v_cndmask_b32_e64 v38, v39, v38, s[8:9]
	v_and_or_b32 v0, v0, s61, v37
	v_xor_b32_e32 v0, v0, v38
	v_cmp_class_f32_e64 s[6:7], v27, s62
	v_xor_b32_e32 v0, v0, v27
	v_cndmask_b32_e64 v22, v36, v22, s[6:7]
	v_or_b32_e32 v26, 0x7f000000, v26
	v_cndmask_b32_e64 v0, v36, v0, s[6:7]
	v_mul_f32_e32 v22, v22, v26
	v_mul_f32_e32 v0, v0, v26
	;; [unrolled: 1-line block ×3, first 2 shown]
	v_lshl_add_u32 v23, v23, 23, 1.0
	v_mul_f32_e32 v0, v0, v40
	v_mul_f32_e32 v22, v22, v23
	;; [unrolled: 1-line block ×3, first 2 shown]
	s_or_b64 exec, exec, s[30:31]
                                        ; implicit-def: $vgpr26
                                        ; implicit-def: $vgpr0
.LBB133_212:                            ;   in Loop: Header=BB133_181 Depth=1
	s_andn2_saveexec_b64 s[8:9], s[28:29]
	s_cbranch_execz .LBB133_218
.LBB133_213:                            ;   in Loop: Header=BB133_181 Depth=1
	v_cmp_ne_u32_e64 s[6:7], s45, v0
                                        ; implicit-def: $vgpr23
	s_and_saveexec_b64 s[10:11], s[6:7]
	s_xor_b64 s[6:7], exec, s[10:11]
; %bb.214:                              ;   in Loop: Header=BB133_181 Depth=1
	v_sub_f32_e32 v23, v27, v27
                                        ; implicit-def: $vgpr26
; %bb.215:                              ;   in Loop: Header=BB133_181 Depth=1
	s_or_saveexec_b64 s[10:11], s[6:7]
	v_mov_b32_e32 v22, v23
	s_xor_b64 exec, exec, s[10:11]
; %bb.216:                              ;   in Loop: Header=BB133_181 Depth=1
	v_sub_f32_e32 v0, v27, v27
	v_cmp_lt_i32_e64 s[6:7], -1, v26
	v_cndmask_b32_e64 v22, 0, v26, s[6:7]
	v_cndmask_b32_e64 v23, 0, v0, s[6:7]
; %bb.217:                              ;   in Loop: Header=BB133_181 Depth=1
	s_or_b64 exec, exec, s[10:11]
.LBB133_218:                            ;   in Loop: Header=BB133_181 Depth=1
	s_or_b64 exec, exec, s[8:9]
                                        ; implicit-def: $vgpr27
                                        ; implicit-def: $vgpr37
.LBB133_219:                            ;   in Loop: Header=BB133_181 Depth=1
	s_andn2_saveexec_b64 s[26:27], s[26:27]
	s_cbranch_execz .LBB133_229
; %bb.220:                              ;   in Loop: Header=BB133_181 Depth=1
	v_cmp_nlt_f32_e64 s[28:29], |v27|, s47
                                        ; implicit-def: $vgpr22
                                        ; implicit-def: $vgpr23
	s_and_saveexec_b64 s[6:7], s[28:29]
	s_xor_b64 s[30:31], exec, s[6:7]
	s_cbranch_execz .LBB133_222
; %bb.221:                              ;   in Loop: Header=BB133_181 Depth=1
	v_lshrrev_b32_e32 v0, 23, v37
	v_add_u32_e32 v0, 0xffffff88, v0
	v_cmp_lt_u32_e64 s[6:7], 63, v0
	v_cndmask_b32_e64 v22, 0, v33, s[6:7]
	v_add_u32_e32 v0, v22, v0
	v_cmp_lt_u32_e64 s[8:9], 31, v0
	v_cndmask_b32_e64 v22, 0, v34, s[8:9]
	;; [unrolled: 3-line block ×3, first 2 shown]
	v_add_u32_e32 v26, v22, v0
	v_and_b32_e32 v0, 0x7fffff, v37
	v_or_b32_e32 v48, 0x800000, v0
	v_mad_u64_u32 v[22:23], s[12:13], v48, s48, 0
	v_mov_b32_e32 v0, v23
	v_mad_u64_u32 v[38:39], s[12:13], v48, s49, v[0:1]
	v_mov_b32_e32 v0, v39
	;; [unrolled: 2-line block ×6, first 2 shown]
	v_mad_u64_u32 v[48:49], s[12:13], v48, s54, v[0:1]
	v_cndmask_b32_e64 v23, v46, v42, s[6:7]
	v_cndmask_b32_e64 v0, v48, v44, s[6:7]
	;; [unrolled: 1-line block ×7, first 2 shown]
	v_sub_u32_e32 v43, 32, v26
	v_cmp_eq_u32_e64 s[12:13], 0, v26
	v_cndmask_b32_e64 v26, v42, v38, s[6:7]
	v_cndmask_b32_e64 v0, v0, v39, s[10:11]
	;; [unrolled: 1-line block ×4, first 2 shown]
	v_alignbit_b32 v44, v0, v39, v43
	v_cndmask_b32_e64 v23, v23, v38, s[10:11]
	v_cndmask_b32_e64 v0, v44, v0, s[12:13]
	v_alignbit_b32 v41, v39, v23, v43
	v_cndmask_b32_e64 v39, v41, v39, s[12:13]
	v_bfe_u32 v44, v0, 29, 1
	v_cndmask_b32_e64 v22, v40, v22, s[6:7]
	v_alignbit_b32 v41, v0, v39, 30
	v_sub_u32_e32 v45, 0, v44
	v_cndmask_b32_e64 v22, v26, v22, s[8:9]
	v_xor_b32_e32 v46, v41, v45
	v_cndmask_b32_e64 v22, v38, v22, s[10:11]
	v_alignbit_b32 v26, v23, v22, v43
	v_ffbh_u32_e32 v38, v46
	v_cndmask_b32_e64 v23, v26, v23, s[12:13]
	v_add_u32_e32 v38, 1, v38
	v_cmp_ne_u32_e64 s[6:7], v41, v45
	v_alignbit_b32 v26, v39, v23, 30
	v_cndmask_b32_e64 v38, 33, v38, s[6:7]
	v_alignbit_b32 v22, v23, v22, 30
	v_xor_b32_e32 v26, v26, v45
	v_sub_u32_e32 v39, 32, v38
	v_xor_b32_e32 v22, v22, v45
	v_alignbit_b32 v40, v46, v26, v39
	v_alignbit_b32 v22, v26, v22, v39
	;; [unrolled: 1-line block ×3, first 2 shown]
	v_ffbh_u32_e32 v26, v23
	v_min_u32_e32 v26, 32, v26
	v_lshrrev_b32_e32 v42, 29, v0
	v_sub_u32_e32 v39, 31, v26
	v_alignbit_b32 v22, v23, v22, v39
	v_lshlrev_b32_e32 v23, 31, v42
	v_or_b32_e32 v39, 0x33800000, v23
	v_add_lshl_u32 v26, v26, v38, 23
	v_lshrrev_b32_e32 v22, 9, v22
	v_sub_u32_e32 v26, v39, v26
	v_or_b32_e32 v22, v26, v22
	v_alignbit_b32 v26, v38, v40, 9
	v_or_b32_e32 v23, v26, v23
	v_xor_b32_e32 v23, 1.0, v23
	v_mul_f32_e32 v26, 0x3fc90fda, v23
	v_fma_f32 v38, v23, s55, -v26
	v_fmac_f32_e32 v38, 0x33a22168, v23
	v_fmac_f32_e32 v38, 0x3fc90fda, v22
	v_lshrrev_b32_e32 v0, 30, v0
	v_add_f32_e32 v23, v26, v38
	v_add_u32_e32 v22, v44, v0
	s_andn2_saveexec_b64 s[6:7], s[30:31]
	s_branch .LBB133_223
.LBB133_222:                            ;   in Loop: Header=BB133_181 Depth=1
	s_andn2_saveexec_b64 s[6:7], s[30:31]
.LBB133_223:                            ;   in Loop: Header=BB133_181 Depth=1
	v_mul_f32_e64 v0, |v27|, s56
	v_rndne_f32_e32 v0, v0
	v_cvt_i32_f32_e32 v22, v0
	v_fma_f32 v23, v0, s57, |v27|
	v_fmac_f32_e32 v23, 0xb3a22168, v0
	v_fmac_f32_e32 v23, 0xa7c234c4, v0
; %bb.224:                              ;   in Loop: Header=BB133_181 Depth=1
	s_or_b64 exec, exec, s[6:7]
                                        ; implicit-def: $vgpr0
                                        ; implicit-def: $vgpr26
	s_and_saveexec_b64 s[6:7], s[28:29]
	s_xor_b64 s[28:29], exec, s[6:7]
	s_cbranch_execz .LBB133_226
; %bb.225:                              ;   in Loop: Header=BB133_181 Depth=1
	v_lshrrev_b32_e32 v0, 23, v37
	v_add_u32_e32 v0, 0xffffff88, v0
	v_cmp_lt_u32_e64 s[6:7], 63, v0
	v_cndmask_b32_e64 v26, 0, v33, s[6:7]
	v_add_u32_e32 v0, v26, v0
	v_cmp_lt_u32_e64 s[8:9], 31, v0
	v_cndmask_b32_e64 v26, 0, v34, s[8:9]
	;; [unrolled: 3-line block ×3, first 2 shown]
	v_add_u32_e32 v26, v26, v0
	v_and_b32_e32 v0, 0x7fffff, v37
	v_or_b32_e32 v50, 0x800000, v0
	v_mad_u64_u32 v[38:39], s[12:13], v50, s48, 0
	v_mov_b32_e32 v0, v39
	v_mad_u64_u32 v[40:41], s[12:13], v50, s49, v[0:1]
	v_mov_b32_e32 v0, v41
	;; [unrolled: 2-line block ×6, first 2 shown]
	v_mad_u64_u32 v[50:51], s[12:13], v50, s54, v[0:1]
	v_cndmask_b32_e64 v39, v48, v44, s[6:7]
	v_cndmask_b32_e64 v0, v50, v46, s[6:7]
	;; [unrolled: 1-line block ×7, first 2 shown]
	v_sub_u32_e32 v45, 32, v26
	v_cmp_eq_u32_e64 s[12:13], 0, v26
	v_cndmask_b32_e64 v26, v44, v40, s[6:7]
	v_cndmask_b32_e64 v0, v0, v41, s[10:11]
	;; [unrolled: 1-line block ×4, first 2 shown]
	v_alignbit_b32 v46, v0, v41, v45
	v_cndmask_b32_e64 v39, v39, v40, s[10:11]
	v_cndmask_b32_e64 v0, v46, v0, s[12:13]
	v_alignbit_b32 v43, v41, v39, v45
	v_cndmask_b32_e64 v41, v43, v41, s[12:13]
	v_bfe_u32 v46, v0, 29, 1
	v_cndmask_b32_e64 v38, v42, v38, s[6:7]
	v_alignbit_b32 v43, v0, v41, 30
	v_sub_u32_e32 v47, 0, v46
	v_cndmask_b32_e64 v26, v26, v38, s[8:9]
	v_xor_b32_e32 v48, v43, v47
	v_cndmask_b32_e64 v26, v40, v26, s[10:11]
	v_alignbit_b32 v38, v39, v26, v45
	v_ffbh_u32_e32 v40, v48
	v_cndmask_b32_e64 v38, v38, v39, s[12:13]
	v_add_u32_e32 v40, 1, v40
	v_cmp_ne_u32_e64 s[6:7], v43, v47
	v_alignbit_b32 v39, v41, v38, 30
	v_cndmask_b32_e64 v40, 33, v40, s[6:7]
	v_alignbit_b32 v26, v38, v26, 30
	v_xor_b32_e32 v39, v39, v47
	v_sub_u32_e32 v41, 32, v40
	v_xor_b32_e32 v26, v26, v47
	v_alignbit_b32 v42, v48, v39, v41
	v_alignbit_b32 v26, v39, v26, v41
	v_alignbit_b32 v38, v42, v26, 9
	v_ffbh_u32_e32 v39, v38
	v_min_u32_e32 v39, 32, v39
	v_lshrrev_b32_e32 v44, 29, v0
	v_sub_u32_e32 v41, 31, v39
	v_alignbit_b32 v26, v38, v26, v41
	v_lshlrev_b32_e32 v38, 31, v44
	v_or_b32_e32 v41, 0x33800000, v38
	v_add_lshl_u32 v39, v39, v40, 23
	v_lshrrev_b32_e32 v26, 9, v26
	v_sub_u32_e32 v39, v41, v39
	v_or_b32_e32 v26, v39, v26
	v_alignbit_b32 v39, v40, v42, 9
	v_or_b32_e32 v38, v39, v38
	v_xor_b32_e32 v38, 1.0, v38
	v_mul_f32_e32 v39, 0x3fc90fda, v38
	v_fma_f32 v40, v38, s55, -v39
	v_fmac_f32_e32 v40, 0x33a22168, v38
	v_fmac_f32_e32 v40, 0x3fc90fda, v26
	v_lshrrev_b32_e32 v0, 30, v0
	v_add_f32_e32 v26, v39, v40
	v_add_u32_e32 v0, v46, v0
	s_andn2_saveexec_b64 s[6:7], s[28:29]
	s_cbranch_execnz .LBB133_227
	s_branch .LBB133_228
.LBB133_226:                            ;   in Loop: Header=BB133_181 Depth=1
	s_andn2_saveexec_b64 s[6:7], s[28:29]
.LBB133_227:                            ;   in Loop: Header=BB133_181 Depth=1
	v_mul_f32_e64 v0, |v27|, s56
	v_rndne_f32_e32 v38, v0
	v_cvt_i32_f32_e32 v0, v38
	v_fma_f32 v26, v38, s57, |v27|
	v_fmac_f32_e32 v26, 0xb3a22168, v38
	v_fmac_f32_e32 v26, 0xa7c234c4, v38
.LBB133_228:                            ;   in Loop: Header=BB133_181 Depth=1
	s_or_b64 exec, exec, s[6:7]
	v_mul_f32_e32 v38, v23, v23
	v_mov_b32_e32 v39, 0x3c0881c4
	v_fmac_f32_e32 v39, 0xb94c1982, v38
	v_fma_f32 v39, v38, v39, v30
	v_mul_f32_e32 v39, v38, v39
	v_fmac_f32_e32 v23, v23, v39
	v_mov_b32_e32 v39, 0xbab64f3b
	v_fmac_f32_e32 v39, 0x37d75334, v38
	v_fma_f32 v39, v38, v39, v31
	v_fma_f32 v39, v38, v39, v32
	v_fma_f32 v38, v38, v39, 1.0
	v_and_b32_e32 v39, 1, v22
	v_cmp_eq_u32_e64 s[6:7], 0, v39
	v_lshlrev_b32_e32 v22, 30, v22
	v_cndmask_b32_e64 v23, -v23, v38, s[6:7]
	v_and_b32_e32 v22, 0x80000000, v22
	v_xor_b32_e32 v22, v22, v23
	v_mul_f32_e32 v23, v26, v26
	v_mov_b32_e32 v38, 0x3c0881c4
	v_fmac_f32_e32 v38, 0xb94c1982, v23
	v_fma_f32 v38, v23, v38, v30
	v_mul_f32_e32 v38, v23, v38
	v_fmac_f32_e32 v26, v26, v38
	v_mov_b32_e32 v38, 0xbab64f3b
	v_fmac_f32_e32 v38, 0x37d75334, v23
	v_fma_f32 v38, v23, v38, v31
	v_fma_f32 v38, v23, v38, v32
	v_fma_f32 v23, v23, v38, 1.0
	v_and_b32_e32 v38, 1, v0
	v_cmp_eq_u32_e64 s[8:9], 0, v38
	v_lshlrev_b32_e32 v0, 30, v0
	v_cndmask_b32_e64 v23, v23, v26, s[8:9]
	v_and_or_b32 v0, v0, s61, v37
	v_xor_b32_e32 v0, v0, v23
	v_cmp_class_f32_e64 s[6:7], v27, s62
	v_xor_b32_e32 v0, v0, v27
	v_cndmask_b32_e64 v22, v36, v22, s[6:7]
	v_cndmask_b32_e64 v23, v36, v0, s[6:7]
.LBB133_229:                            ;   in Loop: Header=BB133_181 Depth=1
	s_or_b64 exec, exec, s[26:27]
                                        ; implicit-def: $vgpr26
.LBB133_230:                            ;   in Loop: Header=BB133_181 Depth=1
	s_andn2_saveexec_b64 s[8:9], s[24:25]
	s_cbranch_execz .LBB133_232
; %bb.231:                              ;   in Loop: Header=BB133_181 Depth=1
	v_mul_f32_e32 v0, 0x3fb8aa3b, v26
	v_rndne_f32_e32 v22, v0
	v_sub_f32_e32 v23, v0, v22
	v_fma_f32 v0, v26, s58, -v0
	v_fmac_f32_e32 v0, 0x32a5705f, v26
	v_add_f32_e32 v0, v23, v0
	v_cvt_i32_f32_e32 v22, v22
	v_exp_f32_e32 v0, v0
	v_cmp_ngt_f32_e64 s[6:7], s59, v26
	v_mov_b32_e32 v23, v27
	v_ldexp_f32 v0, v0, v22
	v_cndmask_b32_e64 v0, 0, v0, s[6:7]
	v_cmp_nlt_f32_e64 s[6:7], s60, v26
	v_cndmask_b32_e64 v22, v35, v0, s[6:7]
.LBB133_232:                            ;   in Loop: Header=BB133_181 Depth=1
	s_or_b64 exec, exec, s[8:9]
	v_and_b32_e32 v37, 0x7fffffff, v29
	v_cmp_ne_u32_e64 s[6:7], 0, v37
                                        ; implicit-def: $vgpr27
	s_and_saveexec_b64 s[8:9], s[6:7]
	s_xor_b64 s[24:25], exec, s[8:9]
	s_cbranch_execz .LBB133_275
; %bb.233:                              ;   in Loop: Header=BB133_181 Depth=1
	v_and_b32_e32 v0, 0x7fffffff, v28
	v_cmp_ne_u32_e64 s[6:7], 0, v0
                                        ; implicit-def: $vgpr27
	s_and_saveexec_b64 s[8:9], s[6:7]
	s_xor_b64 s[26:27], exec, s[8:9]
	s_cbranch_execz .LBB133_264
; %bb.234:                              ;   in Loop: Header=BB133_181 Depth=1
	v_cmp_gt_u32_e64 s[6:7], s45, v37
                                        ; implicit-def: $vgpr27
	s_and_saveexec_b64 s[8:9], s[6:7]
	s_xor_b64 s[28:29], exec, s[8:9]
	s_cbranch_execz .LBB133_257
; %bb.235:                              ;   in Loop: Header=BB133_181 Depth=1
	v_add_u32_e32 v0, 0xbd4e8de8, v28
	v_cmp_lt_u32_e64 s[6:7], s46, v0
                                        ; implicit-def: $vgpr27
	s_and_saveexec_b64 s[8:9], s[6:7]
	s_xor_b64 s[30:31], exec, s[8:9]
	s_cbranch_execz .LBB133_246
; %bb.236:                              ;   in Loop: Header=BB133_181 Depth=1
	v_cmp_nlt_f32_e64 s[34:35], |v29|, s47
                                        ; implicit-def: $vgpr26
                                        ; implicit-def: $vgpr27
	s_and_saveexec_b64 s[6:7], s[34:35]
	s_xor_b64 s[36:37], exec, s[6:7]
	s_cbranch_execz .LBB133_239
; %bb.237:                              ;   in Loop: Header=BB133_181 Depth=1
	v_lshrrev_b32_e32 v0, 23, v37
	v_add_u32_e32 v0, 0xffffff88, v0
	v_cmp_lt_u32_e64 s[6:7], 63, v0
	v_cndmask_b32_e64 v26, 0, v33, s[6:7]
	v_add_u32_e32 v0, v26, v0
	v_cmp_lt_u32_e64 s[8:9], 31, v0
	v_cndmask_b32_e64 v26, 0, v34, s[8:9]
	;; [unrolled: 3-line block ×3, first 2 shown]
	v_add_u32_e32 v50, v26, v0
	v_and_b32_e32 v0, 0x7fffff, v37
	v_or_b32_e32 v48, 0x800000, v0
	v_mad_u64_u32 v[26:27], s[12:13], v48, s48, 0
	v_mov_b32_e32 v0, v27
	v_mad_u64_u32 v[38:39], s[12:13], v48, s49, v[0:1]
	v_mov_b32_e32 v0, v39
	;; [unrolled: 2-line block ×6, first 2 shown]
	v_mad_u64_u32 v[48:49], s[12:13], v48, s54, v[0:1]
	v_cndmask_b32_e64 v27, v46, v42, s[6:7]
	v_cndmask_b32_e64 v0, v48, v44, s[6:7]
	;; [unrolled: 1-line block ×10, first 2 shown]
	v_sub_u32_e32 v43, 32, v50
	v_cndmask_b32_e64 v41, v41, v38, s[8:9]
	v_alignbit_b32 v44, v0, v39, v43
	v_cmp_eq_u32_e64 s[12:13], 0, v50
	v_cndmask_b32_e64 v27, v27, v41, s[10:11]
	v_cndmask_b32_e64 v26, v40, v26, s[6:7]
	;; [unrolled: 1-line block ×3, first 2 shown]
	v_alignbit_b32 v42, v39, v27, v43
	v_cndmask_b32_e64 v26, v38, v26, s[8:9]
	v_cndmask_b32_e64 v39, v42, v39, s[12:13]
	v_bfe_u32 v45, v0, 29, 1
	v_cndmask_b32_e64 v26, v41, v26, s[10:11]
	v_alignbit_b32 v42, v0, v39, 30
	v_sub_u32_e32 v46, 0, v45
	v_alignbit_b32 v38, v27, v26, v43
	v_xor_b32_e32 v47, v42, v46
	v_cndmask_b32_e64 v27, v38, v27, s[12:13]
	v_alignbit_b32 v38, v39, v27, 30
	v_ffbh_u32_e32 v39, v47
	v_add_u32_e32 v39, 1, v39
	v_cmp_ne_u32_e64 s[6:7], v42, v46
	v_cndmask_b32_e64 v39, 33, v39, s[6:7]
	v_alignbit_b32 v26, v27, v26, 30
	v_xor_b32_e32 v38, v38, v46
	v_sub_u32_e32 v40, 32, v39
	v_xor_b32_e32 v26, v26, v46
	v_alignbit_b32 v41, v47, v38, v40
	v_alignbit_b32 v26, v38, v26, v40
	;; [unrolled: 1-line block ×3, first 2 shown]
	v_ffbh_u32_e32 v38, v27
	v_min_u32_e32 v38, 32, v38
	v_lshrrev_b32_e32 v44, 29, v0
	v_sub_u32_e32 v40, 31, v38
	v_alignbit_b32 v26, v27, v26, v40
	v_lshlrev_b32_e32 v27, 31, v44
	v_or_b32_e32 v40, 0x33800000, v27
	v_add_lshl_u32 v38, v38, v39, 23
	v_lshrrev_b32_e32 v26, 9, v26
	v_sub_u32_e32 v38, v40, v38
	v_or_b32_e32 v26, v38, v26
	v_alignbit_b32 v38, v39, v41, 9
	v_or_b32_e32 v27, v38, v27
	v_xor_b32_e32 v27, 1.0, v27
	v_mul_f32_e32 v38, 0x3fc90fda, v27
	v_fma_f32 v39, v27, s55, -v38
	v_fmac_f32_e32 v39, 0x33a22168, v27
	v_fmac_f32_e32 v39, 0x3fc90fda, v26
	v_lshrrev_b32_e32 v0, 30, v0
	v_add_f32_e32 v27, v38, v39
	v_add_u32_e32 v26, v45, v0
	s_andn2_saveexec_b64 s[6:7], s[36:37]
	s_branch .LBB133_240
.LBB133_238:                            ;   in Loop: Header=BB133_181 Depth=1
	s_or_b64 exec, exec, s[30:31]
                                        ; implicit-def: $vgpr26
                                        ; implicit-def: $vgpr0
	s_andn2_saveexec_b64 s[8:9], s[28:29]
	s_cbranch_execnz .LBB133_213
	s_branch .LBB133_218
.LBB133_239:                            ;   in Loop: Header=BB133_181 Depth=1
	s_andn2_saveexec_b64 s[6:7], s[36:37]
.LBB133_240:                            ;   in Loop: Header=BB133_181 Depth=1
	v_mul_f32_e64 v0, |v29|, s56
	v_rndne_f32_e32 v0, v0
	v_cvt_i32_f32_e32 v26, v0
	v_fma_f32 v27, v0, s57, |v29|
	v_fmac_f32_e32 v27, 0xb3a22168, v0
	v_fmac_f32_e32 v27, 0xa7c234c4, v0
; %bb.241:                              ;   in Loop: Header=BB133_181 Depth=1
	s_or_b64 exec, exec, s[6:7]
                                        ; implicit-def: $vgpr0
                                        ; implicit-def: $vgpr38
	s_and_saveexec_b64 s[6:7], s[34:35]
	s_xor_b64 s[34:35], exec, s[6:7]
	s_cbranch_execz .LBB133_243
; %bb.242:                              ;   in Loop: Header=BB133_181 Depth=1
	v_lshrrev_b32_e32 v0, 23, v37
	v_add_u32_e32 v0, 0xffffff88, v0
	v_cmp_lt_u32_e64 s[6:7], 63, v0
	v_cndmask_b32_e64 v38, 0, v33, s[6:7]
	v_add_u32_e32 v0, v38, v0
	v_cmp_lt_u32_e64 s[8:9], 31, v0
	v_cndmask_b32_e64 v38, 0, v34, s[8:9]
	;; [unrolled: 3-line block ×3, first 2 shown]
	v_add_u32_e32 v52, v38, v0
	v_and_b32_e32 v0, 0x7fffff, v37
	v_or_b32_e32 v50, 0x800000, v0
	v_mad_u64_u32 v[38:39], s[12:13], v50, s48, 0
	v_mov_b32_e32 v0, v39
	v_mad_u64_u32 v[40:41], s[12:13], v50, s49, v[0:1]
	v_mov_b32_e32 v0, v41
	;; [unrolled: 2-line block ×6, first 2 shown]
	v_mad_u64_u32 v[50:51], s[12:13], v50, s54, v[0:1]
	v_cndmask_b32_e64 v39, v48, v44, s[6:7]
	v_cndmask_b32_e64 v0, v50, v46, s[6:7]
	;; [unrolled: 1-line block ×10, first 2 shown]
	v_sub_u32_e32 v45, 32, v52
	v_cndmask_b32_e64 v43, v43, v40, s[8:9]
	v_alignbit_b32 v46, v0, v41, v45
	v_cmp_eq_u32_e64 s[12:13], 0, v52
	v_cndmask_b32_e64 v39, v39, v43, s[10:11]
	v_cndmask_b32_e64 v38, v42, v38, s[6:7]
	;; [unrolled: 1-line block ×3, first 2 shown]
	v_alignbit_b32 v44, v41, v39, v45
	v_cndmask_b32_e64 v38, v40, v38, s[8:9]
	v_cndmask_b32_e64 v41, v44, v41, s[12:13]
	v_bfe_u32 v47, v0, 29, 1
	v_cndmask_b32_e64 v38, v43, v38, s[10:11]
	v_alignbit_b32 v44, v0, v41, 30
	v_sub_u32_e32 v48, 0, v47
	v_alignbit_b32 v40, v39, v38, v45
	v_xor_b32_e32 v49, v44, v48
	v_cndmask_b32_e64 v39, v40, v39, s[12:13]
	v_alignbit_b32 v40, v41, v39, 30
	v_ffbh_u32_e32 v41, v49
	v_add_u32_e32 v41, 1, v41
	v_cmp_ne_u32_e64 s[6:7], v44, v48
	v_cndmask_b32_e64 v41, 33, v41, s[6:7]
	v_alignbit_b32 v38, v39, v38, 30
	v_xor_b32_e32 v40, v40, v48
	v_sub_u32_e32 v42, 32, v41
	v_xor_b32_e32 v38, v38, v48
	v_alignbit_b32 v43, v49, v40, v42
	v_alignbit_b32 v38, v40, v38, v42
	v_alignbit_b32 v39, v43, v38, 9
	v_ffbh_u32_e32 v40, v39
	v_min_u32_e32 v40, 32, v40
	v_lshrrev_b32_e32 v46, 29, v0
	v_sub_u32_e32 v42, 31, v40
	v_alignbit_b32 v38, v39, v38, v42
	v_lshlrev_b32_e32 v39, 31, v46
	v_or_b32_e32 v42, 0x33800000, v39
	v_add_lshl_u32 v40, v40, v41, 23
	v_lshrrev_b32_e32 v38, 9, v38
	v_sub_u32_e32 v40, v42, v40
	v_or_b32_e32 v38, v40, v38
	v_alignbit_b32 v40, v41, v43, 9
	v_or_b32_e32 v39, v40, v39
	v_xor_b32_e32 v39, 1.0, v39
	v_mul_f32_e32 v40, 0x3fc90fda, v39
	v_fma_f32 v41, v39, s55, -v40
	v_fmac_f32_e32 v41, 0x33a22168, v39
	v_fmac_f32_e32 v41, 0x3fc90fda, v38
	v_lshrrev_b32_e32 v0, 30, v0
	v_add_f32_e32 v38, v40, v41
	v_add_u32_e32 v0, v47, v0
	s_andn2_saveexec_b64 s[6:7], s[34:35]
	s_cbranch_execnz .LBB133_244
	s_branch .LBB133_245
.LBB133_243:                            ;   in Loop: Header=BB133_181 Depth=1
	s_andn2_saveexec_b64 s[6:7], s[34:35]
.LBB133_244:                            ;   in Loop: Header=BB133_181 Depth=1
	v_mul_f32_e64 v0, |v29|, s56
	v_rndne_f32_e32 v39, v0
	v_cvt_i32_f32_e32 v0, v39
	v_fma_f32 v38, v39, s57, |v29|
	v_fmac_f32_e32 v38, 0xb3a22168, v39
	v_fmac_f32_e32 v38, 0xa7c234c4, v39
.LBB133_245:                            ;   in Loop: Header=BB133_181 Depth=1
	s_or_b64 exec, exec, s[6:7]
	v_mul_f32_e32 v39, 0x3fb8aa3b, v28
	v_rndne_f32_e32 v40, v39
	v_sub_f32_e32 v41, v39, v40
	v_fma_f32 v39, v28, s58, -v39
	v_fmac_f32_e32 v39, 0x32a5705f, v28
	v_add_f32_e32 v39, v41, v39
	v_cvt_i32_f32_e32 v40, v40
	v_exp_f32_e32 v39, v39
	v_cmp_ngt_f32_e64 s[6:7], s59, v28
	v_ldexp_f32 v39, v39, v40
	v_cndmask_b32_e64 v39, 0, v39, s[6:7]
	v_cmp_nlt_f32_e64 s[6:7], s60, v28
	v_cndmask_b32_e64 v28, v35, v39, s[6:7]
	v_mul_f32_e32 v39, v27, v27
	v_mov_b32_e32 v40, 0x3c0881c4
	v_fmac_f32_e32 v40, 0xb94c1982, v39
	v_fma_f32 v40, v39, v40, v30
	v_mul_f32_e32 v40, v39, v40
	v_fmac_f32_e32 v27, v27, v40
	v_mov_b32_e32 v40, 0xbab64f3b
	v_fmac_f32_e32 v40, 0x37d75334, v39
	v_fma_f32 v40, v39, v40, v31
	v_fma_f32 v40, v39, v40, v32
	v_fma_f32 v39, v39, v40, 1.0
	v_and_b32_e32 v40, 1, v26
	v_cmp_eq_u32_e64 s[6:7], 0, v40
	v_lshlrev_b32_e32 v26, 30, v26
	v_cndmask_b32_e64 v27, -v27, v39, s[6:7]
	v_and_b32_e32 v26, 0x80000000, v26
	v_xor_b32_e32 v26, v26, v27
	v_mul_f32_e32 v27, v38, v38
	v_mov_b32_e32 v39, 0x3c0881c4
	v_fmac_f32_e32 v39, 0xb94c1982, v27
	v_fma_f32 v39, v27, v39, v30
	v_mul_f32_e32 v39, v27, v39
	v_fmac_f32_e32 v38, v38, v39
	v_mov_b32_e32 v39, 0xbab64f3b
	v_fmac_f32_e32 v39, 0x37d75334, v27
	v_fma_f32 v39, v27, v39, v31
	v_fma_f32 v39, v27, v39, v32
	v_fma_f32 v27, v27, v39, 1.0
	v_and_b32_e32 v39, 1, v0
	v_cmp_eq_u32_e64 s[8:9], 0, v39
	v_lshlrev_b32_e32 v0, 30, v0
	v_cndmask_b32_e64 v27, v27, v38, s[8:9]
	v_and_or_b32 v0, v0, s61, v37
	v_xor_b32_e32 v0, v0, v27
	v_cmp_class_f32_e64 s[6:7], v29, s62
	v_xor_b32_e32 v0, v0, v29
	v_cndmask_b32_e64 v26, v36, v26, s[6:7]
	v_cndmask_b32_e64 v0, v36, v0, s[6:7]
	v_mul_f32_e32 v26, v28, v26
	v_mul_f32_e32 v27, v28, v0
                                        ; implicit-def: $vgpr29
                                        ; implicit-def: $vgpr37
.LBB133_246:                            ;   in Loop: Header=BB133_181 Depth=1
	s_andn2_saveexec_b64 s[30:31], s[30:31]
	s_cbranch_execz .LBB133_256
; %bb.247:                              ;   in Loop: Header=BB133_181 Depth=1
	v_cmp_nlt_f32_e64 s[34:35], |v29|, s47
                                        ; implicit-def: $vgpr27
                                        ; implicit-def: $vgpr26
	s_and_saveexec_b64 s[6:7], s[34:35]
	s_xor_b64 s[36:37], exec, s[6:7]
	s_cbranch_execz .LBB133_249
; %bb.248:                              ;   in Loop: Header=BB133_181 Depth=1
	v_lshrrev_b32_e32 v0, 23, v37
	v_add_u32_e32 v0, 0xffffff88, v0
	v_cmp_lt_u32_e64 s[6:7], 63, v0
	v_cndmask_b32_e64 v26, 0, v33, s[6:7]
	v_add_u32_e32 v0, v26, v0
	v_cmp_lt_u32_e64 s[8:9], 31, v0
	v_cndmask_b32_e64 v26, 0, v34, s[8:9]
	;; [unrolled: 3-line block ×3, first 2 shown]
	v_add_u32_e32 v50, v26, v0
	v_and_b32_e32 v0, 0x7fffff, v37
	v_or_b32_e32 v48, 0x800000, v0
	v_mad_u64_u32 v[26:27], s[12:13], v48, s48, 0
	v_mov_b32_e32 v0, v27
	v_mad_u64_u32 v[38:39], s[12:13], v48, s49, v[0:1]
	v_mov_b32_e32 v0, v39
	;; [unrolled: 2-line block ×6, first 2 shown]
	v_mad_u64_u32 v[48:49], s[12:13], v48, s54, v[0:1]
	v_cndmask_b32_e64 v27, v46, v42, s[6:7]
	v_cndmask_b32_e64 v0, v48, v44, s[6:7]
	;; [unrolled: 1-line block ×10, first 2 shown]
	v_sub_u32_e32 v43, 32, v50
	v_cndmask_b32_e64 v41, v41, v38, s[8:9]
	v_alignbit_b32 v44, v0, v39, v43
	v_cmp_eq_u32_e64 s[12:13], 0, v50
	v_cndmask_b32_e64 v27, v27, v41, s[10:11]
	v_cndmask_b32_e64 v26, v40, v26, s[6:7]
	;; [unrolled: 1-line block ×3, first 2 shown]
	v_alignbit_b32 v42, v39, v27, v43
	v_cndmask_b32_e64 v26, v38, v26, s[8:9]
	v_cndmask_b32_e64 v39, v42, v39, s[12:13]
	v_bfe_u32 v45, v0, 29, 1
	v_cndmask_b32_e64 v26, v41, v26, s[10:11]
	v_alignbit_b32 v42, v0, v39, 30
	v_sub_u32_e32 v46, 0, v45
	v_alignbit_b32 v38, v27, v26, v43
	v_xor_b32_e32 v47, v42, v46
	v_cndmask_b32_e64 v27, v38, v27, s[12:13]
	v_alignbit_b32 v38, v39, v27, 30
	v_ffbh_u32_e32 v39, v47
	v_add_u32_e32 v39, 1, v39
	v_cmp_ne_u32_e64 s[6:7], v42, v46
	v_cndmask_b32_e64 v39, 33, v39, s[6:7]
	v_alignbit_b32 v26, v27, v26, 30
	v_xor_b32_e32 v38, v38, v46
	v_sub_u32_e32 v40, 32, v39
	v_xor_b32_e32 v26, v26, v46
	v_alignbit_b32 v41, v47, v38, v40
	v_alignbit_b32 v26, v38, v26, v40
	;; [unrolled: 1-line block ×3, first 2 shown]
	v_ffbh_u32_e32 v38, v27
	v_min_u32_e32 v38, 32, v38
	v_lshrrev_b32_e32 v44, 29, v0
	v_sub_u32_e32 v40, 31, v38
	v_alignbit_b32 v26, v27, v26, v40
	v_lshlrev_b32_e32 v27, 31, v44
	v_or_b32_e32 v40, 0x33800000, v27
	v_add_lshl_u32 v38, v38, v39, 23
	v_lshrrev_b32_e32 v26, 9, v26
	v_sub_u32_e32 v38, v40, v38
	v_or_b32_e32 v26, v38, v26
	v_alignbit_b32 v38, v39, v41, 9
	v_or_b32_e32 v27, v38, v27
	v_xor_b32_e32 v27, 1.0, v27
	v_mul_f32_e32 v38, 0x3fc90fda, v27
	v_fma_f32 v39, v27, s55, -v38
	v_fmac_f32_e32 v39, 0x33a22168, v27
	v_fmac_f32_e32 v39, 0x3fc90fda, v26
	v_lshrrev_b32_e32 v0, 30, v0
	v_add_f32_e32 v26, v38, v39
	v_add_u32_e32 v27, v45, v0
	s_andn2_saveexec_b64 s[6:7], s[36:37]
	s_branch .LBB133_250
.LBB133_249:                            ;   in Loop: Header=BB133_181 Depth=1
	s_andn2_saveexec_b64 s[6:7], s[36:37]
.LBB133_250:                            ;   in Loop: Header=BB133_181 Depth=1
	v_mul_f32_e64 v0, |v29|, s56
	v_rndne_f32_e32 v0, v0
	v_cvt_i32_f32_e32 v27, v0
	v_fma_f32 v26, v0, s57, |v29|
	v_fmac_f32_e32 v26, 0xb3a22168, v0
	v_fmac_f32_e32 v26, 0xa7c234c4, v0
; %bb.251:                              ;   in Loop: Header=BB133_181 Depth=1
	s_or_b64 exec, exec, s[6:7]
                                        ; implicit-def: $vgpr0
                                        ; implicit-def: $vgpr38
	s_and_saveexec_b64 s[6:7], s[34:35]
	s_xor_b64 s[34:35], exec, s[6:7]
	s_cbranch_execz .LBB133_253
; %bb.252:                              ;   in Loop: Header=BB133_181 Depth=1
	v_lshrrev_b32_e32 v0, 23, v37
	v_add_u32_e32 v0, 0xffffff88, v0
	v_cmp_lt_u32_e64 s[6:7], 63, v0
	v_cndmask_b32_e64 v38, 0, v33, s[6:7]
	v_add_u32_e32 v0, v38, v0
	v_cmp_lt_u32_e64 s[8:9], 31, v0
	v_cndmask_b32_e64 v38, 0, v34, s[8:9]
	;; [unrolled: 3-line block ×3, first 2 shown]
	v_add_u32_e32 v52, v38, v0
	v_and_b32_e32 v0, 0x7fffff, v37
	v_or_b32_e32 v50, 0x800000, v0
	v_mad_u64_u32 v[38:39], s[12:13], v50, s48, 0
	v_mov_b32_e32 v0, v39
	v_mad_u64_u32 v[40:41], s[12:13], v50, s49, v[0:1]
	v_mov_b32_e32 v0, v41
	v_mad_u64_u32 v[42:43], s[12:13], v50, s50, v[0:1]
	v_mov_b32_e32 v0, v43
	v_mad_u64_u32 v[44:45], s[12:13], v50, s51, v[0:1]
	v_mov_b32_e32 v0, v45
	v_mad_u64_u32 v[46:47], s[12:13], v50, s52, v[0:1]
	v_mov_b32_e32 v0, v47
	v_mad_u64_u32 v[48:49], s[12:13], v50, s53, v[0:1]
	v_mov_b32_e32 v0, v49
	v_mad_u64_u32 v[50:51], s[12:13], v50, s54, v[0:1]
	v_cndmask_b32_e64 v39, v48, v44, s[6:7]
	v_cndmask_b32_e64 v0, v50, v46, s[6:7]
	;; [unrolled: 1-line block ×10, first 2 shown]
	v_sub_u32_e32 v45, 32, v52
	v_cndmask_b32_e64 v43, v43, v40, s[8:9]
	v_alignbit_b32 v46, v0, v41, v45
	v_cmp_eq_u32_e64 s[12:13], 0, v52
	v_cndmask_b32_e64 v39, v39, v43, s[10:11]
	v_cndmask_b32_e64 v38, v42, v38, s[6:7]
	;; [unrolled: 1-line block ×3, first 2 shown]
	v_alignbit_b32 v44, v41, v39, v45
	v_cndmask_b32_e64 v38, v40, v38, s[8:9]
	v_cndmask_b32_e64 v41, v44, v41, s[12:13]
	v_bfe_u32 v47, v0, 29, 1
	v_cndmask_b32_e64 v38, v43, v38, s[10:11]
	v_alignbit_b32 v44, v0, v41, 30
	v_sub_u32_e32 v48, 0, v47
	v_alignbit_b32 v40, v39, v38, v45
	v_xor_b32_e32 v49, v44, v48
	v_cndmask_b32_e64 v39, v40, v39, s[12:13]
	v_alignbit_b32 v40, v41, v39, 30
	v_ffbh_u32_e32 v41, v49
	v_add_u32_e32 v41, 1, v41
	v_cmp_ne_u32_e64 s[6:7], v44, v48
	v_cndmask_b32_e64 v41, 33, v41, s[6:7]
	v_alignbit_b32 v38, v39, v38, 30
	v_xor_b32_e32 v40, v40, v48
	v_sub_u32_e32 v42, 32, v41
	v_xor_b32_e32 v38, v38, v48
	v_alignbit_b32 v43, v49, v40, v42
	v_alignbit_b32 v38, v40, v38, v42
	;; [unrolled: 1-line block ×3, first 2 shown]
	v_ffbh_u32_e32 v40, v39
	v_min_u32_e32 v40, 32, v40
	v_lshrrev_b32_e32 v46, 29, v0
	v_sub_u32_e32 v42, 31, v40
	v_alignbit_b32 v38, v39, v38, v42
	v_lshlrev_b32_e32 v39, 31, v46
	v_or_b32_e32 v42, 0x33800000, v39
	v_add_lshl_u32 v40, v40, v41, 23
	v_lshrrev_b32_e32 v38, 9, v38
	v_sub_u32_e32 v40, v42, v40
	v_or_b32_e32 v38, v40, v38
	v_alignbit_b32 v40, v41, v43, 9
	v_or_b32_e32 v39, v40, v39
	v_xor_b32_e32 v39, 1.0, v39
	v_mul_f32_e32 v40, 0x3fc90fda, v39
	v_fma_f32 v41, v39, s55, -v40
	v_fmac_f32_e32 v41, 0x33a22168, v39
	v_fmac_f32_e32 v41, 0x3fc90fda, v38
	v_lshrrev_b32_e32 v0, 30, v0
	v_add_f32_e32 v38, v40, v41
	v_add_u32_e32 v0, v47, v0
	s_andn2_saveexec_b64 s[6:7], s[34:35]
	s_cbranch_execnz .LBB133_254
	s_branch .LBB133_255
.LBB133_253:                            ;   in Loop: Header=BB133_181 Depth=1
	s_andn2_saveexec_b64 s[6:7], s[34:35]
.LBB133_254:                            ;   in Loop: Header=BB133_181 Depth=1
	v_mul_f32_e64 v0, |v29|, s56
	v_rndne_f32_e32 v39, v0
	v_cvt_i32_f32_e32 v0, v39
	v_fma_f32 v38, v39, s57, |v29|
	v_fmac_f32_e32 v38, 0xb3a22168, v39
	v_fmac_f32_e32 v38, 0xa7c234c4, v39
.LBB133_255:                            ;   in Loop: Header=BB133_181 Depth=1
	s_or_b64 exec, exec, s[6:7]
	v_mul_f32_e32 v40, v26, v26
	v_mov_b32_e32 v41, 0xbab64f3b
	v_fmac_f32_e32 v41, 0x37d75334, v40
	v_mov_b32_e32 v42, 0x3c0881c4
	v_fma_f32 v41, v40, v41, v31
	v_fmac_f32_e32 v42, 0xb94c1982, v40
	v_lshlrev_b32_e32 v39, 30, v27
	v_and_b32_e32 v27, 1, v27
	v_fma_f32 v41, v40, v41, v32
	v_fma_f32 v42, v40, v42, v30
	v_fma_f32 v41, v40, v41, 1.0
	v_mul_f32_e32 v40, v40, v42
	v_cmp_eq_u32_e64 s[6:7], 0, v27
	v_add_f32_e32 v27, 0xc322e3bc, v28
	v_fmac_f32_e32 v26, v26, v40
	v_mul_f32_e32 v28, 0x3fb8aa3b, v27
	v_cndmask_b32_e64 v26, -v26, v41, s[6:7]
	v_fma_f32 v40, v27, s58, -v28
	v_rndne_f32_e32 v41, v28
	v_fmac_f32_e32 v40, 0x32a5705f, v27
	v_sub_f32_e32 v28, v28, v41
	v_add_f32_e32 v28, v28, v40
	v_exp_f32_e32 v28, v28
	v_cvt_i32_f32_e32 v40, v41
	v_cmp_ngt_f32_e64 s[8:9], s59, v27
	v_and_b32_e32 v39, 0x80000000, v39
	v_xor_b32_e32 v26, v39, v26
	v_ldexp_f32 v28, v28, v40
	v_cndmask_b32_e64 v28, 0, v28, s[8:9]
	v_cmp_nlt_f32_e64 s[8:9], s60, v27
	v_cndmask_b32_e64 v27, v35, v28, s[8:9]
	v_and_b32_e32 v28, 0x7fffff, v27
	v_lshrrev_b32_e32 v27, 23, v27
	v_subrev_u32_e32 v27, 19, v27
	v_lshrrev_b16_e32 v39, 15, v27
	v_add_u16_e32 v39, v27, v39
	v_ashrrev_i16_e32 v39, 1, v39
	v_bfe_i32 v39, v39, 0, 16
	v_lshl_add_u32 v40, v39, 23, 1.0
	v_sub_u32_e32 v27, v27, v39
	v_mul_f32_e32 v39, v38, v38
	v_mov_b32_e32 v41, 0x3c0881c4
	v_fmac_f32_e32 v41, 0xb94c1982, v39
	v_fma_f32 v41, v39, v41, v30
	v_mul_f32_e32 v41, v39, v41
	v_fmac_f32_e32 v38, v38, v41
	v_mov_b32_e32 v41, 0xbab64f3b
	v_fmac_f32_e32 v41, 0x37d75334, v39
	v_fma_f32 v41, v39, v41, v31
	v_fma_f32 v41, v39, v41, v32
	v_fma_f32 v39, v39, v41, 1.0
	v_and_b32_e32 v41, 1, v0
	v_cmp_eq_u32_e64 s[8:9], 0, v41
	v_lshlrev_b32_e32 v0, 30, v0
	v_cndmask_b32_e64 v38, v39, v38, s[8:9]
	v_and_or_b32 v0, v0, s61, v37
	v_xor_b32_e32 v0, v0, v38
	v_cmp_class_f32_e64 s[6:7], v29, s62
	v_xor_b32_e32 v0, v0, v29
	v_cndmask_b32_e64 v26, v36, v26, s[6:7]
	v_or_b32_e32 v28, 0x7f000000, v28
	v_cndmask_b32_e64 v0, v36, v0, s[6:7]
	v_mul_f32_e32 v26, v26, v28
	v_mul_f32_e32 v0, v0, v28
	v_mul_f32_e32 v26, v26, v40
	v_lshl_add_u32 v27, v27, 23, 1.0
	v_mul_f32_e32 v0, v0, v40
	v_mul_f32_e32 v26, v26, v27
	;; [unrolled: 1-line block ×3, first 2 shown]
.LBB133_256:                            ;   in Loop: Header=BB133_181 Depth=1
	s_or_b64 exec, exec, s[30:31]
                                        ; implicit-def: $vgpr28
                                        ; implicit-def: $vgpr0
.LBB133_257:                            ;   in Loop: Header=BB133_181 Depth=1
	s_andn2_saveexec_b64 s[8:9], s[28:29]
	s_cbranch_execz .LBB133_263
; %bb.258:                              ;   in Loop: Header=BB133_181 Depth=1
	v_cmp_ne_u32_e64 s[6:7], s45, v0
                                        ; implicit-def: $vgpr27
	s_and_saveexec_b64 s[10:11], s[6:7]
	s_xor_b64 s[6:7], exec, s[10:11]
; %bb.259:                              ;   in Loop: Header=BB133_181 Depth=1
	v_sub_f32_e32 v27, v29, v29
                                        ; implicit-def: $vgpr28
; %bb.260:                              ;   in Loop: Header=BB133_181 Depth=1
	s_or_saveexec_b64 s[10:11], s[6:7]
	v_mov_b32_e32 v26, v27
	s_xor_b64 exec, exec, s[10:11]
; %bb.261:                              ;   in Loop: Header=BB133_181 Depth=1
	v_sub_f32_e32 v0, v29, v29
	v_cmp_lt_i32_e64 s[6:7], -1, v28
	v_cndmask_b32_e64 v26, 0, v28, s[6:7]
	v_cndmask_b32_e64 v27, 0, v0, s[6:7]
; %bb.262:                              ;   in Loop: Header=BB133_181 Depth=1
	s_or_b64 exec, exec, s[10:11]
.LBB133_263:                            ;   in Loop: Header=BB133_181 Depth=1
	s_or_b64 exec, exec, s[8:9]
                                        ; implicit-def: $vgpr29
                                        ; implicit-def: $vgpr37
.LBB133_264:                            ;   in Loop: Header=BB133_181 Depth=1
	s_andn2_saveexec_b64 s[26:27], s[26:27]
	s_cbranch_execz .LBB133_274
; %bb.265:                              ;   in Loop: Header=BB133_181 Depth=1
	v_cmp_nlt_f32_e64 s[28:29], |v29|, s47
                                        ; implicit-def: $vgpr26
                                        ; implicit-def: $vgpr27
	s_and_saveexec_b64 s[6:7], s[28:29]
	s_xor_b64 s[30:31], exec, s[6:7]
	s_cbranch_execz .LBB133_267
; %bb.266:                              ;   in Loop: Header=BB133_181 Depth=1
	v_lshrrev_b32_e32 v0, 23, v37
	v_add_u32_e32 v0, 0xffffff88, v0
	v_cmp_lt_u32_e64 s[6:7], 63, v0
	v_cndmask_b32_e64 v26, 0, v33, s[6:7]
	v_add_u32_e32 v0, v26, v0
	v_cmp_lt_u32_e64 s[8:9], 31, v0
	v_cndmask_b32_e64 v26, 0, v34, s[8:9]
	;; [unrolled: 3-line block ×3, first 2 shown]
	v_add_u32_e32 v28, v26, v0
	v_and_b32_e32 v0, 0x7fffff, v37
	v_or_b32_e32 v48, 0x800000, v0
	v_mad_u64_u32 v[26:27], s[12:13], v48, s48, 0
	v_mov_b32_e32 v0, v27
	v_mad_u64_u32 v[38:39], s[12:13], v48, s49, v[0:1]
	v_mov_b32_e32 v0, v39
	;; [unrolled: 2-line block ×6, first 2 shown]
	v_mad_u64_u32 v[48:49], s[12:13], v48, s54, v[0:1]
	v_cndmask_b32_e64 v27, v46, v42, s[6:7]
	v_cndmask_b32_e64 v0, v48, v44, s[6:7]
	;; [unrolled: 1-line block ×7, first 2 shown]
	v_sub_u32_e32 v43, 32, v28
	v_cmp_eq_u32_e64 s[12:13], 0, v28
	v_cndmask_b32_e64 v28, v42, v38, s[6:7]
	v_cndmask_b32_e64 v0, v0, v39, s[10:11]
	;; [unrolled: 1-line block ×4, first 2 shown]
	v_alignbit_b32 v44, v0, v39, v43
	v_cndmask_b32_e64 v27, v27, v38, s[10:11]
	v_cndmask_b32_e64 v0, v44, v0, s[12:13]
	v_alignbit_b32 v41, v39, v27, v43
	v_cndmask_b32_e64 v39, v41, v39, s[12:13]
	v_bfe_u32 v44, v0, 29, 1
	v_cndmask_b32_e64 v26, v40, v26, s[6:7]
	v_alignbit_b32 v41, v0, v39, 30
	v_sub_u32_e32 v45, 0, v44
	v_cndmask_b32_e64 v26, v28, v26, s[8:9]
	v_xor_b32_e32 v46, v41, v45
	v_cndmask_b32_e64 v26, v38, v26, s[10:11]
	v_alignbit_b32 v28, v27, v26, v43
	v_ffbh_u32_e32 v38, v46
	v_cndmask_b32_e64 v27, v28, v27, s[12:13]
	v_add_u32_e32 v38, 1, v38
	v_cmp_ne_u32_e64 s[6:7], v41, v45
	v_alignbit_b32 v28, v39, v27, 30
	v_cndmask_b32_e64 v38, 33, v38, s[6:7]
	v_alignbit_b32 v26, v27, v26, 30
	v_xor_b32_e32 v28, v28, v45
	v_sub_u32_e32 v39, 32, v38
	v_xor_b32_e32 v26, v26, v45
	v_alignbit_b32 v40, v46, v28, v39
	v_alignbit_b32 v26, v28, v26, v39
	;; [unrolled: 1-line block ×3, first 2 shown]
	v_ffbh_u32_e32 v28, v27
	v_min_u32_e32 v28, 32, v28
	v_lshrrev_b32_e32 v42, 29, v0
	v_sub_u32_e32 v39, 31, v28
	v_alignbit_b32 v26, v27, v26, v39
	v_lshlrev_b32_e32 v27, 31, v42
	v_or_b32_e32 v39, 0x33800000, v27
	v_add_lshl_u32 v28, v28, v38, 23
	v_lshrrev_b32_e32 v26, 9, v26
	v_sub_u32_e32 v28, v39, v28
	v_or_b32_e32 v26, v28, v26
	v_alignbit_b32 v28, v38, v40, 9
	v_or_b32_e32 v27, v28, v27
	v_xor_b32_e32 v27, 1.0, v27
	v_mul_f32_e32 v28, 0x3fc90fda, v27
	v_fma_f32 v38, v27, s55, -v28
	v_fmac_f32_e32 v38, 0x33a22168, v27
	v_fmac_f32_e32 v38, 0x3fc90fda, v26
	v_lshrrev_b32_e32 v0, 30, v0
	v_add_f32_e32 v27, v28, v38
	v_add_u32_e32 v26, v44, v0
	s_andn2_saveexec_b64 s[6:7], s[30:31]
	s_branch .LBB133_268
.LBB133_267:                            ;   in Loop: Header=BB133_181 Depth=1
	s_andn2_saveexec_b64 s[6:7], s[30:31]
.LBB133_268:                            ;   in Loop: Header=BB133_181 Depth=1
	v_mul_f32_e64 v0, |v29|, s56
	v_rndne_f32_e32 v0, v0
	v_cvt_i32_f32_e32 v26, v0
	v_fma_f32 v27, v0, s57, |v29|
	v_fmac_f32_e32 v27, 0xb3a22168, v0
	v_fmac_f32_e32 v27, 0xa7c234c4, v0
; %bb.269:                              ;   in Loop: Header=BB133_181 Depth=1
	s_or_b64 exec, exec, s[6:7]
                                        ; implicit-def: $vgpr0
                                        ; implicit-def: $vgpr28
	s_and_saveexec_b64 s[6:7], s[28:29]
	s_xor_b64 s[28:29], exec, s[6:7]
	s_cbranch_execz .LBB133_271
; %bb.270:                              ;   in Loop: Header=BB133_181 Depth=1
	v_lshrrev_b32_e32 v0, 23, v37
	v_add_u32_e32 v0, 0xffffff88, v0
	v_cmp_lt_u32_e64 s[6:7], 63, v0
	v_cndmask_b32_e64 v28, 0, v33, s[6:7]
	v_add_u32_e32 v0, v28, v0
	v_cmp_lt_u32_e64 s[8:9], 31, v0
	v_cndmask_b32_e64 v28, 0, v34, s[8:9]
	;; [unrolled: 3-line block ×3, first 2 shown]
	v_add_u32_e32 v28, v28, v0
	v_and_b32_e32 v0, 0x7fffff, v37
	v_or_b32_e32 v50, 0x800000, v0
	v_mad_u64_u32 v[38:39], s[12:13], v50, s48, 0
	v_mov_b32_e32 v0, v39
	v_mad_u64_u32 v[40:41], s[12:13], v50, s49, v[0:1]
	v_mov_b32_e32 v0, v41
	v_mad_u64_u32 v[42:43], s[12:13], v50, s50, v[0:1]
	v_mov_b32_e32 v0, v43
	v_mad_u64_u32 v[44:45], s[12:13], v50, s51, v[0:1]
	v_mov_b32_e32 v0, v45
	v_mad_u64_u32 v[46:47], s[12:13], v50, s52, v[0:1]
	v_mov_b32_e32 v0, v47
	v_mad_u64_u32 v[48:49], s[12:13], v50, s53, v[0:1]
	v_mov_b32_e32 v0, v49
	v_mad_u64_u32 v[50:51], s[12:13], v50, s54, v[0:1]
	v_cndmask_b32_e64 v39, v48, v44, s[6:7]
	v_cndmask_b32_e64 v0, v50, v46, s[6:7]
	;; [unrolled: 1-line block ×7, first 2 shown]
	v_sub_u32_e32 v45, 32, v28
	v_cmp_eq_u32_e64 s[12:13], 0, v28
	v_cndmask_b32_e64 v28, v44, v40, s[6:7]
	v_cndmask_b32_e64 v0, v0, v41, s[10:11]
	;; [unrolled: 1-line block ×4, first 2 shown]
	v_alignbit_b32 v46, v0, v41, v45
	v_cndmask_b32_e64 v39, v39, v40, s[10:11]
	v_cndmask_b32_e64 v0, v46, v0, s[12:13]
	v_alignbit_b32 v43, v41, v39, v45
	v_cndmask_b32_e64 v41, v43, v41, s[12:13]
	v_bfe_u32 v46, v0, 29, 1
	v_cndmask_b32_e64 v38, v42, v38, s[6:7]
	v_alignbit_b32 v43, v0, v41, 30
	v_sub_u32_e32 v47, 0, v46
	v_cndmask_b32_e64 v28, v28, v38, s[8:9]
	v_xor_b32_e32 v48, v43, v47
	v_cndmask_b32_e64 v28, v40, v28, s[10:11]
	v_alignbit_b32 v38, v39, v28, v45
	v_ffbh_u32_e32 v40, v48
	v_cndmask_b32_e64 v38, v38, v39, s[12:13]
	v_add_u32_e32 v40, 1, v40
	v_cmp_ne_u32_e64 s[6:7], v43, v47
	v_alignbit_b32 v39, v41, v38, 30
	v_cndmask_b32_e64 v40, 33, v40, s[6:7]
	v_alignbit_b32 v28, v38, v28, 30
	v_xor_b32_e32 v39, v39, v47
	v_sub_u32_e32 v41, 32, v40
	v_xor_b32_e32 v28, v28, v47
	v_alignbit_b32 v42, v48, v39, v41
	v_alignbit_b32 v28, v39, v28, v41
	;; [unrolled: 1-line block ×3, first 2 shown]
	v_ffbh_u32_e32 v39, v38
	v_min_u32_e32 v39, 32, v39
	v_lshrrev_b32_e32 v44, 29, v0
	v_sub_u32_e32 v41, 31, v39
	v_alignbit_b32 v28, v38, v28, v41
	v_lshlrev_b32_e32 v38, 31, v44
	v_or_b32_e32 v41, 0x33800000, v38
	v_add_lshl_u32 v39, v39, v40, 23
	v_lshrrev_b32_e32 v28, 9, v28
	v_sub_u32_e32 v39, v41, v39
	v_or_b32_e32 v28, v39, v28
	v_alignbit_b32 v39, v40, v42, 9
	v_or_b32_e32 v38, v39, v38
	v_xor_b32_e32 v38, 1.0, v38
	v_mul_f32_e32 v39, 0x3fc90fda, v38
	v_fma_f32 v40, v38, s55, -v39
	v_fmac_f32_e32 v40, 0x33a22168, v38
	v_fmac_f32_e32 v40, 0x3fc90fda, v28
	v_lshrrev_b32_e32 v0, 30, v0
	v_add_f32_e32 v28, v39, v40
	v_add_u32_e32 v0, v46, v0
	s_andn2_saveexec_b64 s[6:7], s[28:29]
	s_cbranch_execnz .LBB133_272
	s_branch .LBB133_273
.LBB133_271:                            ;   in Loop: Header=BB133_181 Depth=1
	s_andn2_saveexec_b64 s[6:7], s[28:29]
.LBB133_272:                            ;   in Loop: Header=BB133_181 Depth=1
	v_mul_f32_e64 v0, |v29|, s56
	v_rndne_f32_e32 v38, v0
	v_cvt_i32_f32_e32 v0, v38
	v_fma_f32 v28, v38, s57, |v29|
	v_fmac_f32_e32 v28, 0xb3a22168, v38
	v_fmac_f32_e32 v28, 0xa7c234c4, v38
.LBB133_273:                            ;   in Loop: Header=BB133_181 Depth=1
	s_or_b64 exec, exec, s[6:7]
	v_mul_f32_e32 v38, v27, v27
	v_mov_b32_e32 v39, 0x3c0881c4
	v_fmac_f32_e32 v39, 0xb94c1982, v38
	v_fma_f32 v39, v38, v39, v30
	v_mul_f32_e32 v39, v38, v39
	v_fmac_f32_e32 v27, v27, v39
	v_mov_b32_e32 v39, 0xbab64f3b
	v_fmac_f32_e32 v39, 0x37d75334, v38
	v_fma_f32 v39, v38, v39, v31
	v_fma_f32 v39, v38, v39, v32
	v_fma_f32 v38, v38, v39, 1.0
	v_and_b32_e32 v39, 1, v26
	v_cmp_eq_u32_e64 s[6:7], 0, v39
	v_lshlrev_b32_e32 v26, 30, v26
	v_cndmask_b32_e64 v27, -v27, v38, s[6:7]
	v_and_b32_e32 v26, 0x80000000, v26
	v_xor_b32_e32 v26, v26, v27
	v_mul_f32_e32 v27, v28, v28
	v_mov_b32_e32 v38, 0x3c0881c4
	v_fmac_f32_e32 v38, 0xb94c1982, v27
	v_fma_f32 v38, v27, v38, v30
	v_mul_f32_e32 v38, v27, v38
	v_fmac_f32_e32 v28, v28, v38
	v_mov_b32_e32 v38, 0xbab64f3b
	v_fmac_f32_e32 v38, 0x37d75334, v27
	v_fma_f32 v38, v27, v38, v31
	v_fma_f32 v38, v27, v38, v32
	v_fma_f32 v27, v27, v38, 1.0
	v_and_b32_e32 v38, 1, v0
	v_cmp_eq_u32_e64 s[8:9], 0, v38
	v_lshlrev_b32_e32 v0, 30, v0
	v_cndmask_b32_e64 v27, v27, v28, s[8:9]
	v_and_or_b32 v0, v0, s61, v37
	v_xor_b32_e32 v0, v0, v27
	v_cmp_class_f32_e64 s[6:7], v29, s62
	v_xor_b32_e32 v0, v0, v29
	v_cndmask_b32_e64 v26, v36, v26, s[6:7]
	v_cndmask_b32_e64 v27, v36, v0, s[6:7]
.LBB133_274:                            ;   in Loop: Header=BB133_181 Depth=1
	s_or_b64 exec, exec, s[26:27]
                                        ; implicit-def: $vgpr28
.LBB133_275:                            ;   in Loop: Header=BB133_181 Depth=1
	s_andn2_saveexec_b64 s[8:9], s[24:25]
	s_cbranch_execz .LBB133_277
; %bb.276:                              ;   in Loop: Header=BB133_181 Depth=1
	v_mul_f32_e32 v0, 0x3fb8aa3b, v28
	v_rndne_f32_e32 v26, v0
	v_sub_f32_e32 v27, v0, v26
	v_fma_f32 v0, v28, s58, -v0
	v_fmac_f32_e32 v0, 0x32a5705f, v28
	v_add_f32_e32 v0, v27, v0
	v_cvt_i32_f32_e32 v26, v26
	v_exp_f32_e32 v0, v0
	v_cmp_ngt_f32_e64 s[6:7], s59, v28
	v_mov_b32_e32 v27, v29
	v_ldexp_f32 v0, v0, v26
	v_cndmask_b32_e64 v0, 0, v0, s[6:7]
	v_cmp_nlt_f32_e64 s[6:7], s60, v28
	v_cndmask_b32_e64 v26, v35, v0, s[6:7]
.LBB133_277:                            ;   in Loop: Header=BB133_181 Depth=1
	s_or_b64 exec, exec, s[8:9]
	v_and_b32_e32 v37, 0x7fffffff, v25
	v_cmp_ne_u32_e64 s[6:7], 0, v37
                                        ; implicit-def: $vgpr29
	s_and_saveexec_b64 s[8:9], s[6:7]
	s_xor_b64 s[24:25], exec, s[8:9]
	s_cbranch_execz .LBB133_319
; %bb.278:                              ;   in Loop: Header=BB133_181 Depth=1
	v_and_b32_e32 v0, 0x7fffffff, v24
	v_cmp_ne_u32_e64 s[6:7], 0, v0
                                        ; implicit-def: $vgpr29
	s_and_saveexec_b64 s[8:9], s[6:7]
	s_xor_b64 s[26:27], exec, s[8:9]
	s_cbranch_execz .LBB133_308
; %bb.279:                              ;   in Loop: Header=BB133_181 Depth=1
	v_cmp_gt_u32_e64 s[6:7], s45, v37
                                        ; implicit-def: $vgpr29
	s_and_saveexec_b64 s[8:9], s[6:7]
	s_xor_b64 s[28:29], exec, s[8:9]
	s_cbranch_execz .LBB133_301
; %bb.280:                              ;   in Loop: Header=BB133_181 Depth=1
	v_add_u32_e32 v0, 0xbd4e8de8, v24
	v_cmp_lt_u32_e64 s[6:7], s46, v0
                                        ; implicit-def: $vgpr29
	s_and_saveexec_b64 s[8:9], s[6:7]
	s_xor_b64 s[30:31], exec, s[8:9]
	s_cbranch_execz .LBB133_290
; %bb.281:                              ;   in Loop: Header=BB133_181 Depth=1
	v_cmp_nlt_f32_e64 s[34:35], |v25|, s47
                                        ; implicit-def: $vgpr28
                                        ; implicit-def: $vgpr29
	s_and_saveexec_b64 s[6:7], s[34:35]
	s_xor_b64 s[36:37], exec, s[6:7]
	s_cbranch_execz .LBB133_283
; %bb.282:                              ;   in Loop: Header=BB133_181 Depth=1
	v_lshrrev_b32_e32 v0, 23, v37
	v_add_u32_e32 v0, 0xffffff88, v0
	v_cmp_lt_u32_e64 s[6:7], 63, v0
	v_cndmask_b32_e64 v28, 0, v33, s[6:7]
	v_add_u32_e32 v0, v28, v0
	v_cmp_lt_u32_e64 s[8:9], 31, v0
	v_cndmask_b32_e64 v28, 0, v34, s[8:9]
	;; [unrolled: 3-line block ×3, first 2 shown]
	v_add_u32_e32 v50, v28, v0
	v_and_b32_e32 v0, 0x7fffff, v37
	v_or_b32_e32 v48, 0x800000, v0
	v_mad_u64_u32 v[28:29], s[12:13], v48, s48, 0
	v_mov_b32_e32 v0, v29
	v_mad_u64_u32 v[38:39], s[12:13], v48, s49, v[0:1]
	v_mov_b32_e32 v0, v39
	;; [unrolled: 2-line block ×6, first 2 shown]
	v_mad_u64_u32 v[48:49], s[12:13], v48, s54, v[0:1]
	v_cndmask_b32_e64 v29, v46, v42, s[6:7]
	v_cndmask_b32_e64 v0, v48, v44, s[6:7]
	;; [unrolled: 1-line block ×10, first 2 shown]
	v_sub_u32_e32 v43, 32, v50
	v_cndmask_b32_e64 v41, v41, v38, s[8:9]
	v_alignbit_b32 v44, v0, v39, v43
	v_cmp_eq_u32_e64 s[12:13], 0, v50
	v_cndmask_b32_e64 v29, v29, v41, s[10:11]
	v_cndmask_b32_e64 v28, v40, v28, s[6:7]
	;; [unrolled: 1-line block ×3, first 2 shown]
	v_alignbit_b32 v42, v39, v29, v43
	v_cndmask_b32_e64 v28, v38, v28, s[8:9]
	v_cndmask_b32_e64 v39, v42, v39, s[12:13]
	v_bfe_u32 v45, v0, 29, 1
	v_cndmask_b32_e64 v28, v41, v28, s[10:11]
	v_alignbit_b32 v42, v0, v39, 30
	v_sub_u32_e32 v46, 0, v45
	v_alignbit_b32 v38, v29, v28, v43
	v_xor_b32_e32 v47, v42, v46
	v_cndmask_b32_e64 v29, v38, v29, s[12:13]
	v_alignbit_b32 v38, v39, v29, 30
	v_ffbh_u32_e32 v39, v47
	v_add_u32_e32 v39, 1, v39
	v_cmp_ne_u32_e64 s[6:7], v42, v46
	v_cndmask_b32_e64 v39, 33, v39, s[6:7]
	v_alignbit_b32 v28, v29, v28, 30
	v_xor_b32_e32 v38, v38, v46
	v_sub_u32_e32 v40, 32, v39
	v_xor_b32_e32 v28, v28, v46
	v_alignbit_b32 v41, v47, v38, v40
	v_alignbit_b32 v28, v38, v28, v40
	;; [unrolled: 1-line block ×3, first 2 shown]
	v_ffbh_u32_e32 v38, v29
	v_min_u32_e32 v38, 32, v38
	v_lshrrev_b32_e32 v44, 29, v0
	v_sub_u32_e32 v40, 31, v38
	v_alignbit_b32 v28, v29, v28, v40
	v_lshlrev_b32_e32 v29, 31, v44
	v_or_b32_e32 v40, 0x33800000, v29
	v_add_lshl_u32 v38, v38, v39, 23
	v_lshrrev_b32_e32 v28, 9, v28
	v_sub_u32_e32 v38, v40, v38
	v_or_b32_e32 v28, v38, v28
	v_alignbit_b32 v38, v39, v41, 9
	v_or_b32_e32 v29, v38, v29
	v_xor_b32_e32 v29, 1.0, v29
	v_mul_f32_e32 v38, 0x3fc90fda, v29
	v_fma_f32 v39, v29, s55, -v38
	v_fmac_f32_e32 v39, 0x33a22168, v29
	v_fmac_f32_e32 v39, 0x3fc90fda, v28
	v_lshrrev_b32_e32 v0, 30, v0
	v_add_f32_e32 v29, v38, v39
	v_add_u32_e32 v28, v45, v0
	s_andn2_saveexec_b64 s[6:7], s[36:37]
	s_branch .LBB133_284
.LBB133_283:                            ;   in Loop: Header=BB133_181 Depth=1
	s_andn2_saveexec_b64 s[6:7], s[36:37]
.LBB133_284:                            ;   in Loop: Header=BB133_181 Depth=1
	v_mul_f32_e64 v0, |v25|, s56
	v_rndne_f32_e32 v0, v0
	v_cvt_i32_f32_e32 v28, v0
	v_fma_f32 v29, v0, s57, |v25|
	v_fmac_f32_e32 v29, 0xb3a22168, v0
	v_fmac_f32_e32 v29, 0xa7c234c4, v0
; %bb.285:                              ;   in Loop: Header=BB133_181 Depth=1
	s_or_b64 exec, exec, s[6:7]
                                        ; implicit-def: $vgpr0
                                        ; implicit-def: $vgpr38
	s_and_saveexec_b64 s[6:7], s[34:35]
	s_xor_b64 s[34:35], exec, s[6:7]
	s_cbranch_execz .LBB133_287
; %bb.286:                              ;   in Loop: Header=BB133_181 Depth=1
	v_lshrrev_b32_e32 v0, 23, v37
	v_add_u32_e32 v0, 0xffffff88, v0
	v_cmp_lt_u32_e64 s[6:7], 63, v0
	v_cndmask_b32_e64 v38, 0, v33, s[6:7]
	v_add_u32_e32 v0, v38, v0
	v_cmp_lt_u32_e64 s[8:9], 31, v0
	v_cndmask_b32_e64 v38, 0, v34, s[8:9]
	v_add_u32_e32 v0, v38, v0
	v_cmp_lt_u32_e64 s[10:11], 31, v0
	v_cndmask_b32_e64 v38, 0, v34, s[10:11]
	v_add_u32_e32 v52, v38, v0
	v_and_b32_e32 v0, 0x7fffff, v37
	v_or_b32_e32 v50, 0x800000, v0
	v_mad_u64_u32 v[38:39], s[12:13], v50, s48, 0
	v_mov_b32_e32 v0, v39
	v_mad_u64_u32 v[40:41], s[12:13], v50, s49, v[0:1]
	v_mov_b32_e32 v0, v41
	;; [unrolled: 2-line block ×6, first 2 shown]
	v_mad_u64_u32 v[50:51], s[12:13], v50, s54, v[0:1]
	v_cndmask_b32_e64 v39, v48, v44, s[6:7]
	v_cndmask_b32_e64 v0, v50, v46, s[6:7]
	;; [unrolled: 1-line block ×10, first 2 shown]
	v_sub_u32_e32 v45, 32, v52
	v_cndmask_b32_e64 v43, v43, v40, s[8:9]
	v_alignbit_b32 v46, v0, v41, v45
	v_cmp_eq_u32_e64 s[12:13], 0, v52
	v_cndmask_b32_e64 v39, v39, v43, s[10:11]
	v_cndmask_b32_e64 v38, v42, v38, s[6:7]
	;; [unrolled: 1-line block ×3, first 2 shown]
	v_alignbit_b32 v44, v41, v39, v45
	v_cndmask_b32_e64 v38, v40, v38, s[8:9]
	v_cndmask_b32_e64 v41, v44, v41, s[12:13]
	v_bfe_u32 v47, v0, 29, 1
	v_cndmask_b32_e64 v38, v43, v38, s[10:11]
	v_alignbit_b32 v44, v0, v41, 30
	v_sub_u32_e32 v48, 0, v47
	v_alignbit_b32 v40, v39, v38, v45
	v_xor_b32_e32 v49, v44, v48
	v_cndmask_b32_e64 v39, v40, v39, s[12:13]
	v_alignbit_b32 v40, v41, v39, 30
	v_ffbh_u32_e32 v41, v49
	v_add_u32_e32 v41, 1, v41
	v_cmp_ne_u32_e64 s[6:7], v44, v48
	v_cndmask_b32_e64 v41, 33, v41, s[6:7]
	v_alignbit_b32 v38, v39, v38, 30
	v_xor_b32_e32 v40, v40, v48
	v_sub_u32_e32 v42, 32, v41
	v_xor_b32_e32 v38, v38, v48
	v_alignbit_b32 v43, v49, v40, v42
	v_alignbit_b32 v38, v40, v38, v42
	v_alignbit_b32 v39, v43, v38, 9
	v_ffbh_u32_e32 v40, v39
	v_min_u32_e32 v40, 32, v40
	v_lshrrev_b32_e32 v46, 29, v0
	v_sub_u32_e32 v42, 31, v40
	v_alignbit_b32 v38, v39, v38, v42
	v_lshlrev_b32_e32 v39, 31, v46
	v_or_b32_e32 v42, 0x33800000, v39
	v_add_lshl_u32 v40, v40, v41, 23
	v_lshrrev_b32_e32 v38, 9, v38
	v_sub_u32_e32 v40, v42, v40
	v_or_b32_e32 v38, v40, v38
	v_alignbit_b32 v40, v41, v43, 9
	v_or_b32_e32 v39, v40, v39
	v_xor_b32_e32 v39, 1.0, v39
	v_mul_f32_e32 v40, 0x3fc90fda, v39
	v_fma_f32 v41, v39, s55, -v40
	v_fmac_f32_e32 v41, 0x33a22168, v39
	v_fmac_f32_e32 v41, 0x3fc90fda, v38
	v_lshrrev_b32_e32 v0, 30, v0
	v_add_f32_e32 v38, v40, v41
	v_add_u32_e32 v0, v47, v0
	s_andn2_saveexec_b64 s[6:7], s[34:35]
	s_cbranch_execnz .LBB133_288
	s_branch .LBB133_289
.LBB133_287:                            ;   in Loop: Header=BB133_181 Depth=1
	s_andn2_saveexec_b64 s[6:7], s[34:35]
.LBB133_288:                            ;   in Loop: Header=BB133_181 Depth=1
	v_mul_f32_e64 v0, |v25|, s56
	v_rndne_f32_e32 v39, v0
	v_cvt_i32_f32_e32 v0, v39
	v_fma_f32 v38, v39, s57, |v25|
	v_fmac_f32_e32 v38, 0xb3a22168, v39
	v_fmac_f32_e32 v38, 0xa7c234c4, v39
.LBB133_289:                            ;   in Loop: Header=BB133_181 Depth=1
	s_or_b64 exec, exec, s[6:7]
	v_mul_f32_e32 v39, 0x3fb8aa3b, v24
	v_rndne_f32_e32 v40, v39
	v_sub_f32_e32 v41, v39, v40
	v_fma_f32 v39, v24, s58, -v39
	v_fmac_f32_e32 v39, 0x32a5705f, v24
	v_add_f32_e32 v39, v41, v39
	v_cvt_i32_f32_e32 v40, v40
	v_exp_f32_e32 v39, v39
	v_cmp_ngt_f32_e64 s[6:7], s59, v24
	v_ldexp_f32 v39, v39, v40
	v_cndmask_b32_e64 v39, 0, v39, s[6:7]
	v_cmp_nlt_f32_e64 s[6:7], s60, v24
	v_cndmask_b32_e64 v24, v35, v39, s[6:7]
	v_mul_f32_e32 v39, v29, v29
	v_mov_b32_e32 v40, 0x3c0881c4
	v_fmac_f32_e32 v40, 0xb94c1982, v39
	v_fma_f32 v40, v39, v40, v30
	v_mul_f32_e32 v40, v39, v40
	v_fmac_f32_e32 v29, v29, v40
	v_mov_b32_e32 v40, 0xbab64f3b
	v_fmac_f32_e32 v40, 0x37d75334, v39
	v_fma_f32 v40, v39, v40, v31
	v_fma_f32 v40, v39, v40, v32
	v_fma_f32 v39, v39, v40, 1.0
	v_and_b32_e32 v40, 1, v28
	v_cmp_eq_u32_e64 s[6:7], 0, v40
	v_lshlrev_b32_e32 v28, 30, v28
	v_cndmask_b32_e64 v29, -v29, v39, s[6:7]
	v_and_b32_e32 v28, 0x80000000, v28
	v_xor_b32_e32 v28, v28, v29
	v_mul_f32_e32 v29, v38, v38
	v_mov_b32_e32 v39, 0x3c0881c4
	v_fmac_f32_e32 v39, 0xb94c1982, v29
	v_fma_f32 v39, v29, v39, v30
	v_mul_f32_e32 v39, v29, v39
	v_fmac_f32_e32 v38, v38, v39
	v_mov_b32_e32 v39, 0xbab64f3b
	v_fmac_f32_e32 v39, 0x37d75334, v29
	v_fma_f32 v39, v29, v39, v31
	v_fma_f32 v39, v29, v39, v32
	v_fma_f32 v29, v29, v39, 1.0
	v_and_b32_e32 v39, 1, v0
	v_cmp_eq_u32_e64 s[8:9], 0, v39
	v_lshlrev_b32_e32 v0, 30, v0
	v_cndmask_b32_e64 v29, v29, v38, s[8:9]
	v_and_or_b32 v0, v0, s61, v37
	v_xor_b32_e32 v0, v0, v29
	v_cmp_class_f32_e64 s[6:7], v25, s62
	v_xor_b32_e32 v0, v0, v25
	v_cndmask_b32_e64 v28, v36, v28, s[6:7]
	v_cndmask_b32_e64 v0, v36, v0, s[6:7]
	v_mul_f32_e32 v28, v24, v28
	v_mul_f32_e32 v29, v24, v0
                                        ; implicit-def: $vgpr25
                                        ; implicit-def: $vgpr37
.LBB133_290:                            ;   in Loop: Header=BB133_181 Depth=1
	s_andn2_saveexec_b64 s[30:31], s[30:31]
	s_cbranch_execz .LBB133_300
; %bb.291:                              ;   in Loop: Header=BB133_181 Depth=1
	v_cmp_nlt_f32_e64 s[34:35], |v25|, s47
                                        ; implicit-def: $vgpr29
                                        ; implicit-def: $vgpr28
	s_and_saveexec_b64 s[6:7], s[34:35]
	s_xor_b64 s[36:37], exec, s[6:7]
	s_cbranch_execz .LBB133_293
; %bb.292:                              ;   in Loop: Header=BB133_181 Depth=1
	v_lshrrev_b32_e32 v0, 23, v37
	v_add_u32_e32 v0, 0xffffff88, v0
	v_cmp_lt_u32_e64 s[6:7], 63, v0
	v_cndmask_b32_e64 v28, 0, v33, s[6:7]
	v_add_u32_e32 v0, v28, v0
	v_cmp_lt_u32_e64 s[8:9], 31, v0
	v_cndmask_b32_e64 v28, 0, v34, s[8:9]
	;; [unrolled: 3-line block ×3, first 2 shown]
	v_add_u32_e32 v50, v28, v0
	v_and_b32_e32 v0, 0x7fffff, v37
	v_or_b32_e32 v48, 0x800000, v0
	v_mad_u64_u32 v[28:29], s[12:13], v48, s48, 0
	v_mov_b32_e32 v0, v29
	v_mad_u64_u32 v[38:39], s[12:13], v48, s49, v[0:1]
	v_mov_b32_e32 v0, v39
	v_mad_u64_u32 v[40:41], s[12:13], v48, s50, v[0:1]
	v_mov_b32_e32 v0, v41
	v_mad_u64_u32 v[42:43], s[12:13], v48, s51, v[0:1]
	v_mov_b32_e32 v0, v43
	v_mad_u64_u32 v[44:45], s[12:13], v48, s52, v[0:1]
	v_mov_b32_e32 v0, v45
	v_mad_u64_u32 v[46:47], s[12:13], v48, s53, v[0:1]
	v_mov_b32_e32 v0, v47
	v_mad_u64_u32 v[48:49], s[12:13], v48, s54, v[0:1]
	v_cndmask_b32_e64 v29, v46, v42, s[6:7]
	v_cndmask_b32_e64 v0, v48, v44, s[6:7]
	v_cndmask_b32_e64 v41, v49, v46, s[6:7]
	v_cndmask_b32_e64 v39, v0, v29, s[8:9]
	v_cndmask_b32_e64 v0, v41, v0, s[8:9]
	v_cndmask_b32_e64 v41, v44, v40, s[6:7]
	v_cndmask_b32_e64 v29, v29, v41, s[8:9]
	v_cndmask_b32_e64 v38, v42, v38, s[6:7]
	v_cndmask_b32_e64 v0, v0, v39, s[10:11]
	v_cndmask_b32_e64 v39, v39, v29, s[10:11]
	v_sub_u32_e32 v43, 32, v50
	v_cndmask_b32_e64 v41, v41, v38, s[8:9]
	v_alignbit_b32 v44, v0, v39, v43
	v_cmp_eq_u32_e64 s[12:13], 0, v50
	v_cndmask_b32_e64 v29, v29, v41, s[10:11]
	v_cndmask_b32_e64 v28, v40, v28, s[6:7]
	;; [unrolled: 1-line block ×3, first 2 shown]
	v_alignbit_b32 v42, v39, v29, v43
	v_cndmask_b32_e64 v28, v38, v28, s[8:9]
	v_cndmask_b32_e64 v39, v42, v39, s[12:13]
	v_bfe_u32 v45, v0, 29, 1
	v_cndmask_b32_e64 v28, v41, v28, s[10:11]
	v_alignbit_b32 v42, v0, v39, 30
	v_sub_u32_e32 v46, 0, v45
	v_alignbit_b32 v38, v29, v28, v43
	v_xor_b32_e32 v47, v42, v46
	v_cndmask_b32_e64 v29, v38, v29, s[12:13]
	v_alignbit_b32 v38, v39, v29, 30
	v_ffbh_u32_e32 v39, v47
	v_add_u32_e32 v39, 1, v39
	v_cmp_ne_u32_e64 s[6:7], v42, v46
	v_cndmask_b32_e64 v39, 33, v39, s[6:7]
	v_alignbit_b32 v28, v29, v28, 30
	v_xor_b32_e32 v38, v38, v46
	v_sub_u32_e32 v40, 32, v39
	v_xor_b32_e32 v28, v28, v46
	v_alignbit_b32 v41, v47, v38, v40
	v_alignbit_b32 v28, v38, v28, v40
	;; [unrolled: 1-line block ×3, first 2 shown]
	v_ffbh_u32_e32 v38, v29
	v_min_u32_e32 v38, 32, v38
	v_lshrrev_b32_e32 v44, 29, v0
	v_sub_u32_e32 v40, 31, v38
	v_alignbit_b32 v28, v29, v28, v40
	v_lshlrev_b32_e32 v29, 31, v44
	v_or_b32_e32 v40, 0x33800000, v29
	v_add_lshl_u32 v38, v38, v39, 23
	v_lshrrev_b32_e32 v28, 9, v28
	v_sub_u32_e32 v38, v40, v38
	v_or_b32_e32 v28, v38, v28
	v_alignbit_b32 v38, v39, v41, 9
	v_or_b32_e32 v29, v38, v29
	v_xor_b32_e32 v29, 1.0, v29
	v_mul_f32_e32 v38, 0x3fc90fda, v29
	v_fma_f32 v39, v29, s55, -v38
	v_fmac_f32_e32 v39, 0x33a22168, v29
	v_fmac_f32_e32 v39, 0x3fc90fda, v28
	v_lshrrev_b32_e32 v0, 30, v0
	v_add_f32_e32 v28, v38, v39
	v_add_u32_e32 v29, v45, v0
	s_andn2_saveexec_b64 s[6:7], s[36:37]
	s_branch .LBB133_294
.LBB133_293:                            ;   in Loop: Header=BB133_181 Depth=1
	s_andn2_saveexec_b64 s[6:7], s[36:37]
.LBB133_294:                            ;   in Loop: Header=BB133_181 Depth=1
	v_mul_f32_e64 v0, |v25|, s56
	v_rndne_f32_e32 v0, v0
	v_cvt_i32_f32_e32 v29, v0
	v_fma_f32 v28, v0, s57, |v25|
	v_fmac_f32_e32 v28, 0xb3a22168, v0
	v_fmac_f32_e32 v28, 0xa7c234c4, v0
; %bb.295:                              ;   in Loop: Header=BB133_181 Depth=1
	s_or_b64 exec, exec, s[6:7]
                                        ; implicit-def: $vgpr0
                                        ; implicit-def: $vgpr38
	s_and_saveexec_b64 s[6:7], s[34:35]
	s_xor_b64 s[34:35], exec, s[6:7]
	s_cbranch_execz .LBB133_297
; %bb.296:                              ;   in Loop: Header=BB133_181 Depth=1
	v_lshrrev_b32_e32 v0, 23, v37
	v_add_u32_e32 v0, 0xffffff88, v0
	v_cmp_lt_u32_e64 s[6:7], 63, v0
	v_cndmask_b32_e64 v38, 0, v33, s[6:7]
	v_add_u32_e32 v0, v38, v0
	v_cmp_lt_u32_e64 s[8:9], 31, v0
	v_cndmask_b32_e64 v38, 0, v34, s[8:9]
	;; [unrolled: 3-line block ×3, first 2 shown]
	v_add_u32_e32 v52, v38, v0
	v_and_b32_e32 v0, 0x7fffff, v37
	v_or_b32_e32 v50, 0x800000, v0
	v_mad_u64_u32 v[38:39], s[12:13], v50, s48, 0
	v_mov_b32_e32 v0, v39
	v_mad_u64_u32 v[40:41], s[12:13], v50, s49, v[0:1]
	v_mov_b32_e32 v0, v41
	;; [unrolled: 2-line block ×6, first 2 shown]
	v_mad_u64_u32 v[50:51], s[12:13], v50, s54, v[0:1]
	v_cndmask_b32_e64 v39, v48, v44, s[6:7]
	v_cndmask_b32_e64 v0, v50, v46, s[6:7]
	;; [unrolled: 1-line block ×10, first 2 shown]
	v_sub_u32_e32 v45, 32, v52
	v_cndmask_b32_e64 v43, v43, v40, s[8:9]
	v_alignbit_b32 v46, v0, v41, v45
	v_cmp_eq_u32_e64 s[12:13], 0, v52
	v_cndmask_b32_e64 v39, v39, v43, s[10:11]
	v_cndmask_b32_e64 v38, v42, v38, s[6:7]
	;; [unrolled: 1-line block ×3, first 2 shown]
	v_alignbit_b32 v44, v41, v39, v45
	v_cndmask_b32_e64 v38, v40, v38, s[8:9]
	v_cndmask_b32_e64 v41, v44, v41, s[12:13]
	v_bfe_u32 v47, v0, 29, 1
	v_cndmask_b32_e64 v38, v43, v38, s[10:11]
	v_alignbit_b32 v44, v0, v41, 30
	v_sub_u32_e32 v48, 0, v47
	v_alignbit_b32 v40, v39, v38, v45
	v_xor_b32_e32 v49, v44, v48
	v_cndmask_b32_e64 v39, v40, v39, s[12:13]
	v_alignbit_b32 v40, v41, v39, 30
	v_ffbh_u32_e32 v41, v49
	v_add_u32_e32 v41, 1, v41
	v_cmp_ne_u32_e64 s[6:7], v44, v48
	v_cndmask_b32_e64 v41, 33, v41, s[6:7]
	v_alignbit_b32 v38, v39, v38, 30
	v_xor_b32_e32 v40, v40, v48
	v_sub_u32_e32 v42, 32, v41
	v_xor_b32_e32 v38, v38, v48
	v_alignbit_b32 v43, v49, v40, v42
	v_alignbit_b32 v38, v40, v38, v42
	;; [unrolled: 1-line block ×3, first 2 shown]
	v_ffbh_u32_e32 v40, v39
	v_min_u32_e32 v40, 32, v40
	v_lshrrev_b32_e32 v46, 29, v0
	v_sub_u32_e32 v42, 31, v40
	v_alignbit_b32 v38, v39, v38, v42
	v_lshlrev_b32_e32 v39, 31, v46
	v_or_b32_e32 v42, 0x33800000, v39
	v_add_lshl_u32 v40, v40, v41, 23
	v_lshrrev_b32_e32 v38, 9, v38
	v_sub_u32_e32 v40, v42, v40
	v_or_b32_e32 v38, v40, v38
	v_alignbit_b32 v40, v41, v43, 9
	v_or_b32_e32 v39, v40, v39
	v_xor_b32_e32 v39, 1.0, v39
	v_mul_f32_e32 v40, 0x3fc90fda, v39
	v_fma_f32 v41, v39, s55, -v40
	v_fmac_f32_e32 v41, 0x33a22168, v39
	v_fmac_f32_e32 v41, 0x3fc90fda, v38
	v_lshrrev_b32_e32 v0, 30, v0
	v_add_f32_e32 v38, v40, v41
	v_add_u32_e32 v0, v47, v0
	s_andn2_saveexec_b64 s[6:7], s[34:35]
	s_cbranch_execnz .LBB133_298
	s_branch .LBB133_299
.LBB133_297:                            ;   in Loop: Header=BB133_181 Depth=1
	s_andn2_saveexec_b64 s[6:7], s[34:35]
.LBB133_298:                            ;   in Loop: Header=BB133_181 Depth=1
	v_mul_f32_e64 v0, |v25|, s56
	v_rndne_f32_e32 v39, v0
	v_cvt_i32_f32_e32 v0, v39
	v_fma_f32 v38, v39, s57, |v25|
	v_fmac_f32_e32 v38, 0xb3a22168, v39
	v_fmac_f32_e32 v38, 0xa7c234c4, v39
.LBB133_299:                            ;   in Loop: Header=BB133_181 Depth=1
	s_or_b64 exec, exec, s[6:7]
	v_mul_f32_e32 v40, v28, v28
	v_mov_b32_e32 v41, 0xbab64f3b
	v_fmac_f32_e32 v41, 0x37d75334, v40
	v_mov_b32_e32 v42, 0x3c0881c4
	v_fma_f32 v41, v40, v41, v31
	v_fmac_f32_e32 v42, 0xb94c1982, v40
	v_fma_f32 v41, v40, v41, v32
	v_fma_f32 v42, v40, v42, v30
	v_lshlrev_b32_e32 v39, 30, v29
	v_and_b32_e32 v29, 1, v29
	v_fma_f32 v41, v40, v41, 1.0
	v_mul_f32_e32 v40, v40, v42
	v_add_f32_e32 v24, 0xc322e3bc, v24
	v_fmac_f32_e32 v28, v28, v40
	v_cmp_eq_u32_e64 s[6:7], 0, v29
	v_mul_f32_e32 v29, 0x3fb8aa3b, v24
	v_cndmask_b32_e64 v28, -v28, v41, s[6:7]
	v_fma_f32 v40, v24, s58, -v29
	v_rndne_f32_e32 v41, v29
	v_fmac_f32_e32 v40, 0x32a5705f, v24
	v_sub_f32_e32 v29, v29, v41
	v_add_f32_e32 v29, v29, v40
	v_exp_f32_e32 v29, v29
	v_cvt_i32_f32_e32 v40, v41
	v_cmp_ngt_f32_e64 s[8:9], s59, v24
	v_and_b32_e32 v39, 0x80000000, v39
	v_xor_b32_e32 v28, v39, v28
	v_ldexp_f32 v29, v29, v40
	v_cndmask_b32_e64 v29, 0, v29, s[8:9]
	v_cmp_nlt_f32_e64 s[8:9], s60, v24
	v_cndmask_b32_e64 v24, v35, v29, s[8:9]
	v_and_b32_e32 v29, 0x7fffff, v24
	v_lshrrev_b32_e32 v24, 23, v24
	v_subrev_u32_e32 v24, 19, v24
	v_lshrrev_b16_e32 v39, 15, v24
	v_add_u16_e32 v39, v24, v39
	v_ashrrev_i16_e32 v39, 1, v39
	v_bfe_i32 v39, v39, 0, 16
	v_lshl_add_u32 v40, v39, 23, 1.0
	v_sub_u32_e32 v24, v24, v39
	v_mul_f32_e32 v39, v38, v38
	v_mov_b32_e32 v41, 0x3c0881c4
	v_fmac_f32_e32 v41, 0xb94c1982, v39
	v_fma_f32 v41, v39, v41, v30
	v_mul_f32_e32 v41, v39, v41
	v_fmac_f32_e32 v38, v38, v41
	v_mov_b32_e32 v41, 0xbab64f3b
	v_fmac_f32_e32 v41, 0x37d75334, v39
	v_fma_f32 v41, v39, v41, v31
	v_fma_f32 v41, v39, v41, v32
	v_fma_f32 v39, v39, v41, 1.0
	v_and_b32_e32 v41, 1, v0
	v_cmp_eq_u32_e64 s[8:9], 0, v41
	v_lshlrev_b32_e32 v0, 30, v0
	v_cndmask_b32_e64 v38, v39, v38, s[8:9]
	v_and_or_b32 v0, v0, s61, v37
	v_xor_b32_e32 v0, v0, v38
	v_cmp_class_f32_e64 s[6:7], v25, s62
	v_xor_b32_e32 v0, v0, v25
	v_cndmask_b32_e64 v28, v36, v28, s[6:7]
	v_or_b32_e32 v29, 0x7f000000, v29
	v_cndmask_b32_e64 v0, v36, v0, s[6:7]
	v_mul_f32_e32 v28, v28, v29
	v_mul_f32_e32 v0, v0, v29
	;; [unrolled: 1-line block ×3, first 2 shown]
	v_lshl_add_u32 v24, v24, 23, 1.0
	v_mul_f32_e32 v0, v0, v40
	v_mul_f32_e32 v28, v28, v24
	;; [unrolled: 1-line block ×3, first 2 shown]
.LBB133_300:                            ;   in Loop: Header=BB133_181 Depth=1
	s_or_b64 exec, exec, s[30:31]
                                        ; implicit-def: $vgpr24
                                        ; implicit-def: $vgpr0
.LBB133_301:                            ;   in Loop: Header=BB133_181 Depth=1
	s_andn2_saveexec_b64 s[8:9], s[28:29]
	s_cbranch_execz .LBB133_307
; %bb.302:                              ;   in Loop: Header=BB133_181 Depth=1
	v_cmp_ne_u32_e64 s[6:7], s45, v0
                                        ; implicit-def: $vgpr29
	s_and_saveexec_b64 s[10:11], s[6:7]
	s_xor_b64 s[6:7], exec, s[10:11]
; %bb.303:                              ;   in Loop: Header=BB133_181 Depth=1
	v_sub_f32_e32 v29, v25, v25
                                        ; implicit-def: $vgpr24
; %bb.304:                              ;   in Loop: Header=BB133_181 Depth=1
	s_or_saveexec_b64 s[10:11], s[6:7]
	v_mov_b32_e32 v28, v29
	s_xor_b64 exec, exec, s[10:11]
; %bb.305:                              ;   in Loop: Header=BB133_181 Depth=1
	v_sub_f32_e32 v0, v25, v25
	v_cmp_lt_i32_e64 s[6:7], -1, v24
	v_cndmask_b32_e64 v28, 0, v24, s[6:7]
	v_cndmask_b32_e64 v29, 0, v0, s[6:7]
; %bb.306:                              ;   in Loop: Header=BB133_181 Depth=1
	s_or_b64 exec, exec, s[10:11]
.LBB133_307:                            ;   in Loop: Header=BB133_181 Depth=1
	s_or_b64 exec, exec, s[8:9]
                                        ; implicit-def: $vgpr25
                                        ; implicit-def: $vgpr37
.LBB133_308:                            ;   in Loop: Header=BB133_181 Depth=1
	s_andn2_saveexec_b64 s[26:27], s[26:27]
	s_cbranch_execz .LBB133_318
; %bb.309:                              ;   in Loop: Header=BB133_181 Depth=1
	v_cmp_nlt_f32_e64 s[28:29], |v25|, s47
                                        ; implicit-def: $vgpr24
                                        ; implicit-def: $vgpr28
	s_and_saveexec_b64 s[6:7], s[28:29]
	s_xor_b64 s[30:31], exec, s[6:7]
	s_cbranch_execz .LBB133_311
; %bb.310:                              ;   in Loop: Header=BB133_181 Depth=1
	v_lshrrev_b32_e32 v0, 23, v37
	v_add_u32_e32 v0, 0xffffff88, v0
	v_cmp_lt_u32_e64 s[6:7], 63, v0
	v_cndmask_b32_e64 v24, 0, v33, s[6:7]
	v_add_u32_e32 v0, v24, v0
	v_cmp_lt_u32_e64 s[8:9], 31, v0
	v_cndmask_b32_e64 v24, 0, v34, s[8:9]
	v_add_u32_e32 v0, v24, v0
	v_cmp_lt_u32_e64 s[10:11], 31, v0
	v_cndmask_b32_e64 v24, 0, v34, s[10:11]
	v_add_u32_e32 v24, v24, v0
	v_and_b32_e32 v0, 0x7fffff, v37
	v_or_b32_e32 v48, 0x800000, v0
	v_mad_u64_u32 v[28:29], s[12:13], v48, s48, 0
	v_mov_b32_e32 v0, v29
	v_mad_u64_u32 v[38:39], s[12:13], v48, s49, v[0:1]
	v_mov_b32_e32 v0, v39
	;; [unrolled: 2-line block ×6, first 2 shown]
	v_mad_u64_u32 v[48:49], s[12:13], v48, s54, v[0:1]
	v_cndmask_b32_e64 v29, v46, v42, s[6:7]
	v_cndmask_b32_e64 v0, v48, v44, s[6:7]
	;; [unrolled: 1-line block ×7, first 2 shown]
	v_sub_u32_e32 v43, 32, v24
	v_cmp_eq_u32_e64 s[12:13], 0, v24
	v_cndmask_b32_e64 v24, v42, v38, s[6:7]
	v_cndmask_b32_e64 v0, v0, v39, s[10:11]
	;; [unrolled: 1-line block ×4, first 2 shown]
	v_alignbit_b32 v44, v0, v39, v43
	v_cndmask_b32_e64 v29, v29, v38, s[10:11]
	v_cndmask_b32_e64 v0, v44, v0, s[12:13]
	v_alignbit_b32 v41, v39, v29, v43
	v_cndmask_b32_e64 v39, v41, v39, s[12:13]
	v_bfe_u32 v44, v0, 29, 1
	v_cndmask_b32_e64 v28, v40, v28, s[6:7]
	v_alignbit_b32 v41, v0, v39, 30
	v_sub_u32_e32 v45, 0, v44
	v_cndmask_b32_e64 v24, v24, v28, s[8:9]
	v_xor_b32_e32 v46, v41, v45
	v_cndmask_b32_e64 v24, v38, v24, s[10:11]
	v_alignbit_b32 v28, v29, v24, v43
	v_ffbh_u32_e32 v38, v46
	v_cndmask_b32_e64 v28, v28, v29, s[12:13]
	v_add_u32_e32 v38, 1, v38
	v_cmp_ne_u32_e64 s[6:7], v41, v45
	v_alignbit_b32 v29, v39, v28, 30
	v_cndmask_b32_e64 v38, 33, v38, s[6:7]
	v_alignbit_b32 v24, v28, v24, 30
	v_xor_b32_e32 v29, v29, v45
	v_sub_u32_e32 v39, 32, v38
	v_xor_b32_e32 v24, v24, v45
	v_alignbit_b32 v40, v46, v29, v39
	v_alignbit_b32 v24, v29, v24, v39
	;; [unrolled: 1-line block ×3, first 2 shown]
	v_ffbh_u32_e32 v29, v28
	v_min_u32_e32 v29, 32, v29
	v_lshrrev_b32_e32 v42, 29, v0
	v_sub_u32_e32 v39, 31, v29
	v_alignbit_b32 v24, v28, v24, v39
	v_lshlrev_b32_e32 v28, 31, v42
	v_or_b32_e32 v39, 0x33800000, v28
	v_add_lshl_u32 v29, v29, v38, 23
	v_lshrrev_b32_e32 v24, 9, v24
	v_sub_u32_e32 v29, v39, v29
	v_or_b32_e32 v24, v29, v24
	v_alignbit_b32 v29, v38, v40, 9
	v_or_b32_e32 v28, v29, v28
	v_xor_b32_e32 v28, 1.0, v28
	v_mul_f32_e32 v29, 0x3fc90fda, v28
	v_fma_f32 v38, v28, s55, -v29
	v_fmac_f32_e32 v38, 0x33a22168, v28
	v_fmac_f32_e32 v38, 0x3fc90fda, v24
	v_lshrrev_b32_e32 v0, 30, v0
	v_add_f32_e32 v28, v29, v38
	v_add_u32_e32 v24, v44, v0
	s_andn2_saveexec_b64 s[6:7], s[30:31]
	s_branch .LBB133_312
.LBB133_311:                            ;   in Loop: Header=BB133_181 Depth=1
	s_andn2_saveexec_b64 s[6:7], s[30:31]
.LBB133_312:                            ;   in Loop: Header=BB133_181 Depth=1
	v_mul_f32_e64 v0, |v25|, s56
	v_rndne_f32_e32 v0, v0
	v_cvt_i32_f32_e32 v24, v0
	v_fma_f32 v28, v0, s57, |v25|
	v_fmac_f32_e32 v28, 0xb3a22168, v0
	v_fmac_f32_e32 v28, 0xa7c234c4, v0
; %bb.313:                              ;   in Loop: Header=BB133_181 Depth=1
	s_or_b64 exec, exec, s[6:7]
                                        ; implicit-def: $vgpr0
                                        ; implicit-def: $vgpr29
	s_and_saveexec_b64 s[6:7], s[28:29]
	s_xor_b64 s[28:29], exec, s[6:7]
	s_cbranch_execz .LBB133_315
; %bb.314:                              ;   in Loop: Header=BB133_181 Depth=1
	v_lshrrev_b32_e32 v0, 23, v37
	v_add_u32_e32 v0, 0xffffff88, v0
	v_cmp_lt_u32_e64 s[6:7], 63, v0
	v_cndmask_b32_e64 v29, 0, v33, s[6:7]
	v_add_u32_e32 v0, v29, v0
	v_cmp_lt_u32_e64 s[8:9], 31, v0
	v_cndmask_b32_e64 v29, 0, v34, s[8:9]
	;; [unrolled: 3-line block ×3, first 2 shown]
	v_add_u32_e32 v29, v29, v0
	v_and_b32_e32 v0, 0x7fffff, v37
	v_or_b32_e32 v50, 0x800000, v0
	v_mad_u64_u32 v[38:39], s[12:13], v50, s48, 0
	v_mov_b32_e32 v0, v39
	v_mad_u64_u32 v[40:41], s[12:13], v50, s49, v[0:1]
	v_mov_b32_e32 v0, v41
	;; [unrolled: 2-line block ×6, first 2 shown]
	v_mad_u64_u32 v[50:51], s[12:13], v50, s54, v[0:1]
	v_cndmask_b32_e64 v39, v48, v44, s[6:7]
	v_cndmask_b32_e64 v0, v50, v46, s[6:7]
	;; [unrolled: 1-line block ×7, first 2 shown]
	v_sub_u32_e32 v45, 32, v29
	v_cmp_eq_u32_e64 s[12:13], 0, v29
	v_cndmask_b32_e64 v29, v44, v40, s[6:7]
	v_cndmask_b32_e64 v0, v0, v41, s[10:11]
	;; [unrolled: 1-line block ×4, first 2 shown]
	v_alignbit_b32 v46, v0, v41, v45
	v_cndmask_b32_e64 v39, v39, v40, s[10:11]
	v_cndmask_b32_e64 v0, v46, v0, s[12:13]
	v_alignbit_b32 v43, v41, v39, v45
	v_cndmask_b32_e64 v41, v43, v41, s[12:13]
	v_bfe_u32 v46, v0, 29, 1
	v_cndmask_b32_e64 v38, v42, v38, s[6:7]
	v_alignbit_b32 v43, v0, v41, 30
	v_sub_u32_e32 v47, 0, v46
	v_cndmask_b32_e64 v29, v29, v38, s[8:9]
	v_xor_b32_e32 v48, v43, v47
	v_cndmask_b32_e64 v29, v40, v29, s[10:11]
	v_alignbit_b32 v38, v39, v29, v45
	v_ffbh_u32_e32 v40, v48
	v_cndmask_b32_e64 v38, v38, v39, s[12:13]
	v_add_u32_e32 v40, 1, v40
	v_cmp_ne_u32_e64 s[6:7], v43, v47
	v_alignbit_b32 v39, v41, v38, 30
	v_cndmask_b32_e64 v40, 33, v40, s[6:7]
	v_alignbit_b32 v29, v38, v29, 30
	v_xor_b32_e32 v39, v39, v47
	v_sub_u32_e32 v41, 32, v40
	v_xor_b32_e32 v29, v29, v47
	v_alignbit_b32 v42, v48, v39, v41
	v_alignbit_b32 v29, v39, v29, v41
	;; [unrolled: 1-line block ×3, first 2 shown]
	v_ffbh_u32_e32 v39, v38
	v_min_u32_e32 v39, 32, v39
	v_lshrrev_b32_e32 v44, 29, v0
	v_sub_u32_e32 v41, 31, v39
	v_alignbit_b32 v29, v38, v29, v41
	v_lshlrev_b32_e32 v38, 31, v44
	v_or_b32_e32 v41, 0x33800000, v38
	v_add_lshl_u32 v39, v39, v40, 23
	v_lshrrev_b32_e32 v29, 9, v29
	v_sub_u32_e32 v39, v41, v39
	v_or_b32_e32 v29, v39, v29
	v_alignbit_b32 v39, v40, v42, 9
	v_or_b32_e32 v38, v39, v38
	v_xor_b32_e32 v38, 1.0, v38
	v_mul_f32_e32 v39, 0x3fc90fda, v38
	v_fma_f32 v40, v38, s55, -v39
	v_fmac_f32_e32 v40, 0x33a22168, v38
	v_fmac_f32_e32 v40, 0x3fc90fda, v29
	v_lshrrev_b32_e32 v0, 30, v0
	v_add_f32_e32 v29, v39, v40
	v_add_u32_e32 v0, v46, v0
	s_andn2_saveexec_b64 s[6:7], s[28:29]
	s_cbranch_execnz .LBB133_316
	s_branch .LBB133_317
.LBB133_315:                            ;   in Loop: Header=BB133_181 Depth=1
	s_andn2_saveexec_b64 s[6:7], s[28:29]
.LBB133_316:                            ;   in Loop: Header=BB133_181 Depth=1
	v_mul_f32_e64 v0, |v25|, s56
	v_rndne_f32_e32 v38, v0
	v_cvt_i32_f32_e32 v0, v38
	v_fma_f32 v29, v38, s57, |v25|
	v_fmac_f32_e32 v29, 0xb3a22168, v38
	v_fmac_f32_e32 v29, 0xa7c234c4, v38
.LBB133_317:                            ;   in Loop: Header=BB133_181 Depth=1
	s_or_b64 exec, exec, s[6:7]
	v_mul_f32_e32 v38, v28, v28
	v_mov_b32_e32 v39, 0x3c0881c4
	v_fmac_f32_e32 v39, 0xb94c1982, v38
	v_fma_f32 v39, v38, v39, v30
	v_mul_f32_e32 v39, v38, v39
	v_fmac_f32_e32 v28, v28, v39
	v_mov_b32_e32 v39, 0xbab64f3b
	v_fmac_f32_e32 v39, 0x37d75334, v38
	v_fma_f32 v39, v38, v39, v31
	v_fma_f32 v39, v38, v39, v32
	v_fma_f32 v38, v38, v39, 1.0
	v_and_b32_e32 v39, 1, v24
	v_cmp_eq_u32_e64 s[6:7], 0, v39
	v_lshlrev_b32_e32 v24, 30, v24
	v_cndmask_b32_e64 v28, -v28, v38, s[6:7]
	v_and_b32_e32 v24, 0x80000000, v24
	v_xor_b32_e32 v24, v24, v28
	v_cmp_class_f32_e64 s[6:7], v25, s62
	v_cndmask_b32_e64 v28, v36, v24, s[6:7]
	v_mul_f32_e32 v24, v29, v29
	v_mov_b32_e32 v38, 0x3c0881c4
	v_fmac_f32_e32 v38, 0xb94c1982, v24
	v_fma_f32 v38, v24, v38, v30
	v_mul_f32_e32 v38, v24, v38
	v_fmac_f32_e32 v29, v29, v38
	v_mov_b32_e32 v38, 0xbab64f3b
	v_fmac_f32_e32 v38, 0x37d75334, v24
	v_fma_f32 v38, v24, v38, v31
	v_fma_f32 v38, v24, v38, v32
	v_fma_f32 v24, v24, v38, 1.0
	v_and_b32_e32 v38, 1, v0
	v_cmp_eq_u32_e64 s[8:9], 0, v38
	v_lshlrev_b32_e32 v0, 30, v0
	v_cndmask_b32_e64 v24, v24, v29, s[8:9]
	v_and_or_b32 v0, v0, s61, v37
	v_xor_b32_e32 v0, v0, v24
	v_xor_b32_e32 v0, v0, v25
	v_cndmask_b32_e64 v29, v36, v0, s[6:7]
.LBB133_318:                            ;   in Loop: Header=BB133_181 Depth=1
	s_or_b64 exec, exec, s[26:27]
                                        ; implicit-def: $vgpr24
.LBB133_319:                            ;   in Loop: Header=BB133_181 Depth=1
	s_andn2_saveexec_b64 s[8:9], s[24:25]
	s_cbranch_execz .LBB133_321
; %bb.320:                              ;   in Loop: Header=BB133_181 Depth=1
	v_mul_f32_e32 v0, 0x3fb8aa3b, v24
	v_rndne_f32_e32 v28, v0
	v_sub_f32_e32 v29, v0, v28
	v_fma_f32 v0, v24, s58, -v0
	v_fmac_f32_e32 v0, 0x32a5705f, v24
	v_add_f32_e32 v0, v29, v0
	v_cvt_i32_f32_e32 v28, v28
	v_exp_f32_e32 v0, v0
	v_cmp_ngt_f32_e64 s[6:7], s59, v24
	v_mov_b32_e32 v29, v25
	v_ldexp_f32 v0, v0, v28
	v_cndmask_b32_e64 v0, 0, v0, s[6:7]
	v_cmp_nlt_f32_e64 s[6:7], s60, v24
	v_cndmask_b32_e64 v28, v35, v0, s[6:7]
.LBB133_321:                            ;   in Loop: Header=BB133_181 Depth=1
	s_or_b64 exec, exec, s[8:9]
	v_and_b32_e32 v37, 0x7fffffff, v21
	v_cmp_ne_u32_e64 s[6:7], 0, v37
                                        ; implicit-def: $vgpr25
	s_and_saveexec_b64 s[8:9], s[6:7]
	s_xor_b64 s[24:25], exec, s[8:9]
	s_cbranch_execz .LBB133_327
; %bb.322:                              ;   in Loop: Header=BB133_181 Depth=1
	v_and_b32_e32 v0, 0x7fffffff, v20
	v_cmp_ne_u32_e64 s[6:7], 0, v0
                                        ; implicit-def: $vgpr25
	s_and_saveexec_b64 s[8:9], s[6:7]
	s_xor_b64 s[26:27], exec, s[8:9]
	s_cbranch_execz .LBB133_357
; %bb.323:                              ;   in Loop: Header=BB133_181 Depth=1
	v_cmp_gt_u32_e64 s[6:7], s45, v37
                                        ; implicit-def: $vgpr25
	s_and_saveexec_b64 s[8:9], s[6:7]
	s_xor_b64 s[28:29], exec, s[8:9]
	s_cbranch_execz .LBB133_350
; %bb.324:                              ;   in Loop: Header=BB133_181 Depth=1
	v_add_u32_e32 v0, 0xbd4e8de8, v20
	v_cmp_lt_u32_e64 s[6:7], s46, v0
                                        ; implicit-def: $vgpr25
	s_and_saveexec_b64 s[8:9], s[6:7]
	s_xor_b64 s[30:31], exec, s[8:9]
	s_cbranch_execz .LBB133_339
; %bb.325:                              ;   in Loop: Header=BB133_181 Depth=1
	v_cmp_nlt_f32_e64 s[34:35], |v21|, s47
                                        ; implicit-def: $vgpr24
                                        ; implicit-def: $vgpr25
	s_and_saveexec_b64 s[6:7], s[34:35]
	s_xor_b64 s[36:37], exec, s[6:7]
	s_cbranch_execz .LBB133_332
; %bb.326:                              ;   in Loop: Header=BB133_181 Depth=1
	v_lshrrev_b32_e32 v0, 23, v37
	v_add_u32_e32 v0, 0xffffff88, v0
	v_cmp_lt_u32_e64 s[6:7], 63, v0
	v_cndmask_b32_e64 v24, 0, v33, s[6:7]
	v_add_u32_e32 v0, v24, v0
	v_cmp_lt_u32_e64 s[8:9], 31, v0
	v_cndmask_b32_e64 v24, 0, v34, s[8:9]
	;; [unrolled: 3-line block ×3, first 2 shown]
	v_add_u32_e32 v50, v24, v0
	v_and_b32_e32 v0, 0x7fffff, v37
	v_or_b32_e32 v48, 0x800000, v0
	v_mad_u64_u32 v[24:25], s[12:13], v48, s48, 0
	v_mov_b32_e32 v0, v25
	v_mad_u64_u32 v[38:39], s[12:13], v48, s49, v[0:1]
	v_mov_b32_e32 v0, v39
	;; [unrolled: 2-line block ×6, first 2 shown]
	v_mad_u64_u32 v[48:49], s[12:13], v48, s54, v[0:1]
	v_cndmask_b32_e64 v25, v46, v42, s[6:7]
	v_cndmask_b32_e64 v0, v48, v44, s[6:7]
	;; [unrolled: 1-line block ×10, first 2 shown]
	v_sub_u32_e32 v43, 32, v50
	v_cndmask_b32_e64 v41, v41, v38, s[8:9]
	v_alignbit_b32 v44, v0, v39, v43
	v_cmp_eq_u32_e64 s[12:13], 0, v50
	v_cndmask_b32_e64 v25, v25, v41, s[10:11]
	v_cndmask_b32_e64 v24, v40, v24, s[6:7]
	;; [unrolled: 1-line block ×3, first 2 shown]
	v_alignbit_b32 v42, v39, v25, v43
	v_cndmask_b32_e64 v24, v38, v24, s[8:9]
	v_cndmask_b32_e64 v39, v42, v39, s[12:13]
	v_bfe_u32 v45, v0, 29, 1
	v_cndmask_b32_e64 v24, v41, v24, s[10:11]
	v_alignbit_b32 v42, v0, v39, 30
	v_sub_u32_e32 v46, 0, v45
	v_alignbit_b32 v38, v25, v24, v43
	v_xor_b32_e32 v47, v42, v46
	v_cndmask_b32_e64 v25, v38, v25, s[12:13]
	v_alignbit_b32 v38, v39, v25, 30
	v_ffbh_u32_e32 v39, v47
	v_add_u32_e32 v39, 1, v39
	v_cmp_ne_u32_e64 s[6:7], v42, v46
	v_cndmask_b32_e64 v39, 33, v39, s[6:7]
	v_alignbit_b32 v24, v25, v24, 30
	v_xor_b32_e32 v38, v38, v46
	v_sub_u32_e32 v40, 32, v39
	v_xor_b32_e32 v24, v24, v46
	v_alignbit_b32 v41, v47, v38, v40
	v_alignbit_b32 v24, v38, v24, v40
	;; [unrolled: 1-line block ×3, first 2 shown]
	v_ffbh_u32_e32 v38, v25
	v_min_u32_e32 v38, 32, v38
	v_lshrrev_b32_e32 v44, 29, v0
	v_sub_u32_e32 v40, 31, v38
	v_alignbit_b32 v24, v25, v24, v40
	v_lshlrev_b32_e32 v25, 31, v44
	v_or_b32_e32 v40, 0x33800000, v25
	v_add_lshl_u32 v38, v38, v39, 23
	v_lshrrev_b32_e32 v24, 9, v24
	v_sub_u32_e32 v38, v40, v38
	v_or_b32_e32 v24, v38, v24
	v_alignbit_b32 v38, v39, v41, 9
	v_or_b32_e32 v25, v38, v25
	v_xor_b32_e32 v25, 1.0, v25
	v_mul_f32_e32 v38, 0x3fc90fda, v25
	v_fma_f32 v39, v25, s55, -v38
	v_fmac_f32_e32 v39, 0x33a22168, v25
	v_fmac_f32_e32 v39, 0x3fc90fda, v24
	v_lshrrev_b32_e32 v0, 30, v0
	v_add_f32_e32 v25, v38, v39
	v_add_u32_e32 v24, v45, v0
	s_andn2_saveexec_b64 s[6:7], s[36:37]
	s_branch .LBB133_333
.LBB133_327:                            ;   in Loop: Header=BB133_181 Depth=1
	s_andn2_saveexec_b64 s[8:9], s[24:25]
	s_cbranch_execz .LBB133_368
.LBB133_328:                            ;   in Loop: Header=BB133_181 Depth=1
	v_mul_f32_e32 v0, 0x3fb8aa3b, v20
	v_rndne_f32_e32 v24, v0
	v_sub_f32_e32 v25, v0, v24
	v_fma_f32 v0, v20, s58, -v0
	v_fmac_f32_e32 v0, 0x32a5705f, v20
	v_add_f32_e32 v0, v25, v0
	v_cvt_i32_f32_e32 v24, v24
	v_exp_f32_e32 v0, v0
	v_cmp_ngt_f32_e64 s[6:7], s59, v20
	v_mov_b32_e32 v25, v21
	v_ldexp_f32 v0, v0, v24
	v_cndmask_b32_e64 v0, 0, v0, s[6:7]
	v_cmp_nlt_f32_e64 s[6:7], s60, v20
	v_cndmask_b32_e64 v24, v35, v0, s[6:7]
	s_or_b64 exec, exec, s[8:9]
	s_and_saveexec_b64 s[6:7], vcc
	s_xor_b64 s[6:7], exec, s[6:7]
	s_cbranch_execnz .LBB133_369
.LBB133_329:                            ;   in Loop: Header=BB133_181 Depth=1
	s_or_b64 exec, exec, s[6:7]
	s_and_saveexec_b64 s[6:7], s[0:1]
	s_cbranch_execz .LBB133_370
.LBB133_330:                            ;   in Loop: Header=BB133_181 Depth=1
	v_mov_b32_e32 v0, s15
	v_add_co_u32_e32 v20, vcc, s14, v12
	v_addc_co_u32_e32 v21, vcc, v13, v0, vcc
	global_store_dwordx2 v[20:21], v[26:27], off
	s_or_b64 exec, exec, s[6:7]
	s_and_saveexec_b64 s[0:1], s[2:3]
	s_cbranch_execnz .LBB133_371
.LBB133_331:                            ;   in Loop: Header=BB133_181 Depth=1
	s_or_b64 exec, exec, s[0:1]
	s_and_saveexec_b64 s[0:1], s[4:5]
	s_cbranch_execz .LBB133_180
	s_branch .LBB133_372
.LBB133_332:                            ;   in Loop: Header=BB133_181 Depth=1
	s_andn2_saveexec_b64 s[6:7], s[36:37]
.LBB133_333:                            ;   in Loop: Header=BB133_181 Depth=1
	v_mul_f32_e64 v0, |v21|, s56
	v_rndne_f32_e32 v0, v0
	v_cvt_i32_f32_e32 v24, v0
	v_fma_f32 v25, v0, s57, |v21|
	v_fmac_f32_e32 v25, 0xb3a22168, v0
	v_fmac_f32_e32 v25, 0xa7c234c4, v0
; %bb.334:                              ;   in Loop: Header=BB133_181 Depth=1
	s_or_b64 exec, exec, s[6:7]
                                        ; implicit-def: $vgpr0
                                        ; implicit-def: $vgpr38
	s_and_saveexec_b64 s[6:7], s[34:35]
	s_xor_b64 s[34:35], exec, s[6:7]
	s_cbranch_execz .LBB133_336
; %bb.335:                              ;   in Loop: Header=BB133_181 Depth=1
	v_lshrrev_b32_e32 v0, 23, v37
	v_add_u32_e32 v0, 0xffffff88, v0
	v_cmp_lt_u32_e64 s[6:7], 63, v0
	v_cndmask_b32_e64 v38, 0, v33, s[6:7]
	v_add_u32_e32 v0, v38, v0
	v_cmp_lt_u32_e64 s[8:9], 31, v0
	v_cndmask_b32_e64 v38, 0, v34, s[8:9]
	;; [unrolled: 3-line block ×3, first 2 shown]
	v_add_u32_e32 v52, v38, v0
	v_and_b32_e32 v0, 0x7fffff, v37
	v_or_b32_e32 v50, 0x800000, v0
	v_mad_u64_u32 v[38:39], s[12:13], v50, s48, 0
	v_mov_b32_e32 v0, v39
	v_mad_u64_u32 v[40:41], s[12:13], v50, s49, v[0:1]
	v_mov_b32_e32 v0, v41
	;; [unrolled: 2-line block ×6, first 2 shown]
	v_mad_u64_u32 v[50:51], s[12:13], v50, s54, v[0:1]
	v_cndmask_b32_e64 v39, v48, v44, s[6:7]
	v_cndmask_b32_e64 v0, v50, v46, s[6:7]
	;; [unrolled: 1-line block ×10, first 2 shown]
	v_sub_u32_e32 v45, 32, v52
	v_cndmask_b32_e64 v43, v43, v40, s[8:9]
	v_alignbit_b32 v46, v0, v41, v45
	v_cmp_eq_u32_e64 s[12:13], 0, v52
	v_cndmask_b32_e64 v39, v39, v43, s[10:11]
	v_cndmask_b32_e64 v38, v42, v38, s[6:7]
	;; [unrolled: 1-line block ×3, first 2 shown]
	v_alignbit_b32 v44, v41, v39, v45
	v_cndmask_b32_e64 v38, v40, v38, s[8:9]
	v_cndmask_b32_e64 v41, v44, v41, s[12:13]
	v_bfe_u32 v47, v0, 29, 1
	v_cndmask_b32_e64 v38, v43, v38, s[10:11]
	v_alignbit_b32 v44, v0, v41, 30
	v_sub_u32_e32 v48, 0, v47
	v_alignbit_b32 v40, v39, v38, v45
	v_xor_b32_e32 v49, v44, v48
	v_cndmask_b32_e64 v39, v40, v39, s[12:13]
	v_alignbit_b32 v40, v41, v39, 30
	v_ffbh_u32_e32 v41, v49
	v_add_u32_e32 v41, 1, v41
	v_cmp_ne_u32_e64 s[6:7], v44, v48
	v_cndmask_b32_e64 v41, 33, v41, s[6:7]
	v_alignbit_b32 v38, v39, v38, 30
	v_xor_b32_e32 v40, v40, v48
	v_sub_u32_e32 v42, 32, v41
	v_xor_b32_e32 v38, v38, v48
	v_alignbit_b32 v43, v49, v40, v42
	v_alignbit_b32 v38, v40, v38, v42
	;; [unrolled: 1-line block ×3, first 2 shown]
	v_ffbh_u32_e32 v40, v39
	v_min_u32_e32 v40, 32, v40
	v_lshrrev_b32_e32 v46, 29, v0
	v_sub_u32_e32 v42, 31, v40
	v_alignbit_b32 v38, v39, v38, v42
	v_lshlrev_b32_e32 v39, 31, v46
	v_or_b32_e32 v42, 0x33800000, v39
	v_add_lshl_u32 v40, v40, v41, 23
	v_lshrrev_b32_e32 v38, 9, v38
	v_sub_u32_e32 v40, v42, v40
	v_or_b32_e32 v38, v40, v38
	v_alignbit_b32 v40, v41, v43, 9
	v_or_b32_e32 v39, v40, v39
	v_xor_b32_e32 v39, 1.0, v39
	v_mul_f32_e32 v40, 0x3fc90fda, v39
	v_fma_f32 v41, v39, s55, -v40
	v_fmac_f32_e32 v41, 0x33a22168, v39
	v_fmac_f32_e32 v41, 0x3fc90fda, v38
	v_lshrrev_b32_e32 v0, 30, v0
	v_add_f32_e32 v38, v40, v41
	v_add_u32_e32 v0, v47, v0
	s_andn2_saveexec_b64 s[6:7], s[34:35]
	s_cbranch_execnz .LBB133_337
	s_branch .LBB133_338
.LBB133_336:                            ;   in Loop: Header=BB133_181 Depth=1
	s_andn2_saveexec_b64 s[6:7], s[34:35]
.LBB133_337:                            ;   in Loop: Header=BB133_181 Depth=1
	v_mul_f32_e64 v0, |v21|, s56
	v_rndne_f32_e32 v39, v0
	v_cvt_i32_f32_e32 v0, v39
	v_fma_f32 v38, v39, s57, |v21|
	v_fmac_f32_e32 v38, 0xb3a22168, v39
	v_fmac_f32_e32 v38, 0xa7c234c4, v39
.LBB133_338:                            ;   in Loop: Header=BB133_181 Depth=1
	s_or_b64 exec, exec, s[6:7]
	v_mul_f32_e32 v39, 0x3fb8aa3b, v20
	v_rndne_f32_e32 v40, v39
	v_sub_f32_e32 v41, v39, v40
	v_fma_f32 v39, v20, s58, -v39
	v_fmac_f32_e32 v39, 0x32a5705f, v20
	v_add_f32_e32 v39, v41, v39
	v_cvt_i32_f32_e32 v40, v40
	v_exp_f32_e32 v39, v39
	v_cmp_ngt_f32_e64 s[6:7], s59, v20
	v_ldexp_f32 v39, v39, v40
	v_cndmask_b32_e64 v39, 0, v39, s[6:7]
	v_cmp_nlt_f32_e64 s[6:7], s60, v20
	v_cndmask_b32_e64 v20, v35, v39, s[6:7]
	v_mul_f32_e32 v39, v25, v25
	v_mov_b32_e32 v40, 0x3c0881c4
	v_fmac_f32_e32 v40, 0xb94c1982, v39
	v_fma_f32 v40, v39, v40, v30
	v_mul_f32_e32 v40, v39, v40
	v_fmac_f32_e32 v25, v25, v40
	v_mov_b32_e32 v40, 0xbab64f3b
	v_fmac_f32_e32 v40, 0x37d75334, v39
	v_fma_f32 v40, v39, v40, v31
	v_fma_f32 v40, v39, v40, v32
	v_fma_f32 v39, v39, v40, 1.0
	v_and_b32_e32 v40, 1, v24
	v_cmp_eq_u32_e64 s[6:7], 0, v40
	v_lshlrev_b32_e32 v24, 30, v24
	v_cndmask_b32_e64 v25, -v25, v39, s[6:7]
	v_and_b32_e32 v24, 0x80000000, v24
	v_xor_b32_e32 v24, v24, v25
	v_mul_f32_e32 v25, v38, v38
	v_mov_b32_e32 v39, 0x3c0881c4
	v_fmac_f32_e32 v39, 0xb94c1982, v25
	v_fma_f32 v39, v25, v39, v30
	v_mul_f32_e32 v39, v25, v39
	v_fmac_f32_e32 v38, v38, v39
	v_mov_b32_e32 v39, 0xbab64f3b
	v_fmac_f32_e32 v39, 0x37d75334, v25
	v_fma_f32 v39, v25, v39, v31
	v_fma_f32 v39, v25, v39, v32
	v_fma_f32 v25, v25, v39, 1.0
	v_and_b32_e32 v39, 1, v0
	v_cmp_eq_u32_e64 s[8:9], 0, v39
	v_lshlrev_b32_e32 v0, 30, v0
	v_cndmask_b32_e64 v25, v25, v38, s[8:9]
	v_and_or_b32 v0, v0, s61, v37
	v_xor_b32_e32 v0, v0, v25
	v_cmp_class_f32_e64 s[6:7], v21, s62
	v_xor_b32_e32 v0, v0, v21
	v_cndmask_b32_e64 v24, v36, v24, s[6:7]
	v_cndmask_b32_e64 v0, v36, v0, s[6:7]
	v_mul_f32_e32 v24, v20, v24
	v_mul_f32_e32 v25, v20, v0
                                        ; implicit-def: $vgpr21
                                        ; implicit-def: $vgpr37
.LBB133_339:                            ;   in Loop: Header=BB133_181 Depth=1
	s_andn2_saveexec_b64 s[30:31], s[30:31]
	s_cbranch_execz .LBB133_349
; %bb.340:                              ;   in Loop: Header=BB133_181 Depth=1
	v_cmp_nlt_f32_e64 s[34:35], |v21|, s47
                                        ; implicit-def: $vgpr25
                                        ; implicit-def: $vgpr24
	s_and_saveexec_b64 s[6:7], s[34:35]
	s_xor_b64 s[36:37], exec, s[6:7]
	s_cbranch_execz .LBB133_342
; %bb.341:                              ;   in Loop: Header=BB133_181 Depth=1
	v_lshrrev_b32_e32 v0, 23, v37
	v_add_u32_e32 v0, 0xffffff88, v0
	v_cmp_lt_u32_e64 s[6:7], 63, v0
	v_cndmask_b32_e64 v24, 0, v33, s[6:7]
	v_add_u32_e32 v0, v24, v0
	v_cmp_lt_u32_e64 s[8:9], 31, v0
	v_cndmask_b32_e64 v24, 0, v34, s[8:9]
	;; [unrolled: 3-line block ×3, first 2 shown]
	v_add_u32_e32 v50, v24, v0
	v_and_b32_e32 v0, 0x7fffff, v37
	v_or_b32_e32 v48, 0x800000, v0
	v_mad_u64_u32 v[24:25], s[12:13], v48, s48, 0
	v_mov_b32_e32 v0, v25
	v_mad_u64_u32 v[38:39], s[12:13], v48, s49, v[0:1]
	v_mov_b32_e32 v0, v39
	;; [unrolled: 2-line block ×6, first 2 shown]
	v_mad_u64_u32 v[48:49], s[12:13], v48, s54, v[0:1]
	v_cndmask_b32_e64 v25, v46, v42, s[6:7]
	v_cndmask_b32_e64 v0, v48, v44, s[6:7]
	;; [unrolled: 1-line block ×10, first 2 shown]
	v_sub_u32_e32 v43, 32, v50
	v_cndmask_b32_e64 v41, v41, v38, s[8:9]
	v_alignbit_b32 v44, v0, v39, v43
	v_cmp_eq_u32_e64 s[12:13], 0, v50
	v_cndmask_b32_e64 v25, v25, v41, s[10:11]
	v_cndmask_b32_e64 v24, v40, v24, s[6:7]
	;; [unrolled: 1-line block ×3, first 2 shown]
	v_alignbit_b32 v42, v39, v25, v43
	v_cndmask_b32_e64 v24, v38, v24, s[8:9]
	v_cndmask_b32_e64 v39, v42, v39, s[12:13]
	v_bfe_u32 v45, v0, 29, 1
	v_cndmask_b32_e64 v24, v41, v24, s[10:11]
	v_alignbit_b32 v42, v0, v39, 30
	v_sub_u32_e32 v46, 0, v45
	v_alignbit_b32 v38, v25, v24, v43
	v_xor_b32_e32 v47, v42, v46
	v_cndmask_b32_e64 v25, v38, v25, s[12:13]
	v_alignbit_b32 v38, v39, v25, 30
	v_ffbh_u32_e32 v39, v47
	v_add_u32_e32 v39, 1, v39
	v_cmp_ne_u32_e64 s[6:7], v42, v46
	v_cndmask_b32_e64 v39, 33, v39, s[6:7]
	v_alignbit_b32 v24, v25, v24, 30
	v_xor_b32_e32 v38, v38, v46
	v_sub_u32_e32 v40, 32, v39
	v_xor_b32_e32 v24, v24, v46
	v_alignbit_b32 v41, v47, v38, v40
	v_alignbit_b32 v24, v38, v24, v40
	;; [unrolled: 1-line block ×3, first 2 shown]
	v_ffbh_u32_e32 v38, v25
	v_min_u32_e32 v38, 32, v38
	v_lshrrev_b32_e32 v44, 29, v0
	v_sub_u32_e32 v40, 31, v38
	v_alignbit_b32 v24, v25, v24, v40
	v_lshlrev_b32_e32 v25, 31, v44
	v_or_b32_e32 v40, 0x33800000, v25
	v_add_lshl_u32 v38, v38, v39, 23
	v_lshrrev_b32_e32 v24, 9, v24
	v_sub_u32_e32 v38, v40, v38
	v_or_b32_e32 v24, v38, v24
	v_alignbit_b32 v38, v39, v41, 9
	v_or_b32_e32 v25, v38, v25
	v_xor_b32_e32 v25, 1.0, v25
	v_mul_f32_e32 v38, 0x3fc90fda, v25
	v_fma_f32 v39, v25, s55, -v38
	v_fmac_f32_e32 v39, 0x33a22168, v25
	v_fmac_f32_e32 v39, 0x3fc90fda, v24
	v_lshrrev_b32_e32 v0, 30, v0
	v_add_f32_e32 v24, v38, v39
	v_add_u32_e32 v25, v45, v0
	s_andn2_saveexec_b64 s[6:7], s[36:37]
	s_branch .LBB133_343
.LBB133_342:                            ;   in Loop: Header=BB133_181 Depth=1
	s_andn2_saveexec_b64 s[6:7], s[36:37]
.LBB133_343:                            ;   in Loop: Header=BB133_181 Depth=1
	v_mul_f32_e64 v0, |v21|, s56
	v_rndne_f32_e32 v0, v0
	v_cvt_i32_f32_e32 v25, v0
	v_fma_f32 v24, v0, s57, |v21|
	v_fmac_f32_e32 v24, 0xb3a22168, v0
	v_fmac_f32_e32 v24, 0xa7c234c4, v0
; %bb.344:                              ;   in Loop: Header=BB133_181 Depth=1
	s_or_b64 exec, exec, s[6:7]
                                        ; implicit-def: $vgpr0
                                        ; implicit-def: $vgpr38
	s_and_saveexec_b64 s[6:7], s[34:35]
	s_xor_b64 s[34:35], exec, s[6:7]
	s_cbranch_execz .LBB133_346
; %bb.345:                              ;   in Loop: Header=BB133_181 Depth=1
	v_lshrrev_b32_e32 v0, 23, v37
	v_add_u32_e32 v0, 0xffffff88, v0
	v_cmp_lt_u32_e64 s[6:7], 63, v0
	v_cndmask_b32_e64 v38, 0, v33, s[6:7]
	v_add_u32_e32 v0, v38, v0
	v_cmp_lt_u32_e64 s[8:9], 31, v0
	v_cndmask_b32_e64 v38, 0, v34, s[8:9]
	;; [unrolled: 3-line block ×3, first 2 shown]
	v_add_u32_e32 v52, v38, v0
	v_and_b32_e32 v0, 0x7fffff, v37
	v_or_b32_e32 v50, 0x800000, v0
	v_mad_u64_u32 v[38:39], s[12:13], v50, s48, 0
	v_mov_b32_e32 v0, v39
	v_mad_u64_u32 v[40:41], s[12:13], v50, s49, v[0:1]
	v_mov_b32_e32 v0, v41
	;; [unrolled: 2-line block ×6, first 2 shown]
	v_mad_u64_u32 v[50:51], s[12:13], v50, s54, v[0:1]
	v_cndmask_b32_e64 v39, v48, v44, s[6:7]
	v_cndmask_b32_e64 v0, v50, v46, s[6:7]
	;; [unrolled: 1-line block ×10, first 2 shown]
	v_sub_u32_e32 v45, 32, v52
	v_cndmask_b32_e64 v43, v43, v40, s[8:9]
	v_alignbit_b32 v46, v0, v41, v45
	v_cmp_eq_u32_e64 s[12:13], 0, v52
	v_cndmask_b32_e64 v39, v39, v43, s[10:11]
	v_cndmask_b32_e64 v38, v42, v38, s[6:7]
	;; [unrolled: 1-line block ×3, first 2 shown]
	v_alignbit_b32 v44, v41, v39, v45
	v_cndmask_b32_e64 v38, v40, v38, s[8:9]
	v_cndmask_b32_e64 v41, v44, v41, s[12:13]
	v_bfe_u32 v47, v0, 29, 1
	v_cndmask_b32_e64 v38, v43, v38, s[10:11]
	v_alignbit_b32 v44, v0, v41, 30
	v_sub_u32_e32 v48, 0, v47
	v_alignbit_b32 v40, v39, v38, v45
	v_xor_b32_e32 v49, v44, v48
	v_cndmask_b32_e64 v39, v40, v39, s[12:13]
	v_alignbit_b32 v40, v41, v39, 30
	v_ffbh_u32_e32 v41, v49
	v_add_u32_e32 v41, 1, v41
	v_cmp_ne_u32_e64 s[6:7], v44, v48
	v_cndmask_b32_e64 v41, 33, v41, s[6:7]
	v_alignbit_b32 v38, v39, v38, 30
	v_xor_b32_e32 v40, v40, v48
	v_sub_u32_e32 v42, 32, v41
	v_xor_b32_e32 v38, v38, v48
	v_alignbit_b32 v43, v49, v40, v42
	v_alignbit_b32 v38, v40, v38, v42
	;; [unrolled: 1-line block ×3, first 2 shown]
	v_ffbh_u32_e32 v40, v39
	v_min_u32_e32 v40, 32, v40
	v_lshrrev_b32_e32 v46, 29, v0
	v_sub_u32_e32 v42, 31, v40
	v_alignbit_b32 v38, v39, v38, v42
	v_lshlrev_b32_e32 v39, 31, v46
	v_or_b32_e32 v42, 0x33800000, v39
	v_add_lshl_u32 v40, v40, v41, 23
	v_lshrrev_b32_e32 v38, 9, v38
	v_sub_u32_e32 v40, v42, v40
	v_or_b32_e32 v38, v40, v38
	v_alignbit_b32 v40, v41, v43, 9
	v_or_b32_e32 v39, v40, v39
	v_xor_b32_e32 v39, 1.0, v39
	v_mul_f32_e32 v40, 0x3fc90fda, v39
	v_fma_f32 v41, v39, s55, -v40
	v_fmac_f32_e32 v41, 0x33a22168, v39
	v_fmac_f32_e32 v41, 0x3fc90fda, v38
	v_lshrrev_b32_e32 v0, 30, v0
	v_add_f32_e32 v38, v40, v41
	v_add_u32_e32 v0, v47, v0
	s_andn2_saveexec_b64 s[6:7], s[34:35]
	s_cbranch_execnz .LBB133_347
	s_branch .LBB133_348
.LBB133_346:                            ;   in Loop: Header=BB133_181 Depth=1
	s_andn2_saveexec_b64 s[6:7], s[34:35]
.LBB133_347:                            ;   in Loop: Header=BB133_181 Depth=1
	v_mul_f32_e64 v0, |v21|, s56
	v_rndne_f32_e32 v39, v0
	v_cvt_i32_f32_e32 v0, v39
	v_fma_f32 v38, v39, s57, |v21|
	v_fmac_f32_e32 v38, 0xb3a22168, v39
	v_fmac_f32_e32 v38, 0xa7c234c4, v39
.LBB133_348:                            ;   in Loop: Header=BB133_181 Depth=1
	s_or_b64 exec, exec, s[6:7]
	v_mul_f32_e32 v40, v24, v24
	v_mov_b32_e32 v41, 0xbab64f3b
	v_fmac_f32_e32 v41, 0x37d75334, v40
	v_mov_b32_e32 v42, 0x3c0881c4
	v_fma_f32 v41, v40, v41, v31
	v_fmac_f32_e32 v42, 0xb94c1982, v40
	v_fma_f32 v41, v40, v41, v32
	v_fma_f32 v42, v40, v42, v30
	v_lshlrev_b32_e32 v39, 30, v25
	v_and_b32_e32 v25, 1, v25
	v_fma_f32 v41, v40, v41, 1.0
	v_mul_f32_e32 v40, v40, v42
	v_add_f32_e32 v20, 0xc322e3bc, v20
	v_fmac_f32_e32 v24, v24, v40
	v_cmp_eq_u32_e64 s[6:7], 0, v25
	v_mul_f32_e32 v25, 0x3fb8aa3b, v20
	v_cndmask_b32_e64 v24, -v24, v41, s[6:7]
	v_fma_f32 v40, v20, s58, -v25
	v_rndne_f32_e32 v41, v25
	v_fmac_f32_e32 v40, 0x32a5705f, v20
	v_sub_f32_e32 v25, v25, v41
	v_add_f32_e32 v25, v25, v40
	v_exp_f32_e32 v25, v25
	v_cvt_i32_f32_e32 v40, v41
	v_cmp_ngt_f32_e64 s[8:9], s59, v20
	v_and_b32_e32 v39, 0x80000000, v39
	v_xor_b32_e32 v24, v39, v24
	v_ldexp_f32 v25, v25, v40
	v_cndmask_b32_e64 v25, 0, v25, s[8:9]
	v_cmp_nlt_f32_e64 s[8:9], s60, v20
	v_cndmask_b32_e64 v20, v35, v25, s[8:9]
	v_and_b32_e32 v25, 0x7fffff, v20
	v_lshrrev_b32_e32 v20, 23, v20
	v_subrev_u32_e32 v20, 19, v20
	v_lshrrev_b16_e32 v39, 15, v20
	v_add_u16_e32 v39, v20, v39
	v_ashrrev_i16_e32 v39, 1, v39
	v_bfe_i32 v39, v39, 0, 16
	v_lshl_add_u32 v40, v39, 23, 1.0
	v_sub_u32_e32 v20, v20, v39
	v_mul_f32_e32 v39, v38, v38
	v_mov_b32_e32 v41, 0x3c0881c4
	v_fmac_f32_e32 v41, 0xb94c1982, v39
	v_fma_f32 v41, v39, v41, v30
	v_mul_f32_e32 v41, v39, v41
	v_fmac_f32_e32 v38, v38, v41
	v_mov_b32_e32 v41, 0xbab64f3b
	v_fmac_f32_e32 v41, 0x37d75334, v39
	v_fma_f32 v41, v39, v41, v31
	v_fma_f32 v41, v39, v41, v32
	v_fma_f32 v39, v39, v41, 1.0
	v_and_b32_e32 v41, 1, v0
	v_cmp_eq_u32_e64 s[8:9], 0, v41
	v_lshlrev_b32_e32 v0, 30, v0
	v_cndmask_b32_e64 v38, v39, v38, s[8:9]
	v_and_or_b32 v0, v0, s61, v37
	v_xor_b32_e32 v0, v0, v38
	v_cmp_class_f32_e64 s[6:7], v21, s62
	v_xor_b32_e32 v0, v0, v21
	v_cndmask_b32_e64 v24, v36, v24, s[6:7]
	v_or_b32_e32 v25, 0x7f000000, v25
	v_cndmask_b32_e64 v0, v36, v0, s[6:7]
	v_mul_f32_e32 v24, v24, v25
	v_mul_f32_e32 v0, v0, v25
	;; [unrolled: 1-line block ×3, first 2 shown]
	v_lshl_add_u32 v20, v20, 23, 1.0
	v_mul_f32_e32 v0, v0, v40
	v_mul_f32_e32 v24, v24, v20
	v_mul_f32_e32 v25, v0, v20
.LBB133_349:                            ;   in Loop: Header=BB133_181 Depth=1
	s_or_b64 exec, exec, s[30:31]
                                        ; implicit-def: $vgpr20
                                        ; implicit-def: $vgpr0
.LBB133_350:                            ;   in Loop: Header=BB133_181 Depth=1
	s_andn2_saveexec_b64 s[8:9], s[28:29]
	s_cbranch_execz .LBB133_356
; %bb.351:                              ;   in Loop: Header=BB133_181 Depth=1
	v_cmp_ne_u32_e64 s[6:7], s45, v0
                                        ; implicit-def: $vgpr25
	s_and_saveexec_b64 s[10:11], s[6:7]
	s_xor_b64 s[6:7], exec, s[10:11]
; %bb.352:                              ;   in Loop: Header=BB133_181 Depth=1
	v_sub_f32_e32 v25, v21, v21
                                        ; implicit-def: $vgpr20
; %bb.353:                              ;   in Loop: Header=BB133_181 Depth=1
	s_or_saveexec_b64 s[10:11], s[6:7]
	v_mov_b32_e32 v24, v25
	s_xor_b64 exec, exec, s[10:11]
; %bb.354:                              ;   in Loop: Header=BB133_181 Depth=1
	v_sub_f32_e32 v0, v21, v21
	v_cmp_lt_i32_e64 s[6:7], -1, v20
	v_cndmask_b32_e64 v24, 0, v20, s[6:7]
	v_cndmask_b32_e64 v25, 0, v0, s[6:7]
; %bb.355:                              ;   in Loop: Header=BB133_181 Depth=1
	s_or_b64 exec, exec, s[10:11]
.LBB133_356:                            ;   in Loop: Header=BB133_181 Depth=1
	s_or_b64 exec, exec, s[8:9]
                                        ; implicit-def: $vgpr21
                                        ; implicit-def: $vgpr37
.LBB133_357:                            ;   in Loop: Header=BB133_181 Depth=1
	s_andn2_saveexec_b64 s[26:27], s[26:27]
	s_cbranch_execz .LBB133_367
; %bb.358:                              ;   in Loop: Header=BB133_181 Depth=1
	v_cmp_nlt_f32_e64 s[28:29], |v21|, s47
                                        ; implicit-def: $vgpr20
                                        ; implicit-def: $vgpr24
	s_and_saveexec_b64 s[6:7], s[28:29]
	s_xor_b64 s[30:31], exec, s[6:7]
	s_cbranch_execz .LBB133_360
; %bb.359:                              ;   in Loop: Header=BB133_181 Depth=1
	v_lshrrev_b32_e32 v0, 23, v37
	v_add_u32_e32 v0, 0xffffff88, v0
	v_cmp_lt_u32_e64 s[6:7], 63, v0
	v_cndmask_b32_e64 v20, 0, v33, s[6:7]
	v_add_u32_e32 v0, v20, v0
	v_cmp_lt_u32_e64 s[8:9], 31, v0
	v_cndmask_b32_e64 v20, 0, v34, s[8:9]
	;; [unrolled: 3-line block ×3, first 2 shown]
	v_add_u32_e32 v20, v20, v0
	v_and_b32_e32 v0, 0x7fffff, v37
	v_or_b32_e32 v48, 0x800000, v0
	v_mad_u64_u32 v[24:25], s[12:13], v48, s48, 0
	v_mov_b32_e32 v0, v25
	v_mad_u64_u32 v[38:39], s[12:13], v48, s49, v[0:1]
	v_mov_b32_e32 v0, v39
	;; [unrolled: 2-line block ×6, first 2 shown]
	v_mad_u64_u32 v[48:49], s[12:13], v48, s54, v[0:1]
	v_cndmask_b32_e64 v25, v46, v42, s[6:7]
	v_cndmask_b32_e64 v0, v48, v44, s[6:7]
	;; [unrolled: 1-line block ×7, first 2 shown]
	v_sub_u32_e32 v43, 32, v20
	v_cmp_eq_u32_e64 s[12:13], 0, v20
	v_cndmask_b32_e64 v20, v42, v38, s[6:7]
	v_cndmask_b32_e64 v0, v0, v39, s[10:11]
	;; [unrolled: 1-line block ×4, first 2 shown]
	v_alignbit_b32 v44, v0, v39, v43
	v_cndmask_b32_e64 v25, v25, v38, s[10:11]
	v_cndmask_b32_e64 v0, v44, v0, s[12:13]
	v_alignbit_b32 v41, v39, v25, v43
	v_cndmask_b32_e64 v39, v41, v39, s[12:13]
	v_bfe_u32 v44, v0, 29, 1
	v_cndmask_b32_e64 v24, v40, v24, s[6:7]
	v_alignbit_b32 v41, v0, v39, 30
	v_sub_u32_e32 v45, 0, v44
	v_cndmask_b32_e64 v20, v20, v24, s[8:9]
	v_xor_b32_e32 v46, v41, v45
	v_cndmask_b32_e64 v20, v38, v20, s[10:11]
	v_alignbit_b32 v24, v25, v20, v43
	v_ffbh_u32_e32 v38, v46
	v_cndmask_b32_e64 v24, v24, v25, s[12:13]
	v_add_u32_e32 v38, 1, v38
	v_cmp_ne_u32_e64 s[6:7], v41, v45
	v_alignbit_b32 v25, v39, v24, 30
	v_cndmask_b32_e64 v38, 33, v38, s[6:7]
	v_alignbit_b32 v20, v24, v20, 30
	v_xor_b32_e32 v25, v25, v45
	v_sub_u32_e32 v39, 32, v38
	v_xor_b32_e32 v20, v20, v45
	v_alignbit_b32 v40, v46, v25, v39
	v_alignbit_b32 v20, v25, v20, v39
	;; [unrolled: 1-line block ×3, first 2 shown]
	v_ffbh_u32_e32 v25, v24
	v_min_u32_e32 v25, 32, v25
	v_lshrrev_b32_e32 v42, 29, v0
	v_sub_u32_e32 v39, 31, v25
	v_alignbit_b32 v20, v24, v20, v39
	v_lshlrev_b32_e32 v24, 31, v42
	v_or_b32_e32 v39, 0x33800000, v24
	v_add_lshl_u32 v25, v25, v38, 23
	v_lshrrev_b32_e32 v20, 9, v20
	v_sub_u32_e32 v25, v39, v25
	v_or_b32_e32 v20, v25, v20
	v_alignbit_b32 v25, v38, v40, 9
	v_or_b32_e32 v24, v25, v24
	v_xor_b32_e32 v24, 1.0, v24
	v_mul_f32_e32 v25, 0x3fc90fda, v24
	v_fma_f32 v38, v24, s55, -v25
	v_fmac_f32_e32 v38, 0x33a22168, v24
	v_fmac_f32_e32 v38, 0x3fc90fda, v20
	v_lshrrev_b32_e32 v0, 30, v0
	v_add_f32_e32 v24, v25, v38
	v_add_u32_e32 v20, v44, v0
	s_andn2_saveexec_b64 s[6:7], s[30:31]
	s_branch .LBB133_361
.LBB133_360:                            ;   in Loop: Header=BB133_181 Depth=1
	s_andn2_saveexec_b64 s[6:7], s[30:31]
.LBB133_361:                            ;   in Loop: Header=BB133_181 Depth=1
	v_mul_f32_e64 v0, |v21|, s56
	v_rndne_f32_e32 v0, v0
	v_cvt_i32_f32_e32 v20, v0
	v_fma_f32 v24, v0, s57, |v21|
	v_fmac_f32_e32 v24, 0xb3a22168, v0
	v_fmac_f32_e32 v24, 0xa7c234c4, v0
; %bb.362:                              ;   in Loop: Header=BB133_181 Depth=1
	s_or_b64 exec, exec, s[6:7]
                                        ; implicit-def: $vgpr0
                                        ; implicit-def: $vgpr25
	s_and_saveexec_b64 s[6:7], s[28:29]
	s_xor_b64 s[28:29], exec, s[6:7]
	s_cbranch_execz .LBB133_364
; %bb.363:                              ;   in Loop: Header=BB133_181 Depth=1
	v_lshrrev_b32_e32 v0, 23, v37
	v_add_u32_e32 v0, 0xffffff88, v0
	v_cmp_lt_u32_e64 s[6:7], 63, v0
	v_cndmask_b32_e64 v25, 0, v33, s[6:7]
	v_add_u32_e32 v0, v25, v0
	v_cmp_lt_u32_e64 s[8:9], 31, v0
	v_cndmask_b32_e64 v25, 0, v34, s[8:9]
	;; [unrolled: 3-line block ×3, first 2 shown]
	v_add_u32_e32 v25, v25, v0
	v_and_b32_e32 v0, 0x7fffff, v37
	v_or_b32_e32 v50, 0x800000, v0
	v_mad_u64_u32 v[38:39], s[12:13], v50, s48, 0
	v_mov_b32_e32 v0, v39
	v_mad_u64_u32 v[40:41], s[12:13], v50, s49, v[0:1]
	v_mov_b32_e32 v0, v41
	;; [unrolled: 2-line block ×6, first 2 shown]
	v_mad_u64_u32 v[50:51], s[12:13], v50, s54, v[0:1]
	v_cndmask_b32_e64 v39, v48, v44, s[6:7]
	v_cndmask_b32_e64 v0, v50, v46, s[6:7]
	;; [unrolled: 1-line block ×7, first 2 shown]
	v_sub_u32_e32 v45, 32, v25
	v_cmp_eq_u32_e64 s[12:13], 0, v25
	v_cndmask_b32_e64 v25, v44, v40, s[6:7]
	v_cndmask_b32_e64 v0, v0, v41, s[10:11]
	;; [unrolled: 1-line block ×4, first 2 shown]
	v_alignbit_b32 v46, v0, v41, v45
	v_cndmask_b32_e64 v39, v39, v40, s[10:11]
	v_cndmask_b32_e64 v0, v46, v0, s[12:13]
	v_alignbit_b32 v43, v41, v39, v45
	v_cndmask_b32_e64 v41, v43, v41, s[12:13]
	v_bfe_u32 v46, v0, 29, 1
	v_cndmask_b32_e64 v38, v42, v38, s[6:7]
	v_alignbit_b32 v43, v0, v41, 30
	v_sub_u32_e32 v47, 0, v46
	v_cndmask_b32_e64 v25, v25, v38, s[8:9]
	v_xor_b32_e32 v48, v43, v47
	v_cndmask_b32_e64 v25, v40, v25, s[10:11]
	v_alignbit_b32 v38, v39, v25, v45
	v_ffbh_u32_e32 v40, v48
	v_cndmask_b32_e64 v38, v38, v39, s[12:13]
	v_add_u32_e32 v40, 1, v40
	v_cmp_ne_u32_e64 s[6:7], v43, v47
	v_alignbit_b32 v39, v41, v38, 30
	v_cndmask_b32_e64 v40, 33, v40, s[6:7]
	v_alignbit_b32 v25, v38, v25, 30
	v_xor_b32_e32 v39, v39, v47
	v_sub_u32_e32 v41, 32, v40
	v_xor_b32_e32 v25, v25, v47
	v_alignbit_b32 v42, v48, v39, v41
	v_alignbit_b32 v25, v39, v25, v41
	;; [unrolled: 1-line block ×3, first 2 shown]
	v_ffbh_u32_e32 v39, v38
	v_min_u32_e32 v39, 32, v39
	v_lshrrev_b32_e32 v44, 29, v0
	v_sub_u32_e32 v41, 31, v39
	v_alignbit_b32 v25, v38, v25, v41
	v_lshlrev_b32_e32 v38, 31, v44
	v_or_b32_e32 v41, 0x33800000, v38
	v_add_lshl_u32 v39, v39, v40, 23
	v_lshrrev_b32_e32 v25, 9, v25
	v_sub_u32_e32 v39, v41, v39
	v_or_b32_e32 v25, v39, v25
	v_alignbit_b32 v39, v40, v42, 9
	v_or_b32_e32 v38, v39, v38
	v_xor_b32_e32 v38, 1.0, v38
	v_mul_f32_e32 v39, 0x3fc90fda, v38
	v_fma_f32 v40, v38, s55, -v39
	v_fmac_f32_e32 v40, 0x33a22168, v38
	v_fmac_f32_e32 v40, 0x3fc90fda, v25
	v_lshrrev_b32_e32 v0, 30, v0
	v_add_f32_e32 v25, v39, v40
	v_add_u32_e32 v0, v46, v0
	s_andn2_saveexec_b64 s[6:7], s[28:29]
	s_cbranch_execnz .LBB133_365
	s_branch .LBB133_366
.LBB133_364:                            ;   in Loop: Header=BB133_181 Depth=1
	s_andn2_saveexec_b64 s[6:7], s[28:29]
.LBB133_365:                            ;   in Loop: Header=BB133_181 Depth=1
	v_mul_f32_e64 v0, |v21|, s56
	v_rndne_f32_e32 v38, v0
	v_cvt_i32_f32_e32 v0, v38
	v_fma_f32 v25, v38, s57, |v21|
	v_fmac_f32_e32 v25, 0xb3a22168, v38
	v_fmac_f32_e32 v25, 0xa7c234c4, v38
.LBB133_366:                            ;   in Loop: Header=BB133_181 Depth=1
	s_or_b64 exec, exec, s[6:7]
	v_mul_f32_e32 v38, v24, v24
	v_mov_b32_e32 v39, 0x3c0881c4
	v_fmac_f32_e32 v39, 0xb94c1982, v38
	v_fma_f32 v39, v38, v39, v30
	v_mul_f32_e32 v39, v38, v39
	v_fmac_f32_e32 v24, v24, v39
	v_mov_b32_e32 v39, 0xbab64f3b
	v_fmac_f32_e32 v39, 0x37d75334, v38
	v_fma_f32 v39, v38, v39, v31
	v_fma_f32 v39, v38, v39, v32
	v_fma_f32 v38, v38, v39, 1.0
	v_and_b32_e32 v39, 1, v20
	v_cmp_eq_u32_e64 s[6:7], 0, v39
	v_lshlrev_b32_e32 v20, 30, v20
	v_cndmask_b32_e64 v24, -v24, v38, s[6:7]
	v_and_b32_e32 v20, 0x80000000, v20
	v_xor_b32_e32 v20, v20, v24
	v_cmp_class_f32_e64 s[6:7], v21, s62
	v_cndmask_b32_e64 v24, v36, v20, s[6:7]
	v_mul_f32_e32 v20, v25, v25
	v_mov_b32_e32 v38, 0x3c0881c4
	v_fmac_f32_e32 v38, 0xb94c1982, v20
	v_fma_f32 v38, v20, v38, v30
	v_mul_f32_e32 v38, v20, v38
	v_fmac_f32_e32 v25, v25, v38
	v_mov_b32_e32 v38, 0xbab64f3b
	v_fmac_f32_e32 v38, 0x37d75334, v20
	v_fma_f32 v38, v20, v38, v31
	v_fma_f32 v38, v20, v38, v32
	v_fma_f32 v20, v20, v38, 1.0
	v_and_b32_e32 v38, 1, v0
	v_cmp_eq_u32_e64 s[8:9], 0, v38
	v_lshlrev_b32_e32 v0, 30, v0
	v_cndmask_b32_e64 v20, v20, v25, s[8:9]
	v_and_or_b32 v0, v0, s61, v37
	v_xor_b32_e32 v0, v0, v20
	v_xor_b32_e32 v0, v0, v21
	v_cndmask_b32_e64 v25, v36, v0, s[6:7]
.LBB133_367:                            ;   in Loop: Header=BB133_181 Depth=1
	s_or_b64 exec, exec, s[26:27]
                                        ; implicit-def: $vgpr20
	s_andn2_saveexec_b64 s[8:9], s[24:25]
	s_cbranch_execnz .LBB133_328
.LBB133_368:                            ;   in Loop: Header=BB133_181 Depth=1
	s_or_b64 exec, exec, s[8:9]
	s_and_saveexec_b64 s[6:7], vcc
	s_xor_b64 s[6:7], exec, s[6:7]
	s_cbranch_execz .LBB133_329
.LBB133_369:                            ;   in Loop: Header=BB133_181 Depth=1
	v_mov_b32_e32 v0, s15
	v_add_co_u32_e32 v20, vcc, s14, v4
	v_addc_co_u32_e32 v21, vcc, v5, v0, vcc
	global_store_dwordx2 v[20:21], v[22:23], off offset:-4
	s_or_b64 exec, exec, s[6:7]
	s_and_saveexec_b64 s[6:7], s[0:1]
	s_cbranch_execnz .LBB133_330
.LBB133_370:                            ;   in Loop: Header=BB133_181 Depth=1
	s_or_b64 exec, exec, s[6:7]
	s_and_saveexec_b64 s[0:1], s[2:3]
	s_cbranch_execz .LBB133_331
.LBB133_371:                            ;   in Loop: Header=BB133_181 Depth=1
	v_mov_b32_e32 v0, s15
	v_add_co_u32_e32 v20, vcc, s14, v14
	v_addc_co_u32_e32 v21, vcc, v15, v0, vcc
	global_store_dwordx2 v[20:21], v[28:29], off offset:-4
	s_or_b64 exec, exec, s[0:1]
	s_and_saveexec_b64 s[0:1], s[4:5]
	s_cbranch_execz .LBB133_180
.LBB133_372:                            ;   in Loop: Header=BB133_181 Depth=1
	v_mov_b32_e32 v0, s15
	v_add_co_u32_e32 v20, vcc, s14, v8
	v_addc_co_u32_e32 v21, vcc, v9, v0, vcc
	global_store_dwordx2 v[20:21], v[24:25], off offset:-4
	s_branch .LBB133_180
.LBB133_373:
	s_endpgm
	.section	.rodata,"a",@progbits
	.p2align	6, 0x0
	.amdhsa_kernel _ZN2at6native12_GLOBAL__N_125multi_tensor_apply_kernelINS1_18TensorListMetadataILi2EEENS1_14UnaryOpFunctorIN3c107complexIfEELi2ELi1ELi1EEEJNS0_3ExpIS8_EEEEEvT_T0_DpT1_
		.amdhsa_group_segment_fixed_size 0
		.amdhsa_private_segment_fixed_size 0
		.amdhsa_kernarg_size 3408
		.amdhsa_user_sgpr_count 6
		.amdhsa_user_sgpr_private_segment_buffer 1
		.amdhsa_user_sgpr_dispatch_ptr 0
		.amdhsa_user_sgpr_queue_ptr 0
		.amdhsa_user_sgpr_kernarg_segment_ptr 1
		.amdhsa_user_sgpr_dispatch_id 0
		.amdhsa_user_sgpr_flat_scratch_init 0
		.amdhsa_user_sgpr_kernarg_preload_length 0
		.amdhsa_user_sgpr_kernarg_preload_offset 0
		.amdhsa_user_sgpr_private_segment_size 0
		.amdhsa_uses_dynamic_stack 0
		.amdhsa_system_sgpr_private_segment_wavefront_offset 0
		.amdhsa_system_sgpr_workgroup_id_x 1
		.amdhsa_system_sgpr_workgroup_id_y 0
		.amdhsa_system_sgpr_workgroup_id_z 0
		.amdhsa_system_sgpr_workgroup_info 0
		.amdhsa_system_vgpr_workitem_id 0
		.amdhsa_next_free_vgpr 53
		.amdhsa_next_free_sgpr 63
		.amdhsa_accum_offset 56
		.amdhsa_reserve_vcc 1
		.amdhsa_reserve_flat_scratch 0
		.amdhsa_float_round_mode_32 0
		.amdhsa_float_round_mode_16_64 0
		.amdhsa_float_denorm_mode_32 3
		.amdhsa_float_denorm_mode_16_64 3
		.amdhsa_dx10_clamp 1
		.amdhsa_ieee_mode 1
		.amdhsa_fp16_overflow 0
		.amdhsa_tg_split 0
		.amdhsa_exception_fp_ieee_invalid_op 0
		.amdhsa_exception_fp_denorm_src 0
		.amdhsa_exception_fp_ieee_div_zero 0
		.amdhsa_exception_fp_ieee_overflow 0
		.amdhsa_exception_fp_ieee_underflow 0
		.amdhsa_exception_fp_ieee_inexact 0
		.amdhsa_exception_int_div_zero 0
	.end_amdhsa_kernel
	.section	.text._ZN2at6native12_GLOBAL__N_125multi_tensor_apply_kernelINS1_18TensorListMetadataILi2EEENS1_14UnaryOpFunctorIN3c107complexIfEELi2ELi1ELi1EEEJNS0_3ExpIS8_EEEEEvT_T0_DpT1_,"axG",@progbits,_ZN2at6native12_GLOBAL__N_125multi_tensor_apply_kernelINS1_18TensorListMetadataILi2EEENS1_14UnaryOpFunctorIN3c107complexIfEELi2ELi1ELi1EEEJNS0_3ExpIS8_EEEEEvT_T0_DpT1_,comdat
.Lfunc_end133:
	.size	_ZN2at6native12_GLOBAL__N_125multi_tensor_apply_kernelINS1_18TensorListMetadataILi2EEENS1_14UnaryOpFunctorIN3c107complexIfEELi2ELi1ELi1EEEJNS0_3ExpIS8_EEEEEvT_T0_DpT1_, .Lfunc_end133-_ZN2at6native12_GLOBAL__N_125multi_tensor_apply_kernelINS1_18TensorListMetadataILi2EEENS1_14UnaryOpFunctorIN3c107complexIfEELi2ELi1ELi1EEEJNS0_3ExpIS8_EEEEEvT_T0_DpT1_
                                        ; -- End function
	.section	.AMDGPU.csdata,"",@progbits
; Kernel info:
; codeLenInByte = 41400
; NumSgprs: 67
; NumVgprs: 53
; NumAgprs: 0
; TotalNumVgprs: 53
; ScratchSize: 0
; MemoryBound: 1
; FloatMode: 240
; IeeeMode: 1
; LDSByteSize: 0 bytes/workgroup (compile time only)
; SGPRBlocks: 8
; VGPRBlocks: 6
; NumSGPRsForWavesPerEU: 67
; NumVGPRsForWavesPerEU: 53
; AccumOffset: 56
; Occupancy: 8
; WaveLimiterHint : 0
; COMPUTE_PGM_RSRC2:SCRATCH_EN: 0
; COMPUTE_PGM_RSRC2:USER_SGPR: 6
; COMPUTE_PGM_RSRC2:TRAP_HANDLER: 0
; COMPUTE_PGM_RSRC2:TGID_X_EN: 1
; COMPUTE_PGM_RSRC2:TGID_Y_EN: 0
; COMPUTE_PGM_RSRC2:TGID_Z_EN: 0
; COMPUTE_PGM_RSRC2:TIDIG_COMP_CNT: 0
; COMPUTE_PGM_RSRC3_GFX90A:ACCUM_OFFSET: 13
; COMPUTE_PGM_RSRC3_GFX90A:TG_SPLIT: 0
	.section	.text._ZN2at6native12_GLOBAL__N_125multi_tensor_apply_kernelINS1_18TensorListMetadataILi2EEENS1_14UnaryOpFunctorIN3c104HalfELi2ELi1ELi1EEEJNS0_3ExpIfEEEEEvT_T0_DpT1_,"axG",@progbits,_ZN2at6native12_GLOBAL__N_125multi_tensor_apply_kernelINS1_18TensorListMetadataILi2EEENS1_14UnaryOpFunctorIN3c104HalfELi2ELi1ELi1EEEJNS0_3ExpIfEEEEEvT_T0_DpT1_,comdat
	.globl	_ZN2at6native12_GLOBAL__N_125multi_tensor_apply_kernelINS1_18TensorListMetadataILi2EEENS1_14UnaryOpFunctorIN3c104HalfELi2ELi1ELi1EEEJNS0_3ExpIfEEEEEvT_T0_DpT1_ ; -- Begin function _ZN2at6native12_GLOBAL__N_125multi_tensor_apply_kernelINS1_18TensorListMetadataILi2EEENS1_14UnaryOpFunctorIN3c104HalfELi2ELi1ELi1EEEJNS0_3ExpIfEEEEEvT_T0_DpT1_
	.p2align	8
	.type	_ZN2at6native12_GLOBAL__N_125multi_tensor_apply_kernelINS1_18TensorListMetadataILi2EEENS1_14UnaryOpFunctorIN3c104HalfELi2ELi1ELi1EEEJNS0_3ExpIfEEEEEvT_T0_DpT1_,@function
_ZN2at6native12_GLOBAL__N_125multi_tensor_apply_kernelINS1_18TensorListMetadataILi2EEENS1_14UnaryOpFunctorIN3c104HalfELi2ELi1ELi1EEEJNS0_3ExpIfEEEEEvT_T0_DpT1_: ; @_ZN2at6native12_GLOBAL__N_125multi_tensor_apply_kernelINS1_18TensorListMetadataILi2EEENS1_14UnaryOpFunctorIN3c104HalfELi2ELi1ELi1EEEJNS0_3ExpIfEEEEEvT_T0_DpT1_
; %bb.0:
	v_mov_b32_e32 v1, s6
	global_load_ubyte v1, v1, s[4:5] offset:1536
	s_add_u32 s0, s4, s6
	s_mul_hi_u32 s2, s6, 3
	s_mul_i32 s6, s6, 3
	s_addc_u32 s9, s5, 0
	s_add_u32 s8, s0, s6
	s_addc_u32 s9, s9, s2
	s_load_dword s10, s[8:9], 0x740
	s_mov_b32 s1, 0
	s_mov_b32 s7, s1
	;; [unrolled: 1-line block ×3, first 2 shown]
	s_waitcnt lgkmcnt(0)
	s_ashr_i32 s11, s10, 31
	s_lshl_b64 s[8:9], s[10:11], 17
	s_waitcnt vmcnt(0)
	v_readfirstlane_b32 s0, v1
	s_lshl_b32 s0, s0, 3
	s_load_dwordx2 s[16:17], s[4:5], s0 offset:0x0
	s_load_dwordx2 s[12:13], s[4:5], s0 offset:0x400
	;; [unrolled: 1-line block ×3, first 2 shown]
	s_waitcnt lgkmcnt(0)
	s_add_u32 s22, s16, s8
	s_addc_u32 s23, s17, s9
	s_and_b32 s0, s22, 7
	s_add_u32 s24, s14, s8
	s_addc_u32 s25, s15, s9
	s_and_b32 s6, s12, 3
	s_and_b32 s2, s24, 7
	s_or_b64 s[6:7], s[0:1], s[6:7]
	s_or_b64 s[2:3], s[2:3], s[6:7]
	s_lshl_b64 s[6:7], s[10:11], 16
	s_sub_u32 s10, s12, s6
	s_subb_u32 s11, s13, s7
	s_cmp_eq_u64 s[2:3], 0
	s_mov_b64 s[2:3], -1
	s_cbranch_scc0 .LBB134_5
; %bb.1:
	v_mov_b32_e32 v3, 0
	v_lshlrev_b32_e32 v2, 2, v0
	v_cmp_gt_i64_e32 vcc, s[10:11], v[2:3]
	s_and_saveexec_b64 s[12:13], vcc
	s_cbranch_execz .LBB134_4
; %bb.2:
	s_load_dword s0, s[4:5], 0xc5c
	v_lshlrev_b32_e32 v4, 3, v0
	s_mov_b64 s[18:19], 0
	s_mov_b32 s28, 0x3fb8aa3b
	s_mov_b32 s29, 0x32a5705f
	s_waitcnt lgkmcnt(0)
	s_and_b32 s0, s0, 0xffff
	v_add_lshl_u32 v2, v0, s0, 2
	s_lshl_b32 s26, s0, 2
	s_lshl_b32 s27, s0, 3
	s_mov_b32 s30, 0xc2ce8ed0
	s_mov_b32 s31, 0x42b17218
	v_mov_b32_e32 v1, 0x7f800000
	s_mov_b64 s[20:21], 0xffff
	v_mov_b32_e32 v5, s1
.LBB134_3:                              ; =>This Inner Loop Header: Depth=1
	v_mov_b32_e32 v7, s23
	v_add_co_u32_e32 v6, vcc, s22, v4
	v_addc_co_u32_e32 v7, vcc, 0, v7, vcc
	global_load_dwordx2 v[6:7], v[6:7], off
	v_cmp_le_i64_e32 vcc, s[10:11], v[2:3]
	v_cmp_lt_u64_e64 s[0:1], s[20:21], v[2:3]
	v_add_co_u32_e64 v2, s[2:3], s26, v2
	v_addc_co_u32_e64 v3, s[2:3], v3, v5, s[2:3]
	v_mov_b32_e32 v9, s25
	v_add_co_u32_e64 v8, s[2:3], s24, v4
	v_addc_co_u32_e64 v9, s[2:3], 0, v9, s[2:3]
	s_or_b64 s[34:35], vcc, s[0:1]
	s_add_u32 s22, s22, s27
	s_addc_u32 s23, s23, 0
	s_add_u32 s24, s24, s27
	s_addc_u32 s25, s25, 0
	s_waitcnt vmcnt(0)
	v_cvt_f32_f16_e32 v10, v6
	v_cvt_f32_f16_sdwa v11, v6 dst_sel:DWORD dst_unused:UNUSED_PAD src0_sel:WORD_1
	v_cvt_f32_f16_e32 v12, v7
	v_cvt_f32_f16_sdwa v13, v7 dst_sel:DWORD dst_unused:UNUSED_PAD src0_sel:WORD_1
	v_mul_f32_e32 v14, 0x3fb8aa3b, v10
	v_mul_f32_e32 v15, 0x3fb8aa3b, v11
	;; [unrolled: 1-line block ×4, first 2 shown]
	v_fma_mix_f32 v18, v6, s28, -v14 op_sel_hi:[1,0,0]
	v_rndne_f32_e32 v19, v14
	v_fma_mix_f32 v20, v6, s28, -v15 op_sel:[1,0,0] op_sel_hi:[1,0,0]
	v_rndne_f32_e32 v21, v15
	v_fma_mix_f32 v22, v7, s28, -v16 op_sel_hi:[1,0,0]
	v_rndne_f32_e32 v23, v16
	v_fma_mix_f32 v24, v7, s28, -v17 op_sel:[1,0,0] op_sel_hi:[1,0,0]
	v_rndne_f32_e32 v25, v17
	v_fma_mix_f32 v18, v6, s29, v18 op_sel_hi:[1,0,0]
	v_sub_f32_e32 v14, v14, v19
	v_fma_mix_f32 v6, v6, s29, v20 op_sel:[1,0,0] op_sel_hi:[1,0,0]
	v_sub_f32_e32 v15, v15, v21
	v_cvt_i32_f32_e32 v20, v21
	v_fma_mix_f32 v21, v7, s29, v22 op_sel_hi:[1,0,0]
	v_sub_f32_e32 v16, v16, v23
	v_fma_mix_f32 v7, v7, s29, v24 op_sel:[1,0,0] op_sel_hi:[1,0,0]
	v_sub_f32_e32 v17, v17, v25
	v_add_f32_e32 v14, v14, v18
	v_add_f32_e32 v6, v15, v6
	;; [unrolled: 1-line block ×4, first 2 shown]
	v_cvt_i32_f32_e32 v19, v19
	v_cvt_i32_f32_e32 v22, v23
	v_cvt_i32_f32_e32 v23, v25
	v_exp_f32_e32 v14, v14
	v_exp_f32_e32 v6, v6
	;; [unrolled: 1-line block ×4, first 2 shown]
	v_ldexp_f32 v14, v14, v19
	v_ldexp_f32 v6, v6, v20
	v_cmp_ngt_f32_e32 vcc, s30, v11
	v_ldexp_f32 v15, v15, v22
	v_cmp_ngt_f32_e64 s[0:1], s30, v12
	v_ldexp_f32 v7, v7, v23
	v_cmp_ngt_f32_e64 s[2:3], s30, v13
	v_cmp_ngt_f32_e64 s[6:7], s30, v10
	v_cndmask_b32_e64 v14, 0, v14, s[6:7]
	v_cndmask_b32_e32 v6, 0, v6, vcc
	v_cmp_nlt_f32_e32 vcc, s31, v11
	v_cndmask_b32_e64 v11, 0, v15, s[0:1]
	v_cmp_nlt_f32_e64 s[0:1], s31, v12
	v_cndmask_b32_e64 v7, 0, v7, s[2:3]
	v_cmp_nlt_f32_e64 s[2:3], s31, v13
	v_cmp_nlt_f32_e64 s[6:7], s31, v10
	v_cndmask_b32_e64 v10, v1, v14, s[6:7]
	v_cndmask_b32_e32 v6, v1, v6, vcc
	v_cndmask_b32_e64 v11, v1, v11, s[0:1]
	v_cndmask_b32_e64 v7, v1, v7, s[2:3]
	v_cvt_f16_f32_e32 v10, v10
	v_cvt_f16_f32_e32 v11, v11
	;; [unrolled: 1-line block ×4, first 2 shown]
	s_and_b64 s[0:1], exec, s[34:35]
	s_or_b64 s[18:19], s[0:1], s[18:19]
	v_pack_b32_f16 v7, v11, v7
	v_pack_b32_f16 v6, v10, v6
	global_store_dwordx2 v[8:9], v[6:7], off
	s_andn2_b64 exec, exec, s[18:19]
	s_cbranch_execnz .LBB134_3
.LBB134_4:
	s_or_b64 exec, exec, s[12:13]
	s_mov_b64 s[2:3], 0
.LBB134_5:
	s_andn2_b64 vcc, exec, s[2:3]
	s_cbranch_vccnz .LBB134_25
; %bb.6:
	v_cmp_lt_i64_e64 s[0:1], s[10:11], 1
	s_and_b64 vcc, exec, s[0:1]
	s_cbranch_vccnz .LBB134_25
; %bb.7:
	s_load_dword s0, s[4:5], 0xc5c
	v_mov_b32_e32 v2, 0x10000
	v_mov_b32_e32 v3, 0
	v_cmp_lt_u64_e32 vcc, s[10:11], v[2:3]
	v_lshlrev_b32_e32 v10, 1, v0
	s_waitcnt lgkmcnt(0)
	s_and_b32 s2, s0, 0xffff
	s_and_b64 s[0:1], vcc, exec
	v_mov_b32_e32 v13, s17
	v_add_co_u32_e32 v2, vcc, s16, v10
	v_addc_co_u32_e32 v1, vcc, 0, v13, vcc
	v_mov_b32_e32 v11, 0
	v_mov_b32_e32 v15, s15
	v_add_co_u32_e32 v4, vcc, s14, v10
	v_addc_co_u32_e32 v3, vcc, 0, v15, vcc
	v_mad_u64_u32 v[8:9], s[0:1], s2, 6, v[10:11]
	v_add_co_u32_e32 v6, vcc, s16, v8
	v_addc_co_u32_e32 v5, vcc, v13, v9, vcc
	v_add_co_u32_e32 v8, vcc, s14, v8
	s_mul_i32 s4, s2, 3
	v_addc_co_u32_e32 v7, vcc, v15, v9, vcc
	s_cselect_b32 s13, s11, 0
	s_cselect_b32 s12, s10, 0x10000
	s_lshl_b32 s19, s2, 2
	v_add_co_u32_e32 v17, vcc, s4, v0
	v_addc_co_u32_e64 v18, s[0:1], 0, 0, vcc
	v_add_co_u32_e32 v11, vcc, s19, v10
	v_addc_co_u32_e64 v14, s[0:1], 0, 0, vcc
	v_add_co_u32_e32 v10, vcc, s16, v11
	v_addc_co_u32_e32 v9, vcc, v13, v14, vcc
	v_add_co_u32_e32 v12, vcc, s14, v11
	s_lshl_b32 s3, s2, 1
	v_addc_co_u32_e32 v11, vcc, v15, v14, vcc
	v_add_co_u32_e32 v19, vcc, s3, v0
	v_addc_co_u32_e64 v20, s[0:1], 0, 0, vcc
	v_add_co_u32_e32 v21, vcc, s2, v0
	v_lshlrev_b32_e32 v16, 1, v21
	v_addc_co_u32_e64 v22, s[0:1], 0, 0, vcc
	v_add_co_u32_e32 v14, vcc, s16, v16
	v_addc_co_u32_e32 v13, vcc, 0, v13, vcc
	v_add_co_u32_e32 v16, vcc, s14, v16
	s_mov_b32 s18, 0
	s_lshl_b32 s20, s2, 3
	v_addc_co_u32_e32 v15, vcc, 0, v15, vcc
	s_mov_b64 s[14:15], 0
	s_mov_b32 s21, 0x3fb8aa3b
	s_mov_b32 s22, 0x32a5705f
	;; [unrolled: 1-line block ×4, first 2 shown]
	v_mov_b32_e32 v23, 0x7f800000
	s_branch .LBB134_9
.LBB134_8:                              ;   in Loop: Header=BB134_9 Depth=1
	s_or_b64 exec, exec, s[0:1]
	s_add_u32 s14, s14, s19
	s_addc_u32 s15, s15, 0
	s_waitcnt vmcnt(0)
	v_pk_mov_b32 v[24:25], s[10:11], s[10:11] op_sel:[0,1]
	v_cmp_ge_i64_e32 vcc, s[14:15], v[24:25]
	v_mov_b32_e32 v24, 0xffff
	v_mov_b32_e32 v25, 0
	v_cmp_gt_u64_e64 s[0:1], s[14:15], v[24:25]
	s_or_b64 s[0:1], vcc, s[0:1]
	v_mov_b32_e32 v24, s18
	v_add_co_u32_e32 v2, vcc, s20, v2
	v_addc_co_u32_e32 v1, vcc, v1, v24, vcc
	v_add_co_u32_e32 v4, vcc, s20, v4
	v_addc_co_u32_e32 v3, vcc, v3, v24, vcc
	;; [unrolled: 2-line block ×8, first 2 shown]
	s_and_b64 vcc, exec, s[0:1]
	s_cbranch_vccnz .LBB134_25
.LBB134_9:                              ; =>This Inner Loop Header: Depth=1
	v_mov_b32_e32 v25, s15
	v_add_co_u32_e32 v24, vcc, s14, v0
	v_addc_co_u32_e32 v25, vcc, 0, v25, vcc
	v_cmp_gt_u64_e64 s[4:5], s[12:13], v[24:25]
	v_mov_b32_e32 v27, 0
	s_and_saveexec_b64 s[0:1], s[4:5]
	s_cbranch_execz .LBB134_11
; %bb.10:                               ;   in Loop: Header=BB134_9 Depth=1
	v_mov_b32_e32 v25, s9
	v_add_co_u32_e32 v24, vcc, s8, v2
	v_addc_co_u32_e32 v25, vcc, v1, v25, vcc
	global_load_ushort v27, v[24:25], off
.LBB134_11:                             ;   in Loop: Header=BB134_9 Depth=1
	s_or_b64 exec, exec, s[0:1]
	v_mov_b32_e32 v25, s15
	v_add_co_u32_e32 v24, vcc, s14, v21
	v_addc_co_u32_e32 v25, vcc, v22, v25, vcc
	v_cmp_gt_u64_e64 s[2:3], s[12:13], v[24:25]
	v_mov_b32_e32 v26, 0
	s_and_saveexec_b64 s[0:1], s[2:3]
	s_cbranch_execz .LBB134_13
; %bb.12:                               ;   in Loop: Header=BB134_9 Depth=1
	v_mov_b32_e32 v25, s9
	v_add_co_u32_e32 v24, vcc, s8, v14
	v_addc_co_u32_e32 v25, vcc, v13, v25, vcc
	global_load_ushort v26, v[24:25], off
.LBB134_13:                             ;   in Loop: Header=BB134_9 Depth=1
	s_or_b64 exec, exec, s[0:1]
	v_mov_b32_e32 v25, s15
	v_add_co_u32_e32 v24, vcc, s14, v19
	v_addc_co_u32_e32 v25, vcc, v20, v25, vcc
	v_cmp_gt_u64_e64 s[0:1], s[12:13], v[24:25]
	v_mov_b32_e32 v24, 0
	v_mov_b32_e32 v25, 0
	s_and_saveexec_b64 s[6:7], s[0:1]
	s_cbranch_execz .LBB134_15
; %bb.14:                               ;   in Loop: Header=BB134_9 Depth=1
	v_mov_b32_e32 v25, s9
	v_add_co_u32_e32 v28, vcc, s8, v10
	v_addc_co_u32_e32 v29, vcc, v9, v25, vcc
	global_load_ushort v25, v[28:29], off
.LBB134_15:                             ;   in Loop: Header=BB134_9 Depth=1
	s_or_b64 exec, exec, s[6:7]
	v_mov_b32_e32 v29, s15
	v_add_co_u32_e32 v28, vcc, s14, v17
	v_addc_co_u32_e32 v29, vcc, v18, v29, vcc
	v_cmp_gt_u64_e32 vcc, s[12:13], v[28:29]
	s_and_saveexec_b64 s[16:17], vcc
	s_cbranch_execnz .LBB134_20
; %bb.16:                               ;   in Loop: Header=BB134_9 Depth=1
	s_or_b64 exec, exec, s[16:17]
	s_and_saveexec_b64 s[6:7], s[4:5]
	s_cbranch_execnz .LBB134_21
.LBB134_17:                             ;   in Loop: Header=BB134_9 Depth=1
	s_or_b64 exec, exec, s[6:7]
	s_and_saveexec_b64 s[4:5], s[2:3]
	s_cbranch_execnz .LBB134_22
.LBB134_18:                             ;   in Loop: Header=BB134_9 Depth=1
	s_or_b64 exec, exec, s[4:5]
	s_and_saveexec_b64 s[2:3], s[0:1]
	s_cbranch_execnz .LBB134_23
.LBB134_19:                             ;   in Loop: Header=BB134_9 Depth=1
	s_or_b64 exec, exec, s[2:3]
	s_and_saveexec_b64 s[0:1], vcc
	s_cbranch_execz .LBB134_8
	s_branch .LBB134_24
.LBB134_20:                             ;   in Loop: Header=BB134_9 Depth=1
	v_mov_b32_e32 v24, s9
	v_add_co_u32_e64 v28, s[6:7], s8, v6
	v_addc_co_u32_e64 v29, s[6:7], v5, v24, s[6:7]
	global_load_ushort v24, v[28:29], off
	s_or_b64 exec, exec, s[16:17]
	s_and_saveexec_b64 s[6:7], s[4:5]
	s_cbranch_execz .LBB134_17
.LBB134_21:                             ;   in Loop: Header=BB134_9 Depth=1
	s_waitcnt vmcnt(0)
	v_cvt_f32_f16_e32 v28, v27
	v_mul_f32_e32 v29, 0x3fb8aa3b, v28
	v_rndne_f32_e32 v30, v29
	v_fma_mix_f32 v31, v27, s21, -v29 op_sel_hi:[1,0,0]
	v_sub_f32_e32 v29, v29, v30
	v_fma_mix_f32 v27, v27, s22, v31 op_sel_hi:[1,0,0]
	v_add_f32_e32 v27, v29, v27
	v_cvt_i32_f32_e32 v30, v30
	v_exp_f32_e32 v27, v27
	v_cmp_ngt_f32_e64 s[4:5], s23, v28
	v_mov_b32_e32 v29, s9
	v_ldexp_f32 v27, v27, v30
	v_cndmask_b32_e64 v27, 0, v27, s[4:5]
	v_cmp_nlt_f32_e64 s[4:5], s24, v28
	v_cndmask_b32_e64 v27, v23, v27, s[4:5]
	v_cvt_f16_f32_e32 v27, v27
	v_add_co_u32_e64 v28, s[4:5], s8, v4
	v_addc_co_u32_e64 v29, s[4:5], v3, v29, s[4:5]
	global_store_short v[28:29], v27, off
	s_or_b64 exec, exec, s[6:7]
	s_and_saveexec_b64 s[4:5], s[2:3]
	s_cbranch_execz .LBB134_18
.LBB134_22:                             ;   in Loop: Header=BB134_9 Depth=1
	s_waitcnt vmcnt(0)
	v_cvt_f32_f16_e32 v27, v26
	v_mul_f32_e32 v28, 0x3fb8aa3b, v27
	v_rndne_f32_e32 v29, v28
	v_fma_mix_f32 v30, v26, s21, -v28 op_sel_hi:[1,0,0]
	v_sub_f32_e32 v28, v28, v29
	v_fma_mix_f32 v26, v26, s22, v30 op_sel_hi:[1,0,0]
	v_add_f32_e32 v26, v28, v26
	v_cvt_i32_f32_e32 v29, v29
	v_exp_f32_e32 v26, v26
	v_cmp_ngt_f32_e64 s[2:3], s23, v27
	v_mov_b32_e32 v28, s9
	v_ldexp_f32 v26, v26, v29
	v_cndmask_b32_e64 v26, 0, v26, s[2:3]
	v_cmp_nlt_f32_e64 s[2:3], s24, v27
	v_cndmask_b32_e64 v26, v23, v26, s[2:3]
	v_cvt_f16_f32_e32 v29, v26
	v_add_co_u32_e64 v26, s[2:3], s8, v16
	v_addc_co_u32_e64 v27, s[2:3], v15, v28, s[2:3]
	global_store_short v[26:27], v29, off
	s_or_b64 exec, exec, s[4:5]
	s_and_saveexec_b64 s[2:3], s[0:1]
	s_cbranch_execz .LBB134_19
.LBB134_23:                             ;   in Loop: Header=BB134_9 Depth=1
	s_waitcnt vmcnt(0)
	v_cvt_f32_f16_e32 v26, v25
	v_mul_f32_e32 v27, 0x3fb8aa3b, v26
	v_rndne_f32_e32 v28, v27
	v_fma_mix_f32 v29, v25, s21, -v27 op_sel_hi:[1,0,0]
	v_sub_f32_e32 v27, v27, v28
	v_fma_mix_f32 v25, v25, s22, v29 op_sel_hi:[1,0,0]
	v_add_f32_e32 v25, v27, v25
	v_cvt_i32_f32_e32 v28, v28
	v_exp_f32_e32 v25, v25
	v_cmp_ngt_f32_e64 s[0:1], s23, v26
	v_mov_b32_e32 v27, s9
	v_ldexp_f32 v25, v25, v28
	v_cndmask_b32_e64 v25, 0, v25, s[0:1]
	v_cmp_nlt_f32_e64 s[0:1], s24, v26
	v_cndmask_b32_e64 v25, v23, v25, s[0:1]
	v_cvt_f16_f32_e32 v25, v25
	v_add_co_u32_e64 v26, s[0:1], s8, v12
	v_addc_co_u32_e64 v27, s[0:1], v11, v27, s[0:1]
	global_store_short v[26:27], v25, off
	s_or_b64 exec, exec, s[2:3]
	s_and_saveexec_b64 s[0:1], vcc
	s_cbranch_execz .LBB134_8
.LBB134_24:                             ;   in Loop: Header=BB134_9 Depth=1
	s_waitcnt vmcnt(0)
	v_cvt_f32_f16_e32 v25, v24
	v_mul_f32_e32 v26, 0x3fb8aa3b, v25
	v_rndne_f32_e32 v27, v26
	v_fma_mix_f32 v28, v24, s21, -v26 op_sel_hi:[1,0,0]
	v_sub_f32_e32 v26, v26, v27
	v_fma_mix_f32 v24, v24, s22, v28 op_sel_hi:[1,0,0]
	v_add_f32_e32 v24, v26, v24
	v_cvt_i32_f32_e32 v27, v27
	v_exp_f32_e32 v24, v24
	v_cmp_ngt_f32_e32 vcc, s23, v25
	v_mov_b32_e32 v26, s9
	v_ldexp_f32 v24, v24, v27
	v_cndmask_b32_e32 v24, 0, v24, vcc
	v_cmp_nlt_f32_e32 vcc, s24, v25
	v_cndmask_b32_e32 v24, v23, v24, vcc
	v_cvt_f16_f32_e32 v27, v24
	v_add_co_u32_e32 v24, vcc, s8, v8
	v_addc_co_u32_e32 v25, vcc, v7, v26, vcc
	global_store_short v[24:25], v27, off
	s_branch .LBB134_8
.LBB134_25:
	s_endpgm
	.section	.rodata,"a",@progbits
	.p2align	6, 0x0
	.amdhsa_kernel _ZN2at6native12_GLOBAL__N_125multi_tensor_apply_kernelINS1_18TensorListMetadataILi2EEENS1_14UnaryOpFunctorIN3c104HalfELi2ELi1ELi1EEEJNS0_3ExpIfEEEEEvT_T0_DpT1_
		.amdhsa_group_segment_fixed_size 0
		.amdhsa_private_segment_fixed_size 0
		.amdhsa_kernarg_size 3408
		.amdhsa_user_sgpr_count 6
		.amdhsa_user_sgpr_private_segment_buffer 1
		.amdhsa_user_sgpr_dispatch_ptr 0
		.amdhsa_user_sgpr_queue_ptr 0
		.amdhsa_user_sgpr_kernarg_segment_ptr 1
		.amdhsa_user_sgpr_dispatch_id 0
		.amdhsa_user_sgpr_flat_scratch_init 0
		.amdhsa_user_sgpr_kernarg_preload_length 0
		.amdhsa_user_sgpr_kernarg_preload_offset 0
		.amdhsa_user_sgpr_private_segment_size 0
		.amdhsa_uses_dynamic_stack 0
		.amdhsa_system_sgpr_private_segment_wavefront_offset 0
		.amdhsa_system_sgpr_workgroup_id_x 1
		.amdhsa_system_sgpr_workgroup_id_y 0
		.amdhsa_system_sgpr_workgroup_id_z 0
		.amdhsa_system_sgpr_workgroup_info 0
		.amdhsa_system_vgpr_workitem_id 0
		.amdhsa_next_free_vgpr 32
		.amdhsa_next_free_sgpr 36
		.amdhsa_accum_offset 32
		.amdhsa_reserve_vcc 1
		.amdhsa_reserve_flat_scratch 0
		.amdhsa_float_round_mode_32 0
		.amdhsa_float_round_mode_16_64 0
		.amdhsa_float_denorm_mode_32 3
		.amdhsa_float_denorm_mode_16_64 3
		.amdhsa_dx10_clamp 1
		.amdhsa_ieee_mode 1
		.amdhsa_fp16_overflow 0
		.amdhsa_tg_split 0
		.amdhsa_exception_fp_ieee_invalid_op 0
		.amdhsa_exception_fp_denorm_src 0
		.amdhsa_exception_fp_ieee_div_zero 0
		.amdhsa_exception_fp_ieee_overflow 0
		.amdhsa_exception_fp_ieee_underflow 0
		.amdhsa_exception_fp_ieee_inexact 0
		.amdhsa_exception_int_div_zero 0
	.end_amdhsa_kernel
	.section	.text._ZN2at6native12_GLOBAL__N_125multi_tensor_apply_kernelINS1_18TensorListMetadataILi2EEENS1_14UnaryOpFunctorIN3c104HalfELi2ELi1ELi1EEEJNS0_3ExpIfEEEEEvT_T0_DpT1_,"axG",@progbits,_ZN2at6native12_GLOBAL__N_125multi_tensor_apply_kernelINS1_18TensorListMetadataILi2EEENS1_14UnaryOpFunctorIN3c104HalfELi2ELi1ELi1EEEJNS0_3ExpIfEEEEEvT_T0_DpT1_,comdat
.Lfunc_end134:
	.size	_ZN2at6native12_GLOBAL__N_125multi_tensor_apply_kernelINS1_18TensorListMetadataILi2EEENS1_14UnaryOpFunctorIN3c104HalfELi2ELi1ELi1EEEJNS0_3ExpIfEEEEEvT_T0_DpT1_, .Lfunc_end134-_ZN2at6native12_GLOBAL__N_125multi_tensor_apply_kernelINS1_18TensorListMetadataILi2EEENS1_14UnaryOpFunctorIN3c104HalfELi2ELi1ELi1EEEJNS0_3ExpIfEEEEEvT_T0_DpT1_
                                        ; -- End function
	.section	.AMDGPU.csdata,"",@progbits
; Kernel info:
; codeLenInByte = 2000
; NumSgprs: 40
; NumVgprs: 32
; NumAgprs: 0
; TotalNumVgprs: 32
; ScratchSize: 0
; MemoryBound: 0
; FloatMode: 240
; IeeeMode: 1
; LDSByteSize: 0 bytes/workgroup (compile time only)
; SGPRBlocks: 4
; VGPRBlocks: 3
; NumSGPRsForWavesPerEU: 40
; NumVGPRsForWavesPerEU: 32
; AccumOffset: 32
; Occupancy: 8
; WaveLimiterHint : 0
; COMPUTE_PGM_RSRC2:SCRATCH_EN: 0
; COMPUTE_PGM_RSRC2:USER_SGPR: 6
; COMPUTE_PGM_RSRC2:TRAP_HANDLER: 0
; COMPUTE_PGM_RSRC2:TGID_X_EN: 1
; COMPUTE_PGM_RSRC2:TGID_Y_EN: 0
; COMPUTE_PGM_RSRC2:TGID_Z_EN: 0
; COMPUTE_PGM_RSRC2:TIDIG_COMP_CNT: 0
; COMPUTE_PGM_RSRC3_GFX90A:ACCUM_OFFSET: 7
; COMPUTE_PGM_RSRC3_GFX90A:TG_SPLIT: 0
	.section	.text._ZN2at6native12_GLOBAL__N_125multi_tensor_apply_kernelINS1_18TensorListMetadataILi2EEENS1_14UnaryOpFunctorIN3c108BFloat16ELi2ELi1ELi1EEEJNS0_3ExpIfEEEEEvT_T0_DpT1_,"axG",@progbits,_ZN2at6native12_GLOBAL__N_125multi_tensor_apply_kernelINS1_18TensorListMetadataILi2EEENS1_14UnaryOpFunctorIN3c108BFloat16ELi2ELi1ELi1EEEJNS0_3ExpIfEEEEEvT_T0_DpT1_,comdat
	.globl	_ZN2at6native12_GLOBAL__N_125multi_tensor_apply_kernelINS1_18TensorListMetadataILi2EEENS1_14UnaryOpFunctorIN3c108BFloat16ELi2ELi1ELi1EEEJNS0_3ExpIfEEEEEvT_T0_DpT1_ ; -- Begin function _ZN2at6native12_GLOBAL__N_125multi_tensor_apply_kernelINS1_18TensorListMetadataILi2EEENS1_14UnaryOpFunctorIN3c108BFloat16ELi2ELi1ELi1EEEJNS0_3ExpIfEEEEEvT_T0_DpT1_
	.p2align	8
	.type	_ZN2at6native12_GLOBAL__N_125multi_tensor_apply_kernelINS1_18TensorListMetadataILi2EEENS1_14UnaryOpFunctorIN3c108BFloat16ELi2ELi1ELi1EEEJNS0_3ExpIfEEEEEvT_T0_DpT1_,@function
_ZN2at6native12_GLOBAL__N_125multi_tensor_apply_kernelINS1_18TensorListMetadataILi2EEENS1_14UnaryOpFunctorIN3c108BFloat16ELi2ELi1ELi1EEEJNS0_3ExpIfEEEEEvT_T0_DpT1_: ; @_ZN2at6native12_GLOBAL__N_125multi_tensor_apply_kernelINS1_18TensorListMetadataILi2EEENS1_14UnaryOpFunctorIN3c108BFloat16ELi2ELi1ELi1EEEJNS0_3ExpIfEEEEEvT_T0_DpT1_
; %bb.0:
	v_mov_b32_e32 v1, s6
	global_load_ubyte v1, v1, s[4:5] offset:1536
	s_add_u32 s0, s4, s6
	s_mul_hi_u32 s2, s6, 3
	s_mul_i32 s6, s6, 3
	s_addc_u32 s7, s5, 0
	s_add_u32 s6, s0, s6
	s_addc_u32 s7, s7, s2
	s_mov_b32 s1, 0
	s_mov_b32 s3, s1
	s_waitcnt vmcnt(0)
	v_readfirstlane_b32 s0, v1
	s_lshl_b32 s0, s0, 3
	s_load_dword s10, s[6:7], 0x740
	s_load_dwordx2 s[16:17], s[4:5], s0 offset:0x0
	s_load_dwordx2 s[12:13], s[4:5], s0 offset:0x400
	;; [unrolled: 1-line block ×3, first 2 shown]
	s_mov_b32 s7, s1
	s_waitcnt lgkmcnt(0)
	s_ashr_i32 s11, s10, 31
	s_and_b32 s0, s16, 7
	s_and_b32 s6, s12, 3
	;; [unrolled: 1-line block ×3, first 2 shown]
	s_or_b64 s[6:7], s[0:1], s[6:7]
	s_lshl_b64 s[8:9], s[10:11], 17
	s_or_b64 s[2:3], s[2:3], s[6:7]
	s_lshl_b64 s[6:7], s[10:11], 16
	s_sub_u32 s10, s12, s6
	s_subb_u32 s11, s13, s7
	s_cmp_eq_u64 s[2:3], 0
	s_mov_b64 s[2:3], -1
	s_cbranch_scc0 .LBB135_5
; %bb.1:
	v_mov_b32_e32 v3, 0
	v_lshlrev_b32_e32 v2, 2, v0
	v_cmp_gt_i64_e32 vcc, s[10:11], v[2:3]
	s_and_saveexec_b64 s[12:13], vcc
	s_cbranch_execz .LBB135_4
; %bb.2:
	s_load_dword s0, s[4:5], 0xc5c
	v_lshlrev_b32_e32 v1, 3, v0
	v_mov_b32_e32 v2, s9
	v_add_co_u32_e32 v4, vcc, s8, v1
	s_waitcnt lgkmcnt(0)
	s_and_b32 s0, s0, 0xffff
	v_addc_co_u32_e32 v1, vcc, 0, v2, vcc
	s_lshl_b32 s22, s0, 3
	v_add_lshl_u32 v2, v0, s0, 2
	s_lshl_b32 s23, s0, 2
	s_mov_b64 s[18:19], 0
	v_mov_b32_e32 v5, s17
	s_mov_b32 s24, 0x3fb8aa3b
	s_mov_b32 s25, 0xc2ce8ed0
	s_mov_b32 s26, 0x42b17218
	v_mov_b32_e32 v6, 0x7f800000
	s_movk_i32 s27, 0x7fff
	v_mov_b32_e32 v7, s15
	v_mov_b32_e32 v8, 0x7fc00000
	;; [unrolled: 1-line block ×3, first 2 shown]
	s_mov_b64 s[20:21], 0xffff
	v_mov_b32_e32 v10, s1
	v_mov_b32_e32 v11, s1
.LBB135_3:                              ; =>This Inner Loop Header: Depth=1
	v_add_co_u32_e32 v12, vcc, s16, v4
	v_addc_co_u32_e32 v13, vcc, v5, v1, vcc
	global_load_dwordx2 v[12:13], v[12:13], off
	v_add_co_u32_e32 v14, vcc, s14, v4
	v_add_co_u32_e64 v4, s[2:3], s22, v4
	v_addc_co_u32_e32 v15, vcc, v7, v1, vcc
	v_addc_co_u32_e64 v1, s[2:3], v1, v10, s[2:3]
	v_cmp_le_i64_e32 vcc, s[10:11], v[2:3]
	v_cmp_lt_u64_e64 s[0:1], s[20:21], v[2:3]
	v_add_co_u32_e64 v2, s[2:3], s23, v2
	v_addc_co_u32_e64 v3, s[2:3], v3, v11, s[2:3]
	s_or_b64 s[0:1], vcc, s[0:1]
	s_and_b64 s[0:1], exec, s[0:1]
	s_or_b64 s[18:19], s[0:1], s[18:19]
	s_waitcnt vmcnt(0)
	v_and_b32_e32 v16, 0xffff0000, v12
	v_lshlrev_b32_e32 v17, 16, v12
	v_alignbit_b32 v12, v13, v12, 16
	v_and_b32_e32 v13, 0xffff0000, v13
	v_mul_f32_e32 v18, 0x3fb8aa3b, v17
	v_mul_f32_e32 v19, 0x3fb8aa3b, v16
	v_and_b32_e32 v12, 0xffff0000, v12
	v_mul_f32_e32 v20, 0x3fb8aa3b, v13
	v_fma_f32 v21, v17, s24, -v18
	v_rndne_f32_e32 v22, v18
	v_fma_f32 v23, v16, s24, -v19
	v_rndne_f32_e32 v24, v19
	v_mul_f32_e32 v25, 0x3fb8aa3b, v12
	v_fma_f32 v26, v13, s24, -v20
	v_rndne_f32_e32 v27, v20
	v_fmac_f32_e32 v21, 0x32a5705f, v17
	v_sub_f32_e32 v18, v18, v22
	v_fmac_f32_e32 v23, 0x32a5705f, v16
	v_sub_f32_e32 v19, v19, v24
	v_fma_f32 v28, v12, s24, -v25
	v_rndne_f32_e32 v29, v25
	v_fmac_f32_e32 v26, 0x32a5705f, v13
	v_sub_f32_e32 v20, v20, v27
	v_add_f32_e32 v18, v18, v21
	v_add_f32_e32 v19, v19, v23
	v_fmac_f32_e32 v28, 0x32a5705f, v12
	v_sub_f32_e32 v21, v25, v29
	v_cvt_i32_f32_e32 v22, v22
	v_cvt_i32_f32_e32 v24, v24
	v_add_f32_e32 v20, v20, v26
	v_exp_f32_e32 v18, v18
	v_exp_f32_e32 v19, v19
	v_add_f32_e32 v21, v21, v28
	v_cvt_i32_f32_e32 v27, v27
	v_cvt_i32_f32_e32 v23, v29
	v_exp_f32_e32 v20, v20
	v_exp_f32_e32 v21, v21
	v_ldexp_f32 v18, v18, v22
	v_ldexp_f32 v19, v19, v24
	v_cmp_ngt_f32_e32 vcc, s25, v16
	v_cmp_ngt_f32_e64 s[2:3], s25, v17
	v_ldexp_f32 v20, v20, v27
	v_cmp_ngt_f32_e64 s[0:1], s25, v13
	v_cndmask_b32_e64 v18, 0, v18, s[2:3]
	v_cndmask_b32_e32 v19, 0, v19, vcc
	v_cmp_nlt_f32_e32 vcc, s26, v16
	v_ldexp_f32 v16, v21, v23
	v_cmp_ngt_f32_e64 s[2:3], s25, v12
	v_cmp_nlt_f32_e64 s[6:7], s26, v17
	v_cndmask_b32_e64 v20, 0, v20, s[0:1]
	v_cmp_nlt_f32_e64 s[0:1], s26, v13
	v_cndmask_b32_e64 v13, v6, v18, s[6:7]
	v_cndmask_b32_e32 v17, v6, v19, vcc
	v_cndmask_b32_e64 v16, 0, v16, s[2:3]
	v_cmp_nlt_f32_e32 vcc, s26, v12
	v_cndmask_b32_e64 v18, v6, v20, s[0:1]
	v_bfe_u32 v12, v13, 16, 1
	v_bfe_u32 v19, v17, 16, 1
	v_cndmask_b32_e32 v16, v6, v16, vcc
	v_bfe_u32 v20, v18, 16, 1
	v_add3_u32 v12, v13, v12, s27
	v_add3_u32 v19, v17, v19, s27
	v_bfe_u32 v21, v16, 16, 1
	v_add3_u32 v20, v18, v20, s27
	v_lshrrev_b32_e32 v12, 16, v12
	v_and_b32_e32 v19, 0xffff0000, v19
	v_add3_u32 v21, v16, v21, s27
	v_cmp_o_f32_e32 vcc, v17, v17
	v_cmp_o_f32_e64 s[0:1], v13, v13
	v_and_b32_e32 v20, 0xffff0000, v20
	v_cmp_o_f32_e64 s[2:3], v18, v18
	v_lshrrev_b32_e32 v13, 16, v21
	v_cndmask_b32_e32 v18, v8, v19, vcc
	v_cndmask_b32_e64 v12, v9, v12, s[0:1]
	v_cmp_o_f32_e32 vcc, v16, v16
	v_cndmask_b32_e64 v17, v8, v20, s[2:3]
	v_cndmask_b32_e32 v13, v9, v13, vcc
	v_or_b32_e32 v12, v12, v18
	v_or3_b32 v13, 0, v13, v17
	v_or3_b32 v12, v12, 0, 0
	global_store_dwordx2 v[14:15], v[12:13], off
	s_andn2_b64 exec, exec, s[18:19]
	s_cbranch_execnz .LBB135_3
.LBB135_4:
	s_or_b64 exec, exec, s[12:13]
	s_mov_b64 s[2:3], 0
.LBB135_5:
	s_andn2_b64 vcc, exec, s[2:3]
	s_cbranch_vccnz .LBB135_25
; %bb.6:
	v_cmp_lt_i64_e64 s[0:1], s[10:11], 1
	s_and_b64 vcc, exec, s[0:1]
	s_cbranch_vccnz .LBB135_25
; %bb.7:
	s_load_dword s0, s[4:5], 0xc5c
	v_mov_b32_e32 v2, 0x10000
	v_mov_b32_e32 v3, 0
	v_cmp_lt_u64_e32 vcc, s[10:11], v[2:3]
	v_lshlrev_b32_e32 v10, 1, v0
	s_waitcnt lgkmcnt(0)
	s_and_b32 s2, s0, 0xffff
	s_and_b64 s[0:1], vcc, exec
	v_mov_b32_e32 v13, s17
	v_add_co_u32_e32 v2, vcc, s16, v10
	v_addc_co_u32_e32 v1, vcc, 0, v13, vcc
	v_mov_b32_e32 v11, 0
	v_mov_b32_e32 v15, s15
	v_add_co_u32_e32 v4, vcc, s14, v10
	v_addc_co_u32_e32 v3, vcc, 0, v15, vcc
	v_mad_u64_u32 v[8:9], s[0:1], s2, 6, v[10:11]
	v_add_co_u32_e32 v6, vcc, s16, v8
	v_addc_co_u32_e32 v5, vcc, v13, v9, vcc
	v_add_co_u32_e32 v8, vcc, s14, v8
	s_mul_i32 s4, s2, 3
	v_addc_co_u32_e32 v7, vcc, v15, v9, vcc
	s_cselect_b32 s13, s11, 0
	s_cselect_b32 s12, s10, 0x10000
	s_lshl_b32 s19, s2, 2
	v_add_co_u32_e32 v17, vcc, s4, v0
	v_addc_co_u32_e64 v18, s[0:1], 0, 0, vcc
	v_add_co_u32_e32 v11, vcc, s19, v10
	v_addc_co_u32_e64 v14, s[0:1], 0, 0, vcc
	v_add_co_u32_e32 v10, vcc, s16, v11
	v_addc_co_u32_e32 v9, vcc, v13, v14, vcc
	v_add_co_u32_e32 v12, vcc, s14, v11
	s_lshl_b32 s3, s2, 1
	v_addc_co_u32_e32 v11, vcc, v15, v14, vcc
	v_add_co_u32_e32 v19, vcc, s3, v0
	v_addc_co_u32_e64 v20, s[0:1], 0, 0, vcc
	v_add_co_u32_e32 v21, vcc, s2, v0
	v_lshlrev_b32_e32 v16, 1, v21
	v_addc_co_u32_e64 v22, s[0:1], 0, 0, vcc
	v_add_co_u32_e32 v14, vcc, s16, v16
	v_addc_co_u32_e32 v13, vcc, 0, v13, vcc
	v_add_co_u32_e32 v16, vcc, s14, v16
	s_mov_b32 s18, 0
	s_lshl_b32 s20, s2, 3
	v_addc_co_u32_e32 v15, vcc, 0, v15, vcc
	s_mov_b64 s[14:15], 0
	s_mov_b32 s21, 0x3fb8aa3b
	s_mov_b32 s22, 0xc2ce8ed0
	;; [unrolled: 1-line block ×3, first 2 shown]
	s_movk_i32 s24, 0x7fff
	v_mov_b32_e32 v23, 0x7f800000
	v_mov_b32_e32 v24, 0x7fc0
	s_branch .LBB135_9
.LBB135_8:                              ;   in Loop: Header=BB135_9 Depth=1
	s_or_b64 exec, exec, s[0:1]
	s_add_u32 s14, s14, s19
	s_addc_u32 s15, s15, 0
	s_waitcnt vmcnt(0)
	v_pk_mov_b32 v[26:27], s[10:11], s[10:11] op_sel:[0,1]
	v_cmp_ge_i64_e32 vcc, s[14:15], v[26:27]
	v_mov_b32_e32 v26, 0xffff
	v_mov_b32_e32 v27, 0
	v_cmp_gt_u64_e64 s[0:1], s[14:15], v[26:27]
	s_or_b64 s[0:1], vcc, s[0:1]
	v_mov_b32_e32 v25, s18
	v_add_co_u32_e32 v2, vcc, s20, v2
	v_addc_co_u32_e32 v1, vcc, v1, v25, vcc
	v_add_co_u32_e32 v4, vcc, s20, v4
	v_addc_co_u32_e32 v3, vcc, v3, v25, vcc
	;; [unrolled: 2-line block ×8, first 2 shown]
	s_and_b64 vcc, exec, s[0:1]
	s_cbranch_vccnz .LBB135_25
.LBB135_9:                              ; =>This Inner Loop Header: Depth=1
	v_mov_b32_e32 v25, s15
	v_add_co_u32_e32 v26, vcc, s14, v0
	v_addc_co_u32_e32 v27, vcc, 0, v25, vcc
	v_cmp_gt_u64_e64 s[4:5], s[12:13], v[26:27]
	v_mov_b32_e32 v28, 0
	s_and_saveexec_b64 s[0:1], s[4:5]
	s_cbranch_execz .LBB135_11
; %bb.10:                               ;   in Loop: Header=BB135_9 Depth=1
	v_mov_b32_e32 v25, s9
	v_add_co_u32_e32 v26, vcc, s8, v2
	v_addc_co_u32_e32 v27, vcc, v1, v25, vcc
	global_load_ushort v28, v[26:27], off
.LBB135_11:                             ;   in Loop: Header=BB135_9 Depth=1
	s_or_b64 exec, exec, s[0:1]
	v_mov_b32_e32 v25, s15
	v_add_co_u32_e32 v26, vcc, s14, v21
	v_addc_co_u32_e32 v27, vcc, v22, v25, vcc
	v_cmp_gt_u64_e64 s[2:3], s[12:13], v[26:27]
	v_mov_b32_e32 v27, 0
	s_and_saveexec_b64 s[0:1], s[2:3]
	s_cbranch_execz .LBB135_13
; %bb.12:                               ;   in Loop: Header=BB135_9 Depth=1
	v_mov_b32_e32 v25, s9
	v_add_co_u32_e32 v26, vcc, s8, v14
	v_addc_co_u32_e32 v27, vcc, v13, v25, vcc
	global_load_ushort v27, v[26:27], off
.LBB135_13:                             ;   in Loop: Header=BB135_9 Depth=1
	s_or_b64 exec, exec, s[0:1]
	v_mov_b32_e32 v25, s15
	v_add_co_u32_e32 v30, vcc, s14, v19
	v_addc_co_u32_e32 v31, vcc, v20, v25, vcc
	v_cmp_gt_u64_e64 s[0:1], s[12:13], v[30:31]
	v_mov_b32_e32 v25, 0
	v_mov_b32_e32 v26, 0
	s_and_saveexec_b64 s[6:7], s[0:1]
	s_cbranch_execz .LBB135_15
; %bb.14:                               ;   in Loop: Header=BB135_9 Depth=1
	v_mov_b32_e32 v26, s9
	v_add_co_u32_e32 v30, vcc, s8, v10
	v_addc_co_u32_e32 v31, vcc, v9, v26, vcc
	global_load_ushort v26, v[30:31], off
.LBB135_15:                             ;   in Loop: Header=BB135_9 Depth=1
	s_or_b64 exec, exec, s[6:7]
	v_mov_b32_e32 v29, s15
	v_add_co_u32_e32 v30, vcc, s14, v17
	v_addc_co_u32_e32 v31, vcc, v18, v29, vcc
	v_cmp_gt_u64_e32 vcc, s[12:13], v[30:31]
	s_and_saveexec_b64 s[16:17], vcc
	s_cbranch_execnz .LBB135_20
; %bb.16:                               ;   in Loop: Header=BB135_9 Depth=1
	s_or_b64 exec, exec, s[16:17]
	s_and_saveexec_b64 s[6:7], s[4:5]
	s_cbranch_execnz .LBB135_21
.LBB135_17:                             ;   in Loop: Header=BB135_9 Depth=1
	s_or_b64 exec, exec, s[6:7]
	s_and_saveexec_b64 s[4:5], s[2:3]
	s_cbranch_execnz .LBB135_22
.LBB135_18:                             ;   in Loop: Header=BB135_9 Depth=1
	s_or_b64 exec, exec, s[4:5]
	s_and_saveexec_b64 s[2:3], s[0:1]
	s_cbranch_execnz .LBB135_23
.LBB135_19:                             ;   in Loop: Header=BB135_9 Depth=1
	s_or_b64 exec, exec, s[2:3]
	s_and_saveexec_b64 s[0:1], vcc
	s_cbranch_execz .LBB135_8
	s_branch .LBB135_24
.LBB135_20:                             ;   in Loop: Header=BB135_9 Depth=1
	v_mov_b32_e32 v25, s9
	v_add_co_u32_e64 v30, s[6:7], s8, v6
	v_addc_co_u32_e64 v31, s[6:7], v5, v25, s[6:7]
	global_load_ushort v25, v[30:31], off
	s_or_b64 exec, exec, s[16:17]
	s_and_saveexec_b64 s[6:7], s[4:5]
	s_cbranch_execz .LBB135_17
.LBB135_21:                             ;   in Loop: Header=BB135_9 Depth=1
	s_waitcnt vmcnt(0)
	v_lshlrev_b32_e32 v28, 16, v28
	v_mul_f32_e32 v29, 0x3fb8aa3b, v28
	v_rndne_f32_e32 v30, v29
	v_sub_f32_e32 v31, v29, v30
	v_fma_f32 v29, v28, s21, -v29
	v_fmac_f32_e32 v29, 0x32a5705f, v28
	v_add_f32_e32 v29, v31, v29
	v_cvt_i32_f32_e32 v30, v30
	v_exp_f32_e32 v29, v29
	v_cmp_ngt_f32_e64 s[4:5], s22, v28
	v_ldexp_f32 v29, v29, v30
	v_cndmask_b32_e64 v29, 0, v29, s[4:5]
	v_cmp_nlt_f32_e64 s[4:5], s23, v28
	v_cndmask_b32_e64 v28, v23, v29, s[4:5]
	v_bfe_u32 v29, v28, 16, 1
	v_add3_u32 v29, v28, v29, s24
	v_lshrrev_b32_e32 v29, 16, v29
	v_cmp_o_f32_e64 s[4:5], v28, v28
	v_cndmask_b32_e64 v30, v24, v29, s[4:5]
	v_mov_b32_e32 v29, s9
	v_add_co_u32_e64 v28, s[4:5], s8, v4
	v_addc_co_u32_e64 v29, s[4:5], v3, v29, s[4:5]
	global_store_short v[28:29], v30, off
	s_or_b64 exec, exec, s[6:7]
	s_and_saveexec_b64 s[4:5], s[2:3]
	s_cbranch_execz .LBB135_18
.LBB135_22:                             ;   in Loop: Header=BB135_9 Depth=1
	s_waitcnt vmcnt(0)
	v_lshlrev_b32_e32 v27, 16, v27
	v_mul_f32_e32 v28, 0x3fb8aa3b, v27
	v_rndne_f32_e32 v29, v28
	v_sub_f32_e32 v30, v28, v29
	v_fma_f32 v28, v27, s21, -v28
	v_fmac_f32_e32 v28, 0x32a5705f, v27
	v_add_f32_e32 v28, v30, v28
	v_cvt_i32_f32_e32 v29, v29
	v_exp_f32_e32 v28, v28
	v_cmp_ngt_f32_e64 s[2:3], s22, v27
	v_ldexp_f32 v28, v28, v29
	v_cndmask_b32_e64 v28, 0, v28, s[2:3]
	v_cmp_nlt_f32_e64 s[2:3], s23, v27
	v_cndmask_b32_e64 v27, v23, v28, s[2:3]
	v_bfe_u32 v28, v27, 16, 1
	v_add3_u32 v28, v27, v28, s24
	v_lshrrev_b32_e32 v28, 16, v28
	v_cmp_o_f32_e64 s[2:3], v27, v27
	v_cndmask_b32_e64 v27, v24, v28, s[2:3]
	v_mov_b32_e32 v29, s9
	v_add_co_u32_e64 v28, s[2:3], s8, v16
	v_addc_co_u32_e64 v29, s[2:3], v15, v29, s[2:3]
	global_store_short v[28:29], v27, off
	s_or_b64 exec, exec, s[4:5]
	s_and_saveexec_b64 s[2:3], s[0:1]
	s_cbranch_execz .LBB135_19
.LBB135_23:                             ;   in Loop: Header=BB135_9 Depth=1
	s_waitcnt vmcnt(0)
	v_lshlrev_b32_e32 v26, 16, v26
	v_mul_f32_e32 v27, 0x3fb8aa3b, v26
	v_rndne_f32_e32 v28, v27
	v_sub_f32_e32 v29, v27, v28
	v_fma_f32 v27, v26, s21, -v27
	v_fmac_f32_e32 v27, 0x32a5705f, v26
	v_add_f32_e32 v27, v29, v27
	v_cvt_i32_f32_e32 v28, v28
	v_exp_f32_e32 v27, v27
	v_cmp_ngt_f32_e64 s[0:1], s22, v26
	v_ldexp_f32 v27, v27, v28
	v_cndmask_b32_e64 v27, 0, v27, s[0:1]
	v_cmp_nlt_f32_e64 s[0:1], s23, v26
	v_cndmask_b32_e64 v26, v23, v27, s[0:1]
	v_bfe_u32 v27, v26, 16, 1
	v_add3_u32 v27, v26, v27, s24
	v_lshrrev_b32_e32 v27, 16, v27
	v_cmp_o_f32_e64 s[0:1], v26, v26
	v_cndmask_b32_e64 v28, v24, v27, s[0:1]
	v_mov_b32_e32 v27, s9
	v_add_co_u32_e64 v26, s[0:1], s8, v12
	v_addc_co_u32_e64 v27, s[0:1], v11, v27, s[0:1]
	global_store_short v[26:27], v28, off
	s_or_b64 exec, exec, s[2:3]
	s_and_saveexec_b64 s[0:1], vcc
	s_cbranch_execz .LBB135_8
.LBB135_24:                             ;   in Loop: Header=BB135_9 Depth=1
	s_waitcnt vmcnt(0)
	v_lshlrev_b32_e32 v25, 16, v25
	v_mul_f32_e32 v26, 0x3fb8aa3b, v25
	v_rndne_f32_e32 v27, v26
	v_sub_f32_e32 v28, v26, v27
	v_fma_f32 v26, v25, s21, -v26
	v_fmac_f32_e32 v26, 0x32a5705f, v25
	v_add_f32_e32 v26, v28, v26
	v_cvt_i32_f32_e32 v27, v27
	v_exp_f32_e32 v26, v26
	v_cmp_ngt_f32_e32 vcc, s22, v25
	v_ldexp_f32 v26, v26, v27
	v_cndmask_b32_e32 v26, 0, v26, vcc
	v_cmp_nlt_f32_e32 vcc, s23, v25
	v_cndmask_b32_e32 v25, v23, v26, vcc
	v_bfe_u32 v26, v25, 16, 1
	v_add3_u32 v26, v25, v26, s24
	v_lshrrev_b32_e32 v26, 16, v26
	v_cmp_o_f32_e32 vcc, v25, v25
	v_cndmask_b32_e32 v25, v24, v26, vcc
	v_mov_b32_e32 v27, s9
	v_add_co_u32_e32 v26, vcc, s8, v8
	v_addc_co_u32_e32 v27, vcc, v7, v27, vcc
	global_store_short v[26:27], v25, off
	s_branch .LBB135_8
.LBB135_25:
	s_endpgm
	.section	.rodata,"a",@progbits
	.p2align	6, 0x0
	.amdhsa_kernel _ZN2at6native12_GLOBAL__N_125multi_tensor_apply_kernelINS1_18TensorListMetadataILi2EEENS1_14UnaryOpFunctorIN3c108BFloat16ELi2ELi1ELi1EEEJNS0_3ExpIfEEEEEvT_T0_DpT1_
		.amdhsa_group_segment_fixed_size 0
		.amdhsa_private_segment_fixed_size 0
		.amdhsa_kernarg_size 3408
		.amdhsa_user_sgpr_count 6
		.amdhsa_user_sgpr_private_segment_buffer 1
		.amdhsa_user_sgpr_dispatch_ptr 0
		.amdhsa_user_sgpr_queue_ptr 0
		.amdhsa_user_sgpr_kernarg_segment_ptr 1
		.amdhsa_user_sgpr_dispatch_id 0
		.amdhsa_user_sgpr_flat_scratch_init 0
		.amdhsa_user_sgpr_kernarg_preload_length 0
		.amdhsa_user_sgpr_kernarg_preload_offset 0
		.amdhsa_user_sgpr_private_segment_size 0
		.amdhsa_uses_dynamic_stack 0
		.amdhsa_system_sgpr_private_segment_wavefront_offset 0
		.amdhsa_system_sgpr_workgroup_id_x 1
		.amdhsa_system_sgpr_workgroup_id_y 0
		.amdhsa_system_sgpr_workgroup_id_z 0
		.amdhsa_system_sgpr_workgroup_info 0
		.amdhsa_system_vgpr_workitem_id 0
		.amdhsa_next_free_vgpr 32
		.amdhsa_next_free_sgpr 28
		.amdhsa_accum_offset 32
		.amdhsa_reserve_vcc 1
		.amdhsa_reserve_flat_scratch 0
		.amdhsa_float_round_mode_32 0
		.amdhsa_float_round_mode_16_64 0
		.amdhsa_float_denorm_mode_32 3
		.amdhsa_float_denorm_mode_16_64 3
		.amdhsa_dx10_clamp 1
		.amdhsa_ieee_mode 1
		.amdhsa_fp16_overflow 0
		.amdhsa_tg_split 0
		.amdhsa_exception_fp_ieee_invalid_op 0
		.amdhsa_exception_fp_denorm_src 0
		.amdhsa_exception_fp_ieee_div_zero 0
		.amdhsa_exception_fp_ieee_overflow 0
		.amdhsa_exception_fp_ieee_underflow 0
		.amdhsa_exception_fp_ieee_inexact 0
		.amdhsa_exception_int_div_zero 0
	.end_amdhsa_kernel
	.section	.text._ZN2at6native12_GLOBAL__N_125multi_tensor_apply_kernelINS1_18TensorListMetadataILi2EEENS1_14UnaryOpFunctorIN3c108BFloat16ELi2ELi1ELi1EEEJNS0_3ExpIfEEEEEvT_T0_DpT1_,"axG",@progbits,_ZN2at6native12_GLOBAL__N_125multi_tensor_apply_kernelINS1_18TensorListMetadataILi2EEENS1_14UnaryOpFunctorIN3c108BFloat16ELi2ELi1ELi1EEEJNS0_3ExpIfEEEEEvT_T0_DpT1_,comdat
.Lfunc_end135:
	.size	_ZN2at6native12_GLOBAL__N_125multi_tensor_apply_kernelINS1_18TensorListMetadataILi2EEENS1_14UnaryOpFunctorIN3c108BFloat16ELi2ELi1ELi1EEEJNS0_3ExpIfEEEEEvT_T0_DpT1_, .Lfunc_end135-_ZN2at6native12_GLOBAL__N_125multi_tensor_apply_kernelINS1_18TensorListMetadataILi2EEENS1_14UnaryOpFunctorIN3c108BFloat16ELi2ELi1ELi1EEEJNS0_3ExpIfEEEEEvT_T0_DpT1_
                                        ; -- End function
	.section	.AMDGPU.csdata,"",@progbits
; Kernel info:
; codeLenInByte = 2252
; NumSgprs: 32
; NumVgprs: 32
; NumAgprs: 0
; TotalNumVgprs: 32
; ScratchSize: 0
; MemoryBound: 0
; FloatMode: 240
; IeeeMode: 1
; LDSByteSize: 0 bytes/workgroup (compile time only)
; SGPRBlocks: 3
; VGPRBlocks: 3
; NumSGPRsForWavesPerEU: 32
; NumVGPRsForWavesPerEU: 32
; AccumOffset: 32
; Occupancy: 8
; WaveLimiterHint : 0
; COMPUTE_PGM_RSRC2:SCRATCH_EN: 0
; COMPUTE_PGM_RSRC2:USER_SGPR: 6
; COMPUTE_PGM_RSRC2:TRAP_HANDLER: 0
; COMPUTE_PGM_RSRC2:TGID_X_EN: 1
; COMPUTE_PGM_RSRC2:TGID_Y_EN: 0
; COMPUTE_PGM_RSRC2:TGID_Z_EN: 0
; COMPUTE_PGM_RSRC2:TIDIG_COMP_CNT: 0
; COMPUTE_PGM_RSRC3_GFX90A:ACCUM_OFFSET: 7
; COMPUTE_PGM_RSRC3_GFX90A:TG_SPLIT: 0
	.section	.text._ZN2at6native12_GLOBAL__N_125multi_tensor_apply_kernelINS1_18TensorListMetadataILi1EEENS1_14UnaryOpFunctorIdLi1ELi1ELi0EEEJNS0_3ExpIdEEEEEvT_T0_DpT1_,"axG",@progbits,_ZN2at6native12_GLOBAL__N_125multi_tensor_apply_kernelINS1_18TensorListMetadataILi1EEENS1_14UnaryOpFunctorIdLi1ELi1ELi0EEEJNS0_3ExpIdEEEEEvT_T0_DpT1_,comdat
	.globl	_ZN2at6native12_GLOBAL__N_125multi_tensor_apply_kernelINS1_18TensorListMetadataILi1EEENS1_14UnaryOpFunctorIdLi1ELi1ELi0EEEJNS0_3ExpIdEEEEEvT_T0_DpT1_ ; -- Begin function _ZN2at6native12_GLOBAL__N_125multi_tensor_apply_kernelINS1_18TensorListMetadataILi1EEENS1_14UnaryOpFunctorIdLi1ELi1ELi0EEEJNS0_3ExpIdEEEEEvT_T0_DpT1_
	.p2align	8
	.type	_ZN2at6native12_GLOBAL__N_125multi_tensor_apply_kernelINS1_18TensorListMetadataILi1EEENS1_14UnaryOpFunctorIdLi1ELi1ELi0EEEJNS0_3ExpIdEEEEEvT_T0_DpT1_,@function
_ZN2at6native12_GLOBAL__N_125multi_tensor_apply_kernelINS1_18TensorListMetadataILi1EEENS1_14UnaryOpFunctorIdLi1ELi1ELi0EEEJNS0_3ExpIdEEEEEvT_T0_DpT1_: ; @_ZN2at6native12_GLOBAL__N_125multi_tensor_apply_kernelINS1_18TensorListMetadataILi1EEENS1_14UnaryOpFunctorIdLi1ELi1ELi0EEEJNS0_3ExpIdEEEEEvT_T0_DpT1_
; %bb.0:
	v_mov_b32_e32 v1, s6
	global_load_ubyte v1, v1, s[4:5] offset:1760
	s_add_u32 s0, s4, s6
	s_mul_hi_u32 s1, s6, 3
	s_mul_i32 s6, s6, 3
	s_addc_u32 s2, s5, 0
	s_add_u32 s0, s0, s6
	s_addc_u32 s1, s2, s1
	s_load_dword s0, s[0:1], 0x820
	s_mov_b32 s7, 0
	s_waitcnt vmcnt(0)
	v_readfirstlane_b32 s2, v1
	s_lshl_b32 s1, s2, 3
	s_load_dwordx2 s[2:3], s[4:5], s1 offset:0x370
	s_load_dwordx2 s[10:11], s[4:5], s1 offset:0x0
	s_waitcnt lgkmcnt(0)
	s_ashr_i32 s1, s0, 31
	s_lshl_b64 s[12:13], s[0:1], 19
	s_lshl_b64 s[0:1], s[0:1], 16
	s_and_b32 s6, s10, 31
	s_sub_u32 s14, s2, s0
	s_subb_u32 s15, s3, s1
	s_and_b32 s0, s2, 3
	s_mov_b32 s1, s7
	s_or_b64 s[0:1], s[6:7], s[0:1]
	s_cmp_eq_u64 s[0:1], 0
	s_cbranch_scc1 .LBB136_21
; %bb.1:
	v_cmp_lt_i64_e64 s[0:1], s[14:15], 1
	s_and_b64 vcc, exec, s[0:1]
	s_cbranch_vccnz .LBB136_20
; %bb.2:
	s_load_dword s0, s[4:5], 0xd3c
	v_mov_b32_e32 v2, 0x10000
	v_mov_b32_e32 v3, 0
	v_cmp_lt_u64_e32 vcc, s[14:15], v[2:3]
	v_lshlrev_b32_e32 v1, 3, v0
	s_waitcnt lgkmcnt(0)
	s_and_b32 s2, s0, 0xffff
	s_and_b64 s[0:1], vcc, exec
	s_cselect_b32 s17, s15, 0
	s_cselect_b32 s16, s14, 0x10000
	s_lshl_b32 s3, s2, 1
	s_lshl_b32 s36, s2, 2
	s_add_u32 s6, s10, s12
	s_addc_u32 s7, s11, s13
	v_mov_b32_e32 v3, s7
	v_add_co_u32_e32 v2, vcc, s6, v1
	s_mul_i32 s0, s2, 3
	v_addc_co_u32_e32 v3, vcc, 0, v3, vcc
	v_add_co_u32_e32 v1, vcc, s0, v0
	v_addc_co_u32_e64 v32, s[0:1], 0, 0, vcc
	v_add_co_u32_e32 v33, vcc, s3, v0
	v_addc_co_u32_e64 v34, s[0:1], 0, 0, vcc
	v_add_co_u32_e32 v35, vcc, s2, v0
	v_lshlrev_b32_e32 v4, 3, v35
	s_mov_b32 s33, 0
	v_addc_co_u32_e64 v36, s[0:1], 0, 0, vcc
	v_mov_b32_e32 v5, s7
	v_add_co_u32_e32 v4, vcc, s6, v4
	s_mov_b32 s20, 0x652b82fe
	s_mov_b32 s22, 0xfefa39ef
	;; [unrolled: 1-line block ×6, first 2 shown]
	s_lshl_b32 s37, s2, 5
	s_mul_i32 s38, s2, 24
	s_mov_b32 s39, s33
	s_lshl_b32 s40, s2, 4
	s_mov_b32 s41, s33
	v_addc_co_u32_e32 v5, vcc, 0, v5, vcc
	s_mov_b64 s[18:19], 0
	s_mov_b32 s21, 0x3ff71547
	s_mov_b32 s23, 0xbfe62e42
	;; [unrolled: 1-line block ×6, first 2 shown]
	v_mov_b32_e32 v6, 0xfca7ab0c
	v_mov_b32_e32 v7, 0x3e928af3
	;; [unrolled: 1-line block ×19, first 2 shown]
	s_branch .LBB136_4
.LBB136_3:                              ;   in Loop: Header=BB136_4 Depth=1
	s_or_b64 exec, exec, s[2:3]
	s_add_u32 s18, s18, s36
	s_addc_u32 s19, s19, 0
	s_waitcnt vmcnt(0)
	v_pk_mov_b32 v[24:25], s[14:15], s[14:15] op_sel:[0,1]
	v_cmp_lt_i64_e32 vcc, s[18:19], v[24:25]
	v_mov_b32_e32 v24, 0x10000
	v_mov_b32_e32 v25, 0
	v_cmp_lt_u64_e64 s[0:1], s[18:19], v[24:25]
	s_and_b64 s[0:1], vcc, s[0:1]
	v_mov_b32_e32 v24, s33
	v_add_co_u32_e32 v2, vcc, s37, v2
	v_addc_co_u32_e32 v3, vcc, v3, v24, vcc
	v_add_co_u32_e32 v4, vcc, s37, v4
	v_addc_co_u32_e32 v5, vcc, v5, v24, vcc
	s_and_b64 vcc, exec, s[0:1]
	s_cbranch_vccz .LBB136_20
.LBB136_4:                              ; =>This Inner Loop Header: Depth=1
	v_mov_b32_e32 v25, s19
	v_add_co_u32_e32 v24, vcc, s18, v0
	v_addc_co_u32_e32 v25, vcc, 0, v25, vcc
	v_pk_mov_b32 v[28:29], 0, 0
	v_cmp_gt_u64_e64 s[6:7], s[16:17], v[24:25]
	v_pk_mov_b32 v[30:31], v[28:29], v[28:29] op_sel:[0,1]
	s_and_saveexec_b64 s[0:1], s[6:7]
	s_cbranch_execz .LBB136_6
; %bb.5:                                ;   in Loop: Header=BB136_4 Depth=1
	global_load_dwordx2 v[30:31], v[2:3], off
.LBB136_6:                              ;   in Loop: Header=BB136_4 Depth=1
	s_or_b64 exec, exec, s[0:1]
	v_mov_b32_e32 v25, s19
	v_add_co_u32_e32 v24, vcc, s18, v35
	v_addc_co_u32_e32 v25, vcc, v36, v25, vcc
	v_cmp_gt_u64_e64 s[2:3], s[16:17], v[24:25]
	s_and_saveexec_b64 s[0:1], s[2:3]
	s_cbranch_execz .LBB136_8
; %bb.7:                                ;   in Loop: Header=BB136_4 Depth=1
	global_load_dwordx2 v[28:29], v[4:5], off
.LBB136_8:                              ;   in Loop: Header=BB136_4 Depth=1
	s_or_b64 exec, exec, s[0:1]
	v_mov_b32_e32 v25, s19
	v_add_co_u32_e32 v24, vcc, s18, v33
	v_addc_co_u32_e32 v25, vcc, v34, v25, vcc
	v_cmp_gt_u64_e64 s[0:1], s[16:17], v[24:25]
	v_pk_mov_b32 v[24:25], 0, 0
	v_pk_mov_b32 v[26:27], v[24:25], v[24:25] op_sel:[0,1]
	s_and_saveexec_b64 s[8:9], s[0:1]
	s_cbranch_execz .LBB136_10
; %bb.9:                                ;   in Loop: Header=BB136_4 Depth=1
	v_mov_b32_e32 v27, s41
	v_add_co_u32_e32 v26, vcc, s40, v2
	v_addc_co_u32_e32 v27, vcc, v3, v27, vcc
	global_load_dwordx2 v[26:27], v[26:27], off
.LBB136_10:                             ;   in Loop: Header=BB136_4 Depth=1
	s_or_b64 exec, exec, s[8:9]
	v_mov_b32_e32 v39, s19
	v_add_co_u32_e32 v38, vcc, s18, v1
	v_addc_co_u32_e32 v39, vcc, v32, v39, vcc
	v_cmp_gt_u64_e32 vcc, s[16:17], v[38:39]
	s_and_saveexec_b64 s[34:35], vcc
	s_cbranch_execnz .LBB136_15
; %bb.11:                               ;   in Loop: Header=BB136_4 Depth=1
	s_or_b64 exec, exec, s[34:35]
	s_and_saveexec_b64 s[34:35], s[6:7]
	s_cbranch_execnz .LBB136_16
.LBB136_12:                             ;   in Loop: Header=BB136_4 Depth=1
	s_or_b64 exec, exec, s[34:35]
	s_and_saveexec_b64 s[8:9], s[2:3]
	s_cbranch_execnz .LBB136_17
.LBB136_13:                             ;   in Loop: Header=BB136_4 Depth=1
	s_or_b64 exec, exec, s[8:9]
	s_and_saveexec_b64 s[6:7], s[0:1]
	s_cbranch_execnz .LBB136_18
.LBB136_14:                             ;   in Loop: Header=BB136_4 Depth=1
	s_or_b64 exec, exec, s[6:7]
	s_and_saveexec_b64 s[2:3], vcc
	s_cbranch_execz .LBB136_3
	s_branch .LBB136_19
.LBB136_15:                             ;   in Loop: Header=BB136_4 Depth=1
	v_mov_b32_e32 v25, s39
	v_add_co_u32_e64 v24, s[8:9], s38, v2
	v_addc_co_u32_e64 v25, s[8:9], v3, v25, s[8:9]
	global_load_dwordx2 v[24:25], v[24:25], off
	s_or_b64 exec, exec, s[34:35]
	s_and_saveexec_b64 s[34:35], s[6:7]
	s_cbranch_execz .LBB136_12
.LBB136_16:                             ;   in Loop: Header=BB136_4 Depth=1
	s_waitcnt vmcnt(0)
	v_mul_f64 v[38:39], v[30:31], s[20:21]
	v_rndne_f64_e32 v[38:39], v[38:39]
	v_fma_f64 v[40:41], s[22:23], v[38:39], v[30:31]
	v_fmac_f64_e32 v[40:41], s[24:25], v[38:39]
	v_pk_mov_b32 v[42:43], v[6:7], v[6:7] op_sel:[0,1]
	v_fmac_f64_e32 v[42:43], s[26:27], v[40:41]
	v_pk_mov_b32 v[44:45], v[8:9], v[8:9] op_sel:[0,1]
	;; [unrolled: 2-line block ×9, first 2 shown]
	v_fmac_f64_e32 v[42:43], v[40:41], v[44:45]
	v_fma_f64 v[42:43], v[40:41], v[42:43], 1.0
	v_fma_f64 v[40:41], v[40:41], v[42:43], 1.0
	v_cvt_i32_f64_e32 v38, v[38:39]
	v_ldexp_f64 v[38:39], v[40:41], v38
	v_cmp_nlt_f64_e64 s[6:7], s[28:29], v[30:31]
	v_cmp_ngt_f64_e64 s[8:9], s[30:31], v[30:31]
	v_cndmask_b32_e64 v39, v37, v39, s[6:7]
	s_and_b64 s[6:7], s[8:9], s[6:7]
	v_cndmask_b32_e64 v31, 0, v39, s[8:9]
	v_cndmask_b32_e64 v30, 0, v38, s[6:7]
	global_store_dwordx2 v[2:3], v[30:31], off
	s_or_b64 exec, exec, s[34:35]
	s_and_saveexec_b64 s[8:9], s[2:3]
	s_cbranch_execz .LBB136_13
.LBB136_17:                             ;   in Loop: Header=BB136_4 Depth=1
	s_waitcnt vmcnt(0)
	v_mul_f64 v[30:31], v[28:29], s[20:21]
	v_rndne_f64_e32 v[30:31], v[30:31]
	v_fma_f64 v[38:39], s[22:23], v[30:31], v[28:29]
	v_fmac_f64_e32 v[38:39], s[24:25], v[30:31]
	v_pk_mov_b32 v[40:41], v[6:7], v[6:7] op_sel:[0,1]
	v_fmac_f64_e32 v[40:41], s[26:27], v[38:39]
	v_pk_mov_b32 v[42:43], v[8:9], v[8:9] op_sel:[0,1]
	;; [unrolled: 2-line block ×9, first 2 shown]
	v_fmac_f64_e32 v[40:41], v[38:39], v[42:43]
	v_fma_f64 v[40:41], v[38:39], v[40:41], 1.0
	v_fma_f64 v[38:39], v[38:39], v[40:41], 1.0
	v_cvt_i32_f64_e32 v30, v[30:31]
	v_ldexp_f64 v[30:31], v[38:39], v30
	v_cmp_nlt_f64_e64 s[2:3], s[28:29], v[28:29]
	v_cmp_ngt_f64_e64 s[6:7], s[30:31], v[28:29]
	v_cndmask_b32_e64 v31, v37, v31, s[2:3]
	s_and_b64 s[2:3], s[6:7], s[2:3]
	v_cndmask_b32_e64 v29, 0, v31, s[6:7]
	v_cndmask_b32_e64 v28, 0, v30, s[2:3]
	global_store_dwordx2 v[4:5], v[28:29], off
	s_or_b64 exec, exec, s[8:9]
	s_and_saveexec_b64 s[6:7], s[0:1]
	s_cbranch_execz .LBB136_14
.LBB136_18:                             ;   in Loop: Header=BB136_4 Depth=1
	s_waitcnt vmcnt(0)
	v_mul_f64 v[28:29], v[26:27], s[20:21]
	v_rndne_f64_e32 v[28:29], v[28:29]
	v_fma_f64 v[30:31], s[22:23], v[28:29], v[26:27]
	v_fmac_f64_e32 v[30:31], s[24:25], v[28:29]
	v_pk_mov_b32 v[38:39], v[6:7], v[6:7] op_sel:[0,1]
	v_fmac_f64_e32 v[38:39], s[26:27], v[30:31]
	v_pk_mov_b32 v[40:41], v[8:9], v[8:9] op_sel:[0,1]
	;; [unrolled: 2-line block ×9, first 2 shown]
	v_fmac_f64_e32 v[38:39], v[30:31], v[40:41]
	v_fma_f64 v[38:39], v[30:31], v[38:39], 1.0
	v_fma_f64 v[30:31], v[30:31], v[38:39], 1.0
	v_cvt_i32_f64_e32 v28, v[28:29]
	v_ldexp_f64 v[28:29], v[30:31], v28
	v_cmp_nlt_f64_e64 s[0:1], s[28:29], v[26:27]
	v_cmp_ngt_f64_e64 s[2:3], s[30:31], v[26:27]
	v_cndmask_b32_e64 v29, v37, v29, s[0:1]
	s_and_b64 s[0:1], s[2:3], s[0:1]
	v_cndmask_b32_e64 v27, 0, v29, s[2:3]
	v_cndmask_b32_e64 v26, 0, v28, s[0:1]
	v_mov_b32_e32 v29, s41
	v_add_co_u32_e64 v28, s[0:1], s40, v2
	v_addc_co_u32_e64 v29, s[0:1], v3, v29, s[0:1]
	global_store_dwordx2 v[28:29], v[26:27], off
	s_or_b64 exec, exec, s[6:7]
	s_and_saveexec_b64 s[2:3], vcc
	s_cbranch_execz .LBB136_3
.LBB136_19:                             ;   in Loop: Header=BB136_4 Depth=1
	s_waitcnt vmcnt(0)
	v_mul_f64 v[26:27], v[24:25], s[20:21]
	v_rndne_f64_e32 v[26:27], v[26:27]
	v_fma_f64 v[28:29], s[22:23], v[26:27], v[24:25]
	v_fmac_f64_e32 v[28:29], s[24:25], v[26:27]
	v_pk_mov_b32 v[30:31], v[6:7], v[6:7] op_sel:[0,1]
	v_fmac_f64_e32 v[30:31], s[26:27], v[28:29]
	v_pk_mov_b32 v[38:39], v[8:9], v[8:9] op_sel:[0,1]
	;; [unrolled: 2-line block ×9, first 2 shown]
	v_fmac_f64_e32 v[30:31], v[28:29], v[38:39]
	v_fma_f64 v[30:31], v[28:29], v[30:31], 1.0
	v_fma_f64 v[28:29], v[28:29], v[30:31], 1.0
	v_cvt_i32_f64_e32 v26, v[26:27]
	v_ldexp_f64 v[26:27], v[28:29], v26
	v_cmp_nlt_f64_e32 vcc, s[28:29], v[24:25]
	v_cmp_ngt_f64_e64 s[0:1], s[30:31], v[24:25]
	v_cndmask_b32_e32 v27, v37, v27, vcc
	s_and_b64 vcc, s[0:1], vcc
	v_cndmask_b32_e64 v25, 0, v27, s[0:1]
	v_cndmask_b32_e32 v24, 0, v26, vcc
	v_mov_b32_e32 v27, s39
	v_add_co_u32_e32 v26, vcc, s38, v2
	v_addc_co_u32_e32 v27, vcc, v3, v27, vcc
	global_store_dwordx2 v[26:27], v[24:25], off
	s_branch .LBB136_3
.LBB136_20:
	s_cbranch_execz .LBB136_22
	s_branch .LBB136_25
.LBB136_21:
.LBB136_22:
	v_mov_b32_e32 v3, 0
	v_lshlrev_b32_e32 v2, 2, v0
	s_mov_b32 s0, 0
	v_cmp_gt_i64_e32 vcc, s[14:15], v[2:3]
	s_and_saveexec_b64 s[2:3], vcc
	s_cbranch_execz .LBB136_25
; %bb.23:
	s_load_dword s1, s[4:5], 0xd3c
	v_lshlrev_b32_e32 v1, 5, v0
	s_mov_b32 s18, 0x652b82fe
	s_mov_b32 s20, 0xfefa39ef
	;; [unrolled: 1-line block ×3, first 2 shown]
	s_waitcnt lgkmcnt(0)
	s_and_b32 s1, s1, 0xffff
	s_lshl_b32 s33, s1, 2
	s_add_u32 s2, s10, s12
	s_addc_u32 s3, s11, s13
	v_add_lshl_u32 v2, v0, s1, 2
	v_mov_b32_e32 v0, s3
	v_add_co_u32_e32 v1, vcc, s2, v1
	v_addc_co_u32_e32 v4, vcc, 0, v0, vcc
	s_mov_b32 s2, 0xfca7ab0c
	v_add_co_u32_e32 v0, vcc, 16, v1
	s_mov_b32 s3, 0x3e928af3
	s_mov_b32 s24, 0x6a5dcb37
	s_mov_b32 s26, 0x623fde64
	s_mov_b32 s28, 0x7c89e6b0
	s_mov_b32 s30, 0x14761f6e
	s_mov_b32 s34, 0x1852b7b0
	s_mov_b32 s36, 0x11122322
	s_mov_b32 s38, 0x555502a1
	s_mov_b32 s40, 0x55555511
	s_mov_b32 s42, 11
	s_mov_b32 s44, 0
	s_mov_b32 s46, 0
	v_addc_co_u32_e32 v1, vcc, 0, v4, vcc
	s_lshl_b32 s52, s1, 5
	s_mov_b64 s[16:17], 0
	s_mov_b32 s19, 0x3ff71547
	s_mov_b32 s21, 0xbfe62e42
	s_mov_b32 s23, 0xbc7abc9e
	s_mov_b32 s25, 0x3e5ade15
	v_pk_mov_b32 v[4:5], s[2:3], s[2:3] op_sel:[0,1]
	s_mov_b32 s27, 0x3ec71dee
	s_mov_b32 s29, 0x3efa0199
	;; [unrolled: 1-line block ×9, first 2 shown]
	v_mov_b32_e32 v6, 0x7ff00000
	s_mov_b32 s47, 0xc090cc00
	s_mov_b64 s[48:49], 0xffff
	v_mov_b32_e32 v7, s0
	v_mov_b32_e32 v8, s0
.LBB136_24:                             ; =>This Inner Loop Header: Depth=1
	global_load_dwordx4 v[10:13], v[0:1], off offset:-16
	global_load_dwordx4 v[14:17], v[0:1], off
	v_cmp_le_i64_e32 vcc, s[14:15], v[2:3]
	v_cmp_lt_u64_e64 s[0:1], s[48:49], v[2:3]
	v_add_co_u32_e64 v2, s[2:3], s33, v2
	s_or_b64 s[50:51], vcc, s[0:1]
	v_addc_co_u32_e64 v3, s[2:3], v3, v7, s[2:3]
	s_waitcnt vmcnt(1)
	v_mul_f64 v[18:19], v[10:11], s[18:19]
	v_mul_f64 v[20:21], v[12:13], s[18:19]
	v_rndne_f64_e32 v[18:19], v[18:19]
	v_rndne_f64_e32 v[20:21], v[20:21]
	s_waitcnt vmcnt(0)
	v_mul_f64 v[22:23], v[14:15], s[18:19]
	v_mul_f64 v[24:25], v[16:17], s[18:19]
	v_fma_f64 v[26:27], s[20:21], v[18:19], v[10:11]
	v_fma_f64 v[28:29], s[20:21], v[20:21], v[12:13]
	v_rndne_f64_e32 v[22:23], v[22:23]
	v_rndne_f64_e32 v[24:25], v[24:25]
	v_fmac_f64_e32 v[26:27], s[22:23], v[18:19]
	v_fmac_f64_e32 v[28:29], s[22:23], v[20:21]
	v_cvt_i32_f64_e32 v9, v[18:19]
	v_cvt_i32_f64_e32 v34, v[20:21]
	v_fma_f64 v[30:31], s[20:21], v[22:23], v[14:15]
	v_fma_f64 v[32:33], s[20:21], v[24:25], v[16:17]
	;; [unrolled: 1-line block ×4, first 2 shown]
	v_fmac_f64_e32 v[30:31], s[22:23], v[22:23]
	v_fmac_f64_e32 v[32:33], s[22:23], v[24:25]
	v_fma_f64 v[18:19], v[26:27], v[18:19], s[26:27]
	v_fma_f64 v[20:21], v[28:29], v[20:21], s[26:27]
	v_cvt_i32_f64_e32 v35, v[22:23]
	v_cvt_i32_f64_e32 v36, v[24:25]
	v_fma_f64 v[22:23], s[24:25], v[30:31], v[4:5]
	v_fma_f64 v[24:25], s[24:25], v[32:33], v[4:5]
	;; [unrolled: 1-line block ×30, first 2 shown]
	v_fma_f64 v[18:19], v[26:27], v[18:19], 1.0
	v_fma_f64 v[20:21], v[28:29], v[20:21], 1.0
	v_fma_f64 v[22:23], v[30:31], v[22:23], s[42:43]
	v_fma_f64 v[24:25], v[32:33], v[24:25], s[42:43]
	v_fma_f64 v[18:19], v[26:27], v[18:19], 1.0
	v_fma_f64 v[20:21], v[28:29], v[20:21], 1.0
	;; [unrolled: 1-line block ×4, first 2 shown]
	v_ldexp_f64 v[18:19], v[18:19], v9
	v_ldexp_f64 v[20:21], v[20:21], v34
	v_cmp_nlt_f64_e32 vcc, s[44:45], v[12:13]
	v_cmp_nlt_f64_e64 s[4:5], s[44:45], v[10:11]
	v_cmp_ngt_f64_e64 s[6:7], s[46:47], v[12:13]
	v_fma_f64 v[22:23], v[30:31], v[22:23], 1.0
	v_fma_f64 v[24:25], v[32:33], v[24:25], 1.0
	v_cmp_nlt_f64_e64 s[0:1], s[44:45], v[14:15]
	v_cndmask_b32_e64 v9, v6, v19, s[4:5]
	v_cndmask_b32_e32 v19, v6, v21, vcc
	v_cmp_ngt_f64_e64 s[8:9], s[46:47], v[14:15]
	v_cmp_ngt_f64_e64 s[12:13], s[46:47], v[10:11]
	s_and_b64 vcc, s[6:7], vcc
	v_ldexp_f64 v[22:23], v[22:23], v35
	v_ldexp_f64 v[24:25], v[24:25], v36
	v_cmp_nlt_f64_e64 s[2:3], s[44:45], v[16:17]
	v_cmp_ngt_f64_e64 s[10:11], s[46:47], v[16:17]
	s_and_b64 s[4:5], s[12:13], s[4:5]
	v_cndmask_b32_e32 v12, 0, v20, vcc
	s_and_b64 vcc, s[8:9], s[0:1]
	v_cndmask_b32_e64 v21, v6, v23, s[0:1]
	v_cndmask_b32_e64 v23, v6, v25, s[2:3]
	;; [unrolled: 1-line block ×5, first 2 shown]
	v_cndmask_b32_e32 v14, 0, v22, vcc
	s_and_b64 vcc, s[10:11], s[2:3]
	v_cndmask_b32_e64 v15, 0, v21, s[8:9]
	v_cndmask_b32_e64 v17, 0, v23, s[10:11]
	v_cndmask_b32_e32 v16, 0, v24, vcc
	global_store_dwordx4 v[0:1], v[10:13], off offset:-16
	global_store_dwordx4 v[0:1], v[14:17], off
	s_and_b64 s[0:1], exec, s[50:51]
	v_add_co_u32_e32 v0, vcc, s52, v0
	s_or_b64 s[16:17], s[0:1], s[16:17]
	v_addc_co_u32_e32 v1, vcc, v1, v8, vcc
	s_andn2_b64 exec, exec, s[16:17]
	s_cbranch_execnz .LBB136_24
.LBB136_25:
	s_endpgm
	.section	.rodata,"a",@progbits
	.p2align	6, 0x0
	.amdhsa_kernel _ZN2at6native12_GLOBAL__N_125multi_tensor_apply_kernelINS1_18TensorListMetadataILi1EEENS1_14UnaryOpFunctorIdLi1ELi1ELi0EEEJNS0_3ExpIdEEEEEvT_T0_DpT1_
		.amdhsa_group_segment_fixed_size 0
		.amdhsa_private_segment_fixed_size 0
		.amdhsa_kernarg_size 3632
		.amdhsa_user_sgpr_count 6
		.amdhsa_user_sgpr_private_segment_buffer 1
		.amdhsa_user_sgpr_dispatch_ptr 0
		.amdhsa_user_sgpr_queue_ptr 0
		.amdhsa_user_sgpr_kernarg_segment_ptr 1
		.amdhsa_user_sgpr_dispatch_id 0
		.amdhsa_user_sgpr_flat_scratch_init 0
		.amdhsa_user_sgpr_kernarg_preload_length 0
		.amdhsa_user_sgpr_kernarg_preload_offset 0
		.amdhsa_user_sgpr_private_segment_size 0
		.amdhsa_uses_dynamic_stack 0
		.amdhsa_system_sgpr_private_segment_wavefront_offset 0
		.amdhsa_system_sgpr_workgroup_id_x 1
		.amdhsa_system_sgpr_workgroup_id_y 0
		.amdhsa_system_sgpr_workgroup_id_z 0
		.amdhsa_system_sgpr_workgroup_info 0
		.amdhsa_system_vgpr_workitem_id 0
		.amdhsa_next_free_vgpr 46
		.amdhsa_next_free_sgpr 53
		.amdhsa_accum_offset 48
		.amdhsa_reserve_vcc 1
		.amdhsa_reserve_flat_scratch 0
		.amdhsa_float_round_mode_32 0
		.amdhsa_float_round_mode_16_64 0
		.amdhsa_float_denorm_mode_32 3
		.amdhsa_float_denorm_mode_16_64 3
		.amdhsa_dx10_clamp 1
		.amdhsa_ieee_mode 1
		.amdhsa_fp16_overflow 0
		.amdhsa_tg_split 0
		.amdhsa_exception_fp_ieee_invalid_op 0
		.amdhsa_exception_fp_denorm_src 0
		.amdhsa_exception_fp_ieee_div_zero 0
		.amdhsa_exception_fp_ieee_overflow 0
		.amdhsa_exception_fp_ieee_underflow 0
		.amdhsa_exception_fp_ieee_inexact 0
		.amdhsa_exception_int_div_zero 0
	.end_amdhsa_kernel
	.section	.text._ZN2at6native12_GLOBAL__N_125multi_tensor_apply_kernelINS1_18TensorListMetadataILi1EEENS1_14UnaryOpFunctorIdLi1ELi1ELi0EEEJNS0_3ExpIdEEEEEvT_T0_DpT1_,"axG",@progbits,_ZN2at6native12_GLOBAL__N_125multi_tensor_apply_kernelINS1_18TensorListMetadataILi1EEENS1_14UnaryOpFunctorIdLi1ELi1ELi0EEEJNS0_3ExpIdEEEEEvT_T0_DpT1_,comdat
.Lfunc_end136:
	.size	_ZN2at6native12_GLOBAL__N_125multi_tensor_apply_kernelINS1_18TensorListMetadataILi1EEENS1_14UnaryOpFunctorIdLi1ELi1ELi0EEEJNS0_3ExpIdEEEEEvT_T0_DpT1_, .Lfunc_end136-_ZN2at6native12_GLOBAL__N_125multi_tensor_apply_kernelINS1_18TensorListMetadataILi1EEENS1_14UnaryOpFunctorIdLi1ELi1ELi0EEEJNS0_3ExpIdEEEEEvT_T0_DpT1_
                                        ; -- End function
	.section	.AMDGPU.csdata,"",@progbits
; Kernel info:
; codeLenInByte = 2948
; NumSgprs: 57
; NumVgprs: 46
; NumAgprs: 0
; TotalNumVgprs: 46
; ScratchSize: 0
; MemoryBound: 0
; FloatMode: 240
; IeeeMode: 1
; LDSByteSize: 0 bytes/workgroup (compile time only)
; SGPRBlocks: 7
; VGPRBlocks: 5
; NumSGPRsForWavesPerEU: 57
; NumVGPRsForWavesPerEU: 46
; AccumOffset: 48
; Occupancy: 8
; WaveLimiterHint : 0
; COMPUTE_PGM_RSRC2:SCRATCH_EN: 0
; COMPUTE_PGM_RSRC2:USER_SGPR: 6
; COMPUTE_PGM_RSRC2:TRAP_HANDLER: 0
; COMPUTE_PGM_RSRC2:TGID_X_EN: 1
; COMPUTE_PGM_RSRC2:TGID_Y_EN: 0
; COMPUTE_PGM_RSRC2:TGID_Z_EN: 0
; COMPUTE_PGM_RSRC2:TIDIG_COMP_CNT: 0
; COMPUTE_PGM_RSRC3_GFX90A:ACCUM_OFFSET: 11
; COMPUTE_PGM_RSRC3_GFX90A:TG_SPLIT: 0
	.section	.text._ZN2at6native12_GLOBAL__N_125multi_tensor_apply_kernelINS1_18TensorListMetadataILi1EEENS1_14UnaryOpFunctorIfLi1ELi1ELi0EEEJNS0_3ExpIfEEEEEvT_T0_DpT1_,"axG",@progbits,_ZN2at6native12_GLOBAL__N_125multi_tensor_apply_kernelINS1_18TensorListMetadataILi1EEENS1_14UnaryOpFunctorIfLi1ELi1ELi0EEEJNS0_3ExpIfEEEEEvT_T0_DpT1_,comdat
	.globl	_ZN2at6native12_GLOBAL__N_125multi_tensor_apply_kernelINS1_18TensorListMetadataILi1EEENS1_14UnaryOpFunctorIfLi1ELi1ELi0EEEJNS0_3ExpIfEEEEEvT_T0_DpT1_ ; -- Begin function _ZN2at6native12_GLOBAL__N_125multi_tensor_apply_kernelINS1_18TensorListMetadataILi1EEENS1_14UnaryOpFunctorIfLi1ELi1ELi0EEEJNS0_3ExpIfEEEEEvT_T0_DpT1_
	.p2align	8
	.type	_ZN2at6native12_GLOBAL__N_125multi_tensor_apply_kernelINS1_18TensorListMetadataILi1EEENS1_14UnaryOpFunctorIfLi1ELi1ELi0EEEJNS0_3ExpIfEEEEEvT_T0_DpT1_,@function
_ZN2at6native12_GLOBAL__N_125multi_tensor_apply_kernelINS1_18TensorListMetadataILi1EEENS1_14UnaryOpFunctorIfLi1ELi1ELi0EEEJNS0_3ExpIfEEEEEvT_T0_DpT1_: ; @_ZN2at6native12_GLOBAL__N_125multi_tensor_apply_kernelINS1_18TensorListMetadataILi1EEENS1_14UnaryOpFunctorIfLi1ELi1ELi0EEEJNS0_3ExpIfEEEEEvT_T0_DpT1_
; %bb.0:
	v_mov_b32_e32 v1, s6
	global_load_ubyte v1, v1, s[4:5] offset:1760
	s_add_u32 s0, s4, s6
	s_mul_hi_u32 s1, s6, 3
	s_mul_i32 s6, s6, 3
	s_addc_u32 s2, s5, 0
	s_add_u32 s0, s0, s6
	s_addc_u32 s1, s2, s1
	s_load_dword s0, s[0:1], 0x820
	s_mov_b32 s7, 0
	s_waitcnt vmcnt(0)
	v_readfirstlane_b32 s2, v1
	s_lshl_b32 s1, s2, 3
	s_load_dwordx2 s[2:3], s[4:5], s1 offset:0x370
	s_load_dwordx2 s[12:13], s[4:5], s1 offset:0x0
	s_waitcnt lgkmcnt(0)
	s_ashr_i32 s1, s0, 31
	s_lshl_b64 s[14:15], s[0:1], 18
	s_lshl_b64 s[0:1], s[0:1], 16
	s_and_b32 s6, s12, 15
	s_sub_u32 s10, s2, s0
	s_subb_u32 s11, s3, s1
	s_and_b32 s0, s2, 3
	s_mov_b32 s1, s7
	s_or_b64 s[0:1], s[6:7], s[0:1]
	s_cmp_eq_u64 s[0:1], 0
	s_cbranch_scc1 .LBB137_21
; %bb.1:
	v_cmp_lt_i64_e64 s[0:1], s[10:11], 1
	s_and_b64 vcc, exec, s[0:1]
	s_cbranch_vccnz .LBB137_20
; %bb.2:
	s_load_dword s0, s[4:5], 0xd3c
	v_mov_b32_e32 v2, 0x10000
	v_mov_b32_e32 v3, 0
	v_cmp_lt_u64_e32 vcc, s[10:11], v[2:3]
	v_lshlrev_b32_e32 v1, 2, v0
	s_waitcnt lgkmcnt(0)
	s_and_b32 s3, s0, 0xffff
	s_and_b64 s[0:1], vcc, exec
	s_cselect_b32 s17, s11, 0
	s_cselect_b32 s16, s10, 0x10000
	s_lshl_b32 s6, s3, 1
	s_lshl_b32 s22, s3, 2
	s_add_u32 s7, s12, s14
	s_addc_u32 s8, s13, s15
	v_mov_b32_e32 v5, s8
	v_add_co_u32_e32 v4, vcc, s7, v1
	s_mul_i32 s0, s3, 3
	v_addc_co_u32_e32 v5, vcc, 0, v5, vcc
	v_add_co_u32_e32 v1, vcc, s0, v0
	v_addc_co_u32_e64 v10, s[0:1], 0, 0, vcc
	v_add_co_u32_e32 v11, vcc, s6, v0
	v_addc_co_u32_e64 v12, s[0:1], 0, 0, vcc
	v_add_co_u32_e32 v13, vcc, s3, v0
	v_lshlrev_b32_e32 v6, 2, v13
	s_mov_b32 s2, 0
	v_addc_co_u32_e64 v14, s[0:1], 0, 0, vcc
	v_mov_b32_e32 v7, s8
	v_add_co_u32_e32 v6, vcc, s7, v6
	s_lshl_b32 s23, s3, 4
	s_mul_i32 s24, s3, 12
	s_mov_b32 s25, s2
	s_lshl_b32 s26, s3, 3
	s_mov_b32 s27, s2
	v_addc_co_u32_e32 v7, vcc, 0, v7, vcc
	s_mov_b64 s[18:19], 0
	s_mov_b32 s28, 0x3fb8aa3b
	s_mov_b32 s29, 0xc2ce8ed0
	;; [unrolled: 1-line block ×3, first 2 shown]
	v_pk_mov_b32 v[8:9], s[10:11], s[10:11] op_sel:[0,1]
	v_mov_b32_e32 v15, s2
	v_mov_b32_e32 v16, 0x7f800000
	s_branch .LBB137_4
.LBB137_3:                              ;   in Loop: Header=BB137_4 Depth=1
	s_or_b64 exec, exec, s[0:1]
	s_add_u32 s18, s18, s22
	s_addc_u32 s19, s19, 0
	v_cmp_lt_i64_e32 vcc, s[18:19], v[8:9]
	v_cmp_lt_u64_e64 s[0:1], s[18:19], v[2:3]
	s_and_b64 s[0:1], vcc, s[0:1]
	v_add_co_u32_e32 v4, vcc, s23, v4
	v_addc_co_u32_e32 v5, vcc, v5, v15, vcc
	v_add_co_u32_e32 v6, vcc, s23, v6
	v_addc_co_u32_e32 v7, vcc, v7, v15, vcc
	s_and_b64 vcc, exec, s[0:1]
	s_cbranch_vccz .LBB137_20
.LBB137_4:                              ; =>This Inner Loop Header: Depth=1
	s_waitcnt vmcnt(0)
	v_mov_b32_e32 v17, s19
	v_add_co_u32_e32 v18, vcc, s18, v0
	v_addc_co_u32_e32 v19, vcc, 0, v17, vcc
	v_cmp_gt_u64_e64 s[6:7], s[16:17], v[18:19]
	v_mov_b32_e32 v20, 0
	s_and_saveexec_b64 s[0:1], s[6:7]
	s_cbranch_execz .LBB137_6
; %bb.5:                                ;   in Loop: Header=BB137_4 Depth=1
	global_load_dword v20, v[4:5], off
.LBB137_6:                              ;   in Loop: Header=BB137_4 Depth=1
	s_or_b64 exec, exec, s[0:1]
	v_mov_b32_e32 v17, s19
	v_add_co_u32_e32 v18, vcc, s18, v13
	v_addc_co_u32_e32 v19, vcc, v14, v17, vcc
	v_cmp_gt_u64_e64 s[2:3], s[16:17], v[18:19]
	v_mov_b32_e32 v18, 0
	s_and_saveexec_b64 s[0:1], s[2:3]
	s_cbranch_execz .LBB137_8
; %bb.7:                                ;   in Loop: Header=BB137_4 Depth=1
	global_load_dword v18, v[6:7], off
.LBB137_8:                              ;   in Loop: Header=BB137_4 Depth=1
	s_or_b64 exec, exec, s[0:1]
	v_mov_b32_e32 v17, s19
	v_add_co_u32_e32 v22, vcc, s18, v11
	v_addc_co_u32_e32 v23, vcc, v12, v17, vcc
	v_cmp_gt_u64_e64 s[0:1], s[16:17], v[22:23]
	v_mov_b32_e32 v17, 0
	v_mov_b32_e32 v19, 0
	s_and_saveexec_b64 s[8:9], s[0:1]
	s_cbranch_execz .LBB137_10
; %bb.9:                                ;   in Loop: Header=BB137_4 Depth=1
	v_mov_b32_e32 v19, s27
	v_add_co_u32_e32 v22, vcc, s26, v4
	v_addc_co_u32_e32 v23, vcc, v5, v19, vcc
	global_load_dword v19, v[22:23], off
.LBB137_10:                             ;   in Loop: Header=BB137_4 Depth=1
	s_or_b64 exec, exec, s[8:9]
	v_mov_b32_e32 v21, s19
	v_add_co_u32_e32 v22, vcc, s18, v1
	v_addc_co_u32_e32 v23, vcc, v10, v21, vcc
	v_cmp_gt_u64_e32 vcc, s[16:17], v[22:23]
	s_and_saveexec_b64 s[20:21], vcc
	s_cbranch_execnz .LBB137_15
; %bb.11:                               ;   in Loop: Header=BB137_4 Depth=1
	s_or_b64 exec, exec, s[20:21]
	s_and_saveexec_b64 s[8:9], s[6:7]
	s_cbranch_execnz .LBB137_16
.LBB137_12:                             ;   in Loop: Header=BB137_4 Depth=1
	s_or_b64 exec, exec, s[8:9]
	s_and_saveexec_b64 s[6:7], s[2:3]
	s_cbranch_execnz .LBB137_17
.LBB137_13:                             ;   in Loop: Header=BB137_4 Depth=1
	s_or_b64 exec, exec, s[6:7]
	s_and_saveexec_b64 s[2:3], s[0:1]
	s_cbranch_execnz .LBB137_18
.LBB137_14:                             ;   in Loop: Header=BB137_4 Depth=1
	s_or_b64 exec, exec, s[2:3]
	s_and_saveexec_b64 s[0:1], vcc
	s_cbranch_execz .LBB137_3
	s_branch .LBB137_19
.LBB137_15:                             ;   in Loop: Header=BB137_4 Depth=1
	v_mov_b32_e32 v17, s25
	v_add_co_u32_e64 v22, s[8:9], s24, v4
	v_addc_co_u32_e64 v23, s[8:9], v5, v17, s[8:9]
	global_load_dword v17, v[22:23], off
	s_or_b64 exec, exec, s[20:21]
	s_and_saveexec_b64 s[8:9], s[6:7]
	s_cbranch_execz .LBB137_12
.LBB137_16:                             ;   in Loop: Header=BB137_4 Depth=1
	s_waitcnt vmcnt(0)
	v_mul_f32_e32 v21, 0x3fb8aa3b, v20
	v_rndne_f32_e32 v22, v21
	v_sub_f32_e32 v23, v21, v22
	v_fma_f32 v21, v20, s28, -v21
	v_fmac_f32_e32 v21, 0x32a5705f, v20
	v_add_f32_e32 v21, v23, v21
	v_cvt_i32_f32_e32 v22, v22
	v_exp_f32_e32 v21, v21
	v_cmp_ngt_f32_e64 s[6:7], s29, v20
	v_ldexp_f32 v21, v21, v22
	v_cndmask_b32_e64 v21, 0, v21, s[6:7]
	v_cmp_nlt_f32_e64 s[6:7], s30, v20
	v_cndmask_b32_e64 v20, v16, v21, s[6:7]
	global_store_dword v[4:5], v20, off
	s_or_b64 exec, exec, s[8:9]
	s_and_saveexec_b64 s[6:7], s[2:3]
	s_cbranch_execz .LBB137_13
.LBB137_17:                             ;   in Loop: Header=BB137_4 Depth=1
	s_waitcnt vmcnt(0)
	v_mul_f32_e32 v20, 0x3fb8aa3b, v18
	v_rndne_f32_e32 v21, v20
	v_sub_f32_e32 v22, v20, v21
	v_fma_f32 v20, v18, s28, -v20
	v_fmac_f32_e32 v20, 0x32a5705f, v18
	v_add_f32_e32 v20, v22, v20
	v_cvt_i32_f32_e32 v21, v21
	v_exp_f32_e32 v20, v20
	v_cmp_ngt_f32_e64 s[2:3], s29, v18
	v_ldexp_f32 v20, v20, v21
	v_cndmask_b32_e64 v20, 0, v20, s[2:3]
	v_cmp_nlt_f32_e64 s[2:3], s30, v18
	v_cndmask_b32_e64 v18, v16, v20, s[2:3]
	global_store_dword v[6:7], v18, off
	s_or_b64 exec, exec, s[6:7]
	s_and_saveexec_b64 s[2:3], s[0:1]
	s_cbranch_execz .LBB137_14
.LBB137_18:                             ;   in Loop: Header=BB137_4 Depth=1
	s_waitcnt vmcnt(0)
	v_mul_f32_e32 v18, 0x3fb8aa3b, v19
	v_rndne_f32_e32 v20, v18
	v_sub_f32_e32 v21, v18, v20
	v_fma_f32 v18, v19, s28, -v18
	v_fmac_f32_e32 v18, 0x32a5705f, v19
	v_add_f32_e32 v18, v21, v18
	v_cvt_i32_f32_e32 v20, v20
	v_exp_f32_e32 v18, v18
	v_cmp_ngt_f32_e64 s[0:1], s29, v19
	v_ldexp_f32 v18, v18, v20
	v_cndmask_b32_e64 v18, 0, v18, s[0:1]
	v_cmp_nlt_f32_e64 s[0:1], s30, v19
	v_cndmask_b32_e64 v20, v16, v18, s[0:1]
	v_mov_b32_e32 v19, s27
	v_add_co_u32_e64 v18, s[0:1], s26, v4
	v_addc_co_u32_e64 v19, s[0:1], v5, v19, s[0:1]
	global_store_dword v[18:19], v20, off
	s_or_b64 exec, exec, s[2:3]
	s_and_saveexec_b64 s[0:1], vcc
	s_cbranch_execz .LBB137_3
.LBB137_19:                             ;   in Loop: Header=BB137_4 Depth=1
	s_waitcnt vmcnt(0)
	v_mul_f32_e32 v18, 0x3fb8aa3b, v17
	v_rndne_f32_e32 v19, v18
	v_sub_f32_e32 v20, v18, v19
	v_fma_f32 v18, v17, s28, -v18
	v_fmac_f32_e32 v18, 0x32a5705f, v17
	v_add_f32_e32 v18, v20, v18
	v_cvt_i32_f32_e32 v19, v19
	v_exp_f32_e32 v18, v18
	v_cmp_ngt_f32_e32 vcc, s29, v17
	v_ldexp_f32 v18, v18, v19
	v_cndmask_b32_e32 v18, 0, v18, vcc
	v_cmp_nlt_f32_e32 vcc, s30, v17
	v_cndmask_b32_e32 v17, v16, v18, vcc
	v_mov_b32_e32 v19, s25
	v_add_co_u32_e32 v18, vcc, s24, v4
	v_addc_co_u32_e32 v19, vcc, v5, v19, vcc
	global_store_dword v[18:19], v17, off
	s_branch .LBB137_3
.LBB137_20:
	s_cbranch_execz .LBB137_22
	s_branch .LBB137_25
.LBB137_21:
.LBB137_22:
	v_mov_b32_e32 v3, 0
	v_lshlrev_b32_e32 v2, 2, v0
	s_mov_b32 s0, 0
	v_cmp_gt_i64_e32 vcc, s[10:11], v[2:3]
	s_and_saveexec_b64 s[2:3], vcc
	s_cbranch_execz .LBB137_25
; %bb.23:
	s_load_dword s1, s[4:5], 0xd3c
	v_lshlrev_b32_e32 v1, 4, v0
	s_mov_b32 s8, 0x3fb8aa3b
	s_mov_b32 s9, 0xc2ce8ed0
	s_mov_b64 s[4:5], 0xffff
	s_waitcnt lgkmcnt(0)
	s_and_b32 s1, s1, 0xffff
	s_add_u32 s2, s12, s14
	s_addc_u32 s3, s13, s15
	v_mov_b32_e32 v2, s3
	v_add_co_u32_e32 v1, vcc, s2, v1
	v_addc_co_u32_e32 v2, vcc, 0, v2, vcc
	v_add_co_u32_e32 v4, vcc, 8, v1
	v_addc_co_u32_e32 v5, vcc, 0, v2, vcc
	s_lshl_b32 s6, s1, 4
	v_add_lshl_u32 v2, v0, s1, 2
	s_lshl_b32 s7, s1, 2
	s_mov_b64 s[2:3], 0
	s_mov_b32 s12, 0x42b17218
	v_mov_b32_e32 v0, 0x7f800000
	v_mov_b32_e32 v1, s0
	;; [unrolled: 1-line block ×3, first 2 shown]
.LBB137_24:                             ; =>This Inner Loop Header: Depth=1
	global_load_dwordx4 v[8:11], v[4:5], off offset:-8
	v_cmp_le_i64_e32 vcc, s[10:11], v[2:3]
	v_cmp_lt_u64_e64 s[0:1], s[4:5], v[2:3]
	s_or_b64 s[0:1], vcc, s[0:1]
	s_and_b64 s[0:1], exec, s[0:1]
	s_or_b64 s[2:3], s[0:1], s[2:3]
	s_waitcnt vmcnt(0)
	v_mul_f32_e32 v7, 0x3fb8aa3b, v9
	v_mul_f32_e32 v12, 0x3fb8aa3b, v8
	v_rndne_f32_e32 v15, v7
	v_fma_f32 v16, v9, s8, -v7
	v_mul_f32_e32 v13, 0x3fb8aa3b, v11
	v_rndne_f32_e32 v17, v12
	v_fma_f32 v18, v8, s8, -v12
	v_sub_f32_e32 v7, v7, v15
	v_fmac_f32_e32 v16, 0x32a5705f, v9
	v_mul_f32_e32 v14, 0x3fb8aa3b, v10
	v_rndne_f32_e32 v19, v13
	v_fma_f32 v20, v11, s8, -v13
	v_sub_f32_e32 v12, v12, v17
	v_fmac_f32_e32 v18, 0x32a5705f, v8
	v_add_f32_e32 v7, v7, v16
	v_rndne_f32_e32 v21, v14
	v_fma_f32 v22, v10, s8, -v14
	v_cvt_i32_f32_e32 v15, v15
	v_sub_f32_e32 v13, v13, v19
	v_fmac_f32_e32 v20, 0x32a5705f, v11
	v_add_f32_e32 v12, v12, v18
	v_exp_f32_e32 v7, v7
	v_cvt_i32_f32_e32 v17, v17
	v_sub_f32_e32 v14, v14, v21
	v_fmac_f32_e32 v22, 0x32a5705f, v10
	v_add_f32_e32 v13, v13, v20
	v_exp_f32_e32 v12, v12
	v_cvt_i32_f32_e32 v19, v19
	v_add_f32_e32 v14, v14, v22
	v_exp_f32_e32 v13, v13
	v_cvt_i32_f32_e32 v21, v21
	v_exp_f32_e32 v14, v14
	v_ldexp_f32 v7, v7, v15
	v_cmp_ngt_f32_e32 vcc, s9, v9
	v_ldexp_f32 v12, v12, v17
	v_cndmask_b32_e32 v7, 0, v7, vcc
	v_cmp_ngt_f32_e32 vcc, s9, v8
	v_ldexp_f32 v13, v13, v19
	v_cndmask_b32_e32 v12, 0, v12, vcc
	;; [unrolled: 3-line block ×3, first 2 shown]
	v_cmp_ngt_f32_e32 vcc, s9, v10
	v_cndmask_b32_e32 v14, 0, v14, vcc
	v_cmp_nlt_f32_e32 vcc, s12, v9
	v_cndmask_b32_e32 v9, v0, v7, vcc
	v_cmp_nlt_f32_e32 vcc, s12, v8
	;; [unrolled: 2-line block ×4, first 2 shown]
	v_cndmask_b32_e32 v10, v0, v14, vcc
	global_store_dwordx4 v[4:5], v[8:11], off offset:-8
	v_add_co_u32_e32 v4, vcc, s6, v4
	v_addc_co_u32_e32 v5, vcc, v5, v1, vcc
	v_add_co_u32_e32 v2, vcc, s7, v2
	v_addc_co_u32_e32 v3, vcc, v3, v6, vcc
	s_andn2_b64 exec, exec, s[2:3]
	s_cbranch_execnz .LBB137_24
.LBB137_25:
	s_endpgm
	.section	.rodata,"a",@progbits
	.p2align	6, 0x0
	.amdhsa_kernel _ZN2at6native12_GLOBAL__N_125multi_tensor_apply_kernelINS1_18TensorListMetadataILi1EEENS1_14UnaryOpFunctorIfLi1ELi1ELi0EEEJNS0_3ExpIfEEEEEvT_T0_DpT1_
		.amdhsa_group_segment_fixed_size 0
		.amdhsa_private_segment_fixed_size 0
		.amdhsa_kernarg_size 3632
		.amdhsa_user_sgpr_count 6
		.amdhsa_user_sgpr_private_segment_buffer 1
		.amdhsa_user_sgpr_dispatch_ptr 0
		.amdhsa_user_sgpr_queue_ptr 0
		.amdhsa_user_sgpr_kernarg_segment_ptr 1
		.amdhsa_user_sgpr_dispatch_id 0
		.amdhsa_user_sgpr_flat_scratch_init 0
		.amdhsa_user_sgpr_kernarg_preload_length 0
		.amdhsa_user_sgpr_kernarg_preload_offset 0
		.amdhsa_user_sgpr_private_segment_size 0
		.amdhsa_uses_dynamic_stack 0
		.amdhsa_system_sgpr_private_segment_wavefront_offset 0
		.amdhsa_system_sgpr_workgroup_id_x 1
		.amdhsa_system_sgpr_workgroup_id_y 0
		.amdhsa_system_sgpr_workgroup_id_z 0
		.amdhsa_system_sgpr_workgroup_info 0
		.amdhsa_system_vgpr_workitem_id 0
		.amdhsa_next_free_vgpr 24
		.amdhsa_next_free_sgpr 31
		.amdhsa_accum_offset 24
		.amdhsa_reserve_vcc 1
		.amdhsa_reserve_flat_scratch 0
		.amdhsa_float_round_mode_32 0
		.amdhsa_float_round_mode_16_64 0
		.amdhsa_float_denorm_mode_32 3
		.amdhsa_float_denorm_mode_16_64 3
		.amdhsa_dx10_clamp 1
		.amdhsa_ieee_mode 1
		.amdhsa_fp16_overflow 0
		.amdhsa_tg_split 0
		.amdhsa_exception_fp_ieee_invalid_op 0
		.amdhsa_exception_fp_denorm_src 0
		.amdhsa_exception_fp_ieee_div_zero 0
		.amdhsa_exception_fp_ieee_overflow 0
		.amdhsa_exception_fp_ieee_underflow 0
		.amdhsa_exception_fp_ieee_inexact 0
		.amdhsa_exception_int_div_zero 0
	.end_amdhsa_kernel
	.section	.text._ZN2at6native12_GLOBAL__N_125multi_tensor_apply_kernelINS1_18TensorListMetadataILi1EEENS1_14UnaryOpFunctorIfLi1ELi1ELi0EEEJNS0_3ExpIfEEEEEvT_T0_DpT1_,"axG",@progbits,_ZN2at6native12_GLOBAL__N_125multi_tensor_apply_kernelINS1_18TensorListMetadataILi1EEENS1_14UnaryOpFunctorIfLi1ELi1ELi0EEEJNS0_3ExpIfEEEEEvT_T0_DpT1_,comdat
.Lfunc_end137:
	.size	_ZN2at6native12_GLOBAL__N_125multi_tensor_apply_kernelINS1_18TensorListMetadataILi1EEENS1_14UnaryOpFunctorIfLi1ELi1ELi0EEEJNS0_3ExpIfEEEEEvT_T0_DpT1_, .Lfunc_end137-_ZN2at6native12_GLOBAL__N_125multi_tensor_apply_kernelINS1_18TensorListMetadataILi1EEENS1_14UnaryOpFunctorIfLi1ELi1ELi0EEEJNS0_3ExpIfEEEEEvT_T0_DpT1_
                                        ; -- End function
	.section	.AMDGPU.csdata,"",@progbits
; Kernel info:
; codeLenInByte = 1612
; NumSgprs: 35
; NumVgprs: 24
; NumAgprs: 0
; TotalNumVgprs: 24
; ScratchSize: 0
; MemoryBound: 0
; FloatMode: 240
; IeeeMode: 1
; LDSByteSize: 0 bytes/workgroup (compile time only)
; SGPRBlocks: 4
; VGPRBlocks: 2
; NumSGPRsForWavesPerEU: 35
; NumVGPRsForWavesPerEU: 24
; AccumOffset: 24
; Occupancy: 8
; WaveLimiterHint : 0
; COMPUTE_PGM_RSRC2:SCRATCH_EN: 0
; COMPUTE_PGM_RSRC2:USER_SGPR: 6
; COMPUTE_PGM_RSRC2:TRAP_HANDLER: 0
; COMPUTE_PGM_RSRC2:TGID_X_EN: 1
; COMPUTE_PGM_RSRC2:TGID_Y_EN: 0
; COMPUTE_PGM_RSRC2:TGID_Z_EN: 0
; COMPUTE_PGM_RSRC2:TIDIG_COMP_CNT: 0
; COMPUTE_PGM_RSRC3_GFX90A:ACCUM_OFFSET: 5
; COMPUTE_PGM_RSRC3_GFX90A:TG_SPLIT: 0
	.section	.text._ZN2at6native12_GLOBAL__N_125multi_tensor_apply_kernelINS1_18TensorListMetadataILi1EEENS1_14UnaryOpFunctorIN3c107complexIdEELi1ELi1ELi0EEEJNS0_3ExpIS8_EEEEEvT_T0_DpT1_,"axG",@progbits,_ZN2at6native12_GLOBAL__N_125multi_tensor_apply_kernelINS1_18TensorListMetadataILi1EEENS1_14UnaryOpFunctorIN3c107complexIdEELi1ELi1ELi0EEEJNS0_3ExpIS8_EEEEEvT_T0_DpT1_,comdat
	.globl	_ZN2at6native12_GLOBAL__N_125multi_tensor_apply_kernelINS1_18TensorListMetadataILi1EEENS1_14UnaryOpFunctorIN3c107complexIdEELi1ELi1ELi0EEEJNS0_3ExpIS8_EEEEEvT_T0_DpT1_ ; -- Begin function _ZN2at6native12_GLOBAL__N_125multi_tensor_apply_kernelINS1_18TensorListMetadataILi1EEENS1_14UnaryOpFunctorIN3c107complexIdEELi1ELi1ELi0EEEJNS0_3ExpIS8_EEEEEvT_T0_DpT1_
	.p2align	8
	.type	_ZN2at6native12_GLOBAL__N_125multi_tensor_apply_kernelINS1_18TensorListMetadataILi1EEENS1_14UnaryOpFunctorIN3c107complexIdEELi1ELi1ELi0EEEJNS0_3ExpIS8_EEEEEvT_T0_DpT1_,@function
_ZN2at6native12_GLOBAL__N_125multi_tensor_apply_kernelINS1_18TensorListMetadataILi1EEENS1_14UnaryOpFunctorIN3c107complexIdEELi1ELi1ELi0EEEJNS0_3ExpIS8_EEEEEvT_T0_DpT1_: ; @_ZN2at6native12_GLOBAL__N_125multi_tensor_apply_kernelINS1_18TensorListMetadataILi1EEENS1_14UnaryOpFunctorIN3c107complexIdEELi1ELi1ELi0EEEJNS0_3ExpIS8_EEEEEvT_T0_DpT1_
; %bb.0:
	v_mov_b32_e32 v1, s6
	global_load_ubyte v1, v1, s[4:5] offset:1760
	s_add_u32 s0, s4, s6
	s_mul_hi_u32 s1, s6, 3
	s_mul_i32 s6, s6, 3
	s_addc_u32 s2, s5, 0
	s_add_u32 s0, s0, s6
	s_addc_u32 s1, s2, s1
	s_load_dword s0, s[0:1], 0x820
                                        ; implicit-def: $vgpr82 : SGPR spill to VGPR lane
	s_mov_b32 s7, 0
	s_waitcnt vmcnt(0)
	v_readfirstlane_b32 s1, v1
	s_lshl_b32 s1, s1, 3
	s_load_dwordx2 s[8:9], s[4:5], s1 offset:0x0
	s_load_dwordx2 s[2:3], s[4:5], s1 offset:0x370
	s_waitcnt lgkmcnt(0)
	s_ashr_i32 s1, s0, 31
	s_lshl_b64 s[18:19], s[0:1], 20
	s_add_u32 s33, s8, s18
	v_writelane_b32 v82, s8, 0
	s_addc_u32 s94, s9, s19
	s_lshl_b64 s[0:1], s[0:1], 16
	s_and_b32 s6, s33, 63
	s_sub_u32 s14, s2, s0
	s_subb_u32 s15, s3, s1
	s_and_b32 s0, s2, 3
	s_mov_b32 s1, s7
	s_or_b64 s[0:1], s[6:7], s[0:1]
	s_cmp_eq_u64 s[0:1], 0
	v_writelane_b32 v82, s9, 1
	s_cbranch_scc1 .LBB138_197
; %bb.1:
	v_cmp_lt_i64_e64 s[0:1], s[14:15], 1
	s_and_b64 vcc, exec, s[0:1]
	s_cbranch_vccnz .LBB138_196
; %bb.2:
	s_load_dword s0, s[4:5], 0xd3c
	v_mov_b32_e32 v2, 0x10000
	v_mov_b32_e32 v3, 0
	;; [unrolled: 1-line block ×3, first 2 shown]
	v_cmp_lt_u64_e32 vcc, s[14:15], v[2:3]
	s_waitcnt lgkmcnt(0)
	s_and_b32 s2, s0, 0xffff
	s_and_b64 s[0:1], vcc, exec
	s_mul_i32 s6, s2, 3
	v_lshlrev_b32_e32 v24, 4, v0
	v_mov_b32_e32 v25, v22
	v_add_co_u32_e32 v29, vcc, s2, v0
	v_addc_co_u32_e64 v31, s[0:1], 0, 0, vcc
	v_mad_u64_u32 v[26:27], s[0:1], s2, 48, v[24:25]
	v_add_co_u32_e32 v25, vcc, s6, v0
	v_addc_co_u32_e64 v60, s[0:1], 0, 0, vcc
	s_cselect_b32 s21, s15, 0
	s_cselect_b32 s20, s14, 0x10000
	s_lshl_b32 s0, s2, 5
	s_lshl_b32 s3, s2, 1
	v_add_co_u32_e32 v2, vcc, s0, v24
	v_addc_co_u32_e64 v1, s[0:1], 0, 0, vcc
	v_add_co_u32_e32 v61, vcc, s3, v0
	s_mov_b32 s24, 0
	s_mov_b32 s26, 0
	s_mov_b32 s28, 0
	s_mov_b32 s34, 0x54442d18
	s_mov_b32 s40, 0x6dc9c883
	s_mov_b32 s42, 0x33145c00
	s_mov_b32 s44, 0x252049c0
	s_mov_b32 s46, 0x652b82fe
	s_mov_b32 s48, 0xfefa39ef
	s_mov_b32 s50, 0x3b39803f
	s_mov_b32 s52, 0x6a5dcb37
	s_mov_b32 s54, 0x11110bb3
	s_mov_b32 s56, 0x55555555
	s_mov_b32 s58, 0
	s_mov_b32 s60, 0
	s_mov_b32 s62, 0x9037ab78
	s_mov_b32 s64, 0x46cc5e42
	s_mov_b32 s66, 0xa17f65f6
	s_mov_b32 s68, 0x19f4ec90
	s_mov_b32 s70, 0x16c16967
	s_mov_b32 s72, 0xb42fdfa7
	s_mov_b32 s74, 0xf9a43bb8
	s_mov_b32 s76, 0x796cde01
	s_mov_b32 s78, 0x19e83e5c
	s_lshl_b32 s95, s2, 2
	s_lshl_b32 s16, s2, 6
	v_or_b32_e32 v26, 8, v26
	v_lshlrev_b32_e32 v28, 4, v29
	v_or_b32_e32 v30, 8, v2
	v_addc_co_u32_e64 v62, s[0:1], 0, 0, vcc
	s_mov_b64 s[22:23], 0
	s_mov_b32 s17, 0x7ff00000
	s_mov_b32 s25, 0x41d00000
	;; [unrolled: 1-line block ×3, first 2 shown]
	s_movk_i32 s83, 0xff80
	s_mov_b32 s29, 0x7ff00000
	s_mov_b32 s31, 0x3ff921fb
	;; [unrolled: 1-line block ×26, first 2 shown]
	s_movk_i32 s82, 0x1f8
	v_mov_b32_e32 v63, 0x40100000
	v_mov_b32_e32 v64, 0x3ff00000
	;; [unrolled: 1-line block ×22, first 2 shown]
	s_branch .LBB138_4
.LBB138_3:                              ;   in Loop: Header=BB138_4 Depth=1
	s_or_b64 exec, exec, s[0:1]
	s_add_u32 s22, s22, s95
	s_addc_u32 s23, s23, 0
	v_pk_mov_b32 v[2:3], s[14:15], s[14:15] op_sel:[0,1]
	v_cmp_ge_i64_e32 vcc, s[22:23], v[2:3]
	v_mov_b32_e32 v2, 0xffff
	v_mov_b32_e32 v3, 0
	v_cmp_gt_u64_e64 s[0:1], s[22:23], v[2:3]
	s_or_b64 s[0:1], vcc, s[0:1]
	s_add_u32 s33, s33, s16
	s_addc_u32 s94, s94, 0
	s_and_b64 vcc, exec, s[0:1]
	s_cbranch_vccnz .LBB138_196
.LBB138_4:                              ; =>This Inner Loop Header: Depth=1
	v_mov_b32_e32 v3, s23
	v_add_co_u32_e32 v2, vcc, s22, v0
	v_addc_co_u32_e32 v3, vcc, 0, v3, vcc
	v_pk_mov_b32 v[20:21], 0, 0
	v_cmp_gt_u64_e32 vcc, s[20:21], v[2:3]
	v_pk_mov_b32 v[16:17], v[20:21], v[20:21] op_sel:[0,1]
	v_pk_mov_b32 v[14:15], v[20:21], v[20:21] op_sel:[0,1]
	s_and_saveexec_b64 s[2:3], vcc
	s_cbranch_execz .LBB138_6
; %bb.5:                                ;   in Loop: Header=BB138_4 Depth=1
	v_mov_b32_e32 v3, s94
	v_add_co_u32_e64 v2, s[0:1], s33, v24
	v_addc_co_u32_e64 v3, s[0:1], 0, v3, s[0:1]
	global_load_dwordx4 v[14:17], v[2:3], off
.LBB138_6:                              ;   in Loop: Header=BB138_4 Depth=1
	s_or_b64 exec, exec, s[2:3]
	v_mov_b32_e32 v3, s23
	v_add_co_u32_e64 v2, s[0:1], s22, v29
	v_addc_co_u32_e64 v3, s[0:1], v31, v3, s[0:1]
	v_cmp_gt_u64_e64 s[0:1], s[20:21], v[2:3]
	v_pk_mov_b32 v[18:19], v[20:21], v[20:21] op_sel:[0,1]
	s_and_saveexec_b64 s[6:7], s[0:1]
	s_cbranch_execz .LBB138_8
; %bb.7:                                ;   in Loop: Header=BB138_4 Depth=1
	v_mov_b32_e32 v3, s94
	v_add_co_u32_e64 v2, s[2:3], s33, v28
	v_addc_co_u32_e64 v3, s[2:3], 0, v3, s[2:3]
	global_load_dwordx4 v[18:21], v[2:3], off
.LBB138_8:                              ;   in Loop: Header=BB138_4 Depth=1
	s_or_b64 exec, exec, s[6:7]
	v_mov_b32_e32 v3, s23
	v_add_co_u32_e64 v2, s[2:3], s22, v61
	v_addc_co_u32_e64 v3, s[2:3], v62, v3, s[2:3]
	v_pk_mov_b32 v[4:5], 0, 0
	v_cmp_gt_u64_e64 s[2:3], s[20:21], v[2:3]
	v_pk_mov_b32 v[12:13], v[4:5], v[4:5] op_sel:[0,1]
	v_pk_mov_b32 v[10:11], v[4:5], v[4:5] op_sel:[0,1]
	s_and_saveexec_b64 s[8:9], s[2:3]
	s_cbranch_execz .LBB138_10
; %bb.9:                                ;   in Loop: Header=BB138_4 Depth=1
	v_mov_b32_e32 v3, s94
	v_add_co_u32_e64 v2, s[6:7], s33, v30
	v_addc_co_u32_e64 v3, s[6:7], v3, v1, s[6:7]
	global_load_dwordx4 v[10:13], v[2:3], off offset:-8
.LBB138_10:                             ;   in Loop: Header=BB138_4 Depth=1
	s_or_b64 exec, exec, s[8:9]
	v_mov_b32_e32 v3, s23
	v_add_co_u32_e64 v2, s[6:7], s22, v25
	v_addc_co_u32_e64 v3, s[6:7], v60, v3, s[6:7]
	v_cmp_gt_u64_e64 s[6:7], s[20:21], v[2:3]
	v_pk_mov_b32 v[2:3], v[4:5], v[4:5] op_sel:[0,1]
	s_and_saveexec_b64 s[10:11], s[6:7]
	s_cbranch_execz .LBB138_12
; %bb.11:                               ;   in Loop: Header=BB138_4 Depth=1
	v_mov_b32_e32 v3, s94
	v_add_co_u32_e64 v2, s[8:9], s33, v26
	v_addc_co_u32_e64 v3, s[8:9], v3, v27, s[8:9]
	global_load_dwordx4 v[2:5], v[2:3], off offset:-8
.LBB138_12:                             ;   in Loop: Header=BB138_4 Depth=1
	s_or_b64 exec, exec, s[10:11]
	s_waitcnt vmcnt(0)
	v_and_b32_e32 v67, 0x7fffffff, v17
	v_or_b32_e32 v6, v67, v16
	v_cmp_ne_u32_e64 s[8:9], 0, v6
                                        ; implicit-def: $vgpr8_vgpr9
	s_and_saveexec_b64 s[10:11], s[8:9]
	s_xor_b64 s[84:85], exec, s[10:11]
	s_cbranch_execz .LBB138_54
; %bb.13:                               ;   in Loop: Header=BB138_4 Depth=1
	v_and_b32_e32 v23, 0x7fffffff, v15
	v_or_b32_e32 v6, v23, v14
	v_cmp_ne_u32_e64 s[8:9], 0, v6
                                        ; implicit-def: $vgpr8_vgpr9
	s_and_saveexec_b64 s[10:11], s[8:9]
	s_xor_b64 s[86:87], exec, s[10:11]
	s_cbranch_execz .LBB138_43
; %bb.14:                               ;   in Loop: Header=BB138_4 Depth=1
	v_cmp_gt_u32_e64 s[8:9], s17, v67
                                        ; implicit-def: $vgpr8_vgpr9
	s_and_saveexec_b64 s[10:11], s[8:9]
	s_xor_b64 s[88:89], exec, s[10:11]
	s_cbranch_execz .LBB138_36
; %bb.15:                               ;   in Loop: Header=BB138_4 Depth=1
	v_add_u32_e32 v6, 0xbf79d1be, v15
	s_mov_b32 s8, 0x108aa2
	v_cmp_lt_u32_e64 s[8:9], s8, v6
                                        ; implicit-def: $vgpr8_vgpr9
	s_and_saveexec_b64 s[10:11], s[8:9]
	s_xor_b64 s[12:13], exec, s[10:11]
	s_cbranch_execz .LBB138_25
; %bb.16:                               ;   in Loop: Header=BB138_4 Depth=1
	v_cmp_nlt_f64_e64 s[90:91], |v[16:17]|, s[24:25]
                                        ; implicit-def: $vgpr54
                                        ; implicit-def: $vgpr6_vgpr7
                                        ; implicit-def: $vgpr8_vgpr9
	s_and_saveexec_b64 s[8:9], s[90:91]
	s_xor_b64 s[92:93], exec, s[8:9]
	s_cbranch_execz .LBB138_18
; %bb.17:                               ;   in Loop: Header=BB138_4 Depth=1
	v_ldexp_f64 v[50:51], |v[16:17]|, s83
	v_cmp_ge_f64_e64 s[8:9], |v[16:17]|, s[26:27]
	v_trig_preop_f64 v[6:7], |v[16:17]|, 0
	v_cndmask_b32_e64 v51, v67, v51, s[8:9]
	v_cndmask_b32_e64 v50, v16, v50, s[8:9]
	v_trig_preop_f64 v[8:9], |v[16:17]|, 1
	v_mul_f64 v[54:55], v[6:7], v[50:51]
	v_mul_f64 v[52:53], v[8:9], v[50:51]
	v_fma_f64 v[6:7], v[6:7], v[50:51], -v[54:55]
	v_add_f64 v[56:57], v[52:53], v[6:7]
	v_add_f64 v[58:59], v[54:55], v[56:57]
	v_ldexp_f64 v[68:69], v[58:59], -2
	v_fract_f64_e32 v[70:71], v[68:69]
	v_cmp_neq_f64_e64 s[8:9], |v[68:69]|, s[28:29]
	v_cndmask_b32_e64 v69, 0, v71, s[8:9]
	v_cndmask_b32_e64 v68, 0, v70, s[8:9]
	v_add_f64 v[70:71], v[56:57], -v[52:53]
	v_add_f64 v[6:7], v[6:7], -v[70:71]
	;; [unrolled: 1-line block ×4, first 2 shown]
	v_fma_f64 v[8:9], v[8:9], v[50:51], -v[52:53]
	v_trig_preop_f64 v[52:53], |v[16:17]|, 2
	v_add_f64 v[6:7], v[6:7], v[70:71]
	v_mul_f64 v[70:71], v[52:53], v[50:51]
	v_add_f64 v[72:73], v[70:71], v[8:9]
	v_add_f64 v[74:75], v[72:73], v[6:7]
	v_add_f64 v[54:55], v[58:59], -v[54:55]
	v_add_f64 v[58:59], v[74:75], -v[72:73]
	;; [unrolled: 1-line block ×5, first 2 shown]
	v_add_f64 v[6:7], v[6:7], v[58:59]
	v_add_f64 v[58:59], v[72:73], -v[70:71]
	v_add_f64 v[8:9], v[8:9], -v[58:59]
	;; [unrolled: 1-line block ×4, first 2 shown]
	v_add_f64 v[8:9], v[8:9], v[58:59]
	v_add_f64 v[54:55], v[56:57], -v[54:55]
	v_add_f64 v[6:7], v[8:9], v[6:7]
	v_fma_f64 v[8:9], v[52:53], v[50:51], -v[70:71]
	v_add_f64 v[56:57], v[54:55], v[74:75]
	v_add_f64 v[6:7], v[8:9], v[6:7]
	v_ldexp_f64 v[8:9], v[68:69], 2
	v_add_f64 v[50:51], v[56:57], v[8:9]
	v_cmp_gt_f64_e64 s[8:9], 0, v[50:51]
	v_cndmask_b32_e64 v23, 0, v63, s[8:9]
	v_add_f64 v[8:9], v[8:9], v[22:23]
	v_add_f64 v[50:51], v[56:57], v[8:9]
	v_cvt_i32_f64_e32 v23, v[50:51]
	v_cvt_f64_i32_e32 v[50:51], v23
	v_add_f64 v[8:9], v[8:9], -v[50:51]
	v_add_f64 v[54:55], v[56:57], -v[54:55]
	v_add_f64 v[50:51], v[56:57], v[8:9]
	v_add_f64 v[54:55], v[74:75], -v[54:55]
	v_add_f64 v[8:9], v[50:51], -v[8:9]
	v_cmp_le_f64_e64 s[8:9], 0.5, v[50:51]
	v_add_f64 v[6:7], v[54:55], v[6:7]
	v_add_f64 v[8:9], v[56:57], -v[8:9]
	v_addc_co_u32_e64 v54, s[10:11], 0, v23, s[8:9]
	v_cndmask_b32_e64 v23, 0, v64, s[8:9]
	v_add_f64 v[6:7], v[6:7], v[8:9]
	v_add_f64 v[8:9], v[50:51], -v[22:23]
	v_add_f64 v[50:51], v[8:9], v[6:7]
	v_add_f64 v[8:9], v[50:51], -v[8:9]
	s_mov_b32 s30, s34
	v_add_f64 v[6:7], v[6:7], -v[8:9]
	v_mul_f64 v[8:9], v[50:51], s[30:31]
	v_fma_f64 v[52:53], v[50:51], s[30:31], -v[8:9]
	s_mov_b32 s39, s37
	v_fmac_f64_e32 v[52:53], s[38:39], v[50:51]
	v_fmac_f64_e32 v[52:53], s[30:31], v[6:7]
	v_add_f64 v[6:7], v[8:9], v[52:53]
	v_add_f64 v[8:9], v[6:7], -v[8:9]
	v_add_f64 v[8:9], v[52:53], -v[8:9]
	s_andn2_saveexec_b64 s[8:9], s[92:93]
	s_cbranch_execz .LBB138_20
	s_branch .LBB138_19
.LBB138_18:                             ;   in Loop: Header=BB138_4 Depth=1
	s_andn2_saveexec_b64 s[8:9], s[92:93]
	s_cbranch_execz .LBB138_20
.LBB138_19:                             ;   in Loop: Header=BB138_4 Depth=1
	v_mul_f64 v[6:7], |v[16:17]|, s[40:41]
	v_rndne_f64_e32 v[50:51], v[6:7]
	v_fma_f64 v[6:7], v[50:51], s[34:35], |v[16:17]|
	v_mul_f64 v[52:53], v[50:51], s[42:43]
	v_add_f64 v[56:57], v[6:7], v[52:53]
	v_fma_f64 v[8:9], s[42:43], v[50:51], v[6:7]
	s_mov_b32 s36, s42
	v_add_f64 v[6:7], v[6:7], -v[56:57]
	v_fma_f64 v[54:55], s[36:37], v[50:51], v[52:53]
	v_add_f64 v[6:7], v[6:7], v[52:53]
	v_add_f64 v[52:53], v[56:57], -v[8:9]
	v_add_f64 v[6:7], v[52:53], v[6:7]
	v_add_f64 v[52:53], v[6:7], -v[54:55]
	v_fmac_f64_e32 v[52:53], s[44:45], v[50:51]
	v_add_f64 v[6:7], v[8:9], v[52:53]
	v_add_f64 v[8:9], v[6:7], -v[8:9]
	v_add_f64 v[8:9], v[52:53], -v[8:9]
	v_cvt_i32_f64_e32 v54, v[50:51]
.LBB138_20:                             ;   in Loop: Header=BB138_4 Depth=1
	s_or_b64 exec, exec, s[8:9]
                                        ; implicit-def: $vgpr55
                                        ; implicit-def: $vgpr50_vgpr51
                                        ; implicit-def: $vgpr52_vgpr53
	s_and_saveexec_b64 s[8:9], s[90:91]
	s_xor_b64 s[90:91], exec, s[8:9]
	s_cbranch_execz .LBB138_22
; %bb.21:                               ;   in Loop: Header=BB138_4 Depth=1
	v_ldexp_f64 v[56:57], |v[16:17]|, s83
	v_cmp_ge_f64_e64 s[8:9], |v[16:17]|, s[26:27]
	v_trig_preop_f64 v[50:51], |v[16:17]|, 0
	v_cndmask_b32_e64 v57, v67, v57, s[8:9]
	v_cndmask_b32_e64 v56, v16, v56, s[8:9]
	v_trig_preop_f64 v[52:53], |v[16:17]|, 1
	v_mul_f64 v[68:69], v[50:51], v[56:57]
	v_mul_f64 v[58:59], v[52:53], v[56:57]
	v_fma_f64 v[50:51], v[50:51], v[56:57], -v[68:69]
	v_add_f64 v[70:71], v[58:59], v[50:51]
	v_add_f64 v[72:73], v[68:69], v[70:71]
	v_ldexp_f64 v[74:75], v[72:73], -2
	v_fract_f64_e32 v[76:77], v[74:75]
	v_cmp_neq_f64_e64 s[8:9], |v[74:75]|, s[28:29]
	v_cndmask_b32_e64 v75, 0, v77, s[8:9]
	v_cndmask_b32_e64 v74, 0, v76, s[8:9]
	v_add_f64 v[76:77], v[70:71], -v[58:59]
	v_add_f64 v[50:51], v[50:51], -v[76:77]
	;; [unrolled: 1-line block ×4, first 2 shown]
	v_fma_f64 v[52:53], v[52:53], v[56:57], -v[58:59]
	v_trig_preop_f64 v[58:59], |v[16:17]|, 2
	v_add_f64 v[50:51], v[50:51], v[76:77]
	v_mul_f64 v[76:77], v[58:59], v[56:57]
	v_add_f64 v[78:79], v[76:77], v[52:53]
	v_add_f64 v[80:81], v[78:79], v[50:51]
	v_add_f64 v[68:69], v[72:73], -v[68:69]
	v_add_f64 v[72:73], v[80:81], -v[78:79]
	;; [unrolled: 1-line block ×5, first 2 shown]
	v_add_f64 v[50:51], v[50:51], v[72:73]
	v_add_f64 v[72:73], v[78:79], -v[76:77]
	v_add_f64 v[52:53], v[52:53], -v[72:73]
	;; [unrolled: 1-line block ×4, first 2 shown]
	v_add_f64 v[52:53], v[52:53], v[72:73]
	v_add_f64 v[68:69], v[70:71], -v[68:69]
	v_add_f64 v[50:51], v[52:53], v[50:51]
	v_fma_f64 v[52:53], v[58:59], v[56:57], -v[76:77]
	v_add_f64 v[70:71], v[68:69], v[80:81]
	v_add_f64 v[50:51], v[52:53], v[50:51]
	v_ldexp_f64 v[52:53], v[74:75], 2
	v_add_f64 v[56:57], v[70:71], v[52:53]
	v_cmp_gt_f64_e64 s[8:9], 0, v[56:57]
	v_cndmask_b32_e64 v23, 0, v63, s[8:9]
	v_add_f64 v[52:53], v[52:53], v[22:23]
	v_add_f64 v[56:57], v[70:71], v[52:53]
	v_cvt_i32_f64_e32 v23, v[56:57]
	v_cvt_f64_i32_e32 v[56:57], v23
	v_add_f64 v[52:53], v[52:53], -v[56:57]
	v_add_f64 v[68:69], v[70:71], -v[68:69]
	v_add_f64 v[56:57], v[70:71], v[52:53]
	v_add_f64 v[68:69], v[80:81], -v[68:69]
	v_add_f64 v[52:53], v[56:57], -v[52:53]
	v_cmp_le_f64_e64 s[8:9], 0.5, v[56:57]
	v_add_f64 v[50:51], v[68:69], v[50:51]
	v_add_f64 v[52:53], v[70:71], -v[52:53]
	v_addc_co_u32_e64 v55, s[10:11], 0, v23, s[8:9]
	v_cndmask_b32_e64 v23, 0, v64, s[8:9]
	v_add_f64 v[50:51], v[50:51], v[52:53]
	v_add_f64 v[52:53], v[56:57], -v[22:23]
	v_add_f64 v[56:57], v[52:53], v[50:51]
	v_add_f64 v[52:53], v[56:57], -v[52:53]
	s_mov_b32 s30, s34
	v_add_f64 v[50:51], v[50:51], -v[52:53]
	v_mul_f64 v[52:53], v[56:57], s[30:31]
	v_fma_f64 v[58:59], v[56:57], s[30:31], -v[52:53]
	s_mov_b32 s39, s37
	v_fmac_f64_e32 v[58:59], s[38:39], v[56:57]
	v_fmac_f64_e32 v[58:59], s[30:31], v[50:51]
	v_add_f64 v[50:51], v[52:53], v[58:59]
	v_add_f64 v[52:53], v[50:51], -v[52:53]
	v_add_f64 v[52:53], v[58:59], -v[52:53]
	s_andn2_saveexec_b64 s[8:9], s[90:91]
	s_cbranch_execnz .LBB138_23
	s_branch .LBB138_24
.LBB138_22:                             ;   in Loop: Header=BB138_4 Depth=1
	s_andn2_saveexec_b64 s[8:9], s[90:91]
	s_cbranch_execz .LBB138_24
.LBB138_23:                             ;   in Loop: Header=BB138_4 Depth=1
	v_mul_f64 v[50:51], |v[16:17]|, s[40:41]
	v_rndne_f64_e32 v[56:57], v[50:51]
	v_fma_f64 v[50:51], v[56:57], s[34:35], |v[16:17]|
	v_mul_f64 v[58:59], v[56:57], s[42:43]
	v_add_f64 v[70:71], v[50:51], v[58:59]
	v_fma_f64 v[52:53], s[42:43], v[56:57], v[50:51]
	s_mov_b32 s36, s42
	v_add_f64 v[50:51], v[50:51], -v[70:71]
	v_fma_f64 v[68:69], s[36:37], v[56:57], v[58:59]
	v_add_f64 v[50:51], v[50:51], v[58:59]
	v_add_f64 v[58:59], v[70:71], -v[52:53]
	v_add_f64 v[50:51], v[58:59], v[50:51]
	v_add_f64 v[58:59], v[50:51], -v[68:69]
	v_fmac_f64_e32 v[58:59], s[44:45], v[56:57]
	v_add_f64 v[50:51], v[52:53], v[58:59]
	v_add_f64 v[52:53], v[50:51], -v[52:53]
	v_add_f64 v[52:53], v[58:59], -v[52:53]
	v_cvt_i32_f64_e32 v55, v[56:57]
.LBB138_24:                             ;   in Loop: Header=BB138_4 Depth=1
	s_or_b64 exec, exec, s[8:9]
	v_mul_f64 v[56:57], v[14:15], s[46:47]
	v_rndne_f64_e32 v[56:57], v[56:57]
	v_fma_f64 v[58:59], s[48:49], v[56:57], v[14:15]
	v_fmac_f64_e32 v[58:59], s[50:51], v[56:57]
	v_pk_mov_b32 v[68:69], v[32:33], v[32:33] op_sel:[0,1]
	v_fmac_f64_e32 v[68:69], s[52:53], v[58:59]
	v_pk_mov_b32 v[70:71], v[34:35], v[34:35] op_sel:[0,1]
	v_fmac_f64_e32 v[70:71], v[58:59], v[68:69]
	v_pk_mov_b32 v[68:69], v[36:37], v[36:37] op_sel:[0,1]
	v_fmac_f64_e32 v[68:69], v[58:59], v[70:71]
	v_pk_mov_b32 v[70:71], v[38:39], v[38:39] op_sel:[0,1]
	v_fmac_f64_e32 v[70:71], v[58:59], v[68:69]
	v_pk_mov_b32 v[68:69], v[40:41], v[40:41] op_sel:[0,1]
	v_fmac_f64_e32 v[68:69], v[58:59], v[70:71]
	v_pk_mov_b32 v[70:71], v[42:43], v[42:43] op_sel:[0,1]
	v_fmac_f64_e32 v[70:71], v[58:59], v[68:69]
	v_pk_mov_b32 v[68:69], v[44:45], v[44:45] op_sel:[0,1]
	v_fmac_f64_e32 v[68:69], v[58:59], v[70:71]
	v_pk_mov_b32 v[70:71], v[46:47], v[46:47] op_sel:[0,1]
	v_fmac_f64_e32 v[70:71], v[58:59], v[68:69]
	v_pk_mov_b32 v[68:69], v[48:49], v[48:49] op_sel:[0,1]
	v_fmac_f64_e32 v[68:69], v[58:59], v[70:71]
	v_fma_f64 v[68:69], v[58:59], v[68:69], 1.0
	v_fma_f64 v[58:59], v[58:59], v[68:69], 1.0
	v_cvt_i32_f64_e32 v23, v[56:57]
	v_ldexp_f64 v[56:57], v[58:59], v23
	v_cmp_nlt_f64_e64 s[8:9], s[58:59], v[14:15]
	v_cmp_ngt_f64_e64 s[10:11], s[60:61], v[14:15]
	v_cndmask_b32_e64 v23, v65, v57, s[8:9]
	s_and_b64 s[8:9], s[10:11], s[8:9]
	v_cndmask_b32_e64 v14, 0, v56, s[8:9]
	v_mul_f64 v[56:57], v[6:7], v[6:7]
	v_pk_mov_b32 v[72:73], s[62:63], s[62:63] op_sel:[0,1]
	v_mul_f64 v[58:59], v[56:57], 0.5
	v_fma_f64 v[74:75], s[64:65], v[56:57], v[72:73]
	v_add_f64 v[68:69], -v[58:59], 1.0
	v_fma_f64 v[74:75], v[56:57], v[74:75], s[66:67]
	v_add_f64 v[70:71], -v[68:69], 1.0
	v_fma_f64 v[74:75], v[56:57], v[74:75], s[68:69]
	v_add_f64 v[58:59], v[70:71], -v[58:59]
	v_fma_f64 v[74:75], v[56:57], v[74:75], s[70:71]
	v_mul_f64 v[70:71], v[56:57], v[56:57]
	v_fma_f64 v[74:75], v[56:57], v[74:75], s[56:57]
	v_fma_f64 v[58:59], v[6:7], -v[8:9], v[58:59]
	v_fmac_f64_e32 v[58:59], v[70:71], v[74:75]
	v_add_f64 v[58:59], v[68:69], v[58:59]
	v_pk_mov_b32 v[68:69], s[72:73], s[72:73] op_sel:[0,1]
	v_fma_f64 v[70:71], s[74:75], v[56:57], v[68:69]
	v_fma_f64 v[70:71], v[56:57], v[70:71], s[76:77]
	;; [unrolled: 1-line block ×4, first 2 shown]
	v_mul_f64 v[74:75], v[6:7], -v[56:57]
	v_mul_f64 v[76:77], v[8:9], 0.5
	v_fmac_f64_e32 v[76:77], v[74:75], v[70:71]
	v_fma_f64 v[8:9], v[56:57], v[76:77], -v[8:9]
	s_mov_b32 s80, s56
	v_fmac_f64_e32 v[8:9], s[80:81], v[74:75]
	v_add_f64 v[6:7], v[6:7], -v[8:9]
	v_and_b32_e32 v8, 1, v54
	v_xor_b32_e32 v7, 0x80000000, v7
	v_cmp_eq_u32_e64 s[8:9], 0, v8
	v_lshlrev_b32_e32 v8, 30, v54
	v_cndmask_b32_e64 v7, v7, v59, s[8:9]
	v_and_b32_e32 v8, 0x80000000, v8
	v_xor_b32_e32 v7, v7, v8
	v_mul_f64 v[8:9], v[50:51], v[50:51]
	v_mul_f64 v[56:57], v[8:9], 0.5
	v_fmac_f64_e32 v[72:73], s[64:65], v[8:9]
	v_cndmask_b32_e64 v6, v6, v58, s[8:9]
	v_add_f64 v[58:59], -v[56:57], 1.0
	v_fma_f64 v[72:73], v[8:9], v[72:73], s[66:67]
	v_add_f64 v[70:71], -v[58:59], 1.0
	v_fma_f64 v[72:73], v[8:9], v[72:73], s[68:69]
	v_add_f64 v[56:57], v[70:71], -v[56:57]
	v_fma_f64 v[72:73], v[8:9], v[72:73], s[70:71]
	v_mul_f64 v[70:71], v[8:9], v[8:9]
	v_fma_f64 v[72:73], v[8:9], v[72:73], s[56:57]
	v_fma_f64 v[56:57], v[50:51], -v[52:53], v[56:57]
	v_fmac_f64_e32 v[56:57], v[70:71], v[72:73]
	v_fmac_f64_e32 v[68:69], s[74:75], v[8:9]
	v_add_f64 v[56:57], v[58:59], v[56:57]
	v_fma_f64 v[58:59], v[8:9], v[68:69], s[76:77]
	v_fma_f64 v[58:59], v[8:9], v[58:59], s[78:79]
	;; [unrolled: 1-line block ×3, first 2 shown]
	v_mul_f64 v[68:69], v[50:51], -v[8:9]
	v_mul_f64 v[70:71], v[52:53], 0.5
	v_fmac_f64_e32 v[70:71], v[68:69], v[58:59]
	v_cmp_class_f64_e64 s[8:9], v[16:17], s82
	v_fma_f64 v[8:9], v[8:9], v[70:71], -v[52:53]
	v_and_b32_e32 v16, 1, v55
	v_cndmask_b32_e64 v15, 0, v23, s[10:11]
	v_fmac_f64_e32 v[8:9], s[80:81], v[68:69]
	v_cmp_eq_u32_e64 s[10:11], 0, v16
	v_lshlrev_b32_e32 v16, 30, v55
	v_add_f64 v[8:9], v[50:51], -v[8:9]
	v_xor_b32_e32 v16, v16, v17
	v_cndmask_b32_e64 v9, v57, v9, s[10:11]
	v_and_b32_e32 v16, 0x80000000, v16
	v_cndmask_b32_e64 v8, v56, v8, s[10:11]
	v_xor_b32_e32 v9, v9, v16
	v_cndmask_b32_e64 v6, 0, v6, s[8:9]
	v_cndmask_b32_e64 v7, v66, v7, s[8:9]
	;; [unrolled: 1-line block ×4, first 2 shown]
	v_mul_f64 v[6:7], v[14:15], v[6:7]
	v_mul_f64 v[8:9], v[14:15], v[8:9]
                                        ; implicit-def: $vgpr16_vgpr17
                                        ; implicit-def: $vgpr67
.LBB138_25:                             ;   in Loop: Header=BB138_4 Depth=1
	s_andn2_saveexec_b64 s[90:91], s[12:13]
	s_cbranch_execz .LBB138_28
; %bb.26:                               ;   in Loop: Header=BB138_4 Depth=1
	v_cmp_nlt_f64_e64 s[12:13], |v[16:17]|, s[24:25]
                                        ; implicit-def: $vgpr54
                                        ; implicit-def: $vgpr6_vgpr7
                                        ; implicit-def: $vgpr8_vgpr9
	s_and_saveexec_b64 s[8:9], s[12:13]
	s_xor_b64 s[92:93], exec, s[8:9]
	s_cbranch_execz .LBB138_29
; %bb.27:                               ;   in Loop: Header=BB138_4 Depth=1
	v_ldexp_f64 v[50:51], |v[16:17]|, s83
	v_cmp_ge_f64_e64 s[8:9], |v[16:17]|, s[26:27]
	v_trig_preop_f64 v[6:7], |v[16:17]|, 0
	v_cndmask_b32_e64 v51, v67, v51, s[8:9]
	v_cndmask_b32_e64 v50, v16, v50, s[8:9]
	v_trig_preop_f64 v[8:9], |v[16:17]|, 1
	v_mul_f64 v[54:55], v[6:7], v[50:51]
	v_mul_f64 v[52:53], v[8:9], v[50:51]
	v_fma_f64 v[6:7], v[6:7], v[50:51], -v[54:55]
	v_add_f64 v[56:57], v[52:53], v[6:7]
	v_add_f64 v[58:59], v[54:55], v[56:57]
	v_ldexp_f64 v[68:69], v[58:59], -2
	v_fract_f64_e32 v[70:71], v[68:69]
	v_cmp_neq_f64_e64 s[8:9], |v[68:69]|, s[28:29]
	v_cndmask_b32_e64 v69, 0, v71, s[8:9]
	v_cndmask_b32_e64 v68, 0, v70, s[8:9]
	v_add_f64 v[70:71], v[56:57], -v[52:53]
	v_add_f64 v[6:7], v[6:7], -v[70:71]
	v_add_f64 v[70:71], v[56:57], -v[70:71]
	v_add_f64 v[70:71], v[52:53], -v[70:71]
	v_fma_f64 v[8:9], v[8:9], v[50:51], -v[52:53]
	v_trig_preop_f64 v[52:53], |v[16:17]|, 2
	v_add_f64 v[6:7], v[6:7], v[70:71]
	v_mul_f64 v[70:71], v[52:53], v[50:51]
	v_add_f64 v[72:73], v[70:71], v[8:9]
	v_add_f64 v[74:75], v[72:73], v[6:7]
	v_add_f64 v[54:55], v[58:59], -v[54:55]
	v_add_f64 v[58:59], v[74:75], -v[72:73]
	;; [unrolled: 1-line block ×5, first 2 shown]
	v_add_f64 v[6:7], v[6:7], v[58:59]
	v_add_f64 v[58:59], v[72:73], -v[70:71]
	v_add_f64 v[8:9], v[8:9], -v[58:59]
	;; [unrolled: 1-line block ×4, first 2 shown]
	v_add_f64 v[8:9], v[8:9], v[58:59]
	v_add_f64 v[54:55], v[56:57], -v[54:55]
	v_add_f64 v[6:7], v[8:9], v[6:7]
	v_fma_f64 v[8:9], v[52:53], v[50:51], -v[70:71]
	v_add_f64 v[56:57], v[54:55], v[74:75]
	v_add_f64 v[6:7], v[8:9], v[6:7]
	v_ldexp_f64 v[8:9], v[68:69], 2
	v_add_f64 v[50:51], v[56:57], v[8:9]
	v_cmp_gt_f64_e64 s[8:9], 0, v[50:51]
	v_cndmask_b32_e64 v23, 0, v63, s[8:9]
	v_add_f64 v[8:9], v[8:9], v[22:23]
	v_add_f64 v[50:51], v[56:57], v[8:9]
	v_cvt_i32_f64_e32 v23, v[50:51]
	v_cvt_f64_i32_e32 v[50:51], v23
	v_add_f64 v[8:9], v[8:9], -v[50:51]
	v_add_f64 v[54:55], v[56:57], -v[54:55]
	v_add_f64 v[50:51], v[56:57], v[8:9]
	v_add_f64 v[54:55], v[74:75], -v[54:55]
	v_add_f64 v[8:9], v[50:51], -v[8:9]
	v_cmp_le_f64_e64 s[8:9], 0.5, v[50:51]
	v_add_f64 v[6:7], v[54:55], v[6:7]
	v_add_f64 v[8:9], v[56:57], -v[8:9]
	v_addc_co_u32_e64 v54, s[10:11], 0, v23, s[8:9]
	v_cndmask_b32_e64 v23, 0, v64, s[8:9]
	v_add_f64 v[6:7], v[6:7], v[8:9]
	v_add_f64 v[8:9], v[50:51], -v[22:23]
	v_add_f64 v[50:51], v[8:9], v[6:7]
	v_add_f64 v[8:9], v[50:51], -v[8:9]
	s_mov_b32 s30, s34
	v_add_f64 v[6:7], v[6:7], -v[8:9]
	v_mul_f64 v[8:9], v[50:51], s[30:31]
	v_fma_f64 v[52:53], v[50:51], s[30:31], -v[8:9]
	s_mov_b32 s39, s37
	v_fmac_f64_e32 v[52:53], s[38:39], v[50:51]
	v_fmac_f64_e32 v[52:53], s[30:31], v[6:7]
	v_add_f64 v[6:7], v[8:9], v[52:53]
	v_add_f64 v[8:9], v[6:7], -v[8:9]
	v_add_f64 v[8:9], v[52:53], -v[8:9]
	s_andn2_saveexec_b64 s[8:9], s[92:93]
	s_cbranch_execz .LBB138_31
	s_branch .LBB138_30
.LBB138_28:                             ;   in Loop: Header=BB138_4 Depth=1
	s_or_b64 exec, exec, s[90:91]
                                        ; implicit-def: $vgpr14_vgpr15
                                        ; implicit-def: $vgpr23
	s_andn2_saveexec_b64 s[12:13], s[88:89]
	s_cbranch_execnz .LBB138_37
	s_branch .LBB138_42
.LBB138_29:                             ;   in Loop: Header=BB138_4 Depth=1
	s_andn2_saveexec_b64 s[8:9], s[92:93]
	s_cbranch_execz .LBB138_31
.LBB138_30:                             ;   in Loop: Header=BB138_4 Depth=1
	v_mul_f64 v[6:7], |v[16:17]|, s[40:41]
	v_rndne_f64_e32 v[50:51], v[6:7]
	v_fma_f64 v[6:7], v[50:51], s[34:35], |v[16:17]|
	v_mul_f64 v[52:53], v[50:51], s[42:43]
	v_add_f64 v[56:57], v[6:7], v[52:53]
	v_fma_f64 v[8:9], s[42:43], v[50:51], v[6:7]
	s_mov_b32 s36, s42
	v_add_f64 v[6:7], v[6:7], -v[56:57]
	v_fma_f64 v[54:55], s[36:37], v[50:51], v[52:53]
	v_add_f64 v[6:7], v[6:7], v[52:53]
	v_add_f64 v[52:53], v[56:57], -v[8:9]
	v_add_f64 v[6:7], v[52:53], v[6:7]
	v_add_f64 v[52:53], v[6:7], -v[54:55]
	v_fmac_f64_e32 v[52:53], s[44:45], v[50:51]
	v_add_f64 v[6:7], v[8:9], v[52:53]
	v_add_f64 v[8:9], v[6:7], -v[8:9]
	v_add_f64 v[8:9], v[52:53], -v[8:9]
	v_cvt_i32_f64_e32 v54, v[50:51]
.LBB138_31:                             ;   in Loop: Header=BB138_4 Depth=1
	s_or_b64 exec, exec, s[8:9]
                                        ; implicit-def: $vgpr55
                                        ; implicit-def: $vgpr50_vgpr51
                                        ; implicit-def: $vgpr52_vgpr53
	s_and_saveexec_b64 s[8:9], s[12:13]
	s_xor_b64 s[12:13], exec, s[8:9]
	s_cbranch_execz .LBB138_33
; %bb.32:                               ;   in Loop: Header=BB138_4 Depth=1
	v_ldexp_f64 v[56:57], |v[16:17]|, s83
	v_cmp_ge_f64_e64 s[8:9], |v[16:17]|, s[26:27]
	v_trig_preop_f64 v[50:51], |v[16:17]|, 0
	v_cndmask_b32_e64 v57, v67, v57, s[8:9]
	v_cndmask_b32_e64 v56, v16, v56, s[8:9]
	v_trig_preop_f64 v[52:53], |v[16:17]|, 1
	v_mul_f64 v[68:69], v[50:51], v[56:57]
	v_mul_f64 v[58:59], v[52:53], v[56:57]
	v_fma_f64 v[50:51], v[50:51], v[56:57], -v[68:69]
	v_add_f64 v[70:71], v[58:59], v[50:51]
	v_add_f64 v[72:73], v[68:69], v[70:71]
	v_ldexp_f64 v[74:75], v[72:73], -2
	v_fract_f64_e32 v[76:77], v[74:75]
	v_cmp_neq_f64_e64 s[8:9], |v[74:75]|, s[28:29]
	v_cndmask_b32_e64 v75, 0, v77, s[8:9]
	v_cndmask_b32_e64 v74, 0, v76, s[8:9]
	v_add_f64 v[76:77], v[70:71], -v[58:59]
	v_add_f64 v[50:51], v[50:51], -v[76:77]
	;; [unrolled: 1-line block ×4, first 2 shown]
	v_fma_f64 v[52:53], v[52:53], v[56:57], -v[58:59]
	v_trig_preop_f64 v[58:59], |v[16:17]|, 2
	v_add_f64 v[50:51], v[50:51], v[76:77]
	v_mul_f64 v[76:77], v[58:59], v[56:57]
	v_add_f64 v[78:79], v[76:77], v[52:53]
	v_add_f64 v[80:81], v[78:79], v[50:51]
	v_add_f64 v[68:69], v[72:73], -v[68:69]
	v_add_f64 v[72:73], v[80:81], -v[78:79]
	v_add_f64 v[50:51], v[50:51], -v[72:73]
	v_add_f64 v[72:73], v[80:81], -v[72:73]
	v_add_f64 v[72:73], v[78:79], -v[72:73]
	v_add_f64 v[50:51], v[50:51], v[72:73]
	v_add_f64 v[72:73], v[78:79], -v[76:77]
	v_add_f64 v[52:53], v[52:53], -v[72:73]
	;; [unrolled: 1-line block ×4, first 2 shown]
	v_add_f64 v[52:53], v[52:53], v[72:73]
	v_add_f64 v[68:69], v[70:71], -v[68:69]
	v_add_f64 v[50:51], v[52:53], v[50:51]
	v_fma_f64 v[52:53], v[58:59], v[56:57], -v[76:77]
	v_add_f64 v[70:71], v[68:69], v[80:81]
	v_add_f64 v[50:51], v[52:53], v[50:51]
	v_ldexp_f64 v[52:53], v[74:75], 2
	v_add_f64 v[56:57], v[70:71], v[52:53]
	v_cmp_gt_f64_e64 s[8:9], 0, v[56:57]
	v_cndmask_b32_e64 v23, 0, v63, s[8:9]
	v_add_f64 v[52:53], v[52:53], v[22:23]
	v_add_f64 v[56:57], v[70:71], v[52:53]
	v_cvt_i32_f64_e32 v23, v[56:57]
	v_cvt_f64_i32_e32 v[56:57], v23
	v_add_f64 v[52:53], v[52:53], -v[56:57]
	v_add_f64 v[68:69], v[70:71], -v[68:69]
	v_add_f64 v[56:57], v[70:71], v[52:53]
	v_add_f64 v[68:69], v[80:81], -v[68:69]
	v_add_f64 v[52:53], v[56:57], -v[52:53]
	v_cmp_le_f64_e64 s[8:9], 0.5, v[56:57]
	v_add_f64 v[50:51], v[68:69], v[50:51]
	v_add_f64 v[52:53], v[70:71], -v[52:53]
	v_addc_co_u32_e64 v55, s[10:11], 0, v23, s[8:9]
	v_cndmask_b32_e64 v23, 0, v64, s[8:9]
	v_add_f64 v[50:51], v[50:51], v[52:53]
	v_add_f64 v[52:53], v[56:57], -v[22:23]
	v_add_f64 v[56:57], v[52:53], v[50:51]
	v_add_f64 v[52:53], v[56:57], -v[52:53]
	s_mov_b32 s30, s34
	v_add_f64 v[50:51], v[50:51], -v[52:53]
	v_mul_f64 v[52:53], v[56:57], s[30:31]
	v_fma_f64 v[58:59], v[56:57], s[30:31], -v[52:53]
	s_mov_b32 s39, s37
	v_fmac_f64_e32 v[58:59], s[38:39], v[56:57]
	v_fmac_f64_e32 v[58:59], s[30:31], v[50:51]
	v_add_f64 v[50:51], v[52:53], v[58:59]
	v_add_f64 v[52:53], v[50:51], -v[52:53]
	v_add_f64 v[52:53], v[58:59], -v[52:53]
	s_andn2_saveexec_b64 s[8:9], s[12:13]
	s_cbranch_execnz .LBB138_34
	s_branch .LBB138_35
.LBB138_33:                             ;   in Loop: Header=BB138_4 Depth=1
	s_andn2_saveexec_b64 s[8:9], s[12:13]
	s_cbranch_execz .LBB138_35
.LBB138_34:                             ;   in Loop: Header=BB138_4 Depth=1
	v_mul_f64 v[50:51], |v[16:17]|, s[40:41]
	v_rndne_f64_e32 v[56:57], v[50:51]
	v_fma_f64 v[50:51], v[56:57], s[34:35], |v[16:17]|
	v_mul_f64 v[58:59], v[56:57], s[42:43]
	v_add_f64 v[70:71], v[50:51], v[58:59]
	v_fma_f64 v[52:53], s[42:43], v[56:57], v[50:51]
	s_mov_b32 s36, s42
	v_add_f64 v[50:51], v[50:51], -v[70:71]
	v_fma_f64 v[68:69], s[36:37], v[56:57], v[58:59]
	v_add_f64 v[50:51], v[50:51], v[58:59]
	v_add_f64 v[58:59], v[70:71], -v[52:53]
	v_add_f64 v[50:51], v[58:59], v[50:51]
	v_add_f64 v[58:59], v[50:51], -v[68:69]
	v_fmac_f64_e32 v[58:59], s[44:45], v[56:57]
	v_add_f64 v[50:51], v[52:53], v[58:59]
	v_add_f64 v[52:53], v[50:51], -v[52:53]
	v_add_f64 v[52:53], v[58:59], -v[52:53]
	v_cvt_i32_f64_e32 v55, v[56:57]
.LBB138_35:                             ;   in Loop: Header=BB138_4 Depth=1
	s_or_b64 exec, exec, s[8:9]
	v_mul_f64 v[56:57], v[6:7], v[6:7]
	v_pk_mov_b32 v[72:73], s[62:63], s[62:63] op_sel:[0,1]
	v_mul_f64 v[58:59], v[56:57], 0.5
	v_fma_f64 v[74:75], s[64:65], v[56:57], v[72:73]
	v_add_f64 v[68:69], -v[58:59], 1.0
	v_fma_f64 v[74:75], v[56:57], v[74:75], s[66:67]
	v_fma_f64 v[74:75], v[56:57], v[74:75], s[68:69]
	v_add_f64 v[76:77], -v[68:69], 1.0
	v_fma_f64 v[74:75], v[56:57], v[74:75], s[70:71]
	v_add_f64 v[58:59], v[76:77], -v[58:59]
	v_mul_f64 v[70:71], v[56:57], v[56:57]
	v_fma_f64 v[74:75], v[56:57], v[74:75], s[56:57]
	v_fma_f64 v[58:59], v[6:7], -v[8:9], v[58:59]
	v_fmac_f64_e32 v[58:59], v[70:71], v[74:75]
	v_pk_mov_b32 v[70:71], s[72:73], s[72:73] op_sel:[0,1]
	v_fma_f64 v[74:75], s[74:75], v[56:57], v[70:71]
	v_fma_f64 v[74:75], v[56:57], v[74:75], s[76:77]
	;; [unrolled: 1-line block ×3, first 2 shown]
	v_add_f64 v[58:59], v[68:69], v[58:59]
	v_mul_f64 v[68:69], v[6:7], -v[56:57]
	v_fma_f64 v[74:75], v[56:57], v[74:75], s[54:55]
	v_mul_f64 v[76:77], v[8:9], 0.5
	v_fmac_f64_e32 v[76:77], v[68:69], v[74:75]
	v_fma_f64 v[8:9], v[56:57], v[76:77], -v[8:9]
	s_mov_b32 s80, s56
	v_fmac_f64_e32 v[8:9], s[80:81], v[68:69]
	v_and_b32_e32 v23, 1, v54
	v_add_f64 v[6:7], v[6:7], -v[8:9]
	v_xor_b32_e32 v7, 0x80000000, v7
	v_cmp_eq_u32_e64 s[8:9], 0, v23
	v_lshlrev_b32_e32 v8, 30, v54
	s_mov_b32 s10, 0x19ba0da4
	v_cndmask_b32_e64 v7, v7, v59, s[8:9]
	v_and_b32_e32 v8, 0x80000000, v8
	s_mov_b32 s11, 0xc0937be3
	v_xor_b32_e32 v7, v7, v8
	v_add_f64 v[8:9], v[14:15], s[10:11]
	v_mul_f64 v[14:15], v[8:9], s[46:47]
	v_rndne_f64_e32 v[14:15], v[14:15]
	v_fma_f64 v[56:57], s[48:49], v[14:15], v[8:9]
	v_cndmask_b32_e64 v6, v6, v58, s[8:9]
	v_fmac_f64_e32 v[56:57], s[50:51], v[14:15]
	v_pk_mov_b32 v[58:59], v[32:33], v[32:33] op_sel:[0,1]
	v_fmac_f64_e32 v[58:59], s[52:53], v[56:57]
	v_pk_mov_b32 v[68:69], v[34:35], v[34:35] op_sel:[0,1]
	;; [unrolled: 2-line block ×9, first 2 shown]
	v_fmac_f64_e32 v[58:59], v[56:57], v[68:69]
	v_fma_f64 v[58:59], v[56:57], v[58:59], 1.0
	v_fma_f64 v[56:57], v[56:57], v[58:59], 1.0
	v_cvt_i32_f64_e32 v14, v[14:15]
	v_ldexp_f64 v[14:15], v[56:57], v14
	v_mul_f64 v[56:57], v[50:51], v[50:51]
	v_mul_f64 v[58:59], v[56:57], 0.5
	v_fmac_f64_e32 v[72:73], s[64:65], v[56:57]
	v_add_f64 v[68:69], -v[58:59], 1.0
	v_fma_f64 v[72:73], v[56:57], v[72:73], s[66:67]
	v_add_f64 v[74:75], -v[68:69], 1.0
	v_fma_f64 v[72:73], v[56:57], v[72:73], s[68:69]
	v_add_f64 v[58:59], v[74:75], -v[58:59]
	v_fma_f64 v[72:73], v[56:57], v[72:73], s[70:71]
	v_mul_f64 v[74:75], v[56:57], v[56:57]
	v_fma_f64 v[72:73], v[56:57], v[72:73], s[56:57]
	v_fma_f64 v[58:59], v[50:51], -v[52:53], v[58:59]
	v_fmac_f64_e32 v[58:59], v[74:75], v[72:73]
	v_fmac_f64_e32 v[70:71], s[74:75], v[56:57]
	v_add_f64 v[58:59], v[68:69], v[58:59]
	v_fma_f64 v[68:69], v[56:57], v[70:71], s[76:77]
	v_fma_f64 v[68:69], v[56:57], v[68:69], s[78:79]
	v_fma_f64 v[68:69], v[56:57], v[68:69], s[54:55]
	v_mul_f64 v[70:71], v[50:51], -v[56:57]
	v_mul_f64 v[72:73], v[52:53], 0.5
	v_cmp_nlt_f64_e64 s[10:11], s[58:59], v[8:9]
	v_fmac_f64_e32 v[72:73], v[70:71], v[68:69]
	v_cndmask_b32_e64 v15, v65, v15, s[10:11]
	v_cmp_ngt_f64_e64 s[12:13], s[60:61], v[8:9]
	v_fma_f64 v[52:53], v[56:57], v[72:73], -v[52:53]
	v_cmp_class_f64_e64 s[8:9], v[16:17], s82
	v_cndmask_b32_e64 v15, 0, v15, s[12:13]
	s_and_b64 s[10:11], s[12:13], s[10:11]
	v_fmac_f64_e32 v[52:53], s[80:81], v[70:71]
	v_and_b32_e32 v16, 1, v55
	v_cndmask_b32_e64 v8, 0, v14, s[10:11]
	v_lshrrev_b32_e32 v14, 20, v15
	v_add_f64 v[50:51], v[50:51], -v[52:53]
	v_cmp_eq_u32_e64 s[10:11], 0, v16
	v_add_u32_e32 v14, 0xffffff09, v14
	v_cndmask_b32_e64 v16, v58, v50, s[10:11]
	v_cndmask_b32_e64 v50, v59, v51, s[10:11]
	v_lshlrev_b32_e32 v51, 30, v55
	v_and_b32_e32 v9, 0xfffff, v15
	v_lshrrev_b16_e32 v15, 15, v14
	v_xor_b32_e32 v17, v51, v17
	v_add_u16_e32 v15, v14, v15
	v_and_b32_e32 v17, 0x80000000, v17
	v_ashrrev_i16_e32 v15, 1, v15
	v_xor_b32_e32 v17, v50, v17
	v_cndmask_b32_e64 v6, 0, v6, s[8:9]
	v_cndmask_b32_e64 v7, v66, v7, s[8:9]
	v_or_b32_e32 v9, 0x7fe00000, v9
	v_bfe_i32 v15, v15, 0, 16
	v_cndmask_b32_e64 v16, 0, v16, s[8:9]
	v_cndmask_b32_e64 v17, v66, v17, s[8:9]
	v_mul_f64 v[6:7], v[8:9], v[6:7]
	v_lshl_add_u32 v23, v15, 20, v64
	v_sub_u32_e32 v14, v14, v15
	v_mul_f64 v[8:9], v[8:9], v[16:17]
	v_mul_f64 v[6:7], v[6:7], v[22:23]
	v_lshl_add_u32 v15, v14, 20, v64
	v_mov_b32_e32 v14, v22
	v_mul_f64 v[8:9], v[8:9], v[22:23]
	v_mul_f64 v[6:7], v[6:7], v[14:15]
	;; [unrolled: 1-line block ×3, first 2 shown]
	s_or_b64 exec, exec, s[90:91]
                                        ; implicit-def: $vgpr14_vgpr15
                                        ; implicit-def: $vgpr23
.LBB138_36:                             ;   in Loop: Header=BB138_4 Depth=1
	s_andn2_saveexec_b64 s[12:13], s[88:89]
	s_cbranch_execz .LBB138_42
.LBB138_37:                             ;   in Loop: Header=BB138_4 Depth=1
	v_cmp_ne_u32_e64 s[8:9], 0, v14
	v_cmp_ne_u32_e64 s[10:11], s17, v23
	s_or_b64 s[8:9], s[8:9], s[10:11]
	v_add_f64 v[8:9], v[16:17], -v[16:17]
	s_and_saveexec_b64 s[10:11], s[8:9]
	s_xor_b64 s[8:9], exec, s[10:11]
; %bb.38:                               ;   in Loop: Header=BB138_4 Depth=1
                                        ; implicit-def: $vgpr14_vgpr15
; %bb.39:                               ;   in Loop: Header=BB138_4 Depth=1
	s_or_saveexec_b64 s[10:11], s[8:9]
	v_pk_mov_b32 v[6:7], v[8:9], v[8:9] op_sel:[0,1]
	s_xor_b64 exec, exec, s[10:11]
; %bb.40:                               ;   in Loop: Header=BB138_4 Depth=1
	v_cmp_lt_i64_e64 s[8:9], -1, v[14:15]
	v_cndmask_b32_e64 v7, 0, v15, s[8:9]
	v_cndmask_b32_e64 v6, 0, v14, s[8:9]
	;; [unrolled: 1-line block ×4, first 2 shown]
; %bb.41:                               ;   in Loop: Header=BB138_4 Depth=1
	s_or_b64 exec, exec, s[10:11]
.LBB138_42:                             ;   in Loop: Header=BB138_4 Depth=1
	s_or_b64 exec, exec, s[12:13]
                                        ; implicit-def: $vgpr16_vgpr17
                                        ; implicit-def: $vgpr67
.LBB138_43:                             ;   in Loop: Header=BB138_4 Depth=1
	s_andn2_saveexec_b64 s[12:13], s[86:87]
	s_cbranch_execz .LBB138_53
; %bb.44:                               ;   in Loop: Header=BB138_4 Depth=1
	v_cmp_nlt_f64_e64 s[86:87], |v[16:17]|, s[24:25]
	v_trig_preop_f64 v[52:53], |v[16:17]|, 0
	v_trig_preop_f64 v[50:51], |v[16:17]|, 1
	v_ldexp_f64 v[54:55], |v[16:17]|, s83
	v_trig_preop_f64 v[14:15], |v[16:17]|, 2
                                        ; implicit-def: $vgpr68
                                        ; implicit-def: $vgpr6_vgpr7
                                        ; implicit-def: $vgpr8_vgpr9
	s_and_saveexec_b64 s[8:9], s[86:87]
	s_xor_b64 s[88:89], exec, s[8:9]
	s_cbranch_execz .LBB138_46
; %bb.45:                               ;   in Loop: Header=BB138_4 Depth=1
	v_cmp_ge_f64_e64 s[8:9], |v[16:17]|, s[26:27]
	v_cndmask_b32_e64 v7, v67, v55, s[8:9]
	v_cndmask_b32_e64 v6, v16, v54, s[8:9]
	v_mul_f64 v[56:57], v[52:53], v[6:7]
	v_mul_f64 v[8:9], v[50:51], v[6:7]
	v_fma_f64 v[58:59], v[52:53], v[6:7], -v[56:57]
	v_add_f64 v[68:69], v[8:9], v[58:59]
	v_add_f64 v[70:71], v[56:57], v[68:69]
	v_ldexp_f64 v[72:73], v[70:71], -2
	v_fract_f64_e32 v[74:75], v[72:73]
	v_cmp_neq_f64_e64 s[8:9], |v[72:73]|, s[28:29]
	v_cndmask_b32_e64 v73, 0, v75, s[8:9]
	v_cndmask_b32_e64 v72, 0, v74, s[8:9]
	v_add_f64 v[74:75], v[68:69], -v[8:9]
	v_add_f64 v[58:59], v[58:59], -v[74:75]
	;; [unrolled: 1-line block ×4, first 2 shown]
	v_add_f64 v[58:59], v[58:59], v[74:75]
	v_fma_f64 v[8:9], v[50:51], v[6:7], -v[8:9]
	v_mul_f64 v[74:75], v[14:15], v[6:7]
	v_add_f64 v[76:77], v[74:75], v[8:9]
	v_add_f64 v[78:79], v[76:77], v[58:59]
	v_add_f64 v[56:57], v[70:71], -v[56:57]
	v_add_f64 v[70:71], v[78:79], -v[76:77]
	;; [unrolled: 1-line block ×5, first 2 shown]
	v_add_f64 v[58:59], v[58:59], v[70:71]
	v_add_f64 v[70:71], v[76:77], -v[74:75]
	v_add_f64 v[8:9], v[8:9], -v[70:71]
	;; [unrolled: 1-line block ×5, first 2 shown]
	v_add_f64 v[68:69], v[56:57], v[78:79]
	v_add_f64 v[8:9], v[8:9], v[70:71]
	v_add_f64 v[56:57], v[68:69], -v[56:57]
	v_add_f64 v[8:9], v[8:9], v[58:59]
	v_fma_f64 v[6:7], v[14:15], v[6:7], -v[74:75]
	v_add_f64 v[56:57], v[78:79], -v[56:57]
	v_add_f64 v[6:7], v[6:7], v[8:9]
	v_ldexp_f64 v[8:9], v[72:73], 2
	v_add_f64 v[6:7], v[56:57], v[6:7]
	v_add_f64 v[56:57], v[68:69], v[8:9]
	v_cmp_gt_f64_e64 s[8:9], 0, v[56:57]
	v_cndmask_b32_e64 v23, 0, v63, s[8:9]
	v_add_f64 v[8:9], v[8:9], v[22:23]
	v_add_f64 v[56:57], v[68:69], v[8:9]
	v_cvt_i32_f64_e32 v23, v[56:57]
	v_cvt_f64_i32_e32 v[56:57], v23
	v_add_f64 v[8:9], v[8:9], -v[56:57]
	v_add_f64 v[56:57], v[68:69], v[8:9]
	v_add_f64 v[8:9], v[56:57], -v[8:9]
	v_cmp_le_f64_e64 s[8:9], 0.5, v[56:57]
	v_add_f64 v[8:9], v[68:69], -v[8:9]
	v_addc_co_u32_e64 v68, s[10:11], 0, v23, s[8:9]
	v_cndmask_b32_e64 v23, 0, v64, s[8:9]
	v_add_f64 v[6:7], v[6:7], v[8:9]
	v_add_f64 v[8:9], v[56:57], -v[22:23]
	v_add_f64 v[56:57], v[8:9], v[6:7]
	v_add_f64 v[8:9], v[56:57], -v[8:9]
	s_mov_b32 s30, s34
	v_add_f64 v[6:7], v[6:7], -v[8:9]
	v_mul_f64 v[8:9], v[56:57], s[30:31]
	v_fma_f64 v[58:59], v[56:57], s[30:31], -v[8:9]
	s_mov_b32 s39, s37
	v_fmac_f64_e32 v[58:59], s[38:39], v[56:57]
	v_fmac_f64_e32 v[58:59], s[30:31], v[6:7]
	v_add_f64 v[6:7], v[8:9], v[58:59]
	v_add_f64 v[8:9], v[6:7], -v[8:9]
	v_add_f64 v[8:9], v[58:59], -v[8:9]
	s_andn2_saveexec_b64 s[8:9], s[88:89]
	s_cbranch_execz .LBB138_48
	s_branch .LBB138_47
.LBB138_46:                             ;   in Loop: Header=BB138_4 Depth=1
	s_andn2_saveexec_b64 s[8:9], s[88:89]
	s_cbranch_execz .LBB138_48
.LBB138_47:                             ;   in Loop: Header=BB138_4 Depth=1
	v_mul_f64 v[6:7], |v[16:17]|, s[40:41]
	v_rndne_f64_e32 v[56:57], v[6:7]
	v_fma_f64 v[6:7], v[56:57], s[34:35], |v[16:17]|
	v_mul_f64 v[58:59], v[56:57], s[42:43]
	v_add_f64 v[70:71], v[6:7], v[58:59]
	v_fma_f64 v[8:9], s[42:43], v[56:57], v[6:7]
	s_mov_b32 s36, s42
	v_add_f64 v[6:7], v[6:7], -v[70:71]
	v_fma_f64 v[68:69], s[36:37], v[56:57], v[58:59]
	v_add_f64 v[6:7], v[6:7], v[58:59]
	v_add_f64 v[58:59], v[70:71], -v[8:9]
	v_add_f64 v[6:7], v[58:59], v[6:7]
	v_add_f64 v[58:59], v[6:7], -v[68:69]
	v_fmac_f64_e32 v[58:59], s[44:45], v[56:57]
	v_add_f64 v[6:7], v[8:9], v[58:59]
	v_add_f64 v[8:9], v[6:7], -v[8:9]
	v_add_f64 v[8:9], v[58:59], -v[8:9]
	v_cvt_i32_f64_e32 v68, v[56:57]
.LBB138_48:                             ;   in Loop: Header=BB138_4 Depth=1
	s_or_b64 exec, exec, s[8:9]
                                        ; implicit-def: $vgpr69
                                        ; implicit-def: $vgpr56_vgpr57
                                        ; implicit-def: $vgpr58_vgpr59
	s_and_saveexec_b64 s[8:9], s[86:87]
	s_xor_b64 s[86:87], exec, s[8:9]
	s_cbranch_execz .LBB138_50
; %bb.49:                               ;   in Loop: Header=BB138_4 Depth=1
	v_cmp_ge_f64_e64 s[8:9], |v[16:17]|, s[26:27]
	v_cndmask_b32_e64 v55, v67, v55, s[8:9]
	v_cndmask_b32_e64 v54, v16, v54, s[8:9]
	v_mul_f64 v[58:59], v[52:53], v[54:55]
	v_mul_f64 v[56:57], v[50:51], v[54:55]
	v_fma_f64 v[52:53], v[52:53], v[54:55], -v[58:59]
	v_add_f64 v[70:71], v[56:57], v[52:53]
	v_add_f64 v[72:73], v[58:59], v[70:71]
	v_ldexp_f64 v[74:75], v[72:73], -2
	v_fract_f64_e32 v[76:77], v[74:75]
	v_cmp_neq_f64_e64 s[8:9], |v[74:75]|, s[28:29]
	v_cndmask_b32_e64 v75, 0, v77, s[8:9]
	v_cndmask_b32_e64 v74, 0, v76, s[8:9]
	v_add_f64 v[76:77], v[70:71], -v[56:57]
	v_add_f64 v[52:53], v[52:53], -v[76:77]
	;; [unrolled: 1-line block ×4, first 2 shown]
	v_fma_f64 v[50:51], v[50:51], v[54:55], -v[56:57]
	v_mul_f64 v[56:57], v[14:15], v[54:55]
	v_add_f64 v[52:53], v[52:53], v[76:77]
	v_add_f64 v[76:77], v[56:57], v[50:51]
	;; [unrolled: 1-line block ×3, first 2 shown]
	v_add_f64 v[58:59], v[72:73], -v[58:59]
	v_add_f64 v[72:73], v[78:79], -v[76:77]
	;; [unrolled: 1-line block ×5, first 2 shown]
	v_add_f64 v[52:53], v[52:53], v[72:73]
	v_add_f64 v[72:73], v[76:77], -v[56:57]
	v_add_f64 v[50:51], v[50:51], -v[72:73]
	;; [unrolled: 1-line block ×4, first 2 shown]
	v_add_f64 v[50:51], v[50:51], v[72:73]
	v_add_f64 v[58:59], v[70:71], -v[58:59]
	v_add_f64 v[50:51], v[50:51], v[52:53]
	v_fma_f64 v[14:15], v[14:15], v[54:55], -v[56:57]
	v_add_f64 v[70:71], v[58:59], v[78:79]
	v_add_f64 v[14:15], v[14:15], v[50:51]
	v_ldexp_f64 v[50:51], v[74:75], 2
	v_add_f64 v[52:53], v[70:71], v[50:51]
	v_cmp_gt_f64_e64 s[8:9], 0, v[52:53]
	v_cndmask_b32_e64 v23, 0, v63, s[8:9]
	v_add_f64 v[50:51], v[50:51], v[22:23]
	v_add_f64 v[52:53], v[70:71], v[50:51]
	v_cvt_i32_f64_e32 v23, v[52:53]
	v_cvt_f64_i32_e32 v[52:53], v23
	v_add_f64 v[50:51], v[50:51], -v[52:53]
	v_add_f64 v[58:59], v[70:71], -v[58:59]
	v_add_f64 v[52:53], v[70:71], v[50:51]
	v_add_f64 v[58:59], v[78:79], -v[58:59]
	v_add_f64 v[50:51], v[52:53], -v[50:51]
	v_cmp_le_f64_e64 s[8:9], 0.5, v[52:53]
	v_add_f64 v[14:15], v[58:59], v[14:15]
	v_add_f64 v[50:51], v[70:71], -v[50:51]
	v_addc_co_u32_e64 v69, s[10:11], 0, v23, s[8:9]
	v_cndmask_b32_e64 v23, 0, v64, s[8:9]
	v_add_f64 v[14:15], v[14:15], v[50:51]
	v_add_f64 v[50:51], v[52:53], -v[22:23]
	v_add_f64 v[52:53], v[50:51], v[14:15]
	v_add_f64 v[50:51], v[52:53], -v[50:51]
	s_mov_b32 s30, s34
	v_add_f64 v[14:15], v[14:15], -v[50:51]
	v_mul_f64 v[50:51], v[52:53], s[30:31]
	v_fma_f64 v[54:55], v[52:53], s[30:31], -v[50:51]
	s_mov_b32 s39, s37
	v_fmac_f64_e32 v[54:55], s[38:39], v[52:53]
	v_fmac_f64_e32 v[54:55], s[30:31], v[14:15]
	v_add_f64 v[56:57], v[50:51], v[54:55]
	v_add_f64 v[14:15], v[56:57], -v[50:51]
	v_add_f64 v[58:59], v[54:55], -v[14:15]
	s_andn2_saveexec_b64 s[8:9], s[86:87]
	s_cbranch_execnz .LBB138_51
	s_branch .LBB138_52
.LBB138_50:                             ;   in Loop: Header=BB138_4 Depth=1
	s_andn2_saveexec_b64 s[8:9], s[86:87]
	s_cbranch_execz .LBB138_52
.LBB138_51:                             ;   in Loop: Header=BB138_4 Depth=1
	v_mul_f64 v[14:15], |v[16:17]|, s[40:41]
	v_rndne_f64_e32 v[14:15], v[14:15]
	v_fma_f64 v[50:51], v[14:15], s[34:35], |v[16:17]|
	v_mul_f64 v[54:55], v[14:15], s[42:43]
	v_add_f64 v[58:59], v[50:51], v[54:55]
	v_fma_f64 v[52:53], s[42:43], v[14:15], v[50:51]
	s_mov_b32 s36, s42
	v_add_f64 v[50:51], v[50:51], -v[58:59]
	v_fma_f64 v[56:57], s[36:37], v[14:15], v[54:55]
	v_add_f64 v[50:51], v[50:51], v[54:55]
	v_add_f64 v[54:55], v[58:59], -v[52:53]
	v_add_f64 v[50:51], v[54:55], v[50:51]
	v_add_f64 v[50:51], v[50:51], -v[56:57]
	v_fmac_f64_e32 v[50:51], s[44:45], v[14:15]
	v_add_f64 v[56:57], v[52:53], v[50:51]
	v_add_f64 v[52:53], v[56:57], -v[52:53]
	v_add_f64 v[58:59], v[50:51], -v[52:53]
	v_cvt_i32_f64_e32 v69, v[14:15]
.LBB138_52:                             ;   in Loop: Header=BB138_4 Depth=1
	s_or_b64 exec, exec, s[8:9]
	v_mul_f64 v[14:15], v[6:7], v[6:7]
	v_pk_mov_b32 v[70:71], s[62:63], s[62:63] op_sel:[0,1]
	v_mul_f64 v[50:51], v[14:15], 0.5
	v_fma_f64 v[72:73], s[64:65], v[14:15], v[70:71]
	v_add_f64 v[52:53], -v[50:51], 1.0
	v_fma_f64 v[72:73], v[14:15], v[72:73], s[66:67]
	v_add_f64 v[54:55], -v[52:53], 1.0
	v_fma_f64 v[72:73], v[14:15], v[72:73], s[68:69]
	v_add_f64 v[50:51], v[54:55], -v[50:51]
	v_fma_f64 v[72:73], v[14:15], v[72:73], s[70:71]
	v_mul_f64 v[54:55], v[14:15], v[14:15]
	v_fma_f64 v[72:73], v[14:15], v[72:73], s[56:57]
	v_fma_f64 v[50:51], v[6:7], -v[8:9], v[50:51]
	v_fmac_f64_e32 v[50:51], v[54:55], v[72:73]
	v_add_f64 v[50:51], v[52:53], v[50:51]
	v_pk_mov_b32 v[52:53], s[72:73], s[72:73] op_sel:[0,1]
	v_fma_f64 v[54:55], s[74:75], v[14:15], v[52:53]
	v_fma_f64 v[54:55], v[14:15], v[54:55], s[76:77]
	;; [unrolled: 1-line block ×4, first 2 shown]
	v_mul_f64 v[72:73], v[6:7], -v[14:15]
	v_mul_f64 v[74:75], v[8:9], 0.5
	v_fmac_f64_e32 v[74:75], v[72:73], v[54:55]
	v_fma_f64 v[8:9], v[14:15], v[74:75], -v[8:9]
	s_mov_b32 s80, s56
	v_fmac_f64_e32 v[8:9], s[80:81], v[72:73]
	v_add_f64 v[6:7], v[6:7], -v[8:9]
	v_and_b32_e32 v8, 1, v68
	v_xor_b32_e32 v7, 0x80000000, v7
	v_cmp_eq_u32_e64 s[8:9], 0, v8
	v_lshlrev_b32_e32 v8, 30, v68
	v_cndmask_b32_e64 v7, v7, v51, s[8:9]
	v_and_b32_e32 v8, 0x80000000, v8
	v_xor_b32_e32 v7, v7, v8
	v_mul_f64 v[8:9], v[56:57], v[56:57]
	v_mul_f64 v[14:15], v[8:9], 0.5
	v_fmac_f64_e32 v[70:71], s[64:65], v[8:9]
	v_cndmask_b32_e64 v6, v6, v50, s[8:9]
	v_add_f64 v[50:51], -v[14:15], 1.0
	v_fma_f64 v[70:71], v[8:9], v[70:71], s[66:67]
	v_add_f64 v[54:55], -v[50:51], 1.0
	v_fma_f64 v[70:71], v[8:9], v[70:71], s[68:69]
	v_add_f64 v[14:15], v[54:55], -v[14:15]
	v_fma_f64 v[70:71], v[8:9], v[70:71], s[70:71]
	v_mul_f64 v[54:55], v[8:9], v[8:9]
	v_fma_f64 v[70:71], v[8:9], v[70:71], s[56:57]
	v_fma_f64 v[14:15], v[56:57], -v[58:59], v[14:15]
	v_fmac_f64_e32 v[14:15], v[54:55], v[70:71]
	v_fmac_f64_e32 v[52:53], s[74:75], v[8:9]
	v_add_f64 v[14:15], v[50:51], v[14:15]
	v_fma_f64 v[50:51], v[8:9], v[52:53], s[76:77]
	v_fma_f64 v[50:51], v[8:9], v[50:51], s[78:79]
	;; [unrolled: 1-line block ×3, first 2 shown]
	v_mul_f64 v[52:53], v[56:57], -v[8:9]
	v_mul_f64 v[54:55], v[58:59], 0.5
	v_fmac_f64_e32 v[54:55], v[52:53], v[50:51]
	v_fma_f64 v[8:9], v[8:9], v[54:55], -v[58:59]
	v_cmp_class_f64_e64 s[8:9], v[16:17], s82
	v_fmac_f64_e32 v[8:9], s[80:81], v[52:53]
	v_and_b32_e32 v16, 1, v69
	v_add_f64 v[8:9], v[56:57], -v[8:9]
	v_cmp_eq_u32_e64 s[10:11], 0, v16
	v_cndmask_b32_e64 v8, v14, v8, s[10:11]
	v_lshlrev_b32_e32 v14, 30, v69
	v_xor_b32_e32 v14, v14, v17
	v_cndmask_b32_e64 v9, v15, v9, s[10:11]
	v_and_b32_e32 v14, 0x80000000, v14
	v_xor_b32_e32 v9, v9, v14
	v_cndmask_b32_e64 v6, 0, v6, s[8:9]
	v_cndmask_b32_e64 v7, v66, v7, s[8:9]
	;; [unrolled: 1-line block ×4, first 2 shown]
.LBB138_53:                             ;   in Loop: Header=BB138_4 Depth=1
	s_or_b64 exec, exec, s[12:13]
                                        ; implicit-def: $vgpr14_vgpr15
.LBB138_54:                             ;   in Loop: Header=BB138_4 Depth=1
	s_andn2_saveexec_b64 s[12:13], s[84:85]
	s_cbranch_execz .LBB138_56
; %bb.55:                               ;   in Loop: Header=BB138_4 Depth=1
	v_mul_f64 v[6:7], v[14:15], s[46:47]
	v_rndne_f64_e32 v[6:7], v[6:7]
	v_fma_f64 v[8:9], s[48:49], v[6:7], v[14:15]
	v_fmac_f64_e32 v[8:9], s[50:51], v[6:7]
	v_pk_mov_b32 v[50:51], v[32:33], v[32:33] op_sel:[0,1]
	v_fmac_f64_e32 v[50:51], s[52:53], v[8:9]
	v_pk_mov_b32 v[52:53], v[34:35], v[34:35] op_sel:[0,1]
	;; [unrolled: 2-line block ×9, first 2 shown]
	v_fmac_f64_e32 v[50:51], v[8:9], v[52:53]
	v_fma_f64 v[50:51], v[8:9], v[50:51], 1.0
	v_fma_f64 v[8:9], v[8:9], v[50:51], 1.0
	v_cvt_i32_f64_e32 v6, v[6:7]
	v_ldexp_f64 v[6:7], v[8:9], v6
	v_cmp_nlt_f64_e64 s[8:9], s[58:59], v[14:15]
	v_cmp_ngt_f64_e64 s[10:11], s[60:61], v[14:15]
	v_cndmask_b32_e64 v7, v65, v7, s[8:9]
	s_and_b64 s[8:9], s[10:11], s[8:9]
	v_cndmask_b32_e64 v7, 0, v7, s[10:11]
	v_cndmask_b32_e64 v6, 0, v6, s[8:9]
	v_pk_mov_b32 v[8:9], v[16:17], v[16:17] op_sel:[0,1]
.LBB138_56:                             ;   in Loop: Header=BB138_4 Depth=1
	s_or_b64 exec, exec, s[12:13]
	v_and_b32_e32 v67, 0x7fffffff, v21
	v_or_b32_e32 v14, v67, v20
	v_cmp_ne_u32_e64 s[8:9], 0, v14
                                        ; implicit-def: $vgpr16_vgpr17
	s_and_saveexec_b64 s[10:11], s[8:9]
	s_xor_b64 s[84:85], exec, s[10:11]
	s_cbranch_execz .LBB138_98
; %bb.57:                               ;   in Loop: Header=BB138_4 Depth=1
	v_and_b32_e32 v23, 0x7fffffff, v19
	v_or_b32_e32 v14, v23, v18
	v_cmp_ne_u32_e64 s[8:9], 0, v14
                                        ; implicit-def: $vgpr16_vgpr17
	s_and_saveexec_b64 s[10:11], s[8:9]
	s_xor_b64 s[86:87], exec, s[10:11]
	s_cbranch_execz .LBB138_87
; %bb.58:                               ;   in Loop: Header=BB138_4 Depth=1
	v_cmp_gt_u32_e64 s[8:9], s17, v67
                                        ; implicit-def: $vgpr16_vgpr17
	s_and_saveexec_b64 s[10:11], s[8:9]
	s_xor_b64 s[88:89], exec, s[10:11]
	s_cbranch_execz .LBB138_80
; %bb.59:                               ;   in Loop: Header=BB138_4 Depth=1
	v_add_u32_e32 v14, 0xbf79d1be, v19
	s_mov_b32 s8, 0x108aa2
	v_cmp_lt_u32_e64 s[8:9], s8, v14
                                        ; implicit-def: $vgpr16_vgpr17
	s_and_saveexec_b64 s[10:11], s[8:9]
	s_xor_b64 s[12:13], exec, s[10:11]
	s_cbranch_execz .LBB138_69
; %bb.60:                               ;   in Loop: Header=BB138_4 Depth=1
	v_cmp_nlt_f64_e64 s[90:91], |v[20:21]|, s[24:25]
                                        ; implicit-def: $vgpr54
                                        ; implicit-def: $vgpr14_vgpr15
                                        ; implicit-def: $vgpr16_vgpr17
	s_and_saveexec_b64 s[8:9], s[90:91]
	s_xor_b64 s[92:93], exec, s[8:9]
	s_cbranch_execz .LBB138_62
; %bb.61:                               ;   in Loop: Header=BB138_4 Depth=1
	v_ldexp_f64 v[50:51], |v[20:21]|, s83
	v_cmp_ge_f64_e64 s[8:9], |v[20:21]|, s[26:27]
	v_trig_preop_f64 v[14:15], |v[20:21]|, 0
	v_cndmask_b32_e64 v51, v67, v51, s[8:9]
	v_cndmask_b32_e64 v50, v20, v50, s[8:9]
	v_trig_preop_f64 v[16:17], |v[20:21]|, 1
	v_mul_f64 v[54:55], v[14:15], v[50:51]
	v_mul_f64 v[52:53], v[16:17], v[50:51]
	v_fma_f64 v[14:15], v[14:15], v[50:51], -v[54:55]
	v_add_f64 v[56:57], v[52:53], v[14:15]
	v_add_f64 v[58:59], v[54:55], v[56:57]
	v_ldexp_f64 v[68:69], v[58:59], -2
	v_fract_f64_e32 v[70:71], v[68:69]
	v_cmp_neq_f64_e64 s[8:9], |v[68:69]|, s[28:29]
	v_cndmask_b32_e64 v69, 0, v71, s[8:9]
	v_cndmask_b32_e64 v68, 0, v70, s[8:9]
	v_add_f64 v[70:71], v[56:57], -v[52:53]
	v_add_f64 v[14:15], v[14:15], -v[70:71]
	;; [unrolled: 1-line block ×4, first 2 shown]
	v_fma_f64 v[16:17], v[16:17], v[50:51], -v[52:53]
	v_trig_preop_f64 v[52:53], |v[20:21]|, 2
	v_add_f64 v[14:15], v[14:15], v[70:71]
	v_mul_f64 v[70:71], v[52:53], v[50:51]
	v_add_f64 v[72:73], v[70:71], v[16:17]
	v_add_f64 v[74:75], v[72:73], v[14:15]
	v_add_f64 v[54:55], v[58:59], -v[54:55]
	v_add_f64 v[58:59], v[74:75], -v[72:73]
	;; [unrolled: 1-line block ×5, first 2 shown]
	v_add_f64 v[14:15], v[14:15], v[58:59]
	v_add_f64 v[58:59], v[72:73], -v[70:71]
	v_add_f64 v[16:17], v[16:17], -v[58:59]
	;; [unrolled: 1-line block ×4, first 2 shown]
	v_add_f64 v[16:17], v[16:17], v[58:59]
	v_add_f64 v[54:55], v[56:57], -v[54:55]
	v_add_f64 v[14:15], v[16:17], v[14:15]
	v_fma_f64 v[16:17], v[52:53], v[50:51], -v[70:71]
	v_add_f64 v[56:57], v[54:55], v[74:75]
	v_add_f64 v[14:15], v[16:17], v[14:15]
	v_ldexp_f64 v[16:17], v[68:69], 2
	v_add_f64 v[50:51], v[56:57], v[16:17]
	v_cmp_gt_f64_e64 s[8:9], 0, v[50:51]
	v_cndmask_b32_e64 v23, 0, v63, s[8:9]
	v_add_f64 v[16:17], v[16:17], v[22:23]
	v_add_f64 v[50:51], v[56:57], v[16:17]
	v_cvt_i32_f64_e32 v23, v[50:51]
	v_cvt_f64_i32_e32 v[50:51], v23
	v_add_f64 v[16:17], v[16:17], -v[50:51]
	v_add_f64 v[54:55], v[56:57], -v[54:55]
	v_add_f64 v[50:51], v[56:57], v[16:17]
	v_add_f64 v[54:55], v[74:75], -v[54:55]
	v_add_f64 v[16:17], v[50:51], -v[16:17]
	v_cmp_le_f64_e64 s[8:9], 0.5, v[50:51]
	v_add_f64 v[14:15], v[54:55], v[14:15]
	v_add_f64 v[16:17], v[56:57], -v[16:17]
	v_addc_co_u32_e64 v54, s[10:11], 0, v23, s[8:9]
	v_cndmask_b32_e64 v23, 0, v64, s[8:9]
	v_add_f64 v[14:15], v[14:15], v[16:17]
	v_add_f64 v[16:17], v[50:51], -v[22:23]
	v_add_f64 v[50:51], v[16:17], v[14:15]
	v_add_f64 v[16:17], v[50:51], -v[16:17]
	s_mov_b32 s30, s34
	v_add_f64 v[14:15], v[14:15], -v[16:17]
	v_mul_f64 v[16:17], v[50:51], s[30:31]
	v_fma_f64 v[52:53], v[50:51], s[30:31], -v[16:17]
	s_mov_b32 s39, s37
	v_fmac_f64_e32 v[52:53], s[38:39], v[50:51]
	v_fmac_f64_e32 v[52:53], s[30:31], v[14:15]
	v_add_f64 v[14:15], v[16:17], v[52:53]
	v_add_f64 v[16:17], v[14:15], -v[16:17]
	v_add_f64 v[16:17], v[52:53], -v[16:17]
	s_andn2_saveexec_b64 s[8:9], s[92:93]
	s_cbranch_execz .LBB138_64
	s_branch .LBB138_63
.LBB138_62:                             ;   in Loop: Header=BB138_4 Depth=1
	s_andn2_saveexec_b64 s[8:9], s[92:93]
	s_cbranch_execz .LBB138_64
.LBB138_63:                             ;   in Loop: Header=BB138_4 Depth=1
	v_mul_f64 v[14:15], |v[20:21]|, s[40:41]
	v_rndne_f64_e32 v[50:51], v[14:15]
	v_fma_f64 v[14:15], v[50:51], s[34:35], |v[20:21]|
	v_mul_f64 v[52:53], v[50:51], s[42:43]
	v_add_f64 v[56:57], v[14:15], v[52:53]
	v_fma_f64 v[16:17], s[42:43], v[50:51], v[14:15]
	s_mov_b32 s36, s42
	v_add_f64 v[14:15], v[14:15], -v[56:57]
	v_fma_f64 v[54:55], s[36:37], v[50:51], v[52:53]
	v_add_f64 v[14:15], v[14:15], v[52:53]
	v_add_f64 v[52:53], v[56:57], -v[16:17]
	v_add_f64 v[14:15], v[52:53], v[14:15]
	v_add_f64 v[52:53], v[14:15], -v[54:55]
	v_fmac_f64_e32 v[52:53], s[44:45], v[50:51]
	v_add_f64 v[14:15], v[16:17], v[52:53]
	v_add_f64 v[16:17], v[14:15], -v[16:17]
	v_add_f64 v[16:17], v[52:53], -v[16:17]
	v_cvt_i32_f64_e32 v54, v[50:51]
.LBB138_64:                             ;   in Loop: Header=BB138_4 Depth=1
	s_or_b64 exec, exec, s[8:9]
                                        ; implicit-def: $vgpr55
                                        ; implicit-def: $vgpr50_vgpr51
                                        ; implicit-def: $vgpr52_vgpr53
	s_and_saveexec_b64 s[8:9], s[90:91]
	s_xor_b64 s[90:91], exec, s[8:9]
	s_cbranch_execz .LBB138_66
; %bb.65:                               ;   in Loop: Header=BB138_4 Depth=1
	v_ldexp_f64 v[56:57], |v[20:21]|, s83
	v_cmp_ge_f64_e64 s[8:9], |v[20:21]|, s[26:27]
	v_trig_preop_f64 v[50:51], |v[20:21]|, 0
	v_cndmask_b32_e64 v57, v67, v57, s[8:9]
	v_cndmask_b32_e64 v56, v20, v56, s[8:9]
	v_trig_preop_f64 v[52:53], |v[20:21]|, 1
	v_mul_f64 v[68:69], v[50:51], v[56:57]
	v_mul_f64 v[58:59], v[52:53], v[56:57]
	v_fma_f64 v[50:51], v[50:51], v[56:57], -v[68:69]
	v_add_f64 v[70:71], v[58:59], v[50:51]
	v_add_f64 v[72:73], v[68:69], v[70:71]
	v_ldexp_f64 v[74:75], v[72:73], -2
	v_fract_f64_e32 v[76:77], v[74:75]
	v_cmp_neq_f64_e64 s[8:9], |v[74:75]|, s[28:29]
	v_cndmask_b32_e64 v75, 0, v77, s[8:9]
	v_cndmask_b32_e64 v74, 0, v76, s[8:9]
	v_add_f64 v[76:77], v[70:71], -v[58:59]
	v_add_f64 v[50:51], v[50:51], -v[76:77]
	;; [unrolled: 1-line block ×4, first 2 shown]
	v_fma_f64 v[52:53], v[52:53], v[56:57], -v[58:59]
	v_trig_preop_f64 v[58:59], |v[20:21]|, 2
	v_add_f64 v[50:51], v[50:51], v[76:77]
	v_mul_f64 v[76:77], v[58:59], v[56:57]
	v_add_f64 v[78:79], v[76:77], v[52:53]
	v_add_f64 v[80:81], v[78:79], v[50:51]
	v_add_f64 v[68:69], v[72:73], -v[68:69]
	v_add_f64 v[72:73], v[80:81], -v[78:79]
	;; [unrolled: 1-line block ×5, first 2 shown]
	v_add_f64 v[50:51], v[50:51], v[72:73]
	v_add_f64 v[72:73], v[78:79], -v[76:77]
	v_add_f64 v[52:53], v[52:53], -v[72:73]
	;; [unrolled: 1-line block ×4, first 2 shown]
	v_add_f64 v[52:53], v[52:53], v[72:73]
	v_add_f64 v[68:69], v[70:71], -v[68:69]
	v_add_f64 v[50:51], v[52:53], v[50:51]
	v_fma_f64 v[52:53], v[58:59], v[56:57], -v[76:77]
	v_add_f64 v[70:71], v[68:69], v[80:81]
	v_add_f64 v[50:51], v[52:53], v[50:51]
	v_ldexp_f64 v[52:53], v[74:75], 2
	v_add_f64 v[56:57], v[70:71], v[52:53]
	v_cmp_gt_f64_e64 s[8:9], 0, v[56:57]
	v_cndmask_b32_e64 v23, 0, v63, s[8:9]
	v_add_f64 v[52:53], v[52:53], v[22:23]
	v_add_f64 v[56:57], v[70:71], v[52:53]
	v_cvt_i32_f64_e32 v23, v[56:57]
	v_cvt_f64_i32_e32 v[56:57], v23
	v_add_f64 v[52:53], v[52:53], -v[56:57]
	v_add_f64 v[68:69], v[70:71], -v[68:69]
	v_add_f64 v[56:57], v[70:71], v[52:53]
	v_add_f64 v[68:69], v[80:81], -v[68:69]
	v_add_f64 v[52:53], v[56:57], -v[52:53]
	v_cmp_le_f64_e64 s[8:9], 0.5, v[56:57]
	v_add_f64 v[50:51], v[68:69], v[50:51]
	v_add_f64 v[52:53], v[70:71], -v[52:53]
	v_addc_co_u32_e64 v55, s[10:11], 0, v23, s[8:9]
	v_cndmask_b32_e64 v23, 0, v64, s[8:9]
	v_add_f64 v[50:51], v[50:51], v[52:53]
	v_add_f64 v[52:53], v[56:57], -v[22:23]
	v_add_f64 v[56:57], v[52:53], v[50:51]
	v_add_f64 v[52:53], v[56:57], -v[52:53]
	s_mov_b32 s30, s34
	v_add_f64 v[50:51], v[50:51], -v[52:53]
	v_mul_f64 v[52:53], v[56:57], s[30:31]
	v_fma_f64 v[58:59], v[56:57], s[30:31], -v[52:53]
	s_mov_b32 s39, s37
	v_fmac_f64_e32 v[58:59], s[38:39], v[56:57]
	v_fmac_f64_e32 v[58:59], s[30:31], v[50:51]
	v_add_f64 v[50:51], v[52:53], v[58:59]
	v_add_f64 v[52:53], v[50:51], -v[52:53]
	v_add_f64 v[52:53], v[58:59], -v[52:53]
	s_andn2_saveexec_b64 s[8:9], s[90:91]
	s_cbranch_execnz .LBB138_67
	s_branch .LBB138_68
.LBB138_66:                             ;   in Loop: Header=BB138_4 Depth=1
	s_andn2_saveexec_b64 s[8:9], s[90:91]
	s_cbranch_execz .LBB138_68
.LBB138_67:                             ;   in Loop: Header=BB138_4 Depth=1
	v_mul_f64 v[50:51], |v[20:21]|, s[40:41]
	v_rndne_f64_e32 v[56:57], v[50:51]
	v_fma_f64 v[50:51], v[56:57], s[34:35], |v[20:21]|
	v_mul_f64 v[58:59], v[56:57], s[42:43]
	v_add_f64 v[70:71], v[50:51], v[58:59]
	v_fma_f64 v[52:53], s[42:43], v[56:57], v[50:51]
	s_mov_b32 s36, s42
	v_add_f64 v[50:51], v[50:51], -v[70:71]
	v_fma_f64 v[68:69], s[36:37], v[56:57], v[58:59]
	v_add_f64 v[50:51], v[50:51], v[58:59]
	v_add_f64 v[58:59], v[70:71], -v[52:53]
	v_add_f64 v[50:51], v[58:59], v[50:51]
	v_add_f64 v[58:59], v[50:51], -v[68:69]
	v_fmac_f64_e32 v[58:59], s[44:45], v[56:57]
	v_add_f64 v[50:51], v[52:53], v[58:59]
	v_add_f64 v[52:53], v[50:51], -v[52:53]
	v_add_f64 v[52:53], v[58:59], -v[52:53]
	v_cvt_i32_f64_e32 v55, v[56:57]
.LBB138_68:                             ;   in Loop: Header=BB138_4 Depth=1
	s_or_b64 exec, exec, s[8:9]
	v_mul_f64 v[56:57], v[18:19], s[46:47]
	v_rndne_f64_e32 v[56:57], v[56:57]
	v_fma_f64 v[58:59], s[48:49], v[56:57], v[18:19]
	v_fmac_f64_e32 v[58:59], s[50:51], v[56:57]
	v_pk_mov_b32 v[68:69], v[32:33], v[32:33] op_sel:[0,1]
	v_fmac_f64_e32 v[68:69], s[52:53], v[58:59]
	v_pk_mov_b32 v[70:71], v[34:35], v[34:35] op_sel:[0,1]
	;; [unrolled: 2-line block ×9, first 2 shown]
	v_fmac_f64_e32 v[68:69], v[58:59], v[70:71]
	v_fma_f64 v[68:69], v[58:59], v[68:69], 1.0
	v_fma_f64 v[58:59], v[58:59], v[68:69], 1.0
	v_cvt_i32_f64_e32 v23, v[56:57]
	v_ldexp_f64 v[56:57], v[58:59], v23
	v_cmp_nlt_f64_e64 s[8:9], s[58:59], v[18:19]
	v_cmp_ngt_f64_e64 s[10:11], s[60:61], v[18:19]
	v_cndmask_b32_e64 v23, v65, v57, s[8:9]
	s_and_b64 s[8:9], s[10:11], s[8:9]
	v_cndmask_b32_e64 v18, 0, v56, s[8:9]
	v_mul_f64 v[56:57], v[14:15], v[14:15]
	v_pk_mov_b32 v[72:73], s[62:63], s[62:63] op_sel:[0,1]
	v_mul_f64 v[58:59], v[56:57], 0.5
	v_fma_f64 v[74:75], s[64:65], v[56:57], v[72:73]
	v_add_f64 v[68:69], -v[58:59], 1.0
	v_fma_f64 v[74:75], v[56:57], v[74:75], s[66:67]
	v_add_f64 v[70:71], -v[68:69], 1.0
	v_fma_f64 v[74:75], v[56:57], v[74:75], s[68:69]
	v_add_f64 v[58:59], v[70:71], -v[58:59]
	v_fma_f64 v[74:75], v[56:57], v[74:75], s[70:71]
	v_mul_f64 v[70:71], v[56:57], v[56:57]
	v_fma_f64 v[74:75], v[56:57], v[74:75], s[56:57]
	v_fma_f64 v[58:59], v[14:15], -v[16:17], v[58:59]
	v_fmac_f64_e32 v[58:59], v[70:71], v[74:75]
	v_add_f64 v[58:59], v[68:69], v[58:59]
	v_pk_mov_b32 v[68:69], s[72:73], s[72:73] op_sel:[0,1]
	v_fma_f64 v[70:71], s[74:75], v[56:57], v[68:69]
	v_fma_f64 v[70:71], v[56:57], v[70:71], s[76:77]
	v_fma_f64 v[70:71], v[56:57], v[70:71], s[78:79]
	v_fma_f64 v[70:71], v[56:57], v[70:71], s[54:55]
	v_mul_f64 v[74:75], v[14:15], -v[56:57]
	v_mul_f64 v[76:77], v[16:17], 0.5
	v_fmac_f64_e32 v[76:77], v[74:75], v[70:71]
	v_fma_f64 v[16:17], v[56:57], v[76:77], -v[16:17]
	s_mov_b32 s80, s56
	v_fmac_f64_e32 v[16:17], s[80:81], v[74:75]
	v_add_f64 v[14:15], v[14:15], -v[16:17]
	v_and_b32_e32 v16, 1, v54
	v_xor_b32_e32 v15, 0x80000000, v15
	v_cmp_eq_u32_e64 s[8:9], 0, v16
	v_lshlrev_b32_e32 v16, 30, v54
	v_cndmask_b32_e64 v15, v15, v59, s[8:9]
	v_and_b32_e32 v16, 0x80000000, v16
	v_xor_b32_e32 v15, v15, v16
	v_mul_f64 v[16:17], v[50:51], v[50:51]
	v_mul_f64 v[56:57], v[16:17], 0.5
	v_fmac_f64_e32 v[72:73], s[64:65], v[16:17]
	v_cndmask_b32_e64 v14, v14, v58, s[8:9]
	v_add_f64 v[58:59], -v[56:57], 1.0
	v_fma_f64 v[72:73], v[16:17], v[72:73], s[66:67]
	v_add_f64 v[70:71], -v[58:59], 1.0
	v_fma_f64 v[72:73], v[16:17], v[72:73], s[68:69]
	v_add_f64 v[56:57], v[70:71], -v[56:57]
	v_fma_f64 v[72:73], v[16:17], v[72:73], s[70:71]
	v_mul_f64 v[70:71], v[16:17], v[16:17]
	v_fma_f64 v[72:73], v[16:17], v[72:73], s[56:57]
	v_fma_f64 v[56:57], v[50:51], -v[52:53], v[56:57]
	v_fmac_f64_e32 v[56:57], v[70:71], v[72:73]
	v_fmac_f64_e32 v[68:69], s[74:75], v[16:17]
	v_add_f64 v[56:57], v[58:59], v[56:57]
	v_fma_f64 v[58:59], v[16:17], v[68:69], s[76:77]
	v_fma_f64 v[58:59], v[16:17], v[58:59], s[78:79]
	v_fma_f64 v[58:59], v[16:17], v[58:59], s[54:55]
	v_mul_f64 v[68:69], v[50:51], -v[16:17]
	v_mul_f64 v[70:71], v[52:53], 0.5
	v_fmac_f64_e32 v[70:71], v[68:69], v[58:59]
	v_cmp_class_f64_e64 s[8:9], v[20:21], s82
	v_fma_f64 v[16:17], v[16:17], v[70:71], -v[52:53]
	v_and_b32_e32 v20, 1, v55
	v_cndmask_b32_e64 v19, 0, v23, s[10:11]
	v_fmac_f64_e32 v[16:17], s[80:81], v[68:69]
	v_cmp_eq_u32_e64 s[10:11], 0, v20
	v_lshlrev_b32_e32 v20, 30, v55
	v_add_f64 v[16:17], v[50:51], -v[16:17]
	v_xor_b32_e32 v20, v20, v21
	v_cndmask_b32_e64 v17, v57, v17, s[10:11]
	v_and_b32_e32 v20, 0x80000000, v20
	v_cndmask_b32_e64 v16, v56, v16, s[10:11]
	v_xor_b32_e32 v17, v17, v20
	v_cndmask_b32_e64 v14, 0, v14, s[8:9]
	v_cndmask_b32_e64 v15, v66, v15, s[8:9]
	;; [unrolled: 1-line block ×4, first 2 shown]
	v_mul_f64 v[14:15], v[18:19], v[14:15]
	v_mul_f64 v[16:17], v[18:19], v[16:17]
                                        ; implicit-def: $vgpr20_vgpr21
                                        ; implicit-def: $vgpr67
.LBB138_69:                             ;   in Loop: Header=BB138_4 Depth=1
	s_andn2_saveexec_b64 s[90:91], s[12:13]
	s_cbranch_execz .LBB138_79
; %bb.70:                               ;   in Loop: Header=BB138_4 Depth=1
	v_cmp_nlt_f64_e64 s[12:13], |v[20:21]|, s[24:25]
                                        ; implicit-def: $vgpr54
                                        ; implicit-def: $vgpr14_vgpr15
                                        ; implicit-def: $vgpr16_vgpr17
	s_and_saveexec_b64 s[8:9], s[12:13]
	s_xor_b64 s[92:93], exec, s[8:9]
	s_cbranch_execz .LBB138_72
; %bb.71:                               ;   in Loop: Header=BB138_4 Depth=1
	v_ldexp_f64 v[50:51], |v[20:21]|, s83
	v_cmp_ge_f64_e64 s[8:9], |v[20:21]|, s[26:27]
	v_trig_preop_f64 v[14:15], |v[20:21]|, 0
	v_cndmask_b32_e64 v51, v67, v51, s[8:9]
	v_cndmask_b32_e64 v50, v20, v50, s[8:9]
	v_trig_preop_f64 v[16:17], |v[20:21]|, 1
	v_mul_f64 v[54:55], v[14:15], v[50:51]
	v_mul_f64 v[52:53], v[16:17], v[50:51]
	v_fma_f64 v[14:15], v[14:15], v[50:51], -v[54:55]
	v_add_f64 v[56:57], v[52:53], v[14:15]
	v_add_f64 v[58:59], v[54:55], v[56:57]
	v_ldexp_f64 v[68:69], v[58:59], -2
	v_fract_f64_e32 v[70:71], v[68:69]
	v_cmp_neq_f64_e64 s[8:9], |v[68:69]|, s[28:29]
	v_cndmask_b32_e64 v69, 0, v71, s[8:9]
	v_cndmask_b32_e64 v68, 0, v70, s[8:9]
	v_add_f64 v[70:71], v[56:57], -v[52:53]
	v_add_f64 v[14:15], v[14:15], -v[70:71]
	;; [unrolled: 1-line block ×4, first 2 shown]
	v_fma_f64 v[16:17], v[16:17], v[50:51], -v[52:53]
	v_trig_preop_f64 v[52:53], |v[20:21]|, 2
	v_add_f64 v[14:15], v[14:15], v[70:71]
	v_mul_f64 v[70:71], v[52:53], v[50:51]
	v_add_f64 v[72:73], v[70:71], v[16:17]
	v_add_f64 v[74:75], v[72:73], v[14:15]
	v_add_f64 v[54:55], v[58:59], -v[54:55]
	v_add_f64 v[58:59], v[74:75], -v[72:73]
	;; [unrolled: 1-line block ×5, first 2 shown]
	v_add_f64 v[14:15], v[14:15], v[58:59]
	v_add_f64 v[58:59], v[72:73], -v[70:71]
	v_add_f64 v[16:17], v[16:17], -v[58:59]
	;; [unrolled: 1-line block ×4, first 2 shown]
	v_add_f64 v[16:17], v[16:17], v[58:59]
	v_add_f64 v[54:55], v[56:57], -v[54:55]
	v_add_f64 v[14:15], v[16:17], v[14:15]
	v_fma_f64 v[16:17], v[52:53], v[50:51], -v[70:71]
	v_add_f64 v[56:57], v[54:55], v[74:75]
	v_add_f64 v[14:15], v[16:17], v[14:15]
	v_ldexp_f64 v[16:17], v[68:69], 2
	v_add_f64 v[50:51], v[56:57], v[16:17]
	v_cmp_gt_f64_e64 s[8:9], 0, v[50:51]
	v_cndmask_b32_e64 v23, 0, v63, s[8:9]
	v_add_f64 v[16:17], v[16:17], v[22:23]
	v_add_f64 v[50:51], v[56:57], v[16:17]
	v_cvt_i32_f64_e32 v23, v[50:51]
	v_cvt_f64_i32_e32 v[50:51], v23
	v_add_f64 v[16:17], v[16:17], -v[50:51]
	v_add_f64 v[54:55], v[56:57], -v[54:55]
	v_add_f64 v[50:51], v[56:57], v[16:17]
	v_add_f64 v[54:55], v[74:75], -v[54:55]
	v_add_f64 v[16:17], v[50:51], -v[16:17]
	v_cmp_le_f64_e64 s[8:9], 0.5, v[50:51]
	v_add_f64 v[14:15], v[54:55], v[14:15]
	v_add_f64 v[16:17], v[56:57], -v[16:17]
	v_addc_co_u32_e64 v54, s[10:11], 0, v23, s[8:9]
	v_cndmask_b32_e64 v23, 0, v64, s[8:9]
	v_add_f64 v[14:15], v[14:15], v[16:17]
	v_add_f64 v[16:17], v[50:51], -v[22:23]
	v_add_f64 v[50:51], v[16:17], v[14:15]
	v_add_f64 v[16:17], v[50:51], -v[16:17]
	s_mov_b32 s30, s34
	v_add_f64 v[14:15], v[14:15], -v[16:17]
	v_mul_f64 v[16:17], v[50:51], s[30:31]
	v_fma_f64 v[52:53], v[50:51], s[30:31], -v[16:17]
	s_mov_b32 s39, s37
	v_fmac_f64_e32 v[52:53], s[38:39], v[50:51]
	v_fmac_f64_e32 v[52:53], s[30:31], v[14:15]
	v_add_f64 v[14:15], v[16:17], v[52:53]
	v_add_f64 v[16:17], v[14:15], -v[16:17]
	v_add_f64 v[16:17], v[52:53], -v[16:17]
	s_andn2_saveexec_b64 s[8:9], s[92:93]
	s_cbranch_execz .LBB138_74
	s_branch .LBB138_73
.LBB138_72:                             ;   in Loop: Header=BB138_4 Depth=1
	s_andn2_saveexec_b64 s[8:9], s[92:93]
	s_cbranch_execz .LBB138_74
.LBB138_73:                             ;   in Loop: Header=BB138_4 Depth=1
	v_mul_f64 v[14:15], |v[20:21]|, s[40:41]
	v_rndne_f64_e32 v[50:51], v[14:15]
	v_fma_f64 v[14:15], v[50:51], s[34:35], |v[20:21]|
	v_mul_f64 v[52:53], v[50:51], s[42:43]
	v_add_f64 v[56:57], v[14:15], v[52:53]
	v_fma_f64 v[16:17], s[42:43], v[50:51], v[14:15]
	s_mov_b32 s36, s42
	v_add_f64 v[14:15], v[14:15], -v[56:57]
	v_fma_f64 v[54:55], s[36:37], v[50:51], v[52:53]
	v_add_f64 v[14:15], v[14:15], v[52:53]
	v_add_f64 v[52:53], v[56:57], -v[16:17]
	v_add_f64 v[14:15], v[52:53], v[14:15]
	v_add_f64 v[52:53], v[14:15], -v[54:55]
	v_fmac_f64_e32 v[52:53], s[44:45], v[50:51]
	v_add_f64 v[14:15], v[16:17], v[52:53]
	v_add_f64 v[16:17], v[14:15], -v[16:17]
	v_add_f64 v[16:17], v[52:53], -v[16:17]
	v_cvt_i32_f64_e32 v54, v[50:51]
.LBB138_74:                             ;   in Loop: Header=BB138_4 Depth=1
	s_or_b64 exec, exec, s[8:9]
                                        ; implicit-def: $vgpr55
                                        ; implicit-def: $vgpr50_vgpr51
                                        ; implicit-def: $vgpr52_vgpr53
	s_and_saveexec_b64 s[8:9], s[12:13]
	s_xor_b64 s[12:13], exec, s[8:9]
	s_cbranch_execz .LBB138_76
; %bb.75:                               ;   in Loop: Header=BB138_4 Depth=1
	v_ldexp_f64 v[56:57], |v[20:21]|, s83
	v_cmp_ge_f64_e64 s[8:9], |v[20:21]|, s[26:27]
	v_trig_preop_f64 v[50:51], |v[20:21]|, 0
	v_cndmask_b32_e64 v57, v67, v57, s[8:9]
	v_cndmask_b32_e64 v56, v20, v56, s[8:9]
	v_trig_preop_f64 v[52:53], |v[20:21]|, 1
	v_mul_f64 v[68:69], v[50:51], v[56:57]
	v_mul_f64 v[58:59], v[52:53], v[56:57]
	v_fma_f64 v[50:51], v[50:51], v[56:57], -v[68:69]
	v_add_f64 v[70:71], v[58:59], v[50:51]
	v_add_f64 v[72:73], v[68:69], v[70:71]
	v_ldexp_f64 v[74:75], v[72:73], -2
	v_fract_f64_e32 v[76:77], v[74:75]
	v_cmp_neq_f64_e64 s[8:9], |v[74:75]|, s[28:29]
	v_cndmask_b32_e64 v75, 0, v77, s[8:9]
	v_cndmask_b32_e64 v74, 0, v76, s[8:9]
	v_add_f64 v[76:77], v[70:71], -v[58:59]
	v_add_f64 v[50:51], v[50:51], -v[76:77]
	;; [unrolled: 1-line block ×4, first 2 shown]
	v_fma_f64 v[52:53], v[52:53], v[56:57], -v[58:59]
	v_trig_preop_f64 v[58:59], |v[20:21]|, 2
	v_add_f64 v[50:51], v[50:51], v[76:77]
	v_mul_f64 v[76:77], v[58:59], v[56:57]
	v_add_f64 v[78:79], v[76:77], v[52:53]
	v_add_f64 v[80:81], v[78:79], v[50:51]
	v_add_f64 v[68:69], v[72:73], -v[68:69]
	v_add_f64 v[72:73], v[80:81], -v[78:79]
	;; [unrolled: 1-line block ×5, first 2 shown]
	v_add_f64 v[50:51], v[50:51], v[72:73]
	v_add_f64 v[72:73], v[78:79], -v[76:77]
	v_add_f64 v[52:53], v[52:53], -v[72:73]
	;; [unrolled: 1-line block ×4, first 2 shown]
	v_add_f64 v[52:53], v[52:53], v[72:73]
	v_add_f64 v[68:69], v[70:71], -v[68:69]
	v_add_f64 v[50:51], v[52:53], v[50:51]
	v_fma_f64 v[52:53], v[58:59], v[56:57], -v[76:77]
	v_add_f64 v[70:71], v[68:69], v[80:81]
	v_add_f64 v[50:51], v[52:53], v[50:51]
	v_ldexp_f64 v[52:53], v[74:75], 2
	v_add_f64 v[56:57], v[70:71], v[52:53]
	v_cmp_gt_f64_e64 s[8:9], 0, v[56:57]
	v_cndmask_b32_e64 v23, 0, v63, s[8:9]
	v_add_f64 v[52:53], v[52:53], v[22:23]
	v_add_f64 v[56:57], v[70:71], v[52:53]
	v_cvt_i32_f64_e32 v23, v[56:57]
	v_cvt_f64_i32_e32 v[56:57], v23
	v_add_f64 v[52:53], v[52:53], -v[56:57]
	v_add_f64 v[68:69], v[70:71], -v[68:69]
	v_add_f64 v[56:57], v[70:71], v[52:53]
	v_add_f64 v[68:69], v[80:81], -v[68:69]
	v_add_f64 v[52:53], v[56:57], -v[52:53]
	v_cmp_le_f64_e64 s[8:9], 0.5, v[56:57]
	v_add_f64 v[50:51], v[68:69], v[50:51]
	v_add_f64 v[52:53], v[70:71], -v[52:53]
	v_addc_co_u32_e64 v55, s[10:11], 0, v23, s[8:9]
	v_cndmask_b32_e64 v23, 0, v64, s[8:9]
	v_add_f64 v[50:51], v[50:51], v[52:53]
	v_add_f64 v[52:53], v[56:57], -v[22:23]
	v_add_f64 v[56:57], v[52:53], v[50:51]
	v_add_f64 v[52:53], v[56:57], -v[52:53]
	s_mov_b32 s30, s34
	v_add_f64 v[50:51], v[50:51], -v[52:53]
	v_mul_f64 v[52:53], v[56:57], s[30:31]
	v_fma_f64 v[58:59], v[56:57], s[30:31], -v[52:53]
	s_mov_b32 s39, s37
	v_fmac_f64_e32 v[58:59], s[38:39], v[56:57]
	v_fmac_f64_e32 v[58:59], s[30:31], v[50:51]
	v_add_f64 v[50:51], v[52:53], v[58:59]
	v_add_f64 v[52:53], v[50:51], -v[52:53]
	v_add_f64 v[52:53], v[58:59], -v[52:53]
	s_andn2_saveexec_b64 s[8:9], s[12:13]
	s_cbranch_execnz .LBB138_77
	s_branch .LBB138_78
.LBB138_76:                             ;   in Loop: Header=BB138_4 Depth=1
	s_andn2_saveexec_b64 s[8:9], s[12:13]
	s_cbranch_execz .LBB138_78
.LBB138_77:                             ;   in Loop: Header=BB138_4 Depth=1
	v_mul_f64 v[50:51], |v[20:21]|, s[40:41]
	v_rndne_f64_e32 v[56:57], v[50:51]
	v_fma_f64 v[50:51], v[56:57], s[34:35], |v[20:21]|
	v_mul_f64 v[58:59], v[56:57], s[42:43]
	v_add_f64 v[70:71], v[50:51], v[58:59]
	v_fma_f64 v[52:53], s[42:43], v[56:57], v[50:51]
	s_mov_b32 s36, s42
	v_add_f64 v[50:51], v[50:51], -v[70:71]
	v_fma_f64 v[68:69], s[36:37], v[56:57], v[58:59]
	v_add_f64 v[50:51], v[50:51], v[58:59]
	v_add_f64 v[58:59], v[70:71], -v[52:53]
	v_add_f64 v[50:51], v[58:59], v[50:51]
	v_add_f64 v[58:59], v[50:51], -v[68:69]
	v_fmac_f64_e32 v[58:59], s[44:45], v[56:57]
	v_add_f64 v[50:51], v[52:53], v[58:59]
	v_add_f64 v[52:53], v[50:51], -v[52:53]
	v_add_f64 v[52:53], v[58:59], -v[52:53]
	v_cvt_i32_f64_e32 v55, v[56:57]
.LBB138_78:                             ;   in Loop: Header=BB138_4 Depth=1
	s_or_b64 exec, exec, s[8:9]
	v_mul_f64 v[56:57], v[14:15], v[14:15]
	v_pk_mov_b32 v[72:73], s[62:63], s[62:63] op_sel:[0,1]
	v_mul_f64 v[58:59], v[56:57], 0.5
	v_fma_f64 v[74:75], s[64:65], v[56:57], v[72:73]
	v_add_f64 v[68:69], -v[58:59], 1.0
	v_fma_f64 v[74:75], v[56:57], v[74:75], s[66:67]
	v_fma_f64 v[74:75], v[56:57], v[74:75], s[68:69]
	v_add_f64 v[76:77], -v[68:69], 1.0
	v_fma_f64 v[74:75], v[56:57], v[74:75], s[70:71]
	v_add_f64 v[58:59], v[76:77], -v[58:59]
	v_mul_f64 v[70:71], v[56:57], v[56:57]
	v_fma_f64 v[74:75], v[56:57], v[74:75], s[56:57]
	v_fma_f64 v[58:59], v[14:15], -v[16:17], v[58:59]
	v_fmac_f64_e32 v[58:59], v[70:71], v[74:75]
	v_pk_mov_b32 v[70:71], s[72:73], s[72:73] op_sel:[0,1]
	v_fma_f64 v[74:75], s[74:75], v[56:57], v[70:71]
	v_fma_f64 v[74:75], v[56:57], v[74:75], s[76:77]
	;; [unrolled: 1-line block ×3, first 2 shown]
	v_add_f64 v[58:59], v[68:69], v[58:59]
	v_mul_f64 v[68:69], v[14:15], -v[56:57]
	v_fma_f64 v[74:75], v[56:57], v[74:75], s[54:55]
	v_mul_f64 v[76:77], v[16:17], 0.5
	v_fmac_f64_e32 v[76:77], v[68:69], v[74:75]
	v_fma_f64 v[16:17], v[56:57], v[76:77], -v[16:17]
	s_mov_b32 s80, s56
	v_fmac_f64_e32 v[16:17], s[80:81], v[68:69]
	v_and_b32_e32 v23, 1, v54
	v_add_f64 v[14:15], v[14:15], -v[16:17]
	v_xor_b32_e32 v15, 0x80000000, v15
	v_cmp_eq_u32_e64 s[8:9], 0, v23
	v_lshlrev_b32_e32 v16, 30, v54
	s_mov_b32 s10, 0x19ba0da4
	v_cndmask_b32_e64 v15, v15, v59, s[8:9]
	v_and_b32_e32 v16, 0x80000000, v16
	s_mov_b32 s11, 0xc0937be3
	v_xor_b32_e32 v15, v15, v16
	v_add_f64 v[16:17], v[18:19], s[10:11]
	v_mul_f64 v[18:19], v[16:17], s[46:47]
	v_rndne_f64_e32 v[18:19], v[18:19]
	v_fma_f64 v[56:57], s[48:49], v[18:19], v[16:17]
	v_cndmask_b32_e64 v14, v14, v58, s[8:9]
	v_fmac_f64_e32 v[56:57], s[50:51], v[18:19]
	v_pk_mov_b32 v[58:59], v[32:33], v[32:33] op_sel:[0,1]
	v_fmac_f64_e32 v[58:59], s[52:53], v[56:57]
	v_pk_mov_b32 v[68:69], v[34:35], v[34:35] op_sel:[0,1]
	v_fmac_f64_e32 v[68:69], v[56:57], v[58:59]
	v_pk_mov_b32 v[58:59], v[36:37], v[36:37] op_sel:[0,1]
	v_fmac_f64_e32 v[58:59], v[56:57], v[68:69]
	v_pk_mov_b32 v[68:69], v[38:39], v[38:39] op_sel:[0,1]
	v_fmac_f64_e32 v[68:69], v[56:57], v[58:59]
	v_pk_mov_b32 v[58:59], v[40:41], v[40:41] op_sel:[0,1]
	v_fmac_f64_e32 v[58:59], v[56:57], v[68:69]
	v_pk_mov_b32 v[68:69], v[42:43], v[42:43] op_sel:[0,1]
	v_fmac_f64_e32 v[68:69], v[56:57], v[58:59]
	v_pk_mov_b32 v[58:59], v[44:45], v[44:45] op_sel:[0,1]
	v_fmac_f64_e32 v[58:59], v[56:57], v[68:69]
	v_pk_mov_b32 v[68:69], v[46:47], v[46:47] op_sel:[0,1]
	v_fmac_f64_e32 v[68:69], v[56:57], v[58:59]
	v_pk_mov_b32 v[58:59], v[48:49], v[48:49] op_sel:[0,1]
	v_fmac_f64_e32 v[58:59], v[56:57], v[68:69]
	v_fma_f64 v[58:59], v[56:57], v[58:59], 1.0
	v_fma_f64 v[56:57], v[56:57], v[58:59], 1.0
	v_cvt_i32_f64_e32 v18, v[18:19]
	v_ldexp_f64 v[18:19], v[56:57], v18
	v_mul_f64 v[56:57], v[50:51], v[50:51]
	v_mul_f64 v[58:59], v[56:57], 0.5
	v_fmac_f64_e32 v[72:73], s[64:65], v[56:57]
	v_add_f64 v[68:69], -v[58:59], 1.0
	v_fma_f64 v[72:73], v[56:57], v[72:73], s[66:67]
	v_add_f64 v[74:75], -v[68:69], 1.0
	v_fma_f64 v[72:73], v[56:57], v[72:73], s[68:69]
	v_add_f64 v[58:59], v[74:75], -v[58:59]
	v_fma_f64 v[72:73], v[56:57], v[72:73], s[70:71]
	v_mul_f64 v[74:75], v[56:57], v[56:57]
	v_fma_f64 v[72:73], v[56:57], v[72:73], s[56:57]
	v_fma_f64 v[58:59], v[50:51], -v[52:53], v[58:59]
	v_fmac_f64_e32 v[58:59], v[74:75], v[72:73]
	v_fmac_f64_e32 v[70:71], s[74:75], v[56:57]
	v_add_f64 v[58:59], v[68:69], v[58:59]
	v_fma_f64 v[68:69], v[56:57], v[70:71], s[76:77]
	v_fma_f64 v[68:69], v[56:57], v[68:69], s[78:79]
	;; [unrolled: 1-line block ×3, first 2 shown]
	v_mul_f64 v[70:71], v[50:51], -v[56:57]
	v_mul_f64 v[72:73], v[52:53], 0.5
	v_cmp_nlt_f64_e64 s[10:11], s[58:59], v[16:17]
	v_fmac_f64_e32 v[72:73], v[70:71], v[68:69]
	v_cndmask_b32_e64 v19, v65, v19, s[10:11]
	v_cmp_ngt_f64_e64 s[12:13], s[60:61], v[16:17]
	v_fma_f64 v[52:53], v[56:57], v[72:73], -v[52:53]
	v_cmp_class_f64_e64 s[8:9], v[20:21], s82
	v_cndmask_b32_e64 v19, 0, v19, s[12:13]
	s_and_b64 s[10:11], s[12:13], s[10:11]
	v_fmac_f64_e32 v[52:53], s[80:81], v[70:71]
	v_and_b32_e32 v20, 1, v55
	v_cndmask_b32_e64 v16, 0, v18, s[10:11]
	v_lshrrev_b32_e32 v18, 20, v19
	v_add_f64 v[50:51], v[50:51], -v[52:53]
	v_cmp_eq_u32_e64 s[10:11], 0, v20
	v_add_u32_e32 v18, 0xffffff09, v18
	v_cndmask_b32_e64 v20, v58, v50, s[10:11]
	v_cndmask_b32_e64 v50, v59, v51, s[10:11]
	v_lshlrev_b32_e32 v51, 30, v55
	v_and_b32_e32 v17, 0xfffff, v19
	v_lshrrev_b16_e32 v19, 15, v18
	v_xor_b32_e32 v21, v51, v21
	v_add_u16_e32 v19, v18, v19
	v_and_b32_e32 v21, 0x80000000, v21
	v_ashrrev_i16_e32 v19, 1, v19
	v_xor_b32_e32 v21, v50, v21
	v_cndmask_b32_e64 v14, 0, v14, s[8:9]
	v_cndmask_b32_e64 v15, v66, v15, s[8:9]
	v_or_b32_e32 v17, 0x7fe00000, v17
	v_bfe_i32 v19, v19, 0, 16
	v_cndmask_b32_e64 v20, 0, v20, s[8:9]
	v_cndmask_b32_e64 v21, v66, v21, s[8:9]
	v_mul_f64 v[14:15], v[16:17], v[14:15]
	v_lshl_add_u32 v23, v19, 20, v64
	v_sub_u32_e32 v18, v18, v19
	v_mul_f64 v[16:17], v[16:17], v[20:21]
	v_mul_f64 v[14:15], v[14:15], v[22:23]
	v_lshl_add_u32 v19, v18, 20, v64
	v_mov_b32_e32 v18, v22
	v_mul_f64 v[16:17], v[16:17], v[22:23]
	v_mul_f64 v[14:15], v[14:15], v[18:19]
	;; [unrolled: 1-line block ×3, first 2 shown]
.LBB138_79:                             ;   in Loop: Header=BB138_4 Depth=1
	s_or_b64 exec, exec, s[90:91]
                                        ; implicit-def: $vgpr18_vgpr19
                                        ; implicit-def: $vgpr23
.LBB138_80:                             ;   in Loop: Header=BB138_4 Depth=1
	s_andn2_saveexec_b64 s[12:13], s[88:89]
	s_cbranch_execz .LBB138_86
; %bb.81:                               ;   in Loop: Header=BB138_4 Depth=1
	v_cmp_ne_u32_e64 s[8:9], 0, v18
	v_cmp_ne_u32_e64 s[10:11], s17, v23
	s_or_b64 s[8:9], s[8:9], s[10:11]
	v_add_f64 v[16:17], v[20:21], -v[20:21]
	s_and_saveexec_b64 s[10:11], s[8:9]
	s_xor_b64 s[8:9], exec, s[10:11]
; %bb.82:                               ;   in Loop: Header=BB138_4 Depth=1
                                        ; implicit-def: $vgpr18_vgpr19
; %bb.83:                               ;   in Loop: Header=BB138_4 Depth=1
	s_or_saveexec_b64 s[10:11], s[8:9]
	v_pk_mov_b32 v[14:15], v[16:17], v[16:17] op_sel:[0,1]
	s_xor_b64 exec, exec, s[10:11]
; %bb.84:                               ;   in Loop: Header=BB138_4 Depth=1
	v_cmp_lt_i64_e64 s[8:9], -1, v[18:19]
	v_cndmask_b32_e64 v15, 0, v19, s[8:9]
	v_cndmask_b32_e64 v14, 0, v18, s[8:9]
	;; [unrolled: 1-line block ×4, first 2 shown]
; %bb.85:                               ;   in Loop: Header=BB138_4 Depth=1
	s_or_b64 exec, exec, s[10:11]
.LBB138_86:                             ;   in Loop: Header=BB138_4 Depth=1
	s_or_b64 exec, exec, s[12:13]
                                        ; implicit-def: $vgpr20_vgpr21
                                        ; implicit-def: $vgpr67
.LBB138_87:                             ;   in Loop: Header=BB138_4 Depth=1
	s_andn2_saveexec_b64 s[12:13], s[86:87]
	s_cbranch_execz .LBB138_97
; %bb.88:                               ;   in Loop: Header=BB138_4 Depth=1
	v_cmp_nlt_f64_e64 s[86:87], |v[20:21]|, s[24:25]
	v_trig_preop_f64 v[52:53], |v[20:21]|, 0
	v_trig_preop_f64 v[50:51], |v[20:21]|, 1
	v_ldexp_f64 v[54:55], |v[20:21]|, s83
	v_trig_preop_f64 v[18:19], |v[20:21]|, 2
                                        ; implicit-def: $vgpr68
                                        ; implicit-def: $vgpr14_vgpr15
                                        ; implicit-def: $vgpr16_vgpr17
	s_and_saveexec_b64 s[8:9], s[86:87]
	s_xor_b64 s[88:89], exec, s[8:9]
	s_cbranch_execz .LBB138_90
; %bb.89:                               ;   in Loop: Header=BB138_4 Depth=1
	v_cmp_ge_f64_e64 s[8:9], |v[20:21]|, s[26:27]
	v_cndmask_b32_e64 v15, v67, v55, s[8:9]
	v_cndmask_b32_e64 v14, v20, v54, s[8:9]
	v_mul_f64 v[56:57], v[52:53], v[14:15]
	v_mul_f64 v[16:17], v[50:51], v[14:15]
	v_fma_f64 v[58:59], v[52:53], v[14:15], -v[56:57]
	v_add_f64 v[68:69], v[16:17], v[58:59]
	v_add_f64 v[70:71], v[56:57], v[68:69]
	v_ldexp_f64 v[72:73], v[70:71], -2
	v_fract_f64_e32 v[74:75], v[72:73]
	v_cmp_neq_f64_e64 s[8:9], |v[72:73]|, s[28:29]
	v_cndmask_b32_e64 v73, 0, v75, s[8:9]
	v_cndmask_b32_e64 v72, 0, v74, s[8:9]
	v_add_f64 v[74:75], v[68:69], -v[16:17]
	v_add_f64 v[58:59], v[58:59], -v[74:75]
	;; [unrolled: 1-line block ×4, first 2 shown]
	v_add_f64 v[58:59], v[58:59], v[74:75]
	v_fma_f64 v[16:17], v[50:51], v[14:15], -v[16:17]
	v_mul_f64 v[74:75], v[18:19], v[14:15]
	v_add_f64 v[76:77], v[74:75], v[16:17]
	v_add_f64 v[78:79], v[76:77], v[58:59]
	v_add_f64 v[56:57], v[70:71], -v[56:57]
	v_add_f64 v[70:71], v[78:79], -v[76:77]
	;; [unrolled: 1-line block ×5, first 2 shown]
	v_add_f64 v[58:59], v[58:59], v[70:71]
	v_add_f64 v[70:71], v[76:77], -v[74:75]
	v_add_f64 v[16:17], v[16:17], -v[70:71]
	v_add_f64 v[70:71], v[76:77], -v[70:71]
	v_add_f64 v[56:57], v[68:69], -v[56:57]
	v_add_f64 v[70:71], v[74:75], -v[70:71]
	v_add_f64 v[68:69], v[56:57], v[78:79]
	v_add_f64 v[16:17], v[16:17], v[70:71]
	v_add_f64 v[56:57], v[68:69], -v[56:57]
	v_add_f64 v[16:17], v[16:17], v[58:59]
	v_fma_f64 v[14:15], v[18:19], v[14:15], -v[74:75]
	v_add_f64 v[56:57], v[78:79], -v[56:57]
	v_add_f64 v[14:15], v[14:15], v[16:17]
	v_ldexp_f64 v[16:17], v[72:73], 2
	v_add_f64 v[14:15], v[56:57], v[14:15]
	v_add_f64 v[56:57], v[68:69], v[16:17]
	v_cmp_gt_f64_e64 s[8:9], 0, v[56:57]
	v_cndmask_b32_e64 v23, 0, v63, s[8:9]
	v_add_f64 v[16:17], v[16:17], v[22:23]
	v_add_f64 v[56:57], v[68:69], v[16:17]
	v_cvt_i32_f64_e32 v23, v[56:57]
	v_cvt_f64_i32_e32 v[56:57], v23
	v_add_f64 v[16:17], v[16:17], -v[56:57]
	v_add_f64 v[56:57], v[68:69], v[16:17]
	v_add_f64 v[16:17], v[56:57], -v[16:17]
	v_cmp_le_f64_e64 s[8:9], 0.5, v[56:57]
	v_add_f64 v[16:17], v[68:69], -v[16:17]
	v_addc_co_u32_e64 v68, s[10:11], 0, v23, s[8:9]
	v_cndmask_b32_e64 v23, 0, v64, s[8:9]
	v_add_f64 v[14:15], v[14:15], v[16:17]
	v_add_f64 v[16:17], v[56:57], -v[22:23]
	v_add_f64 v[56:57], v[16:17], v[14:15]
	v_add_f64 v[16:17], v[56:57], -v[16:17]
	s_mov_b32 s30, s34
	v_add_f64 v[14:15], v[14:15], -v[16:17]
	v_mul_f64 v[16:17], v[56:57], s[30:31]
	v_fma_f64 v[58:59], v[56:57], s[30:31], -v[16:17]
	s_mov_b32 s39, s37
	v_fmac_f64_e32 v[58:59], s[38:39], v[56:57]
	v_fmac_f64_e32 v[58:59], s[30:31], v[14:15]
	v_add_f64 v[14:15], v[16:17], v[58:59]
	v_add_f64 v[16:17], v[14:15], -v[16:17]
	v_add_f64 v[16:17], v[58:59], -v[16:17]
	s_andn2_saveexec_b64 s[8:9], s[88:89]
	s_cbranch_execz .LBB138_92
	s_branch .LBB138_91
.LBB138_90:                             ;   in Loop: Header=BB138_4 Depth=1
	s_andn2_saveexec_b64 s[8:9], s[88:89]
	s_cbranch_execz .LBB138_92
.LBB138_91:                             ;   in Loop: Header=BB138_4 Depth=1
	v_mul_f64 v[14:15], |v[20:21]|, s[40:41]
	v_rndne_f64_e32 v[56:57], v[14:15]
	v_fma_f64 v[14:15], v[56:57], s[34:35], |v[20:21]|
	v_mul_f64 v[58:59], v[56:57], s[42:43]
	v_add_f64 v[70:71], v[14:15], v[58:59]
	v_fma_f64 v[16:17], s[42:43], v[56:57], v[14:15]
	s_mov_b32 s36, s42
	v_add_f64 v[14:15], v[14:15], -v[70:71]
	v_fma_f64 v[68:69], s[36:37], v[56:57], v[58:59]
	v_add_f64 v[14:15], v[14:15], v[58:59]
	v_add_f64 v[58:59], v[70:71], -v[16:17]
	v_add_f64 v[14:15], v[58:59], v[14:15]
	v_add_f64 v[58:59], v[14:15], -v[68:69]
	v_fmac_f64_e32 v[58:59], s[44:45], v[56:57]
	v_add_f64 v[14:15], v[16:17], v[58:59]
	v_add_f64 v[16:17], v[14:15], -v[16:17]
	v_add_f64 v[16:17], v[58:59], -v[16:17]
	v_cvt_i32_f64_e32 v68, v[56:57]
.LBB138_92:                             ;   in Loop: Header=BB138_4 Depth=1
	s_or_b64 exec, exec, s[8:9]
                                        ; implicit-def: $vgpr69
                                        ; implicit-def: $vgpr56_vgpr57
                                        ; implicit-def: $vgpr58_vgpr59
	s_and_saveexec_b64 s[8:9], s[86:87]
	s_xor_b64 s[86:87], exec, s[8:9]
	s_cbranch_execz .LBB138_94
; %bb.93:                               ;   in Loop: Header=BB138_4 Depth=1
	v_cmp_ge_f64_e64 s[8:9], |v[20:21]|, s[26:27]
	v_cndmask_b32_e64 v55, v67, v55, s[8:9]
	v_cndmask_b32_e64 v54, v20, v54, s[8:9]
	v_mul_f64 v[58:59], v[52:53], v[54:55]
	v_mul_f64 v[56:57], v[50:51], v[54:55]
	v_fma_f64 v[52:53], v[52:53], v[54:55], -v[58:59]
	v_add_f64 v[70:71], v[56:57], v[52:53]
	v_add_f64 v[72:73], v[58:59], v[70:71]
	v_ldexp_f64 v[74:75], v[72:73], -2
	v_fract_f64_e32 v[76:77], v[74:75]
	v_cmp_neq_f64_e64 s[8:9], |v[74:75]|, s[28:29]
	v_cndmask_b32_e64 v75, 0, v77, s[8:9]
	v_cndmask_b32_e64 v74, 0, v76, s[8:9]
	v_add_f64 v[76:77], v[70:71], -v[56:57]
	v_add_f64 v[52:53], v[52:53], -v[76:77]
	;; [unrolled: 1-line block ×4, first 2 shown]
	v_fma_f64 v[50:51], v[50:51], v[54:55], -v[56:57]
	v_mul_f64 v[56:57], v[18:19], v[54:55]
	v_add_f64 v[52:53], v[52:53], v[76:77]
	v_add_f64 v[76:77], v[56:57], v[50:51]
	;; [unrolled: 1-line block ×3, first 2 shown]
	v_add_f64 v[58:59], v[72:73], -v[58:59]
	v_add_f64 v[72:73], v[78:79], -v[76:77]
	;; [unrolled: 1-line block ×5, first 2 shown]
	v_add_f64 v[52:53], v[52:53], v[72:73]
	v_add_f64 v[72:73], v[76:77], -v[56:57]
	v_add_f64 v[50:51], v[50:51], -v[72:73]
	;; [unrolled: 1-line block ×4, first 2 shown]
	v_add_f64 v[50:51], v[50:51], v[72:73]
	v_add_f64 v[58:59], v[70:71], -v[58:59]
	v_add_f64 v[50:51], v[50:51], v[52:53]
	v_fma_f64 v[18:19], v[18:19], v[54:55], -v[56:57]
	v_add_f64 v[70:71], v[58:59], v[78:79]
	v_add_f64 v[18:19], v[18:19], v[50:51]
	v_ldexp_f64 v[50:51], v[74:75], 2
	v_add_f64 v[52:53], v[70:71], v[50:51]
	v_cmp_gt_f64_e64 s[8:9], 0, v[52:53]
	v_cndmask_b32_e64 v23, 0, v63, s[8:9]
	v_add_f64 v[50:51], v[50:51], v[22:23]
	v_add_f64 v[52:53], v[70:71], v[50:51]
	v_cvt_i32_f64_e32 v23, v[52:53]
	v_cvt_f64_i32_e32 v[52:53], v23
	v_add_f64 v[50:51], v[50:51], -v[52:53]
	v_add_f64 v[58:59], v[70:71], -v[58:59]
	v_add_f64 v[52:53], v[70:71], v[50:51]
	v_add_f64 v[58:59], v[78:79], -v[58:59]
	v_add_f64 v[50:51], v[52:53], -v[50:51]
	v_cmp_le_f64_e64 s[8:9], 0.5, v[52:53]
	v_add_f64 v[18:19], v[58:59], v[18:19]
	v_add_f64 v[50:51], v[70:71], -v[50:51]
	v_addc_co_u32_e64 v69, s[10:11], 0, v23, s[8:9]
	v_cndmask_b32_e64 v23, 0, v64, s[8:9]
	v_add_f64 v[18:19], v[18:19], v[50:51]
	v_add_f64 v[50:51], v[52:53], -v[22:23]
	v_add_f64 v[52:53], v[50:51], v[18:19]
	v_add_f64 v[50:51], v[52:53], -v[50:51]
	s_mov_b32 s30, s34
	v_add_f64 v[18:19], v[18:19], -v[50:51]
	v_mul_f64 v[50:51], v[52:53], s[30:31]
	v_fma_f64 v[54:55], v[52:53], s[30:31], -v[50:51]
	s_mov_b32 s39, s37
	v_fmac_f64_e32 v[54:55], s[38:39], v[52:53]
	v_fmac_f64_e32 v[54:55], s[30:31], v[18:19]
	v_add_f64 v[56:57], v[50:51], v[54:55]
	v_add_f64 v[18:19], v[56:57], -v[50:51]
	v_add_f64 v[58:59], v[54:55], -v[18:19]
	s_andn2_saveexec_b64 s[8:9], s[86:87]
	s_cbranch_execnz .LBB138_95
	s_branch .LBB138_96
.LBB138_94:                             ;   in Loop: Header=BB138_4 Depth=1
	s_andn2_saveexec_b64 s[8:9], s[86:87]
	s_cbranch_execz .LBB138_96
.LBB138_95:                             ;   in Loop: Header=BB138_4 Depth=1
	v_mul_f64 v[18:19], |v[20:21]|, s[40:41]
	v_rndne_f64_e32 v[18:19], v[18:19]
	v_fma_f64 v[50:51], v[18:19], s[34:35], |v[20:21]|
	v_mul_f64 v[54:55], v[18:19], s[42:43]
	v_add_f64 v[58:59], v[50:51], v[54:55]
	v_fma_f64 v[52:53], s[42:43], v[18:19], v[50:51]
	s_mov_b32 s36, s42
	v_add_f64 v[50:51], v[50:51], -v[58:59]
	v_fma_f64 v[56:57], s[36:37], v[18:19], v[54:55]
	v_add_f64 v[50:51], v[50:51], v[54:55]
	v_add_f64 v[54:55], v[58:59], -v[52:53]
	v_add_f64 v[50:51], v[54:55], v[50:51]
	v_add_f64 v[50:51], v[50:51], -v[56:57]
	v_fmac_f64_e32 v[50:51], s[44:45], v[18:19]
	v_add_f64 v[56:57], v[52:53], v[50:51]
	v_add_f64 v[52:53], v[56:57], -v[52:53]
	v_add_f64 v[58:59], v[50:51], -v[52:53]
	v_cvt_i32_f64_e32 v69, v[18:19]
.LBB138_96:                             ;   in Loop: Header=BB138_4 Depth=1
	s_or_b64 exec, exec, s[8:9]
	v_mul_f64 v[18:19], v[14:15], v[14:15]
	v_pk_mov_b32 v[70:71], s[62:63], s[62:63] op_sel:[0,1]
	v_mul_f64 v[50:51], v[18:19], 0.5
	v_fma_f64 v[72:73], s[64:65], v[18:19], v[70:71]
	v_add_f64 v[52:53], -v[50:51], 1.0
	v_fma_f64 v[72:73], v[18:19], v[72:73], s[66:67]
	v_add_f64 v[54:55], -v[52:53], 1.0
	v_fma_f64 v[72:73], v[18:19], v[72:73], s[68:69]
	v_add_f64 v[50:51], v[54:55], -v[50:51]
	v_fma_f64 v[72:73], v[18:19], v[72:73], s[70:71]
	v_mul_f64 v[54:55], v[18:19], v[18:19]
	v_fma_f64 v[72:73], v[18:19], v[72:73], s[56:57]
	v_fma_f64 v[50:51], v[14:15], -v[16:17], v[50:51]
	v_fmac_f64_e32 v[50:51], v[54:55], v[72:73]
	v_add_f64 v[50:51], v[52:53], v[50:51]
	v_pk_mov_b32 v[52:53], s[72:73], s[72:73] op_sel:[0,1]
	v_fma_f64 v[54:55], s[74:75], v[18:19], v[52:53]
	v_fma_f64 v[54:55], v[18:19], v[54:55], s[76:77]
	;; [unrolled: 1-line block ×4, first 2 shown]
	v_mul_f64 v[72:73], v[14:15], -v[18:19]
	v_mul_f64 v[74:75], v[16:17], 0.5
	v_fmac_f64_e32 v[74:75], v[72:73], v[54:55]
	v_fma_f64 v[16:17], v[18:19], v[74:75], -v[16:17]
	s_mov_b32 s80, s56
	v_fmac_f64_e32 v[16:17], s[80:81], v[72:73]
	v_add_f64 v[14:15], v[14:15], -v[16:17]
	v_and_b32_e32 v16, 1, v68
	v_xor_b32_e32 v15, 0x80000000, v15
	v_cmp_eq_u32_e64 s[8:9], 0, v16
	v_lshlrev_b32_e32 v16, 30, v68
	v_cndmask_b32_e64 v15, v15, v51, s[8:9]
	v_and_b32_e32 v16, 0x80000000, v16
	v_xor_b32_e32 v15, v15, v16
	v_mul_f64 v[16:17], v[56:57], v[56:57]
	v_mul_f64 v[18:19], v[16:17], 0.5
	v_fmac_f64_e32 v[70:71], s[64:65], v[16:17]
	v_cndmask_b32_e64 v14, v14, v50, s[8:9]
	v_add_f64 v[50:51], -v[18:19], 1.0
	v_fma_f64 v[70:71], v[16:17], v[70:71], s[66:67]
	v_add_f64 v[54:55], -v[50:51], 1.0
	v_fma_f64 v[70:71], v[16:17], v[70:71], s[68:69]
	v_add_f64 v[18:19], v[54:55], -v[18:19]
	v_fma_f64 v[70:71], v[16:17], v[70:71], s[70:71]
	v_mul_f64 v[54:55], v[16:17], v[16:17]
	v_fma_f64 v[70:71], v[16:17], v[70:71], s[56:57]
	v_fma_f64 v[18:19], v[56:57], -v[58:59], v[18:19]
	v_fmac_f64_e32 v[18:19], v[54:55], v[70:71]
	v_fmac_f64_e32 v[52:53], s[74:75], v[16:17]
	v_add_f64 v[18:19], v[50:51], v[18:19]
	v_fma_f64 v[50:51], v[16:17], v[52:53], s[76:77]
	v_fma_f64 v[50:51], v[16:17], v[50:51], s[78:79]
	;; [unrolled: 1-line block ×3, first 2 shown]
	v_mul_f64 v[52:53], v[56:57], -v[16:17]
	v_mul_f64 v[54:55], v[58:59], 0.5
	v_fmac_f64_e32 v[54:55], v[52:53], v[50:51]
	v_fma_f64 v[16:17], v[16:17], v[54:55], -v[58:59]
	v_cmp_class_f64_e64 s[8:9], v[20:21], s82
	v_fmac_f64_e32 v[16:17], s[80:81], v[52:53]
	v_and_b32_e32 v20, 1, v69
	v_add_f64 v[16:17], v[56:57], -v[16:17]
	v_cmp_eq_u32_e64 s[10:11], 0, v20
	v_cndmask_b32_e64 v16, v18, v16, s[10:11]
	v_lshlrev_b32_e32 v18, 30, v69
	v_xor_b32_e32 v18, v18, v21
	v_cndmask_b32_e64 v17, v19, v17, s[10:11]
	v_and_b32_e32 v18, 0x80000000, v18
	v_xor_b32_e32 v17, v17, v18
	v_cndmask_b32_e64 v14, 0, v14, s[8:9]
	v_cndmask_b32_e64 v15, v66, v15, s[8:9]
	;; [unrolled: 1-line block ×4, first 2 shown]
.LBB138_97:                             ;   in Loop: Header=BB138_4 Depth=1
	s_or_b64 exec, exec, s[12:13]
                                        ; implicit-def: $vgpr18_vgpr19
.LBB138_98:                             ;   in Loop: Header=BB138_4 Depth=1
	s_andn2_saveexec_b64 s[12:13], s[84:85]
	s_cbranch_execz .LBB138_100
; %bb.99:                               ;   in Loop: Header=BB138_4 Depth=1
	v_mul_f64 v[14:15], v[18:19], s[46:47]
	v_rndne_f64_e32 v[14:15], v[14:15]
	v_fma_f64 v[16:17], s[48:49], v[14:15], v[18:19]
	v_fmac_f64_e32 v[16:17], s[50:51], v[14:15]
	v_pk_mov_b32 v[50:51], v[32:33], v[32:33] op_sel:[0,1]
	v_fmac_f64_e32 v[50:51], s[52:53], v[16:17]
	v_pk_mov_b32 v[52:53], v[34:35], v[34:35] op_sel:[0,1]
	;; [unrolled: 2-line block ×9, first 2 shown]
	v_fmac_f64_e32 v[50:51], v[16:17], v[52:53]
	v_fma_f64 v[50:51], v[16:17], v[50:51], 1.0
	v_fma_f64 v[16:17], v[16:17], v[50:51], 1.0
	v_cvt_i32_f64_e32 v14, v[14:15]
	v_ldexp_f64 v[14:15], v[16:17], v14
	v_cmp_nlt_f64_e64 s[8:9], s[58:59], v[18:19]
	v_cmp_ngt_f64_e64 s[10:11], s[60:61], v[18:19]
	v_cndmask_b32_e64 v15, v65, v15, s[8:9]
	s_and_b64 s[8:9], s[10:11], s[8:9]
	v_cndmask_b32_e64 v15, 0, v15, s[10:11]
	v_cndmask_b32_e64 v14, 0, v14, s[8:9]
	v_pk_mov_b32 v[16:17], v[20:21], v[20:21] op_sel:[0,1]
.LBB138_100:                            ;   in Loop: Header=BB138_4 Depth=1
	s_or_b64 exec, exec, s[12:13]
	v_and_b32_e32 v67, 0x7fffffff, v13
	v_or_b32_e32 v18, v67, v12
	v_cmp_ne_u32_e64 s[8:9], 0, v18
                                        ; implicit-def: $vgpr20_vgpr21
	s_and_saveexec_b64 s[10:11], s[8:9]
	s_xor_b64 s[84:85], exec, s[10:11]
	s_cbranch_execz .LBB138_142
; %bb.101:                              ;   in Loop: Header=BB138_4 Depth=1
	v_and_b32_e32 v23, 0x7fffffff, v11
	v_or_b32_e32 v18, v23, v10
	v_cmp_ne_u32_e64 s[8:9], 0, v18
                                        ; implicit-def: $vgpr20_vgpr21
	s_and_saveexec_b64 s[10:11], s[8:9]
	s_xor_b64 s[86:87], exec, s[10:11]
	s_cbranch_execz .LBB138_131
; %bb.102:                              ;   in Loop: Header=BB138_4 Depth=1
	v_cmp_gt_u32_e64 s[8:9], s17, v67
                                        ; implicit-def: $vgpr20_vgpr21
	s_and_saveexec_b64 s[10:11], s[8:9]
	s_xor_b64 s[88:89], exec, s[10:11]
	s_cbranch_execz .LBB138_124
; %bb.103:                              ;   in Loop: Header=BB138_4 Depth=1
	v_add_u32_e32 v18, 0xbf79d1be, v11
	s_mov_b32 s8, 0x108aa2
	v_cmp_lt_u32_e64 s[8:9], s8, v18
                                        ; implicit-def: $vgpr20_vgpr21
	s_and_saveexec_b64 s[10:11], s[8:9]
	s_xor_b64 s[12:13], exec, s[10:11]
	s_cbranch_execz .LBB138_113
; %bb.104:                              ;   in Loop: Header=BB138_4 Depth=1
	v_cmp_nlt_f64_e64 s[90:91], |v[12:13]|, s[24:25]
                                        ; implicit-def: $vgpr54
                                        ; implicit-def: $vgpr18_vgpr19
                                        ; implicit-def: $vgpr20_vgpr21
	s_and_saveexec_b64 s[8:9], s[90:91]
	s_xor_b64 s[92:93], exec, s[8:9]
	s_cbranch_execz .LBB138_106
; %bb.105:                              ;   in Loop: Header=BB138_4 Depth=1
	v_ldexp_f64 v[50:51], |v[12:13]|, s83
	v_cmp_ge_f64_e64 s[8:9], |v[12:13]|, s[26:27]
	v_trig_preop_f64 v[18:19], |v[12:13]|, 0
	v_cndmask_b32_e64 v51, v67, v51, s[8:9]
	v_cndmask_b32_e64 v50, v12, v50, s[8:9]
	v_trig_preop_f64 v[20:21], |v[12:13]|, 1
	v_mul_f64 v[54:55], v[18:19], v[50:51]
	v_mul_f64 v[52:53], v[20:21], v[50:51]
	v_fma_f64 v[18:19], v[18:19], v[50:51], -v[54:55]
	v_add_f64 v[56:57], v[52:53], v[18:19]
	v_add_f64 v[58:59], v[54:55], v[56:57]
	v_ldexp_f64 v[68:69], v[58:59], -2
	v_fract_f64_e32 v[70:71], v[68:69]
	v_cmp_neq_f64_e64 s[8:9], |v[68:69]|, s[28:29]
	v_cndmask_b32_e64 v69, 0, v71, s[8:9]
	v_cndmask_b32_e64 v68, 0, v70, s[8:9]
	v_add_f64 v[70:71], v[56:57], -v[52:53]
	v_add_f64 v[18:19], v[18:19], -v[70:71]
	;; [unrolled: 1-line block ×4, first 2 shown]
	v_fma_f64 v[20:21], v[20:21], v[50:51], -v[52:53]
	v_trig_preop_f64 v[52:53], |v[12:13]|, 2
	v_add_f64 v[18:19], v[18:19], v[70:71]
	v_mul_f64 v[70:71], v[52:53], v[50:51]
	v_add_f64 v[72:73], v[70:71], v[20:21]
	v_add_f64 v[74:75], v[72:73], v[18:19]
	v_add_f64 v[54:55], v[58:59], -v[54:55]
	v_add_f64 v[58:59], v[74:75], -v[72:73]
	;; [unrolled: 1-line block ×5, first 2 shown]
	v_add_f64 v[18:19], v[18:19], v[58:59]
	v_add_f64 v[58:59], v[72:73], -v[70:71]
	v_add_f64 v[20:21], v[20:21], -v[58:59]
	v_add_f64 v[58:59], v[72:73], -v[58:59]
	v_add_f64 v[58:59], v[70:71], -v[58:59]
	v_add_f64 v[20:21], v[20:21], v[58:59]
	v_add_f64 v[54:55], v[56:57], -v[54:55]
	v_add_f64 v[18:19], v[20:21], v[18:19]
	v_fma_f64 v[20:21], v[52:53], v[50:51], -v[70:71]
	v_add_f64 v[56:57], v[54:55], v[74:75]
	v_add_f64 v[18:19], v[20:21], v[18:19]
	v_ldexp_f64 v[20:21], v[68:69], 2
	v_add_f64 v[50:51], v[56:57], v[20:21]
	v_cmp_gt_f64_e64 s[8:9], 0, v[50:51]
	v_cndmask_b32_e64 v23, 0, v63, s[8:9]
	v_add_f64 v[20:21], v[20:21], v[22:23]
	v_add_f64 v[50:51], v[56:57], v[20:21]
	v_cvt_i32_f64_e32 v23, v[50:51]
	v_cvt_f64_i32_e32 v[50:51], v23
	v_add_f64 v[20:21], v[20:21], -v[50:51]
	v_add_f64 v[54:55], v[56:57], -v[54:55]
	v_add_f64 v[50:51], v[56:57], v[20:21]
	v_add_f64 v[54:55], v[74:75], -v[54:55]
	v_add_f64 v[20:21], v[50:51], -v[20:21]
	v_cmp_le_f64_e64 s[8:9], 0.5, v[50:51]
	v_add_f64 v[18:19], v[54:55], v[18:19]
	v_add_f64 v[20:21], v[56:57], -v[20:21]
	v_addc_co_u32_e64 v54, s[10:11], 0, v23, s[8:9]
	v_cndmask_b32_e64 v23, 0, v64, s[8:9]
	v_add_f64 v[18:19], v[18:19], v[20:21]
	v_add_f64 v[20:21], v[50:51], -v[22:23]
	v_add_f64 v[50:51], v[20:21], v[18:19]
	v_add_f64 v[20:21], v[50:51], -v[20:21]
	s_mov_b32 s30, s34
	v_add_f64 v[18:19], v[18:19], -v[20:21]
	v_mul_f64 v[20:21], v[50:51], s[30:31]
	v_fma_f64 v[52:53], v[50:51], s[30:31], -v[20:21]
	s_mov_b32 s39, s37
	v_fmac_f64_e32 v[52:53], s[38:39], v[50:51]
	v_fmac_f64_e32 v[52:53], s[30:31], v[18:19]
	v_add_f64 v[18:19], v[20:21], v[52:53]
	v_add_f64 v[20:21], v[18:19], -v[20:21]
	v_add_f64 v[20:21], v[52:53], -v[20:21]
	s_andn2_saveexec_b64 s[8:9], s[92:93]
	s_cbranch_execz .LBB138_108
	s_branch .LBB138_107
.LBB138_106:                            ;   in Loop: Header=BB138_4 Depth=1
	s_andn2_saveexec_b64 s[8:9], s[92:93]
	s_cbranch_execz .LBB138_108
.LBB138_107:                            ;   in Loop: Header=BB138_4 Depth=1
	v_mul_f64 v[18:19], |v[12:13]|, s[40:41]
	v_rndne_f64_e32 v[50:51], v[18:19]
	v_fma_f64 v[18:19], v[50:51], s[34:35], |v[12:13]|
	v_mul_f64 v[52:53], v[50:51], s[42:43]
	v_add_f64 v[56:57], v[18:19], v[52:53]
	v_fma_f64 v[20:21], s[42:43], v[50:51], v[18:19]
	s_mov_b32 s36, s42
	v_add_f64 v[18:19], v[18:19], -v[56:57]
	v_fma_f64 v[54:55], s[36:37], v[50:51], v[52:53]
	v_add_f64 v[18:19], v[18:19], v[52:53]
	v_add_f64 v[52:53], v[56:57], -v[20:21]
	v_add_f64 v[18:19], v[52:53], v[18:19]
	v_add_f64 v[52:53], v[18:19], -v[54:55]
	v_fmac_f64_e32 v[52:53], s[44:45], v[50:51]
	v_add_f64 v[18:19], v[20:21], v[52:53]
	v_add_f64 v[20:21], v[18:19], -v[20:21]
	v_add_f64 v[20:21], v[52:53], -v[20:21]
	v_cvt_i32_f64_e32 v54, v[50:51]
.LBB138_108:                            ;   in Loop: Header=BB138_4 Depth=1
	s_or_b64 exec, exec, s[8:9]
                                        ; implicit-def: $vgpr55
                                        ; implicit-def: $vgpr50_vgpr51
                                        ; implicit-def: $vgpr52_vgpr53
	s_and_saveexec_b64 s[8:9], s[90:91]
	s_xor_b64 s[90:91], exec, s[8:9]
	s_cbranch_execz .LBB138_110
; %bb.109:                              ;   in Loop: Header=BB138_4 Depth=1
	v_ldexp_f64 v[56:57], |v[12:13]|, s83
	v_cmp_ge_f64_e64 s[8:9], |v[12:13]|, s[26:27]
	v_trig_preop_f64 v[50:51], |v[12:13]|, 0
	v_cndmask_b32_e64 v57, v67, v57, s[8:9]
	v_cndmask_b32_e64 v56, v12, v56, s[8:9]
	v_trig_preop_f64 v[52:53], |v[12:13]|, 1
	v_mul_f64 v[68:69], v[50:51], v[56:57]
	v_mul_f64 v[58:59], v[52:53], v[56:57]
	v_fma_f64 v[50:51], v[50:51], v[56:57], -v[68:69]
	v_add_f64 v[70:71], v[58:59], v[50:51]
	v_add_f64 v[72:73], v[68:69], v[70:71]
	v_ldexp_f64 v[74:75], v[72:73], -2
	v_fract_f64_e32 v[76:77], v[74:75]
	v_cmp_neq_f64_e64 s[8:9], |v[74:75]|, s[28:29]
	v_cndmask_b32_e64 v75, 0, v77, s[8:9]
	v_cndmask_b32_e64 v74, 0, v76, s[8:9]
	v_add_f64 v[76:77], v[70:71], -v[58:59]
	v_add_f64 v[50:51], v[50:51], -v[76:77]
	;; [unrolled: 1-line block ×4, first 2 shown]
	v_fma_f64 v[52:53], v[52:53], v[56:57], -v[58:59]
	v_trig_preop_f64 v[58:59], |v[12:13]|, 2
	v_add_f64 v[50:51], v[50:51], v[76:77]
	v_mul_f64 v[76:77], v[58:59], v[56:57]
	v_add_f64 v[78:79], v[76:77], v[52:53]
	v_add_f64 v[80:81], v[78:79], v[50:51]
	v_add_f64 v[68:69], v[72:73], -v[68:69]
	v_add_f64 v[72:73], v[80:81], -v[78:79]
	;; [unrolled: 1-line block ×5, first 2 shown]
	v_add_f64 v[50:51], v[50:51], v[72:73]
	v_add_f64 v[72:73], v[78:79], -v[76:77]
	v_add_f64 v[52:53], v[52:53], -v[72:73]
	;; [unrolled: 1-line block ×4, first 2 shown]
	v_add_f64 v[52:53], v[52:53], v[72:73]
	v_add_f64 v[68:69], v[70:71], -v[68:69]
	v_add_f64 v[50:51], v[52:53], v[50:51]
	v_fma_f64 v[52:53], v[58:59], v[56:57], -v[76:77]
	v_add_f64 v[70:71], v[68:69], v[80:81]
	v_add_f64 v[50:51], v[52:53], v[50:51]
	v_ldexp_f64 v[52:53], v[74:75], 2
	v_add_f64 v[56:57], v[70:71], v[52:53]
	v_cmp_gt_f64_e64 s[8:9], 0, v[56:57]
	v_cndmask_b32_e64 v23, 0, v63, s[8:9]
	v_add_f64 v[52:53], v[52:53], v[22:23]
	v_add_f64 v[56:57], v[70:71], v[52:53]
	v_cvt_i32_f64_e32 v23, v[56:57]
	v_cvt_f64_i32_e32 v[56:57], v23
	v_add_f64 v[52:53], v[52:53], -v[56:57]
	v_add_f64 v[68:69], v[70:71], -v[68:69]
	v_add_f64 v[56:57], v[70:71], v[52:53]
	v_add_f64 v[68:69], v[80:81], -v[68:69]
	v_add_f64 v[52:53], v[56:57], -v[52:53]
	v_cmp_le_f64_e64 s[8:9], 0.5, v[56:57]
	v_add_f64 v[50:51], v[68:69], v[50:51]
	v_add_f64 v[52:53], v[70:71], -v[52:53]
	v_addc_co_u32_e64 v55, s[10:11], 0, v23, s[8:9]
	v_cndmask_b32_e64 v23, 0, v64, s[8:9]
	v_add_f64 v[50:51], v[50:51], v[52:53]
	v_add_f64 v[52:53], v[56:57], -v[22:23]
	v_add_f64 v[56:57], v[52:53], v[50:51]
	v_add_f64 v[52:53], v[56:57], -v[52:53]
	s_mov_b32 s30, s34
	v_add_f64 v[50:51], v[50:51], -v[52:53]
	v_mul_f64 v[52:53], v[56:57], s[30:31]
	v_fma_f64 v[58:59], v[56:57], s[30:31], -v[52:53]
	s_mov_b32 s39, s37
	v_fmac_f64_e32 v[58:59], s[38:39], v[56:57]
	v_fmac_f64_e32 v[58:59], s[30:31], v[50:51]
	v_add_f64 v[50:51], v[52:53], v[58:59]
	v_add_f64 v[52:53], v[50:51], -v[52:53]
	v_add_f64 v[52:53], v[58:59], -v[52:53]
	s_andn2_saveexec_b64 s[8:9], s[90:91]
	s_cbranch_execnz .LBB138_111
	s_branch .LBB138_112
.LBB138_110:                            ;   in Loop: Header=BB138_4 Depth=1
	s_andn2_saveexec_b64 s[8:9], s[90:91]
	s_cbranch_execz .LBB138_112
.LBB138_111:                            ;   in Loop: Header=BB138_4 Depth=1
	v_mul_f64 v[50:51], |v[12:13]|, s[40:41]
	v_rndne_f64_e32 v[56:57], v[50:51]
	v_fma_f64 v[50:51], v[56:57], s[34:35], |v[12:13]|
	v_mul_f64 v[58:59], v[56:57], s[42:43]
	v_add_f64 v[70:71], v[50:51], v[58:59]
	v_fma_f64 v[52:53], s[42:43], v[56:57], v[50:51]
	s_mov_b32 s36, s42
	v_add_f64 v[50:51], v[50:51], -v[70:71]
	v_fma_f64 v[68:69], s[36:37], v[56:57], v[58:59]
	v_add_f64 v[50:51], v[50:51], v[58:59]
	v_add_f64 v[58:59], v[70:71], -v[52:53]
	v_add_f64 v[50:51], v[58:59], v[50:51]
	v_add_f64 v[58:59], v[50:51], -v[68:69]
	v_fmac_f64_e32 v[58:59], s[44:45], v[56:57]
	v_add_f64 v[50:51], v[52:53], v[58:59]
	v_add_f64 v[52:53], v[50:51], -v[52:53]
	v_add_f64 v[52:53], v[58:59], -v[52:53]
	v_cvt_i32_f64_e32 v55, v[56:57]
.LBB138_112:                            ;   in Loop: Header=BB138_4 Depth=1
	s_or_b64 exec, exec, s[8:9]
	v_mul_f64 v[56:57], v[10:11], s[46:47]
	v_rndne_f64_e32 v[56:57], v[56:57]
	v_fma_f64 v[58:59], s[48:49], v[56:57], v[10:11]
	v_fmac_f64_e32 v[58:59], s[50:51], v[56:57]
	v_pk_mov_b32 v[68:69], v[32:33], v[32:33] op_sel:[0,1]
	v_fmac_f64_e32 v[68:69], s[52:53], v[58:59]
	v_pk_mov_b32 v[70:71], v[34:35], v[34:35] op_sel:[0,1]
	;; [unrolled: 2-line block ×9, first 2 shown]
	v_fmac_f64_e32 v[68:69], v[58:59], v[70:71]
	v_fma_f64 v[68:69], v[58:59], v[68:69], 1.0
	v_fma_f64 v[58:59], v[58:59], v[68:69], 1.0
	v_cvt_i32_f64_e32 v23, v[56:57]
	v_ldexp_f64 v[56:57], v[58:59], v23
	v_cmp_nlt_f64_e64 s[8:9], s[58:59], v[10:11]
	v_cmp_ngt_f64_e64 s[10:11], s[60:61], v[10:11]
	v_cndmask_b32_e64 v23, v65, v57, s[8:9]
	s_and_b64 s[8:9], s[10:11], s[8:9]
	v_cndmask_b32_e64 v10, 0, v56, s[8:9]
	v_mul_f64 v[56:57], v[18:19], v[18:19]
	v_pk_mov_b32 v[72:73], s[62:63], s[62:63] op_sel:[0,1]
	v_mul_f64 v[58:59], v[56:57], 0.5
	v_fma_f64 v[74:75], s[64:65], v[56:57], v[72:73]
	v_add_f64 v[68:69], -v[58:59], 1.0
	v_fma_f64 v[74:75], v[56:57], v[74:75], s[66:67]
	v_add_f64 v[70:71], -v[68:69], 1.0
	v_fma_f64 v[74:75], v[56:57], v[74:75], s[68:69]
	v_add_f64 v[58:59], v[70:71], -v[58:59]
	v_fma_f64 v[74:75], v[56:57], v[74:75], s[70:71]
	v_mul_f64 v[70:71], v[56:57], v[56:57]
	v_fma_f64 v[74:75], v[56:57], v[74:75], s[56:57]
	v_fma_f64 v[58:59], v[18:19], -v[20:21], v[58:59]
	v_fmac_f64_e32 v[58:59], v[70:71], v[74:75]
	v_add_f64 v[58:59], v[68:69], v[58:59]
	v_pk_mov_b32 v[68:69], s[72:73], s[72:73] op_sel:[0,1]
	v_fma_f64 v[70:71], s[74:75], v[56:57], v[68:69]
	v_fma_f64 v[70:71], v[56:57], v[70:71], s[76:77]
	;; [unrolled: 1-line block ×4, first 2 shown]
	v_mul_f64 v[74:75], v[18:19], -v[56:57]
	v_mul_f64 v[76:77], v[20:21], 0.5
	v_fmac_f64_e32 v[76:77], v[74:75], v[70:71]
	v_fma_f64 v[20:21], v[56:57], v[76:77], -v[20:21]
	s_mov_b32 s80, s56
	v_fmac_f64_e32 v[20:21], s[80:81], v[74:75]
	v_add_f64 v[18:19], v[18:19], -v[20:21]
	v_and_b32_e32 v20, 1, v54
	v_xor_b32_e32 v19, 0x80000000, v19
	v_cmp_eq_u32_e64 s[8:9], 0, v20
	v_lshlrev_b32_e32 v20, 30, v54
	v_cndmask_b32_e64 v19, v19, v59, s[8:9]
	v_and_b32_e32 v20, 0x80000000, v20
	v_xor_b32_e32 v19, v19, v20
	v_mul_f64 v[20:21], v[50:51], v[50:51]
	v_mul_f64 v[56:57], v[20:21], 0.5
	v_fmac_f64_e32 v[72:73], s[64:65], v[20:21]
	v_cndmask_b32_e64 v18, v18, v58, s[8:9]
	v_add_f64 v[58:59], -v[56:57], 1.0
	v_fma_f64 v[72:73], v[20:21], v[72:73], s[66:67]
	v_add_f64 v[70:71], -v[58:59], 1.0
	v_fma_f64 v[72:73], v[20:21], v[72:73], s[68:69]
	v_add_f64 v[56:57], v[70:71], -v[56:57]
	v_fma_f64 v[72:73], v[20:21], v[72:73], s[70:71]
	v_mul_f64 v[70:71], v[20:21], v[20:21]
	v_fma_f64 v[72:73], v[20:21], v[72:73], s[56:57]
	v_fma_f64 v[56:57], v[50:51], -v[52:53], v[56:57]
	v_fmac_f64_e32 v[56:57], v[70:71], v[72:73]
	v_fmac_f64_e32 v[68:69], s[74:75], v[20:21]
	v_add_f64 v[56:57], v[58:59], v[56:57]
	v_fma_f64 v[58:59], v[20:21], v[68:69], s[76:77]
	v_fma_f64 v[58:59], v[20:21], v[58:59], s[78:79]
	;; [unrolled: 1-line block ×3, first 2 shown]
	v_mul_f64 v[68:69], v[50:51], -v[20:21]
	v_mul_f64 v[70:71], v[52:53], 0.5
	v_fmac_f64_e32 v[70:71], v[68:69], v[58:59]
	v_fma_f64 v[20:21], v[20:21], v[70:71], -v[52:53]
	v_cmp_class_f64_e64 s[8:9], v[12:13], s82
	v_fmac_f64_e32 v[20:21], s[80:81], v[68:69]
	v_and_b32_e32 v12, 1, v55
	v_cndmask_b32_e64 v11, 0, v23, s[10:11]
	v_add_f64 v[20:21], v[50:51], -v[20:21]
	v_cmp_eq_u32_e64 s[10:11], 0, v12
	v_cndmask_b32_e64 v12, v56, v20, s[10:11]
	v_cndmask_b32_e64 v20, v57, v21, s[10:11]
	v_lshlrev_b32_e32 v21, 30, v55
	v_xor_b32_e32 v13, v21, v13
	v_and_b32_e32 v13, 0x80000000, v13
	v_xor_b32_e32 v13, v20, v13
	v_cndmask_b32_e64 v18, 0, v18, s[8:9]
	v_cndmask_b32_e64 v19, v66, v19, s[8:9]
	;; [unrolled: 1-line block ×4, first 2 shown]
	v_mul_f64 v[18:19], v[10:11], v[18:19]
	v_mul_f64 v[20:21], v[10:11], v[12:13]
                                        ; implicit-def: $vgpr12_vgpr13
                                        ; implicit-def: $vgpr67
.LBB138_113:                            ;   in Loop: Header=BB138_4 Depth=1
	s_andn2_saveexec_b64 s[90:91], s[12:13]
	s_cbranch_execz .LBB138_123
; %bb.114:                              ;   in Loop: Header=BB138_4 Depth=1
	v_cmp_nlt_f64_e64 s[12:13], |v[12:13]|, s[24:25]
                                        ; implicit-def: $vgpr54
                                        ; implicit-def: $vgpr18_vgpr19
                                        ; implicit-def: $vgpr20_vgpr21
	s_and_saveexec_b64 s[8:9], s[12:13]
	s_xor_b64 s[92:93], exec, s[8:9]
	s_cbranch_execz .LBB138_116
; %bb.115:                              ;   in Loop: Header=BB138_4 Depth=1
	v_ldexp_f64 v[50:51], |v[12:13]|, s83
	v_cmp_ge_f64_e64 s[8:9], |v[12:13]|, s[26:27]
	v_trig_preop_f64 v[18:19], |v[12:13]|, 0
	v_cndmask_b32_e64 v51, v67, v51, s[8:9]
	v_cndmask_b32_e64 v50, v12, v50, s[8:9]
	v_trig_preop_f64 v[20:21], |v[12:13]|, 1
	v_mul_f64 v[54:55], v[18:19], v[50:51]
	v_mul_f64 v[52:53], v[20:21], v[50:51]
	v_fma_f64 v[18:19], v[18:19], v[50:51], -v[54:55]
	v_add_f64 v[56:57], v[52:53], v[18:19]
	v_add_f64 v[58:59], v[54:55], v[56:57]
	v_ldexp_f64 v[68:69], v[58:59], -2
	v_fract_f64_e32 v[70:71], v[68:69]
	v_cmp_neq_f64_e64 s[8:9], |v[68:69]|, s[28:29]
	v_cndmask_b32_e64 v69, 0, v71, s[8:9]
	v_cndmask_b32_e64 v68, 0, v70, s[8:9]
	v_add_f64 v[70:71], v[56:57], -v[52:53]
	v_add_f64 v[18:19], v[18:19], -v[70:71]
	;; [unrolled: 1-line block ×4, first 2 shown]
	v_fma_f64 v[20:21], v[20:21], v[50:51], -v[52:53]
	v_trig_preop_f64 v[52:53], |v[12:13]|, 2
	v_add_f64 v[18:19], v[18:19], v[70:71]
	v_mul_f64 v[70:71], v[52:53], v[50:51]
	v_add_f64 v[72:73], v[70:71], v[20:21]
	v_add_f64 v[74:75], v[72:73], v[18:19]
	v_add_f64 v[54:55], v[58:59], -v[54:55]
	v_add_f64 v[58:59], v[74:75], -v[72:73]
	;; [unrolled: 1-line block ×5, first 2 shown]
	v_add_f64 v[18:19], v[18:19], v[58:59]
	v_add_f64 v[58:59], v[72:73], -v[70:71]
	v_add_f64 v[20:21], v[20:21], -v[58:59]
	;; [unrolled: 1-line block ×4, first 2 shown]
	v_add_f64 v[20:21], v[20:21], v[58:59]
	v_add_f64 v[54:55], v[56:57], -v[54:55]
	v_add_f64 v[18:19], v[20:21], v[18:19]
	v_fma_f64 v[20:21], v[52:53], v[50:51], -v[70:71]
	v_add_f64 v[56:57], v[54:55], v[74:75]
	v_add_f64 v[18:19], v[20:21], v[18:19]
	v_ldexp_f64 v[20:21], v[68:69], 2
	v_add_f64 v[50:51], v[56:57], v[20:21]
	v_cmp_gt_f64_e64 s[8:9], 0, v[50:51]
	v_cndmask_b32_e64 v23, 0, v63, s[8:9]
	v_add_f64 v[20:21], v[20:21], v[22:23]
	v_add_f64 v[50:51], v[56:57], v[20:21]
	v_cvt_i32_f64_e32 v23, v[50:51]
	v_cvt_f64_i32_e32 v[50:51], v23
	v_add_f64 v[20:21], v[20:21], -v[50:51]
	v_add_f64 v[54:55], v[56:57], -v[54:55]
	v_add_f64 v[50:51], v[56:57], v[20:21]
	v_add_f64 v[54:55], v[74:75], -v[54:55]
	v_add_f64 v[20:21], v[50:51], -v[20:21]
	v_cmp_le_f64_e64 s[8:9], 0.5, v[50:51]
	v_add_f64 v[18:19], v[54:55], v[18:19]
	v_add_f64 v[20:21], v[56:57], -v[20:21]
	v_addc_co_u32_e64 v54, s[10:11], 0, v23, s[8:9]
	v_cndmask_b32_e64 v23, 0, v64, s[8:9]
	v_add_f64 v[18:19], v[18:19], v[20:21]
	v_add_f64 v[20:21], v[50:51], -v[22:23]
	v_add_f64 v[50:51], v[20:21], v[18:19]
	v_add_f64 v[20:21], v[50:51], -v[20:21]
	s_mov_b32 s30, s34
	v_add_f64 v[18:19], v[18:19], -v[20:21]
	v_mul_f64 v[20:21], v[50:51], s[30:31]
	v_fma_f64 v[52:53], v[50:51], s[30:31], -v[20:21]
	s_mov_b32 s39, s37
	v_fmac_f64_e32 v[52:53], s[38:39], v[50:51]
	v_fmac_f64_e32 v[52:53], s[30:31], v[18:19]
	v_add_f64 v[18:19], v[20:21], v[52:53]
	v_add_f64 v[20:21], v[18:19], -v[20:21]
	v_add_f64 v[20:21], v[52:53], -v[20:21]
	s_andn2_saveexec_b64 s[8:9], s[92:93]
	s_cbranch_execz .LBB138_118
	s_branch .LBB138_117
.LBB138_116:                            ;   in Loop: Header=BB138_4 Depth=1
	s_andn2_saveexec_b64 s[8:9], s[92:93]
	s_cbranch_execz .LBB138_118
.LBB138_117:                            ;   in Loop: Header=BB138_4 Depth=1
	v_mul_f64 v[18:19], |v[12:13]|, s[40:41]
	v_rndne_f64_e32 v[50:51], v[18:19]
	v_fma_f64 v[18:19], v[50:51], s[34:35], |v[12:13]|
	v_mul_f64 v[52:53], v[50:51], s[42:43]
	v_add_f64 v[56:57], v[18:19], v[52:53]
	v_fma_f64 v[20:21], s[42:43], v[50:51], v[18:19]
	s_mov_b32 s36, s42
	v_add_f64 v[18:19], v[18:19], -v[56:57]
	v_fma_f64 v[54:55], s[36:37], v[50:51], v[52:53]
	v_add_f64 v[18:19], v[18:19], v[52:53]
	v_add_f64 v[52:53], v[56:57], -v[20:21]
	v_add_f64 v[18:19], v[52:53], v[18:19]
	v_add_f64 v[52:53], v[18:19], -v[54:55]
	v_fmac_f64_e32 v[52:53], s[44:45], v[50:51]
	v_add_f64 v[18:19], v[20:21], v[52:53]
	v_add_f64 v[20:21], v[18:19], -v[20:21]
	v_add_f64 v[20:21], v[52:53], -v[20:21]
	v_cvt_i32_f64_e32 v54, v[50:51]
.LBB138_118:                            ;   in Loop: Header=BB138_4 Depth=1
	s_or_b64 exec, exec, s[8:9]
                                        ; implicit-def: $vgpr55
                                        ; implicit-def: $vgpr50_vgpr51
                                        ; implicit-def: $vgpr52_vgpr53
	s_and_saveexec_b64 s[8:9], s[12:13]
	s_xor_b64 s[12:13], exec, s[8:9]
	s_cbranch_execz .LBB138_120
; %bb.119:                              ;   in Loop: Header=BB138_4 Depth=1
	v_ldexp_f64 v[56:57], |v[12:13]|, s83
	v_cmp_ge_f64_e64 s[8:9], |v[12:13]|, s[26:27]
	v_trig_preop_f64 v[50:51], |v[12:13]|, 0
	v_cndmask_b32_e64 v57, v67, v57, s[8:9]
	v_cndmask_b32_e64 v56, v12, v56, s[8:9]
	v_trig_preop_f64 v[52:53], |v[12:13]|, 1
	v_mul_f64 v[68:69], v[50:51], v[56:57]
	v_mul_f64 v[58:59], v[52:53], v[56:57]
	v_fma_f64 v[50:51], v[50:51], v[56:57], -v[68:69]
	v_add_f64 v[70:71], v[58:59], v[50:51]
	v_add_f64 v[72:73], v[68:69], v[70:71]
	v_ldexp_f64 v[74:75], v[72:73], -2
	v_fract_f64_e32 v[76:77], v[74:75]
	v_cmp_neq_f64_e64 s[8:9], |v[74:75]|, s[28:29]
	v_cndmask_b32_e64 v75, 0, v77, s[8:9]
	v_cndmask_b32_e64 v74, 0, v76, s[8:9]
	v_add_f64 v[76:77], v[70:71], -v[58:59]
	v_add_f64 v[50:51], v[50:51], -v[76:77]
	v_add_f64 v[76:77], v[70:71], -v[76:77]
	v_add_f64 v[76:77], v[58:59], -v[76:77]
	v_fma_f64 v[52:53], v[52:53], v[56:57], -v[58:59]
	v_trig_preop_f64 v[58:59], |v[12:13]|, 2
	v_add_f64 v[50:51], v[50:51], v[76:77]
	v_mul_f64 v[76:77], v[58:59], v[56:57]
	v_add_f64 v[78:79], v[76:77], v[52:53]
	v_add_f64 v[80:81], v[78:79], v[50:51]
	v_add_f64 v[68:69], v[72:73], -v[68:69]
	v_add_f64 v[72:73], v[80:81], -v[78:79]
	;; [unrolled: 1-line block ×5, first 2 shown]
	v_add_f64 v[50:51], v[50:51], v[72:73]
	v_add_f64 v[72:73], v[78:79], -v[76:77]
	v_add_f64 v[52:53], v[52:53], -v[72:73]
	;; [unrolled: 1-line block ×4, first 2 shown]
	v_add_f64 v[52:53], v[52:53], v[72:73]
	v_add_f64 v[68:69], v[70:71], -v[68:69]
	v_add_f64 v[50:51], v[52:53], v[50:51]
	v_fma_f64 v[52:53], v[58:59], v[56:57], -v[76:77]
	v_add_f64 v[70:71], v[68:69], v[80:81]
	v_add_f64 v[50:51], v[52:53], v[50:51]
	v_ldexp_f64 v[52:53], v[74:75], 2
	v_add_f64 v[56:57], v[70:71], v[52:53]
	v_cmp_gt_f64_e64 s[8:9], 0, v[56:57]
	v_cndmask_b32_e64 v23, 0, v63, s[8:9]
	v_add_f64 v[52:53], v[52:53], v[22:23]
	v_add_f64 v[56:57], v[70:71], v[52:53]
	v_cvt_i32_f64_e32 v23, v[56:57]
	v_cvt_f64_i32_e32 v[56:57], v23
	v_add_f64 v[52:53], v[52:53], -v[56:57]
	v_add_f64 v[68:69], v[70:71], -v[68:69]
	v_add_f64 v[56:57], v[70:71], v[52:53]
	v_add_f64 v[68:69], v[80:81], -v[68:69]
	v_add_f64 v[52:53], v[56:57], -v[52:53]
	v_cmp_le_f64_e64 s[8:9], 0.5, v[56:57]
	v_add_f64 v[50:51], v[68:69], v[50:51]
	v_add_f64 v[52:53], v[70:71], -v[52:53]
	v_addc_co_u32_e64 v55, s[10:11], 0, v23, s[8:9]
	v_cndmask_b32_e64 v23, 0, v64, s[8:9]
	v_add_f64 v[50:51], v[50:51], v[52:53]
	v_add_f64 v[52:53], v[56:57], -v[22:23]
	v_add_f64 v[56:57], v[52:53], v[50:51]
	v_add_f64 v[52:53], v[56:57], -v[52:53]
	s_mov_b32 s30, s34
	v_add_f64 v[50:51], v[50:51], -v[52:53]
	v_mul_f64 v[52:53], v[56:57], s[30:31]
	v_fma_f64 v[58:59], v[56:57], s[30:31], -v[52:53]
	s_mov_b32 s39, s37
	v_fmac_f64_e32 v[58:59], s[38:39], v[56:57]
	v_fmac_f64_e32 v[58:59], s[30:31], v[50:51]
	v_add_f64 v[50:51], v[52:53], v[58:59]
	v_add_f64 v[52:53], v[50:51], -v[52:53]
	v_add_f64 v[52:53], v[58:59], -v[52:53]
	s_andn2_saveexec_b64 s[8:9], s[12:13]
	s_cbranch_execnz .LBB138_121
	s_branch .LBB138_122
.LBB138_120:                            ;   in Loop: Header=BB138_4 Depth=1
	s_andn2_saveexec_b64 s[8:9], s[12:13]
	s_cbranch_execz .LBB138_122
.LBB138_121:                            ;   in Loop: Header=BB138_4 Depth=1
	v_mul_f64 v[50:51], |v[12:13]|, s[40:41]
	v_rndne_f64_e32 v[56:57], v[50:51]
	v_fma_f64 v[50:51], v[56:57], s[34:35], |v[12:13]|
	v_mul_f64 v[58:59], v[56:57], s[42:43]
	v_add_f64 v[70:71], v[50:51], v[58:59]
	v_fma_f64 v[52:53], s[42:43], v[56:57], v[50:51]
	s_mov_b32 s36, s42
	v_add_f64 v[50:51], v[50:51], -v[70:71]
	v_fma_f64 v[68:69], s[36:37], v[56:57], v[58:59]
	v_add_f64 v[50:51], v[50:51], v[58:59]
	v_add_f64 v[58:59], v[70:71], -v[52:53]
	v_add_f64 v[50:51], v[58:59], v[50:51]
	v_add_f64 v[58:59], v[50:51], -v[68:69]
	v_fmac_f64_e32 v[58:59], s[44:45], v[56:57]
	v_add_f64 v[50:51], v[52:53], v[58:59]
	v_add_f64 v[52:53], v[50:51], -v[52:53]
	v_add_f64 v[52:53], v[58:59], -v[52:53]
	v_cvt_i32_f64_e32 v55, v[56:57]
.LBB138_122:                            ;   in Loop: Header=BB138_4 Depth=1
	s_or_b64 exec, exec, s[8:9]
	v_mul_f64 v[56:57], v[18:19], v[18:19]
	v_pk_mov_b32 v[72:73], s[62:63], s[62:63] op_sel:[0,1]
	v_mul_f64 v[58:59], v[56:57], 0.5
	v_fma_f64 v[74:75], s[64:65], v[56:57], v[72:73]
	v_add_f64 v[68:69], -v[58:59], 1.0
	v_fma_f64 v[74:75], v[56:57], v[74:75], s[66:67]
	v_fma_f64 v[74:75], v[56:57], v[74:75], s[68:69]
	v_add_f64 v[76:77], -v[68:69], 1.0
	v_fma_f64 v[74:75], v[56:57], v[74:75], s[70:71]
	v_add_f64 v[58:59], v[76:77], -v[58:59]
	v_mul_f64 v[70:71], v[56:57], v[56:57]
	v_fma_f64 v[74:75], v[56:57], v[74:75], s[56:57]
	v_fma_f64 v[58:59], v[18:19], -v[20:21], v[58:59]
	v_fmac_f64_e32 v[58:59], v[70:71], v[74:75]
	v_pk_mov_b32 v[70:71], s[72:73], s[72:73] op_sel:[0,1]
	v_fma_f64 v[74:75], s[74:75], v[56:57], v[70:71]
	v_fma_f64 v[74:75], v[56:57], v[74:75], s[76:77]
	;; [unrolled: 1-line block ×3, first 2 shown]
	v_add_f64 v[58:59], v[68:69], v[58:59]
	v_mul_f64 v[68:69], v[18:19], -v[56:57]
	v_fma_f64 v[74:75], v[56:57], v[74:75], s[54:55]
	v_mul_f64 v[76:77], v[20:21], 0.5
	v_fmac_f64_e32 v[76:77], v[68:69], v[74:75]
	v_fma_f64 v[20:21], v[56:57], v[76:77], -v[20:21]
	s_mov_b32 s80, s56
	v_fmac_f64_e32 v[20:21], s[80:81], v[68:69]
	v_and_b32_e32 v23, 1, v54
	v_add_f64 v[18:19], v[18:19], -v[20:21]
	s_mov_b32 s10, 0x19ba0da4
	v_xor_b32_e32 v19, 0x80000000, v19
	v_cmp_eq_u32_e64 s[8:9], 0, v23
	v_lshlrev_b32_e32 v20, 30, v54
	s_mov_b32 s11, 0xc0937be3
	v_cndmask_b32_e64 v19, v19, v59, s[8:9]
	v_and_b32_e32 v20, 0x80000000, v20
	v_add_f64 v[10:11], v[10:11], s[10:11]
	v_xor_b32_e32 v19, v19, v20
	v_mul_f64 v[20:21], v[10:11], s[46:47]
	v_rndne_f64_e32 v[20:21], v[20:21]
	v_fma_f64 v[56:57], s[48:49], v[20:21], v[10:11]
	v_cndmask_b32_e64 v18, v18, v58, s[8:9]
	v_fmac_f64_e32 v[56:57], s[50:51], v[20:21]
	v_pk_mov_b32 v[58:59], v[32:33], v[32:33] op_sel:[0,1]
	v_fmac_f64_e32 v[58:59], s[52:53], v[56:57]
	v_pk_mov_b32 v[68:69], v[34:35], v[34:35] op_sel:[0,1]
	v_fmac_f64_e32 v[68:69], v[56:57], v[58:59]
	v_pk_mov_b32 v[58:59], v[36:37], v[36:37] op_sel:[0,1]
	v_fmac_f64_e32 v[58:59], v[56:57], v[68:69]
	v_pk_mov_b32 v[68:69], v[38:39], v[38:39] op_sel:[0,1]
	v_fmac_f64_e32 v[68:69], v[56:57], v[58:59]
	v_pk_mov_b32 v[58:59], v[40:41], v[40:41] op_sel:[0,1]
	v_fmac_f64_e32 v[58:59], v[56:57], v[68:69]
	v_pk_mov_b32 v[68:69], v[42:43], v[42:43] op_sel:[0,1]
	v_fmac_f64_e32 v[68:69], v[56:57], v[58:59]
	v_pk_mov_b32 v[58:59], v[44:45], v[44:45] op_sel:[0,1]
	v_fmac_f64_e32 v[58:59], v[56:57], v[68:69]
	v_pk_mov_b32 v[68:69], v[46:47], v[46:47] op_sel:[0,1]
	v_fmac_f64_e32 v[68:69], v[56:57], v[58:59]
	v_pk_mov_b32 v[58:59], v[48:49], v[48:49] op_sel:[0,1]
	v_fmac_f64_e32 v[58:59], v[56:57], v[68:69]
	v_fma_f64 v[58:59], v[56:57], v[58:59], 1.0
	v_cmp_class_f64_e64 s[8:9], v[12:13], s82
	v_fma_f64 v[56:57], v[56:57], v[58:59], 1.0
	v_cvt_i32_f64_e32 v12, v[20:21]
	v_ldexp_f64 v[20:21], v[56:57], v12
	v_mul_f64 v[56:57], v[50:51], v[50:51]
	v_mul_f64 v[58:59], v[56:57], 0.5
	v_fmac_f64_e32 v[72:73], s[64:65], v[56:57]
	v_cmp_nlt_f64_e64 s[10:11], s[58:59], v[10:11]
	v_add_f64 v[68:69], -v[58:59], 1.0
	v_fma_f64 v[72:73], v[56:57], v[72:73], s[66:67]
	v_cndmask_b32_e64 v12, v65, v21, s[10:11]
	v_cmp_ngt_f64_e64 s[12:13], s[60:61], v[10:11]
	v_add_f64 v[74:75], -v[68:69], 1.0
	v_fma_f64 v[72:73], v[56:57], v[72:73], s[68:69]
	v_cndmask_b32_e64 v12, 0, v12, s[12:13]
	v_add_f64 v[58:59], v[74:75], -v[58:59]
	v_fma_f64 v[72:73], v[56:57], v[72:73], s[70:71]
	v_and_b32_e32 v11, 0xfffff, v12
	v_lshrrev_b32_e32 v12, 20, v12
	v_mul_f64 v[74:75], v[56:57], v[56:57]
	v_fma_f64 v[72:73], v[56:57], v[72:73], s[56:57]
	v_fma_f64 v[58:59], v[50:51], -v[52:53], v[58:59]
	s_and_b64 s[10:11], s[12:13], s[10:11]
	v_add_u32_e32 v12, 0xffffff09, v12
	v_fmac_f64_e32 v[58:59], v[74:75], v[72:73]
	v_fmac_f64_e32 v[70:71], s[74:75], v[56:57]
	v_cndmask_b32_e64 v10, 0, v20, s[10:11]
	v_lshrrev_b16_e32 v20, 15, v12
	v_add_f64 v[58:59], v[68:69], v[58:59]
	v_fma_f64 v[68:69], v[56:57], v[70:71], s[76:77]
	v_add_u16_e32 v20, v12, v20
	v_fma_f64 v[68:69], v[56:57], v[68:69], s[78:79]
	v_ashrrev_i16_e32 v20, 1, v20
	v_fma_f64 v[68:69], v[56:57], v[68:69], s[54:55]
	v_mul_f64 v[70:71], v[50:51], -v[56:57]
	v_mul_f64 v[72:73], v[52:53], 0.5
	v_bfe_i32 v20, v20, 0, 16
	v_fmac_f64_e32 v[72:73], v[70:71], v[68:69]
	v_sub_u32_e32 v12, v12, v20
	v_fma_f64 v[52:53], v[56:57], v[72:73], -v[52:53]
	v_lshl_add_u32 v21, v12, 20, v64
	v_fmac_f64_e32 v[52:53], s[80:81], v[70:71]
	v_and_b32_e32 v12, 1, v55
	v_add_f64 v[50:51], v[50:51], -v[52:53]
	v_cmp_eq_u32_e64 s[10:11], 0, v12
	v_cndmask_b32_e64 v12, v58, v50, s[10:11]
	v_cndmask_b32_e64 v50, v59, v51, s[10:11]
	v_lshlrev_b32_e32 v51, 30, v55
	v_xor_b32_e32 v13, v51, v13
	v_and_b32_e32 v13, 0x80000000, v13
	v_xor_b32_e32 v13, v50, v13
	v_cndmask_b32_e64 v18, 0, v18, s[8:9]
	v_cndmask_b32_e64 v19, v66, v19, s[8:9]
	v_or_b32_e32 v11, 0x7fe00000, v11
	v_cndmask_b32_e64 v12, 0, v12, s[8:9]
	v_cndmask_b32_e64 v13, v66, v13, s[8:9]
	v_mul_f64 v[18:19], v[10:11], v[18:19]
	v_lshl_add_u32 v23, v20, 20, v64
	v_mul_f64 v[10:11], v[10:11], v[12:13]
	v_mul_f64 v[18:19], v[18:19], v[22:23]
	v_mov_b32_e32 v20, v22
	v_mul_f64 v[10:11], v[10:11], v[22:23]
	v_mul_f64 v[18:19], v[18:19], v[20:21]
	;; [unrolled: 1-line block ×3, first 2 shown]
.LBB138_123:                            ;   in Loop: Header=BB138_4 Depth=1
	s_or_b64 exec, exec, s[90:91]
                                        ; implicit-def: $vgpr10_vgpr11
                                        ; implicit-def: $vgpr23
.LBB138_124:                            ;   in Loop: Header=BB138_4 Depth=1
	s_andn2_saveexec_b64 s[12:13], s[88:89]
	s_cbranch_execz .LBB138_130
; %bb.125:                              ;   in Loop: Header=BB138_4 Depth=1
	v_cmp_ne_u32_e64 s[8:9], 0, v10
	v_cmp_ne_u32_e64 s[10:11], s17, v23
	s_or_b64 s[8:9], s[8:9], s[10:11]
	v_add_f64 v[20:21], v[12:13], -v[12:13]
	s_and_saveexec_b64 s[10:11], s[8:9]
	s_xor_b64 s[8:9], exec, s[10:11]
; %bb.126:                              ;   in Loop: Header=BB138_4 Depth=1
                                        ; implicit-def: $vgpr10_vgpr11
; %bb.127:                              ;   in Loop: Header=BB138_4 Depth=1
	s_or_saveexec_b64 s[10:11], s[8:9]
	v_pk_mov_b32 v[18:19], v[20:21], v[20:21] op_sel:[0,1]
	s_xor_b64 exec, exec, s[10:11]
; %bb.128:                              ;   in Loop: Header=BB138_4 Depth=1
	v_cmp_lt_i64_e64 s[8:9], -1, v[10:11]
	v_cndmask_b32_e64 v19, 0, v11, s[8:9]
	v_cndmask_b32_e64 v18, 0, v10, s[8:9]
	;; [unrolled: 1-line block ×4, first 2 shown]
; %bb.129:                              ;   in Loop: Header=BB138_4 Depth=1
	s_or_b64 exec, exec, s[10:11]
.LBB138_130:                            ;   in Loop: Header=BB138_4 Depth=1
	s_or_b64 exec, exec, s[12:13]
                                        ; implicit-def: $vgpr12_vgpr13
                                        ; implicit-def: $vgpr67
.LBB138_131:                            ;   in Loop: Header=BB138_4 Depth=1
	s_andn2_saveexec_b64 s[12:13], s[86:87]
	s_cbranch_execz .LBB138_141
; %bb.132:                              ;   in Loop: Header=BB138_4 Depth=1
	v_cmp_nlt_f64_e64 s[86:87], |v[12:13]|, s[24:25]
	v_trig_preop_f64 v[52:53], |v[12:13]|, 0
	v_trig_preop_f64 v[50:51], |v[12:13]|, 1
	v_ldexp_f64 v[54:55], |v[12:13]|, s83
	v_trig_preop_f64 v[20:21], |v[12:13]|, 2
                                        ; implicit-def: $vgpr68
                                        ; implicit-def: $vgpr10_vgpr11
                                        ; implicit-def: $vgpr18_vgpr19
	s_and_saveexec_b64 s[8:9], s[86:87]
	s_xor_b64 s[88:89], exec, s[8:9]
	s_cbranch_execz .LBB138_134
; %bb.133:                              ;   in Loop: Header=BB138_4 Depth=1
	v_cmp_ge_f64_e64 s[8:9], |v[12:13]|, s[26:27]
	v_cndmask_b32_e64 v11, v67, v55, s[8:9]
	v_cndmask_b32_e64 v10, v12, v54, s[8:9]
	v_mul_f64 v[56:57], v[52:53], v[10:11]
	v_mul_f64 v[18:19], v[50:51], v[10:11]
	v_fma_f64 v[58:59], v[52:53], v[10:11], -v[56:57]
	v_add_f64 v[68:69], v[18:19], v[58:59]
	v_add_f64 v[70:71], v[56:57], v[68:69]
	v_ldexp_f64 v[72:73], v[70:71], -2
	v_fract_f64_e32 v[74:75], v[72:73]
	v_cmp_neq_f64_e64 s[8:9], |v[72:73]|, s[28:29]
	v_cndmask_b32_e64 v73, 0, v75, s[8:9]
	v_cndmask_b32_e64 v72, 0, v74, s[8:9]
	v_add_f64 v[74:75], v[68:69], -v[18:19]
	v_add_f64 v[58:59], v[58:59], -v[74:75]
	;; [unrolled: 1-line block ×4, first 2 shown]
	v_add_f64 v[58:59], v[58:59], v[74:75]
	v_fma_f64 v[18:19], v[50:51], v[10:11], -v[18:19]
	v_mul_f64 v[74:75], v[20:21], v[10:11]
	v_add_f64 v[76:77], v[74:75], v[18:19]
	v_add_f64 v[78:79], v[76:77], v[58:59]
	v_add_f64 v[56:57], v[70:71], -v[56:57]
	v_add_f64 v[70:71], v[78:79], -v[76:77]
	;; [unrolled: 1-line block ×5, first 2 shown]
	v_add_f64 v[58:59], v[58:59], v[70:71]
	v_add_f64 v[70:71], v[76:77], -v[74:75]
	v_add_f64 v[18:19], v[18:19], -v[70:71]
	v_add_f64 v[70:71], v[76:77], -v[70:71]
	v_add_f64 v[56:57], v[68:69], -v[56:57]
	v_add_f64 v[70:71], v[74:75], -v[70:71]
	v_add_f64 v[68:69], v[56:57], v[78:79]
	v_add_f64 v[18:19], v[18:19], v[70:71]
	v_add_f64 v[56:57], v[68:69], -v[56:57]
	v_add_f64 v[18:19], v[18:19], v[58:59]
	v_fma_f64 v[10:11], v[20:21], v[10:11], -v[74:75]
	v_add_f64 v[56:57], v[78:79], -v[56:57]
	v_add_f64 v[10:11], v[10:11], v[18:19]
	v_ldexp_f64 v[18:19], v[72:73], 2
	v_add_f64 v[10:11], v[56:57], v[10:11]
	v_add_f64 v[56:57], v[68:69], v[18:19]
	v_cmp_gt_f64_e64 s[8:9], 0, v[56:57]
	v_cndmask_b32_e64 v23, 0, v63, s[8:9]
	v_add_f64 v[18:19], v[18:19], v[22:23]
	v_add_f64 v[56:57], v[68:69], v[18:19]
	v_cvt_i32_f64_e32 v23, v[56:57]
	v_cvt_f64_i32_e32 v[56:57], v23
	v_add_f64 v[18:19], v[18:19], -v[56:57]
	v_add_f64 v[56:57], v[68:69], v[18:19]
	v_add_f64 v[18:19], v[56:57], -v[18:19]
	v_cmp_le_f64_e64 s[8:9], 0.5, v[56:57]
	v_add_f64 v[18:19], v[68:69], -v[18:19]
	v_addc_co_u32_e64 v68, s[10:11], 0, v23, s[8:9]
	v_cndmask_b32_e64 v23, 0, v64, s[8:9]
	v_add_f64 v[10:11], v[10:11], v[18:19]
	v_add_f64 v[18:19], v[56:57], -v[22:23]
	v_add_f64 v[56:57], v[18:19], v[10:11]
	v_add_f64 v[18:19], v[56:57], -v[18:19]
	s_mov_b32 s30, s34
	v_add_f64 v[10:11], v[10:11], -v[18:19]
	v_mul_f64 v[18:19], v[56:57], s[30:31]
	v_fma_f64 v[58:59], v[56:57], s[30:31], -v[18:19]
	s_mov_b32 s39, s37
	v_fmac_f64_e32 v[58:59], s[38:39], v[56:57]
	v_fmac_f64_e32 v[58:59], s[30:31], v[10:11]
	v_add_f64 v[10:11], v[18:19], v[58:59]
	v_add_f64 v[18:19], v[10:11], -v[18:19]
	v_add_f64 v[18:19], v[58:59], -v[18:19]
	s_andn2_saveexec_b64 s[8:9], s[88:89]
	s_cbranch_execz .LBB138_136
	s_branch .LBB138_135
.LBB138_134:                            ;   in Loop: Header=BB138_4 Depth=1
	s_andn2_saveexec_b64 s[8:9], s[88:89]
	s_cbranch_execz .LBB138_136
.LBB138_135:                            ;   in Loop: Header=BB138_4 Depth=1
	v_mul_f64 v[10:11], |v[12:13]|, s[40:41]
	v_rndne_f64_e32 v[56:57], v[10:11]
	v_fma_f64 v[10:11], v[56:57], s[34:35], |v[12:13]|
	v_mul_f64 v[58:59], v[56:57], s[42:43]
	v_add_f64 v[70:71], v[10:11], v[58:59]
	v_fma_f64 v[18:19], s[42:43], v[56:57], v[10:11]
	s_mov_b32 s36, s42
	v_add_f64 v[10:11], v[10:11], -v[70:71]
	v_fma_f64 v[68:69], s[36:37], v[56:57], v[58:59]
	v_add_f64 v[10:11], v[10:11], v[58:59]
	v_add_f64 v[58:59], v[70:71], -v[18:19]
	v_add_f64 v[10:11], v[58:59], v[10:11]
	v_add_f64 v[58:59], v[10:11], -v[68:69]
	v_fmac_f64_e32 v[58:59], s[44:45], v[56:57]
	v_add_f64 v[10:11], v[18:19], v[58:59]
	v_add_f64 v[18:19], v[10:11], -v[18:19]
	v_add_f64 v[18:19], v[58:59], -v[18:19]
	v_cvt_i32_f64_e32 v68, v[56:57]
.LBB138_136:                            ;   in Loop: Header=BB138_4 Depth=1
	s_or_b64 exec, exec, s[8:9]
                                        ; implicit-def: $vgpr69
                                        ; implicit-def: $vgpr56_vgpr57
                                        ; implicit-def: $vgpr58_vgpr59
	s_and_saveexec_b64 s[8:9], s[86:87]
	s_xor_b64 s[86:87], exec, s[8:9]
	s_cbranch_execz .LBB138_138
; %bb.137:                              ;   in Loop: Header=BB138_4 Depth=1
	v_cmp_ge_f64_e64 s[8:9], |v[12:13]|, s[26:27]
	v_cndmask_b32_e64 v55, v67, v55, s[8:9]
	v_cndmask_b32_e64 v54, v12, v54, s[8:9]
	v_mul_f64 v[58:59], v[52:53], v[54:55]
	v_mul_f64 v[56:57], v[50:51], v[54:55]
	v_fma_f64 v[52:53], v[52:53], v[54:55], -v[58:59]
	v_add_f64 v[70:71], v[56:57], v[52:53]
	v_add_f64 v[72:73], v[58:59], v[70:71]
	v_ldexp_f64 v[74:75], v[72:73], -2
	v_fract_f64_e32 v[76:77], v[74:75]
	v_cmp_neq_f64_e64 s[8:9], |v[74:75]|, s[28:29]
	v_cndmask_b32_e64 v75, 0, v77, s[8:9]
	v_cndmask_b32_e64 v74, 0, v76, s[8:9]
	v_add_f64 v[76:77], v[70:71], -v[56:57]
	v_add_f64 v[52:53], v[52:53], -v[76:77]
	;; [unrolled: 1-line block ×4, first 2 shown]
	v_fma_f64 v[50:51], v[50:51], v[54:55], -v[56:57]
	v_mul_f64 v[56:57], v[20:21], v[54:55]
	v_add_f64 v[52:53], v[52:53], v[76:77]
	v_add_f64 v[76:77], v[56:57], v[50:51]
	;; [unrolled: 1-line block ×3, first 2 shown]
	v_add_f64 v[58:59], v[72:73], -v[58:59]
	v_add_f64 v[72:73], v[78:79], -v[76:77]
	;; [unrolled: 1-line block ×5, first 2 shown]
	v_add_f64 v[52:53], v[52:53], v[72:73]
	v_add_f64 v[72:73], v[76:77], -v[56:57]
	v_add_f64 v[50:51], v[50:51], -v[72:73]
	;; [unrolled: 1-line block ×4, first 2 shown]
	v_add_f64 v[50:51], v[50:51], v[72:73]
	v_add_f64 v[58:59], v[70:71], -v[58:59]
	v_add_f64 v[50:51], v[50:51], v[52:53]
	v_fma_f64 v[20:21], v[20:21], v[54:55], -v[56:57]
	v_add_f64 v[70:71], v[58:59], v[78:79]
	v_add_f64 v[20:21], v[20:21], v[50:51]
	v_ldexp_f64 v[50:51], v[74:75], 2
	v_add_f64 v[52:53], v[70:71], v[50:51]
	v_cmp_gt_f64_e64 s[8:9], 0, v[52:53]
	v_cndmask_b32_e64 v23, 0, v63, s[8:9]
	v_add_f64 v[50:51], v[50:51], v[22:23]
	v_add_f64 v[52:53], v[70:71], v[50:51]
	v_cvt_i32_f64_e32 v23, v[52:53]
	v_cvt_f64_i32_e32 v[52:53], v23
	v_add_f64 v[50:51], v[50:51], -v[52:53]
	v_add_f64 v[58:59], v[70:71], -v[58:59]
	v_add_f64 v[52:53], v[70:71], v[50:51]
	v_add_f64 v[58:59], v[78:79], -v[58:59]
	v_add_f64 v[50:51], v[52:53], -v[50:51]
	v_cmp_le_f64_e64 s[8:9], 0.5, v[52:53]
	v_add_f64 v[20:21], v[58:59], v[20:21]
	v_add_f64 v[50:51], v[70:71], -v[50:51]
	v_addc_co_u32_e64 v69, s[10:11], 0, v23, s[8:9]
	v_cndmask_b32_e64 v23, 0, v64, s[8:9]
	v_add_f64 v[20:21], v[20:21], v[50:51]
	v_add_f64 v[50:51], v[52:53], -v[22:23]
	v_add_f64 v[52:53], v[50:51], v[20:21]
	v_add_f64 v[50:51], v[52:53], -v[50:51]
	s_mov_b32 s30, s34
	v_add_f64 v[20:21], v[20:21], -v[50:51]
	v_mul_f64 v[50:51], v[52:53], s[30:31]
	v_fma_f64 v[54:55], v[52:53], s[30:31], -v[50:51]
	s_mov_b32 s39, s37
	v_fmac_f64_e32 v[54:55], s[38:39], v[52:53]
	v_fmac_f64_e32 v[54:55], s[30:31], v[20:21]
	v_add_f64 v[56:57], v[50:51], v[54:55]
	v_add_f64 v[20:21], v[56:57], -v[50:51]
	v_add_f64 v[58:59], v[54:55], -v[20:21]
	s_andn2_saveexec_b64 s[8:9], s[86:87]
	s_cbranch_execnz .LBB138_139
	s_branch .LBB138_140
.LBB138_138:                            ;   in Loop: Header=BB138_4 Depth=1
	s_andn2_saveexec_b64 s[8:9], s[86:87]
	s_cbranch_execz .LBB138_140
.LBB138_139:                            ;   in Loop: Header=BB138_4 Depth=1
	v_mul_f64 v[20:21], |v[12:13]|, s[40:41]
	v_rndne_f64_e32 v[20:21], v[20:21]
	v_fma_f64 v[50:51], v[20:21], s[34:35], |v[12:13]|
	v_mul_f64 v[54:55], v[20:21], s[42:43]
	v_add_f64 v[58:59], v[50:51], v[54:55]
	v_fma_f64 v[52:53], s[42:43], v[20:21], v[50:51]
	s_mov_b32 s36, s42
	v_add_f64 v[50:51], v[50:51], -v[58:59]
	v_fma_f64 v[56:57], s[36:37], v[20:21], v[54:55]
	v_add_f64 v[50:51], v[50:51], v[54:55]
	v_add_f64 v[54:55], v[58:59], -v[52:53]
	v_add_f64 v[50:51], v[54:55], v[50:51]
	v_add_f64 v[50:51], v[50:51], -v[56:57]
	v_fmac_f64_e32 v[50:51], s[44:45], v[20:21]
	v_add_f64 v[56:57], v[52:53], v[50:51]
	v_add_f64 v[52:53], v[56:57], -v[52:53]
	v_add_f64 v[58:59], v[50:51], -v[52:53]
	v_cvt_i32_f64_e32 v69, v[20:21]
.LBB138_140:                            ;   in Loop: Header=BB138_4 Depth=1
	s_or_b64 exec, exec, s[8:9]
	v_mul_f64 v[20:21], v[10:11], v[10:11]
	v_pk_mov_b32 v[70:71], s[62:63], s[62:63] op_sel:[0,1]
	v_mul_f64 v[50:51], v[20:21], 0.5
	v_fma_f64 v[72:73], s[64:65], v[20:21], v[70:71]
	v_add_f64 v[52:53], -v[50:51], 1.0
	v_fma_f64 v[72:73], v[20:21], v[72:73], s[66:67]
	v_add_f64 v[54:55], -v[52:53], 1.0
	v_fma_f64 v[72:73], v[20:21], v[72:73], s[68:69]
	v_add_f64 v[50:51], v[54:55], -v[50:51]
	v_fma_f64 v[72:73], v[20:21], v[72:73], s[70:71]
	v_mul_f64 v[54:55], v[20:21], v[20:21]
	v_fma_f64 v[72:73], v[20:21], v[72:73], s[56:57]
	v_fma_f64 v[50:51], v[10:11], -v[18:19], v[50:51]
	v_fmac_f64_e32 v[50:51], v[54:55], v[72:73]
	v_add_f64 v[50:51], v[52:53], v[50:51]
	v_pk_mov_b32 v[52:53], s[72:73], s[72:73] op_sel:[0,1]
	v_fma_f64 v[54:55], s[74:75], v[20:21], v[52:53]
	v_fma_f64 v[54:55], v[20:21], v[54:55], s[76:77]
	;; [unrolled: 1-line block ×4, first 2 shown]
	v_mul_f64 v[72:73], v[10:11], -v[20:21]
	v_mul_f64 v[74:75], v[18:19], 0.5
	v_fmac_f64_e32 v[74:75], v[72:73], v[54:55]
	v_fma_f64 v[18:19], v[20:21], v[74:75], -v[18:19]
	s_mov_b32 s80, s56
	v_fmac_f64_e32 v[18:19], s[80:81], v[72:73]
	v_add_f64 v[10:11], v[10:11], -v[18:19]
	v_and_b32_e32 v18, 1, v68
	v_xor_b32_e32 v11, 0x80000000, v11
	v_cmp_eq_u32_e64 s[8:9], 0, v18
	v_lshlrev_b32_e32 v18, 30, v68
	v_cndmask_b32_e64 v11, v11, v51, s[8:9]
	v_and_b32_e32 v18, 0x80000000, v18
	v_cndmask_b32_e64 v10, v10, v50, s[8:9]
	v_xor_b32_e32 v11, v11, v18
	v_cmp_class_f64_e64 s[8:9], v[12:13], s82
	v_cndmask_b32_e64 v18, 0, v10, s[8:9]
	v_cndmask_b32_e64 v19, v66, v11, s[8:9]
	v_mul_f64 v[10:11], v[56:57], v[56:57]
	v_mul_f64 v[20:21], v[10:11], 0.5
	v_fmac_f64_e32 v[70:71], s[64:65], v[10:11]
	v_add_f64 v[50:51], -v[20:21], 1.0
	v_fma_f64 v[70:71], v[10:11], v[70:71], s[66:67]
	v_add_f64 v[54:55], -v[50:51], 1.0
	v_fma_f64 v[70:71], v[10:11], v[70:71], s[68:69]
	v_add_f64 v[20:21], v[54:55], -v[20:21]
	v_fma_f64 v[70:71], v[10:11], v[70:71], s[70:71]
	v_mul_f64 v[54:55], v[10:11], v[10:11]
	v_fma_f64 v[70:71], v[10:11], v[70:71], s[56:57]
	v_fma_f64 v[20:21], v[56:57], -v[58:59], v[20:21]
	v_fmac_f64_e32 v[20:21], v[54:55], v[70:71]
	v_fmac_f64_e32 v[52:53], s[74:75], v[10:11]
	v_add_f64 v[20:21], v[50:51], v[20:21]
	v_fma_f64 v[50:51], v[10:11], v[52:53], s[76:77]
	v_fma_f64 v[50:51], v[10:11], v[50:51], s[78:79]
	;; [unrolled: 1-line block ×3, first 2 shown]
	v_mul_f64 v[52:53], v[56:57], -v[10:11]
	v_mul_f64 v[54:55], v[58:59], 0.5
	v_fmac_f64_e32 v[54:55], v[52:53], v[50:51]
	v_fma_f64 v[10:11], v[10:11], v[54:55], -v[58:59]
	v_and_b32_e32 v12, 1, v69
	v_fmac_f64_e32 v[10:11], s[80:81], v[52:53]
	v_cmp_eq_u32_e64 s[10:11], 0, v12
	v_lshlrev_b32_e32 v12, 30, v69
	v_add_f64 v[10:11], v[56:57], -v[10:11]
	v_xor_b32_e32 v12, v12, v13
	v_cndmask_b32_e64 v11, v21, v11, s[10:11]
	v_and_b32_e32 v12, 0x80000000, v12
	v_cndmask_b32_e64 v10, v20, v10, s[10:11]
	v_xor_b32_e32 v11, v11, v12
	v_cndmask_b32_e64 v20, 0, v10, s[8:9]
	v_cndmask_b32_e64 v21, v66, v11, s[8:9]
.LBB138_141:                            ;   in Loop: Header=BB138_4 Depth=1
	s_or_b64 exec, exec, s[12:13]
                                        ; implicit-def: $vgpr10_vgpr11
.LBB138_142:                            ;   in Loop: Header=BB138_4 Depth=1
	s_andn2_saveexec_b64 s[12:13], s[84:85]
	s_cbranch_execz .LBB138_144
; %bb.143:                              ;   in Loop: Header=BB138_4 Depth=1
	v_mul_f64 v[18:19], v[10:11], s[46:47]
	v_rndne_f64_e32 v[18:19], v[18:19]
	v_fma_f64 v[20:21], s[48:49], v[18:19], v[10:11]
	v_fmac_f64_e32 v[20:21], s[50:51], v[18:19]
	v_pk_mov_b32 v[50:51], v[32:33], v[32:33] op_sel:[0,1]
	v_fmac_f64_e32 v[50:51], s[52:53], v[20:21]
	v_pk_mov_b32 v[52:53], v[34:35], v[34:35] op_sel:[0,1]
	;; [unrolled: 2-line block ×9, first 2 shown]
	v_fmac_f64_e32 v[50:51], v[20:21], v[52:53]
	v_fma_f64 v[50:51], v[20:21], v[50:51], 1.0
	v_fma_f64 v[20:21], v[20:21], v[50:51], 1.0
	v_cvt_i32_f64_e32 v18, v[18:19]
	v_ldexp_f64 v[18:19], v[20:21], v18
	v_cmp_nlt_f64_e64 s[8:9], s[58:59], v[10:11]
	v_cmp_ngt_f64_e64 s[10:11], s[60:61], v[10:11]
	v_cndmask_b32_e64 v19, v65, v19, s[8:9]
	s_and_b64 s[8:9], s[10:11], s[8:9]
	v_cndmask_b32_e64 v19, 0, v19, s[10:11]
	v_cndmask_b32_e64 v18, 0, v18, s[8:9]
	v_pk_mov_b32 v[20:21], v[12:13], v[12:13] op_sel:[0,1]
.LBB138_144:                            ;   in Loop: Header=BB138_4 Depth=1
	s_or_b64 exec, exec, s[12:13]
	v_and_b32_e32 v67, 0x7fffffff, v5
	v_or_b32_e32 v10, v67, v4
	v_cmp_ne_u32_e64 s[8:9], 0, v10
                                        ; implicit-def: $vgpr12_vgpr13
	s_and_saveexec_b64 s[10:11], s[8:9]
	s_xor_b64 s[84:85], exec, s[10:11]
	s_cbranch_execz .LBB138_150
; %bb.145:                              ;   in Loop: Header=BB138_4 Depth=1
	v_and_b32_e32 v23, 0x7fffffff, v3
	v_or_b32_e32 v10, v23, v2
	v_cmp_ne_u32_e64 s[8:9], 0, v10
                                        ; implicit-def: $vgpr12_vgpr13
	s_and_saveexec_b64 s[10:11], s[8:9]
	s_xor_b64 s[86:87], exec, s[10:11]
	s_cbranch_execz .LBB138_180
; %bb.146:                              ;   in Loop: Header=BB138_4 Depth=1
	v_cmp_gt_u32_e64 s[8:9], s17, v67
                                        ; implicit-def: $vgpr12_vgpr13
	s_and_saveexec_b64 s[10:11], s[8:9]
	s_xor_b64 s[88:89], exec, s[10:11]
	s_cbranch_execz .LBB138_173
; %bb.147:                              ;   in Loop: Header=BB138_4 Depth=1
	v_add_u32_e32 v10, 0xbf79d1be, v3
	s_mov_b32 s8, 0x108aa2
	v_cmp_lt_u32_e64 s[8:9], s8, v10
                                        ; implicit-def: $vgpr12_vgpr13
	s_and_saveexec_b64 s[10:11], s[8:9]
	s_xor_b64 s[12:13], exec, s[10:11]
	s_cbranch_execz .LBB138_162
; %bb.148:                              ;   in Loop: Header=BB138_4 Depth=1
	v_cmp_nlt_f64_e64 s[90:91], |v[4:5]|, s[24:25]
                                        ; implicit-def: $vgpr54
                                        ; implicit-def: $vgpr10_vgpr11
                                        ; implicit-def: $vgpr12_vgpr13
	s_and_saveexec_b64 s[8:9], s[90:91]
	s_xor_b64 s[92:93], exec, s[8:9]
	s_cbranch_execz .LBB138_155
; %bb.149:                              ;   in Loop: Header=BB138_4 Depth=1
	v_ldexp_f64 v[50:51], |v[4:5]|, s83
	v_cmp_ge_f64_e64 s[8:9], |v[4:5]|, s[26:27]
	v_trig_preop_f64 v[10:11], |v[4:5]|, 0
	v_cndmask_b32_e64 v51, v67, v51, s[8:9]
	v_cndmask_b32_e64 v50, v4, v50, s[8:9]
	v_trig_preop_f64 v[12:13], |v[4:5]|, 1
	v_mul_f64 v[54:55], v[10:11], v[50:51]
	v_mul_f64 v[52:53], v[12:13], v[50:51]
	v_fma_f64 v[10:11], v[10:11], v[50:51], -v[54:55]
	v_add_f64 v[56:57], v[52:53], v[10:11]
	v_add_f64 v[58:59], v[54:55], v[56:57]
	v_ldexp_f64 v[68:69], v[58:59], -2
	v_fract_f64_e32 v[70:71], v[68:69]
	v_cmp_neq_f64_e64 s[8:9], |v[68:69]|, s[28:29]
	v_cndmask_b32_e64 v69, 0, v71, s[8:9]
	v_cndmask_b32_e64 v68, 0, v70, s[8:9]
	v_add_f64 v[70:71], v[56:57], -v[52:53]
	v_add_f64 v[10:11], v[10:11], -v[70:71]
	;; [unrolled: 1-line block ×4, first 2 shown]
	v_fma_f64 v[12:13], v[12:13], v[50:51], -v[52:53]
	v_trig_preop_f64 v[52:53], |v[4:5]|, 2
	v_add_f64 v[10:11], v[10:11], v[70:71]
	v_mul_f64 v[70:71], v[52:53], v[50:51]
	v_add_f64 v[72:73], v[70:71], v[12:13]
	v_add_f64 v[74:75], v[72:73], v[10:11]
	v_add_f64 v[54:55], v[58:59], -v[54:55]
	v_add_f64 v[58:59], v[74:75], -v[72:73]
	;; [unrolled: 1-line block ×5, first 2 shown]
	v_add_f64 v[10:11], v[10:11], v[58:59]
	v_add_f64 v[58:59], v[72:73], -v[70:71]
	v_add_f64 v[12:13], v[12:13], -v[58:59]
	;; [unrolled: 1-line block ×4, first 2 shown]
	v_add_f64 v[12:13], v[12:13], v[58:59]
	v_add_f64 v[54:55], v[56:57], -v[54:55]
	v_add_f64 v[10:11], v[12:13], v[10:11]
	v_fma_f64 v[12:13], v[52:53], v[50:51], -v[70:71]
	v_add_f64 v[56:57], v[54:55], v[74:75]
	v_add_f64 v[10:11], v[12:13], v[10:11]
	v_ldexp_f64 v[12:13], v[68:69], 2
	v_add_f64 v[50:51], v[56:57], v[12:13]
	v_cmp_gt_f64_e64 s[8:9], 0, v[50:51]
	v_cndmask_b32_e64 v23, 0, v63, s[8:9]
	v_add_f64 v[12:13], v[12:13], v[22:23]
	v_add_f64 v[50:51], v[56:57], v[12:13]
	v_cvt_i32_f64_e32 v23, v[50:51]
	v_cvt_f64_i32_e32 v[50:51], v23
	v_add_f64 v[12:13], v[12:13], -v[50:51]
	v_add_f64 v[54:55], v[56:57], -v[54:55]
	v_add_f64 v[50:51], v[56:57], v[12:13]
	v_add_f64 v[54:55], v[74:75], -v[54:55]
	v_add_f64 v[12:13], v[50:51], -v[12:13]
	v_cmp_le_f64_e64 s[8:9], 0.5, v[50:51]
	v_add_f64 v[10:11], v[54:55], v[10:11]
	v_add_f64 v[12:13], v[56:57], -v[12:13]
	v_addc_co_u32_e64 v54, s[10:11], 0, v23, s[8:9]
	v_cndmask_b32_e64 v23, 0, v64, s[8:9]
	v_add_f64 v[10:11], v[10:11], v[12:13]
	v_add_f64 v[12:13], v[50:51], -v[22:23]
	v_add_f64 v[50:51], v[12:13], v[10:11]
	v_add_f64 v[12:13], v[50:51], -v[12:13]
	s_mov_b32 s30, s34
	v_add_f64 v[10:11], v[10:11], -v[12:13]
	v_mul_f64 v[12:13], v[50:51], s[30:31]
	v_fma_f64 v[52:53], v[50:51], s[30:31], -v[12:13]
	s_mov_b32 s39, s37
	v_fmac_f64_e32 v[52:53], s[38:39], v[50:51]
	v_fmac_f64_e32 v[52:53], s[30:31], v[10:11]
	v_add_f64 v[10:11], v[12:13], v[52:53]
	v_add_f64 v[12:13], v[10:11], -v[12:13]
	v_add_f64 v[12:13], v[52:53], -v[12:13]
	s_andn2_saveexec_b64 s[8:9], s[92:93]
	s_cbranch_execz .LBB138_157
	s_branch .LBB138_156
.LBB138_150:                            ;   in Loop: Header=BB138_4 Depth=1
	s_andn2_saveexec_b64 s[12:13], s[84:85]
	s_cbranch_execz .LBB138_191
.LBB138_151:                            ;   in Loop: Header=BB138_4 Depth=1
	v_mul_f64 v[10:11], v[2:3], s[46:47]
	v_rndne_f64_e32 v[10:11], v[10:11]
	v_fma_f64 v[12:13], s[48:49], v[10:11], v[2:3]
	v_fmac_f64_e32 v[12:13], s[50:51], v[10:11]
	v_pk_mov_b32 v[50:51], v[32:33], v[32:33] op_sel:[0,1]
	v_fmac_f64_e32 v[50:51], s[52:53], v[12:13]
	v_pk_mov_b32 v[52:53], v[34:35], v[34:35] op_sel:[0,1]
	;; [unrolled: 2-line block ×9, first 2 shown]
	v_fmac_f64_e32 v[50:51], v[12:13], v[52:53]
	v_fma_f64 v[50:51], v[12:13], v[50:51], 1.0
	v_fma_f64 v[12:13], v[12:13], v[50:51], 1.0
	v_cvt_i32_f64_e32 v10, v[10:11]
	v_ldexp_f64 v[10:11], v[12:13], v10
	v_cmp_nlt_f64_e64 s[8:9], s[58:59], v[2:3]
	v_cmp_ngt_f64_e64 s[10:11], s[60:61], v[2:3]
	v_cndmask_b32_e64 v11, v65, v11, s[8:9]
	s_and_b64 s[8:9], s[10:11], s[8:9]
	v_cndmask_b32_e64 v11, 0, v11, s[10:11]
	v_cndmask_b32_e64 v10, 0, v10, s[8:9]
	v_pk_mov_b32 v[12:13], v[4:5], v[4:5] op_sel:[0,1]
	s_or_b64 exec, exec, s[12:13]
	s_and_saveexec_b64 s[8:9], vcc
	s_xor_b64 s[8:9], exec, s[8:9]
	s_cbranch_execnz .LBB138_192
.LBB138_152:                            ;   in Loop: Header=BB138_4 Depth=1
	s_or_b64 exec, exec, s[8:9]
	s_and_saveexec_b64 s[8:9], s[0:1]
	s_cbranch_execz .LBB138_193
.LBB138_153:                            ;   in Loop: Header=BB138_4 Depth=1
	v_mov_b32_e32 v3, s94
	v_add_co_u32_e32 v2, vcc, s33, v28
	v_addc_co_u32_e32 v3, vcc, 0, v3, vcc
	global_store_dwordx4 v[2:3], v[14:17], off
	s_or_b64 exec, exec, s[8:9]
	s_and_saveexec_b64 s[0:1], s[2:3]
	s_cbranch_execnz .LBB138_194
.LBB138_154:                            ;   in Loop: Header=BB138_4 Depth=1
	s_or_b64 exec, exec, s[0:1]
	s_and_saveexec_b64 s[0:1], s[6:7]
	s_cbranch_execz .LBB138_3
	s_branch .LBB138_195
.LBB138_155:                            ;   in Loop: Header=BB138_4 Depth=1
	s_andn2_saveexec_b64 s[8:9], s[92:93]
	s_cbranch_execz .LBB138_157
.LBB138_156:                            ;   in Loop: Header=BB138_4 Depth=1
	v_mul_f64 v[10:11], |v[4:5]|, s[40:41]
	v_rndne_f64_e32 v[50:51], v[10:11]
	v_fma_f64 v[10:11], v[50:51], s[34:35], |v[4:5]|
	v_mul_f64 v[52:53], v[50:51], s[42:43]
	v_add_f64 v[56:57], v[10:11], v[52:53]
	v_fma_f64 v[12:13], s[42:43], v[50:51], v[10:11]
	s_mov_b32 s36, s42
	v_add_f64 v[10:11], v[10:11], -v[56:57]
	v_fma_f64 v[54:55], s[36:37], v[50:51], v[52:53]
	v_add_f64 v[10:11], v[10:11], v[52:53]
	v_add_f64 v[52:53], v[56:57], -v[12:13]
	v_add_f64 v[10:11], v[52:53], v[10:11]
	v_add_f64 v[52:53], v[10:11], -v[54:55]
	v_fmac_f64_e32 v[52:53], s[44:45], v[50:51]
	v_add_f64 v[10:11], v[12:13], v[52:53]
	v_add_f64 v[12:13], v[10:11], -v[12:13]
	v_add_f64 v[12:13], v[52:53], -v[12:13]
	v_cvt_i32_f64_e32 v54, v[50:51]
.LBB138_157:                            ;   in Loop: Header=BB138_4 Depth=1
	s_or_b64 exec, exec, s[8:9]
                                        ; implicit-def: $vgpr55
                                        ; implicit-def: $vgpr50_vgpr51
                                        ; implicit-def: $vgpr52_vgpr53
	s_and_saveexec_b64 s[8:9], s[90:91]
	s_xor_b64 s[90:91], exec, s[8:9]
	s_cbranch_execz .LBB138_159
; %bb.158:                              ;   in Loop: Header=BB138_4 Depth=1
	v_ldexp_f64 v[56:57], |v[4:5]|, s83
	v_cmp_ge_f64_e64 s[8:9], |v[4:5]|, s[26:27]
	v_trig_preop_f64 v[50:51], |v[4:5]|, 0
	v_cndmask_b32_e64 v57, v67, v57, s[8:9]
	v_cndmask_b32_e64 v56, v4, v56, s[8:9]
	v_trig_preop_f64 v[52:53], |v[4:5]|, 1
	v_mul_f64 v[68:69], v[50:51], v[56:57]
	v_mul_f64 v[58:59], v[52:53], v[56:57]
	v_fma_f64 v[50:51], v[50:51], v[56:57], -v[68:69]
	v_add_f64 v[70:71], v[58:59], v[50:51]
	v_add_f64 v[72:73], v[68:69], v[70:71]
	v_ldexp_f64 v[74:75], v[72:73], -2
	v_fract_f64_e32 v[76:77], v[74:75]
	v_cmp_neq_f64_e64 s[8:9], |v[74:75]|, s[28:29]
	v_cndmask_b32_e64 v75, 0, v77, s[8:9]
	v_cndmask_b32_e64 v74, 0, v76, s[8:9]
	v_add_f64 v[76:77], v[70:71], -v[58:59]
	v_add_f64 v[50:51], v[50:51], -v[76:77]
	;; [unrolled: 1-line block ×4, first 2 shown]
	v_fma_f64 v[52:53], v[52:53], v[56:57], -v[58:59]
	v_trig_preop_f64 v[58:59], |v[4:5]|, 2
	v_add_f64 v[50:51], v[50:51], v[76:77]
	v_mul_f64 v[76:77], v[58:59], v[56:57]
	v_add_f64 v[78:79], v[76:77], v[52:53]
	v_add_f64 v[80:81], v[78:79], v[50:51]
	v_add_f64 v[68:69], v[72:73], -v[68:69]
	v_add_f64 v[72:73], v[80:81], -v[78:79]
	;; [unrolled: 1-line block ×5, first 2 shown]
	v_add_f64 v[50:51], v[50:51], v[72:73]
	v_add_f64 v[72:73], v[78:79], -v[76:77]
	v_add_f64 v[52:53], v[52:53], -v[72:73]
	;; [unrolled: 1-line block ×4, first 2 shown]
	v_add_f64 v[52:53], v[52:53], v[72:73]
	v_add_f64 v[68:69], v[70:71], -v[68:69]
	v_add_f64 v[50:51], v[52:53], v[50:51]
	v_fma_f64 v[52:53], v[58:59], v[56:57], -v[76:77]
	v_add_f64 v[70:71], v[68:69], v[80:81]
	v_add_f64 v[50:51], v[52:53], v[50:51]
	v_ldexp_f64 v[52:53], v[74:75], 2
	v_add_f64 v[56:57], v[70:71], v[52:53]
	v_cmp_gt_f64_e64 s[8:9], 0, v[56:57]
	v_cndmask_b32_e64 v23, 0, v63, s[8:9]
	v_add_f64 v[52:53], v[52:53], v[22:23]
	v_add_f64 v[56:57], v[70:71], v[52:53]
	v_cvt_i32_f64_e32 v23, v[56:57]
	v_cvt_f64_i32_e32 v[56:57], v23
	v_add_f64 v[52:53], v[52:53], -v[56:57]
	v_add_f64 v[68:69], v[70:71], -v[68:69]
	v_add_f64 v[56:57], v[70:71], v[52:53]
	v_add_f64 v[68:69], v[80:81], -v[68:69]
	v_add_f64 v[52:53], v[56:57], -v[52:53]
	v_cmp_le_f64_e64 s[8:9], 0.5, v[56:57]
	v_add_f64 v[50:51], v[68:69], v[50:51]
	v_add_f64 v[52:53], v[70:71], -v[52:53]
	v_addc_co_u32_e64 v55, s[10:11], 0, v23, s[8:9]
	v_cndmask_b32_e64 v23, 0, v64, s[8:9]
	v_add_f64 v[50:51], v[50:51], v[52:53]
	v_add_f64 v[52:53], v[56:57], -v[22:23]
	v_add_f64 v[56:57], v[52:53], v[50:51]
	v_add_f64 v[52:53], v[56:57], -v[52:53]
	s_mov_b32 s30, s34
	v_add_f64 v[50:51], v[50:51], -v[52:53]
	v_mul_f64 v[52:53], v[56:57], s[30:31]
	v_fma_f64 v[58:59], v[56:57], s[30:31], -v[52:53]
	s_mov_b32 s39, s37
	v_fmac_f64_e32 v[58:59], s[38:39], v[56:57]
	v_fmac_f64_e32 v[58:59], s[30:31], v[50:51]
	v_add_f64 v[50:51], v[52:53], v[58:59]
	v_add_f64 v[52:53], v[50:51], -v[52:53]
	v_add_f64 v[52:53], v[58:59], -v[52:53]
	s_andn2_saveexec_b64 s[8:9], s[90:91]
	s_cbranch_execnz .LBB138_160
	s_branch .LBB138_161
.LBB138_159:                            ;   in Loop: Header=BB138_4 Depth=1
	s_andn2_saveexec_b64 s[8:9], s[90:91]
	s_cbranch_execz .LBB138_161
.LBB138_160:                            ;   in Loop: Header=BB138_4 Depth=1
	v_mul_f64 v[50:51], |v[4:5]|, s[40:41]
	v_rndne_f64_e32 v[56:57], v[50:51]
	v_fma_f64 v[50:51], v[56:57], s[34:35], |v[4:5]|
	v_mul_f64 v[58:59], v[56:57], s[42:43]
	v_add_f64 v[70:71], v[50:51], v[58:59]
	v_fma_f64 v[52:53], s[42:43], v[56:57], v[50:51]
	s_mov_b32 s36, s42
	v_add_f64 v[50:51], v[50:51], -v[70:71]
	v_fma_f64 v[68:69], s[36:37], v[56:57], v[58:59]
	v_add_f64 v[50:51], v[50:51], v[58:59]
	v_add_f64 v[58:59], v[70:71], -v[52:53]
	v_add_f64 v[50:51], v[58:59], v[50:51]
	v_add_f64 v[58:59], v[50:51], -v[68:69]
	v_fmac_f64_e32 v[58:59], s[44:45], v[56:57]
	v_add_f64 v[50:51], v[52:53], v[58:59]
	v_add_f64 v[52:53], v[50:51], -v[52:53]
	v_add_f64 v[52:53], v[58:59], -v[52:53]
	v_cvt_i32_f64_e32 v55, v[56:57]
.LBB138_161:                            ;   in Loop: Header=BB138_4 Depth=1
	s_or_b64 exec, exec, s[8:9]
	v_mul_f64 v[56:57], v[2:3], s[46:47]
	v_rndne_f64_e32 v[56:57], v[56:57]
	v_fma_f64 v[58:59], s[48:49], v[56:57], v[2:3]
	v_fmac_f64_e32 v[58:59], s[50:51], v[56:57]
	v_pk_mov_b32 v[68:69], v[32:33], v[32:33] op_sel:[0,1]
	v_fmac_f64_e32 v[68:69], s[52:53], v[58:59]
	v_pk_mov_b32 v[70:71], v[34:35], v[34:35] op_sel:[0,1]
	v_fmac_f64_e32 v[70:71], v[58:59], v[68:69]
	v_pk_mov_b32 v[68:69], v[36:37], v[36:37] op_sel:[0,1]
	v_fmac_f64_e32 v[68:69], v[58:59], v[70:71]
	v_pk_mov_b32 v[70:71], v[38:39], v[38:39] op_sel:[0,1]
	v_fmac_f64_e32 v[70:71], v[58:59], v[68:69]
	v_pk_mov_b32 v[68:69], v[40:41], v[40:41] op_sel:[0,1]
	v_fmac_f64_e32 v[68:69], v[58:59], v[70:71]
	v_pk_mov_b32 v[70:71], v[42:43], v[42:43] op_sel:[0,1]
	v_fmac_f64_e32 v[70:71], v[58:59], v[68:69]
	v_pk_mov_b32 v[68:69], v[44:45], v[44:45] op_sel:[0,1]
	v_fmac_f64_e32 v[68:69], v[58:59], v[70:71]
	v_pk_mov_b32 v[70:71], v[46:47], v[46:47] op_sel:[0,1]
	v_fmac_f64_e32 v[70:71], v[58:59], v[68:69]
	v_pk_mov_b32 v[68:69], v[48:49], v[48:49] op_sel:[0,1]
	v_fmac_f64_e32 v[68:69], v[58:59], v[70:71]
	v_fma_f64 v[68:69], v[58:59], v[68:69], 1.0
	v_fma_f64 v[58:59], v[58:59], v[68:69], 1.0
	v_cvt_i32_f64_e32 v23, v[56:57]
	v_ldexp_f64 v[56:57], v[58:59], v23
	v_cmp_nlt_f64_e64 s[8:9], s[58:59], v[2:3]
	v_cmp_ngt_f64_e64 s[10:11], s[60:61], v[2:3]
	v_cndmask_b32_e64 v23, v65, v57, s[8:9]
	s_and_b64 s[8:9], s[10:11], s[8:9]
	v_cndmask_b32_e64 v2, 0, v56, s[8:9]
	v_mul_f64 v[56:57], v[10:11], v[10:11]
	v_pk_mov_b32 v[72:73], s[62:63], s[62:63] op_sel:[0,1]
	v_mul_f64 v[58:59], v[56:57], 0.5
	v_fma_f64 v[74:75], s[64:65], v[56:57], v[72:73]
	v_add_f64 v[68:69], -v[58:59], 1.0
	v_fma_f64 v[74:75], v[56:57], v[74:75], s[66:67]
	v_add_f64 v[70:71], -v[68:69], 1.0
	v_fma_f64 v[74:75], v[56:57], v[74:75], s[68:69]
	v_add_f64 v[58:59], v[70:71], -v[58:59]
	v_fma_f64 v[74:75], v[56:57], v[74:75], s[70:71]
	v_mul_f64 v[70:71], v[56:57], v[56:57]
	v_fma_f64 v[74:75], v[56:57], v[74:75], s[56:57]
	v_fma_f64 v[58:59], v[10:11], -v[12:13], v[58:59]
	v_fmac_f64_e32 v[58:59], v[70:71], v[74:75]
	v_add_f64 v[58:59], v[68:69], v[58:59]
	v_pk_mov_b32 v[68:69], s[72:73], s[72:73] op_sel:[0,1]
	v_fma_f64 v[70:71], s[74:75], v[56:57], v[68:69]
	v_fma_f64 v[70:71], v[56:57], v[70:71], s[76:77]
	;; [unrolled: 1-line block ×4, first 2 shown]
	v_mul_f64 v[74:75], v[10:11], -v[56:57]
	v_mul_f64 v[76:77], v[12:13], 0.5
	v_fmac_f64_e32 v[76:77], v[74:75], v[70:71]
	v_fma_f64 v[12:13], v[56:57], v[76:77], -v[12:13]
	s_mov_b32 s80, s56
	v_fmac_f64_e32 v[12:13], s[80:81], v[74:75]
	v_add_f64 v[10:11], v[10:11], -v[12:13]
	v_and_b32_e32 v12, 1, v54
	v_xor_b32_e32 v11, 0x80000000, v11
	v_cmp_eq_u32_e64 s[8:9], 0, v12
	v_lshlrev_b32_e32 v12, 30, v54
	v_cndmask_b32_e64 v11, v11, v59, s[8:9]
	v_and_b32_e32 v12, 0x80000000, v12
	v_xor_b32_e32 v11, v11, v12
	v_mul_f64 v[12:13], v[50:51], v[50:51]
	v_mul_f64 v[56:57], v[12:13], 0.5
	v_fmac_f64_e32 v[72:73], s[64:65], v[12:13]
	v_cndmask_b32_e64 v10, v10, v58, s[8:9]
	v_add_f64 v[58:59], -v[56:57], 1.0
	v_fma_f64 v[72:73], v[12:13], v[72:73], s[66:67]
	v_add_f64 v[70:71], -v[58:59], 1.0
	v_fma_f64 v[72:73], v[12:13], v[72:73], s[68:69]
	v_add_f64 v[56:57], v[70:71], -v[56:57]
	v_fma_f64 v[72:73], v[12:13], v[72:73], s[70:71]
	v_mul_f64 v[70:71], v[12:13], v[12:13]
	v_fma_f64 v[72:73], v[12:13], v[72:73], s[56:57]
	v_fma_f64 v[56:57], v[50:51], -v[52:53], v[56:57]
	v_fmac_f64_e32 v[56:57], v[70:71], v[72:73]
	v_fmac_f64_e32 v[68:69], s[74:75], v[12:13]
	v_add_f64 v[56:57], v[58:59], v[56:57]
	v_fma_f64 v[58:59], v[12:13], v[68:69], s[76:77]
	v_fma_f64 v[58:59], v[12:13], v[58:59], s[78:79]
	;; [unrolled: 1-line block ×3, first 2 shown]
	v_mul_f64 v[68:69], v[50:51], -v[12:13]
	v_mul_f64 v[70:71], v[52:53], 0.5
	v_fmac_f64_e32 v[70:71], v[68:69], v[58:59]
	v_fma_f64 v[12:13], v[12:13], v[70:71], -v[52:53]
	v_cmp_class_f64_e64 s[8:9], v[4:5], s82
	v_fmac_f64_e32 v[12:13], s[80:81], v[68:69]
	v_and_b32_e32 v4, 1, v55
	v_cndmask_b32_e64 v3, 0, v23, s[10:11]
	v_add_f64 v[12:13], v[50:51], -v[12:13]
	v_cmp_eq_u32_e64 s[10:11], 0, v4
	v_cndmask_b32_e64 v4, v56, v12, s[10:11]
	v_cndmask_b32_e64 v12, v57, v13, s[10:11]
	v_lshlrev_b32_e32 v13, 30, v55
	v_xor_b32_e32 v5, v13, v5
	v_and_b32_e32 v5, 0x80000000, v5
	v_xor_b32_e32 v5, v12, v5
	v_cndmask_b32_e64 v10, 0, v10, s[8:9]
	v_cndmask_b32_e64 v11, v66, v11, s[8:9]
	;; [unrolled: 1-line block ×4, first 2 shown]
	v_mul_f64 v[10:11], v[2:3], v[10:11]
	v_mul_f64 v[12:13], v[2:3], v[4:5]
                                        ; implicit-def: $vgpr4_vgpr5
                                        ; implicit-def: $vgpr67
.LBB138_162:                            ;   in Loop: Header=BB138_4 Depth=1
	s_andn2_saveexec_b64 s[90:91], s[12:13]
	s_cbranch_execz .LBB138_172
; %bb.163:                              ;   in Loop: Header=BB138_4 Depth=1
	v_cmp_nlt_f64_e64 s[12:13], |v[4:5]|, s[24:25]
                                        ; implicit-def: $vgpr54
                                        ; implicit-def: $vgpr10_vgpr11
                                        ; implicit-def: $vgpr12_vgpr13
	s_and_saveexec_b64 s[8:9], s[12:13]
	s_xor_b64 s[92:93], exec, s[8:9]
	s_cbranch_execz .LBB138_165
; %bb.164:                              ;   in Loop: Header=BB138_4 Depth=1
	v_ldexp_f64 v[50:51], |v[4:5]|, s83
	v_cmp_ge_f64_e64 s[8:9], |v[4:5]|, s[26:27]
	v_trig_preop_f64 v[10:11], |v[4:5]|, 0
	v_cndmask_b32_e64 v51, v67, v51, s[8:9]
	v_cndmask_b32_e64 v50, v4, v50, s[8:9]
	v_trig_preop_f64 v[12:13], |v[4:5]|, 1
	v_mul_f64 v[54:55], v[10:11], v[50:51]
	v_mul_f64 v[52:53], v[12:13], v[50:51]
	v_fma_f64 v[10:11], v[10:11], v[50:51], -v[54:55]
	v_add_f64 v[56:57], v[52:53], v[10:11]
	v_add_f64 v[58:59], v[54:55], v[56:57]
	v_ldexp_f64 v[68:69], v[58:59], -2
	v_fract_f64_e32 v[70:71], v[68:69]
	v_cmp_neq_f64_e64 s[8:9], |v[68:69]|, s[28:29]
	v_cndmask_b32_e64 v69, 0, v71, s[8:9]
	v_cndmask_b32_e64 v68, 0, v70, s[8:9]
	v_add_f64 v[70:71], v[56:57], -v[52:53]
	v_add_f64 v[10:11], v[10:11], -v[70:71]
	;; [unrolled: 1-line block ×4, first 2 shown]
	v_fma_f64 v[12:13], v[12:13], v[50:51], -v[52:53]
	v_trig_preop_f64 v[52:53], |v[4:5]|, 2
	v_add_f64 v[10:11], v[10:11], v[70:71]
	v_mul_f64 v[70:71], v[52:53], v[50:51]
	v_add_f64 v[72:73], v[70:71], v[12:13]
	v_add_f64 v[74:75], v[72:73], v[10:11]
	v_add_f64 v[54:55], v[58:59], -v[54:55]
	v_add_f64 v[58:59], v[74:75], -v[72:73]
	;; [unrolled: 1-line block ×5, first 2 shown]
	v_add_f64 v[10:11], v[10:11], v[58:59]
	v_add_f64 v[58:59], v[72:73], -v[70:71]
	v_add_f64 v[12:13], v[12:13], -v[58:59]
	;; [unrolled: 1-line block ×4, first 2 shown]
	v_add_f64 v[12:13], v[12:13], v[58:59]
	v_add_f64 v[54:55], v[56:57], -v[54:55]
	v_add_f64 v[10:11], v[12:13], v[10:11]
	v_fma_f64 v[12:13], v[52:53], v[50:51], -v[70:71]
	v_add_f64 v[56:57], v[54:55], v[74:75]
	v_add_f64 v[10:11], v[12:13], v[10:11]
	v_ldexp_f64 v[12:13], v[68:69], 2
	v_add_f64 v[50:51], v[56:57], v[12:13]
	v_cmp_gt_f64_e64 s[8:9], 0, v[50:51]
	v_cndmask_b32_e64 v23, 0, v63, s[8:9]
	v_add_f64 v[12:13], v[12:13], v[22:23]
	v_add_f64 v[50:51], v[56:57], v[12:13]
	v_cvt_i32_f64_e32 v23, v[50:51]
	v_cvt_f64_i32_e32 v[50:51], v23
	v_add_f64 v[12:13], v[12:13], -v[50:51]
	v_add_f64 v[54:55], v[56:57], -v[54:55]
	v_add_f64 v[50:51], v[56:57], v[12:13]
	v_add_f64 v[54:55], v[74:75], -v[54:55]
	v_add_f64 v[12:13], v[50:51], -v[12:13]
	v_cmp_le_f64_e64 s[8:9], 0.5, v[50:51]
	v_add_f64 v[10:11], v[54:55], v[10:11]
	v_add_f64 v[12:13], v[56:57], -v[12:13]
	v_addc_co_u32_e64 v54, s[10:11], 0, v23, s[8:9]
	v_cndmask_b32_e64 v23, 0, v64, s[8:9]
	v_add_f64 v[10:11], v[10:11], v[12:13]
	v_add_f64 v[12:13], v[50:51], -v[22:23]
	v_add_f64 v[50:51], v[12:13], v[10:11]
	v_add_f64 v[12:13], v[50:51], -v[12:13]
	s_mov_b32 s30, s34
	v_add_f64 v[10:11], v[10:11], -v[12:13]
	v_mul_f64 v[12:13], v[50:51], s[30:31]
	v_fma_f64 v[52:53], v[50:51], s[30:31], -v[12:13]
	s_mov_b32 s39, s37
	v_fmac_f64_e32 v[52:53], s[38:39], v[50:51]
	v_fmac_f64_e32 v[52:53], s[30:31], v[10:11]
	v_add_f64 v[10:11], v[12:13], v[52:53]
	v_add_f64 v[12:13], v[10:11], -v[12:13]
	v_add_f64 v[12:13], v[52:53], -v[12:13]
	s_andn2_saveexec_b64 s[8:9], s[92:93]
	s_cbranch_execz .LBB138_167
	s_branch .LBB138_166
.LBB138_165:                            ;   in Loop: Header=BB138_4 Depth=1
	s_andn2_saveexec_b64 s[8:9], s[92:93]
	s_cbranch_execz .LBB138_167
.LBB138_166:                            ;   in Loop: Header=BB138_4 Depth=1
	v_mul_f64 v[10:11], |v[4:5]|, s[40:41]
	v_rndne_f64_e32 v[50:51], v[10:11]
	v_fma_f64 v[10:11], v[50:51], s[34:35], |v[4:5]|
	v_mul_f64 v[52:53], v[50:51], s[42:43]
	v_add_f64 v[56:57], v[10:11], v[52:53]
	v_fma_f64 v[12:13], s[42:43], v[50:51], v[10:11]
	s_mov_b32 s36, s42
	v_add_f64 v[10:11], v[10:11], -v[56:57]
	v_fma_f64 v[54:55], s[36:37], v[50:51], v[52:53]
	v_add_f64 v[10:11], v[10:11], v[52:53]
	v_add_f64 v[52:53], v[56:57], -v[12:13]
	v_add_f64 v[10:11], v[52:53], v[10:11]
	v_add_f64 v[52:53], v[10:11], -v[54:55]
	v_fmac_f64_e32 v[52:53], s[44:45], v[50:51]
	v_add_f64 v[10:11], v[12:13], v[52:53]
	v_add_f64 v[12:13], v[10:11], -v[12:13]
	v_add_f64 v[12:13], v[52:53], -v[12:13]
	v_cvt_i32_f64_e32 v54, v[50:51]
.LBB138_167:                            ;   in Loop: Header=BB138_4 Depth=1
	s_or_b64 exec, exec, s[8:9]
                                        ; implicit-def: $vgpr55
                                        ; implicit-def: $vgpr50_vgpr51
                                        ; implicit-def: $vgpr52_vgpr53
	s_and_saveexec_b64 s[8:9], s[12:13]
	s_xor_b64 s[12:13], exec, s[8:9]
	s_cbranch_execz .LBB138_169
; %bb.168:                              ;   in Loop: Header=BB138_4 Depth=1
	v_ldexp_f64 v[56:57], |v[4:5]|, s83
	v_cmp_ge_f64_e64 s[8:9], |v[4:5]|, s[26:27]
	v_trig_preop_f64 v[50:51], |v[4:5]|, 0
	v_cndmask_b32_e64 v57, v67, v57, s[8:9]
	v_cndmask_b32_e64 v56, v4, v56, s[8:9]
	v_trig_preop_f64 v[52:53], |v[4:5]|, 1
	v_mul_f64 v[68:69], v[50:51], v[56:57]
	v_mul_f64 v[58:59], v[52:53], v[56:57]
	v_fma_f64 v[50:51], v[50:51], v[56:57], -v[68:69]
	v_add_f64 v[70:71], v[58:59], v[50:51]
	v_add_f64 v[72:73], v[68:69], v[70:71]
	v_ldexp_f64 v[74:75], v[72:73], -2
	v_fract_f64_e32 v[76:77], v[74:75]
	v_cmp_neq_f64_e64 s[8:9], |v[74:75]|, s[28:29]
	v_cndmask_b32_e64 v75, 0, v77, s[8:9]
	v_cndmask_b32_e64 v74, 0, v76, s[8:9]
	v_add_f64 v[76:77], v[70:71], -v[58:59]
	v_add_f64 v[50:51], v[50:51], -v[76:77]
	;; [unrolled: 1-line block ×4, first 2 shown]
	v_fma_f64 v[52:53], v[52:53], v[56:57], -v[58:59]
	v_trig_preop_f64 v[58:59], |v[4:5]|, 2
	v_add_f64 v[50:51], v[50:51], v[76:77]
	v_mul_f64 v[76:77], v[58:59], v[56:57]
	v_add_f64 v[78:79], v[76:77], v[52:53]
	v_add_f64 v[80:81], v[78:79], v[50:51]
	v_add_f64 v[68:69], v[72:73], -v[68:69]
	v_add_f64 v[72:73], v[80:81], -v[78:79]
	;; [unrolled: 1-line block ×5, first 2 shown]
	v_add_f64 v[50:51], v[50:51], v[72:73]
	v_add_f64 v[72:73], v[78:79], -v[76:77]
	v_add_f64 v[52:53], v[52:53], -v[72:73]
	v_add_f64 v[72:73], v[78:79], -v[72:73]
	v_add_f64 v[72:73], v[76:77], -v[72:73]
	v_add_f64 v[52:53], v[52:53], v[72:73]
	v_add_f64 v[68:69], v[70:71], -v[68:69]
	v_add_f64 v[50:51], v[52:53], v[50:51]
	v_fma_f64 v[52:53], v[58:59], v[56:57], -v[76:77]
	v_add_f64 v[70:71], v[68:69], v[80:81]
	v_add_f64 v[50:51], v[52:53], v[50:51]
	v_ldexp_f64 v[52:53], v[74:75], 2
	v_add_f64 v[56:57], v[70:71], v[52:53]
	v_cmp_gt_f64_e64 s[8:9], 0, v[56:57]
	v_cndmask_b32_e64 v23, 0, v63, s[8:9]
	v_add_f64 v[52:53], v[52:53], v[22:23]
	v_add_f64 v[56:57], v[70:71], v[52:53]
	v_cvt_i32_f64_e32 v23, v[56:57]
	v_cvt_f64_i32_e32 v[56:57], v23
	v_add_f64 v[52:53], v[52:53], -v[56:57]
	v_add_f64 v[68:69], v[70:71], -v[68:69]
	v_add_f64 v[56:57], v[70:71], v[52:53]
	v_add_f64 v[68:69], v[80:81], -v[68:69]
	v_add_f64 v[52:53], v[56:57], -v[52:53]
	v_cmp_le_f64_e64 s[8:9], 0.5, v[56:57]
	v_add_f64 v[50:51], v[68:69], v[50:51]
	v_add_f64 v[52:53], v[70:71], -v[52:53]
	v_addc_co_u32_e64 v55, s[10:11], 0, v23, s[8:9]
	v_cndmask_b32_e64 v23, 0, v64, s[8:9]
	v_add_f64 v[50:51], v[50:51], v[52:53]
	v_add_f64 v[52:53], v[56:57], -v[22:23]
	v_add_f64 v[56:57], v[52:53], v[50:51]
	v_add_f64 v[52:53], v[56:57], -v[52:53]
	s_mov_b32 s30, s34
	v_add_f64 v[50:51], v[50:51], -v[52:53]
	v_mul_f64 v[52:53], v[56:57], s[30:31]
	v_fma_f64 v[58:59], v[56:57], s[30:31], -v[52:53]
	s_mov_b32 s39, s37
	v_fmac_f64_e32 v[58:59], s[38:39], v[56:57]
	v_fmac_f64_e32 v[58:59], s[30:31], v[50:51]
	v_add_f64 v[50:51], v[52:53], v[58:59]
	v_add_f64 v[52:53], v[50:51], -v[52:53]
	v_add_f64 v[52:53], v[58:59], -v[52:53]
	s_andn2_saveexec_b64 s[8:9], s[12:13]
	s_cbranch_execnz .LBB138_170
	s_branch .LBB138_171
.LBB138_169:                            ;   in Loop: Header=BB138_4 Depth=1
	s_andn2_saveexec_b64 s[8:9], s[12:13]
	s_cbranch_execz .LBB138_171
.LBB138_170:                            ;   in Loop: Header=BB138_4 Depth=1
	v_mul_f64 v[50:51], |v[4:5]|, s[40:41]
	v_rndne_f64_e32 v[56:57], v[50:51]
	v_fma_f64 v[50:51], v[56:57], s[34:35], |v[4:5]|
	v_mul_f64 v[58:59], v[56:57], s[42:43]
	v_add_f64 v[70:71], v[50:51], v[58:59]
	v_fma_f64 v[52:53], s[42:43], v[56:57], v[50:51]
	s_mov_b32 s36, s42
	v_add_f64 v[50:51], v[50:51], -v[70:71]
	v_fma_f64 v[68:69], s[36:37], v[56:57], v[58:59]
	v_add_f64 v[50:51], v[50:51], v[58:59]
	v_add_f64 v[58:59], v[70:71], -v[52:53]
	v_add_f64 v[50:51], v[58:59], v[50:51]
	v_add_f64 v[58:59], v[50:51], -v[68:69]
	v_fmac_f64_e32 v[58:59], s[44:45], v[56:57]
	v_add_f64 v[50:51], v[52:53], v[58:59]
	v_add_f64 v[52:53], v[50:51], -v[52:53]
	v_add_f64 v[52:53], v[58:59], -v[52:53]
	v_cvt_i32_f64_e32 v55, v[56:57]
.LBB138_171:                            ;   in Loop: Header=BB138_4 Depth=1
	s_or_b64 exec, exec, s[8:9]
	v_mul_f64 v[56:57], v[10:11], v[10:11]
	v_pk_mov_b32 v[72:73], s[62:63], s[62:63] op_sel:[0,1]
	v_mul_f64 v[58:59], v[56:57], 0.5
	v_fma_f64 v[74:75], s[64:65], v[56:57], v[72:73]
	v_add_f64 v[68:69], -v[58:59], 1.0
	v_fma_f64 v[74:75], v[56:57], v[74:75], s[66:67]
	v_fma_f64 v[74:75], v[56:57], v[74:75], s[68:69]
	v_add_f64 v[76:77], -v[68:69], 1.0
	v_fma_f64 v[74:75], v[56:57], v[74:75], s[70:71]
	v_add_f64 v[58:59], v[76:77], -v[58:59]
	v_mul_f64 v[70:71], v[56:57], v[56:57]
	v_fma_f64 v[74:75], v[56:57], v[74:75], s[56:57]
	v_fma_f64 v[58:59], v[10:11], -v[12:13], v[58:59]
	v_fmac_f64_e32 v[58:59], v[70:71], v[74:75]
	v_pk_mov_b32 v[70:71], s[72:73], s[72:73] op_sel:[0,1]
	v_fma_f64 v[74:75], s[74:75], v[56:57], v[70:71]
	v_fma_f64 v[74:75], v[56:57], v[74:75], s[76:77]
	;; [unrolled: 1-line block ×3, first 2 shown]
	v_add_f64 v[58:59], v[68:69], v[58:59]
	v_mul_f64 v[68:69], v[10:11], -v[56:57]
	v_fma_f64 v[74:75], v[56:57], v[74:75], s[54:55]
	v_mul_f64 v[76:77], v[12:13], 0.5
	v_fmac_f64_e32 v[76:77], v[68:69], v[74:75]
	v_fma_f64 v[12:13], v[56:57], v[76:77], -v[12:13]
	s_mov_b32 s80, s56
	v_fmac_f64_e32 v[12:13], s[80:81], v[68:69]
	v_and_b32_e32 v23, 1, v54
	v_add_f64 v[10:11], v[10:11], -v[12:13]
	s_mov_b32 s10, 0x19ba0da4
	v_xor_b32_e32 v11, 0x80000000, v11
	v_cmp_eq_u32_e64 s[8:9], 0, v23
	v_lshlrev_b32_e32 v12, 30, v54
	s_mov_b32 s11, 0xc0937be3
	v_cndmask_b32_e64 v11, v11, v59, s[8:9]
	v_and_b32_e32 v12, 0x80000000, v12
	v_add_f64 v[2:3], v[2:3], s[10:11]
	v_xor_b32_e32 v11, v11, v12
	v_mul_f64 v[12:13], v[2:3], s[46:47]
	v_rndne_f64_e32 v[12:13], v[12:13]
	v_fma_f64 v[56:57], s[48:49], v[12:13], v[2:3]
	v_cndmask_b32_e64 v10, v10, v58, s[8:9]
	v_fmac_f64_e32 v[56:57], s[50:51], v[12:13]
	v_pk_mov_b32 v[58:59], v[32:33], v[32:33] op_sel:[0,1]
	v_fmac_f64_e32 v[58:59], s[52:53], v[56:57]
	v_pk_mov_b32 v[68:69], v[34:35], v[34:35] op_sel:[0,1]
	;; [unrolled: 2-line block ×9, first 2 shown]
	v_fmac_f64_e32 v[58:59], v[56:57], v[68:69]
	v_fma_f64 v[58:59], v[56:57], v[58:59], 1.0
	v_cmp_class_f64_e64 s[8:9], v[4:5], s82
	v_fma_f64 v[56:57], v[56:57], v[58:59], 1.0
	v_cvt_i32_f64_e32 v4, v[12:13]
	v_ldexp_f64 v[12:13], v[56:57], v4
	v_mul_f64 v[56:57], v[50:51], v[50:51]
	v_mul_f64 v[58:59], v[56:57], 0.5
	v_fmac_f64_e32 v[72:73], s[64:65], v[56:57]
	v_cmp_nlt_f64_e64 s[10:11], s[58:59], v[2:3]
	v_add_f64 v[68:69], -v[58:59], 1.0
	v_fma_f64 v[72:73], v[56:57], v[72:73], s[66:67]
	v_cndmask_b32_e64 v4, v65, v13, s[10:11]
	v_cmp_ngt_f64_e64 s[12:13], s[60:61], v[2:3]
	v_add_f64 v[74:75], -v[68:69], 1.0
	v_fma_f64 v[72:73], v[56:57], v[72:73], s[68:69]
	v_cndmask_b32_e64 v4, 0, v4, s[12:13]
	v_add_f64 v[58:59], v[74:75], -v[58:59]
	v_fma_f64 v[72:73], v[56:57], v[72:73], s[70:71]
	v_and_b32_e32 v3, 0xfffff, v4
	v_lshrrev_b32_e32 v4, 20, v4
	v_mul_f64 v[74:75], v[56:57], v[56:57]
	v_fma_f64 v[72:73], v[56:57], v[72:73], s[56:57]
	v_fma_f64 v[58:59], v[50:51], -v[52:53], v[58:59]
	s_and_b64 s[10:11], s[12:13], s[10:11]
	v_add_u32_e32 v4, 0xffffff09, v4
	v_fmac_f64_e32 v[58:59], v[74:75], v[72:73]
	v_fmac_f64_e32 v[70:71], s[74:75], v[56:57]
	v_cndmask_b32_e64 v2, 0, v12, s[10:11]
	v_lshrrev_b16_e32 v12, 15, v4
	v_add_f64 v[58:59], v[68:69], v[58:59]
	v_fma_f64 v[68:69], v[56:57], v[70:71], s[76:77]
	v_add_u16_e32 v12, v4, v12
	v_fma_f64 v[68:69], v[56:57], v[68:69], s[78:79]
	v_ashrrev_i16_e32 v12, 1, v12
	v_fma_f64 v[68:69], v[56:57], v[68:69], s[54:55]
	v_mul_f64 v[70:71], v[50:51], -v[56:57]
	v_mul_f64 v[72:73], v[52:53], 0.5
	v_bfe_i32 v12, v12, 0, 16
	v_fmac_f64_e32 v[72:73], v[70:71], v[68:69]
	v_sub_u32_e32 v4, v4, v12
	v_fma_f64 v[52:53], v[56:57], v[72:73], -v[52:53]
	v_lshl_add_u32 v13, v4, 20, v64
	v_fmac_f64_e32 v[52:53], s[80:81], v[70:71]
	v_and_b32_e32 v4, 1, v55
	v_add_f64 v[50:51], v[50:51], -v[52:53]
	v_cmp_eq_u32_e64 s[10:11], 0, v4
	v_cndmask_b32_e64 v4, v58, v50, s[10:11]
	v_cndmask_b32_e64 v50, v59, v51, s[10:11]
	v_lshlrev_b32_e32 v51, 30, v55
	v_xor_b32_e32 v5, v51, v5
	v_and_b32_e32 v5, 0x80000000, v5
	v_xor_b32_e32 v5, v50, v5
	v_cndmask_b32_e64 v10, 0, v10, s[8:9]
	v_cndmask_b32_e64 v11, v66, v11, s[8:9]
	v_or_b32_e32 v3, 0x7fe00000, v3
	v_cndmask_b32_e64 v4, 0, v4, s[8:9]
	v_cndmask_b32_e64 v5, v66, v5, s[8:9]
	v_mul_f64 v[10:11], v[2:3], v[10:11]
	v_lshl_add_u32 v23, v12, 20, v64
	v_mul_f64 v[2:3], v[2:3], v[4:5]
	v_mul_f64 v[10:11], v[10:11], v[22:23]
	v_mov_b32_e32 v12, v22
	v_mul_f64 v[2:3], v[2:3], v[22:23]
	v_mul_f64 v[10:11], v[10:11], v[12:13]
	;; [unrolled: 1-line block ×3, first 2 shown]
.LBB138_172:                            ;   in Loop: Header=BB138_4 Depth=1
	s_or_b64 exec, exec, s[90:91]
                                        ; implicit-def: $vgpr2_vgpr3
                                        ; implicit-def: $vgpr23
.LBB138_173:                            ;   in Loop: Header=BB138_4 Depth=1
	s_andn2_saveexec_b64 s[12:13], s[88:89]
	s_cbranch_execz .LBB138_179
; %bb.174:                              ;   in Loop: Header=BB138_4 Depth=1
	v_cmp_ne_u32_e64 s[8:9], 0, v2
	v_cmp_ne_u32_e64 s[10:11], s17, v23
	s_or_b64 s[8:9], s[8:9], s[10:11]
	v_add_f64 v[12:13], v[4:5], -v[4:5]
	s_and_saveexec_b64 s[10:11], s[8:9]
	s_xor_b64 s[8:9], exec, s[10:11]
; %bb.175:                              ;   in Loop: Header=BB138_4 Depth=1
                                        ; implicit-def: $vgpr2_vgpr3
; %bb.176:                              ;   in Loop: Header=BB138_4 Depth=1
	s_or_saveexec_b64 s[10:11], s[8:9]
	v_pk_mov_b32 v[10:11], v[12:13], v[12:13] op_sel:[0,1]
	s_xor_b64 exec, exec, s[10:11]
; %bb.177:                              ;   in Loop: Header=BB138_4 Depth=1
	v_cmp_lt_i64_e64 s[8:9], -1, v[2:3]
	v_cndmask_b32_e64 v11, 0, v3, s[8:9]
	v_cndmask_b32_e64 v10, 0, v2, s[8:9]
	;; [unrolled: 1-line block ×4, first 2 shown]
; %bb.178:                              ;   in Loop: Header=BB138_4 Depth=1
	s_or_b64 exec, exec, s[10:11]
.LBB138_179:                            ;   in Loop: Header=BB138_4 Depth=1
	s_or_b64 exec, exec, s[12:13]
                                        ; implicit-def: $vgpr4_vgpr5
                                        ; implicit-def: $vgpr67
.LBB138_180:                            ;   in Loop: Header=BB138_4 Depth=1
	s_andn2_saveexec_b64 s[12:13], s[86:87]
	s_cbranch_execz .LBB138_190
; %bb.181:                              ;   in Loop: Header=BB138_4 Depth=1
	v_cmp_nlt_f64_e64 s[86:87], |v[4:5]|, s[24:25]
	v_trig_preop_f64 v[52:53], |v[4:5]|, 0
	v_trig_preop_f64 v[50:51], |v[4:5]|, 1
	v_ldexp_f64 v[54:55], |v[4:5]|, s83
	v_trig_preop_f64 v[12:13], |v[4:5]|, 2
                                        ; implicit-def: $vgpr68
                                        ; implicit-def: $vgpr2_vgpr3
                                        ; implicit-def: $vgpr10_vgpr11
	s_and_saveexec_b64 s[8:9], s[86:87]
	s_xor_b64 s[88:89], exec, s[8:9]
	s_cbranch_execz .LBB138_183
; %bb.182:                              ;   in Loop: Header=BB138_4 Depth=1
	v_cmp_ge_f64_e64 s[8:9], |v[4:5]|, s[26:27]
	v_cndmask_b32_e64 v3, v67, v55, s[8:9]
	v_cndmask_b32_e64 v2, v4, v54, s[8:9]
	v_mul_f64 v[56:57], v[52:53], v[2:3]
	v_mul_f64 v[10:11], v[50:51], v[2:3]
	v_fma_f64 v[58:59], v[52:53], v[2:3], -v[56:57]
	v_add_f64 v[68:69], v[10:11], v[58:59]
	v_add_f64 v[70:71], v[56:57], v[68:69]
	v_ldexp_f64 v[72:73], v[70:71], -2
	v_fract_f64_e32 v[74:75], v[72:73]
	v_cmp_neq_f64_e64 s[8:9], |v[72:73]|, s[28:29]
	v_cndmask_b32_e64 v73, 0, v75, s[8:9]
	v_cndmask_b32_e64 v72, 0, v74, s[8:9]
	v_add_f64 v[74:75], v[68:69], -v[10:11]
	v_add_f64 v[58:59], v[58:59], -v[74:75]
	;; [unrolled: 1-line block ×4, first 2 shown]
	v_add_f64 v[58:59], v[58:59], v[74:75]
	v_fma_f64 v[10:11], v[50:51], v[2:3], -v[10:11]
	v_mul_f64 v[74:75], v[12:13], v[2:3]
	v_add_f64 v[76:77], v[74:75], v[10:11]
	v_add_f64 v[78:79], v[76:77], v[58:59]
	v_add_f64 v[56:57], v[70:71], -v[56:57]
	v_add_f64 v[70:71], v[78:79], -v[76:77]
	;; [unrolled: 1-line block ×5, first 2 shown]
	v_add_f64 v[58:59], v[58:59], v[70:71]
	v_add_f64 v[70:71], v[76:77], -v[74:75]
	v_add_f64 v[10:11], v[10:11], -v[70:71]
	;; [unrolled: 1-line block ×5, first 2 shown]
	v_add_f64 v[68:69], v[56:57], v[78:79]
	v_add_f64 v[10:11], v[10:11], v[70:71]
	v_add_f64 v[56:57], v[68:69], -v[56:57]
	v_add_f64 v[10:11], v[10:11], v[58:59]
	v_fma_f64 v[2:3], v[12:13], v[2:3], -v[74:75]
	v_add_f64 v[56:57], v[78:79], -v[56:57]
	v_add_f64 v[2:3], v[2:3], v[10:11]
	v_ldexp_f64 v[10:11], v[72:73], 2
	v_add_f64 v[2:3], v[56:57], v[2:3]
	v_add_f64 v[56:57], v[68:69], v[10:11]
	v_cmp_gt_f64_e64 s[8:9], 0, v[56:57]
	v_cndmask_b32_e64 v23, 0, v63, s[8:9]
	v_add_f64 v[10:11], v[10:11], v[22:23]
	v_add_f64 v[56:57], v[68:69], v[10:11]
	v_cvt_i32_f64_e32 v23, v[56:57]
	v_cvt_f64_i32_e32 v[56:57], v23
	v_add_f64 v[10:11], v[10:11], -v[56:57]
	v_add_f64 v[56:57], v[68:69], v[10:11]
	v_add_f64 v[10:11], v[56:57], -v[10:11]
	v_cmp_le_f64_e64 s[8:9], 0.5, v[56:57]
	v_add_f64 v[10:11], v[68:69], -v[10:11]
	v_addc_co_u32_e64 v68, s[10:11], 0, v23, s[8:9]
	v_cndmask_b32_e64 v23, 0, v64, s[8:9]
	v_add_f64 v[2:3], v[2:3], v[10:11]
	v_add_f64 v[10:11], v[56:57], -v[22:23]
	v_add_f64 v[56:57], v[10:11], v[2:3]
	v_add_f64 v[10:11], v[56:57], -v[10:11]
	s_mov_b32 s30, s34
	v_add_f64 v[2:3], v[2:3], -v[10:11]
	v_mul_f64 v[10:11], v[56:57], s[30:31]
	v_fma_f64 v[58:59], v[56:57], s[30:31], -v[10:11]
	s_mov_b32 s39, s37
	v_fmac_f64_e32 v[58:59], s[38:39], v[56:57]
	v_fmac_f64_e32 v[58:59], s[30:31], v[2:3]
	v_add_f64 v[2:3], v[10:11], v[58:59]
	v_add_f64 v[10:11], v[2:3], -v[10:11]
	v_add_f64 v[10:11], v[58:59], -v[10:11]
	s_andn2_saveexec_b64 s[8:9], s[88:89]
	s_cbranch_execz .LBB138_185
	s_branch .LBB138_184
.LBB138_183:                            ;   in Loop: Header=BB138_4 Depth=1
	s_andn2_saveexec_b64 s[8:9], s[88:89]
	s_cbranch_execz .LBB138_185
.LBB138_184:                            ;   in Loop: Header=BB138_4 Depth=1
	v_mul_f64 v[2:3], |v[4:5]|, s[40:41]
	v_rndne_f64_e32 v[56:57], v[2:3]
	v_fma_f64 v[2:3], v[56:57], s[34:35], |v[4:5]|
	v_mul_f64 v[58:59], v[56:57], s[42:43]
	v_add_f64 v[70:71], v[2:3], v[58:59]
	v_fma_f64 v[10:11], s[42:43], v[56:57], v[2:3]
	s_mov_b32 s36, s42
	v_add_f64 v[2:3], v[2:3], -v[70:71]
	v_fma_f64 v[68:69], s[36:37], v[56:57], v[58:59]
	v_add_f64 v[2:3], v[2:3], v[58:59]
	v_add_f64 v[58:59], v[70:71], -v[10:11]
	v_add_f64 v[2:3], v[58:59], v[2:3]
	v_add_f64 v[58:59], v[2:3], -v[68:69]
	v_fmac_f64_e32 v[58:59], s[44:45], v[56:57]
	v_add_f64 v[2:3], v[10:11], v[58:59]
	v_add_f64 v[10:11], v[2:3], -v[10:11]
	v_add_f64 v[10:11], v[58:59], -v[10:11]
	v_cvt_i32_f64_e32 v68, v[56:57]
.LBB138_185:                            ;   in Loop: Header=BB138_4 Depth=1
	s_or_b64 exec, exec, s[8:9]
                                        ; implicit-def: $vgpr69
                                        ; implicit-def: $vgpr56_vgpr57
                                        ; implicit-def: $vgpr58_vgpr59
	s_and_saveexec_b64 s[8:9], s[86:87]
	s_xor_b64 s[86:87], exec, s[8:9]
	s_cbranch_execz .LBB138_187
; %bb.186:                              ;   in Loop: Header=BB138_4 Depth=1
	v_cmp_ge_f64_e64 s[8:9], |v[4:5]|, s[26:27]
	v_cndmask_b32_e64 v55, v67, v55, s[8:9]
	v_cndmask_b32_e64 v54, v4, v54, s[8:9]
	v_mul_f64 v[58:59], v[52:53], v[54:55]
	v_mul_f64 v[56:57], v[50:51], v[54:55]
	v_fma_f64 v[52:53], v[52:53], v[54:55], -v[58:59]
	v_add_f64 v[70:71], v[56:57], v[52:53]
	v_add_f64 v[72:73], v[58:59], v[70:71]
	v_ldexp_f64 v[74:75], v[72:73], -2
	v_fract_f64_e32 v[76:77], v[74:75]
	v_cmp_neq_f64_e64 s[8:9], |v[74:75]|, s[28:29]
	v_cndmask_b32_e64 v75, 0, v77, s[8:9]
	v_cndmask_b32_e64 v74, 0, v76, s[8:9]
	v_add_f64 v[76:77], v[70:71], -v[56:57]
	v_add_f64 v[52:53], v[52:53], -v[76:77]
	;; [unrolled: 1-line block ×4, first 2 shown]
	v_fma_f64 v[50:51], v[50:51], v[54:55], -v[56:57]
	v_mul_f64 v[56:57], v[12:13], v[54:55]
	v_add_f64 v[52:53], v[52:53], v[76:77]
	v_add_f64 v[76:77], v[56:57], v[50:51]
	;; [unrolled: 1-line block ×3, first 2 shown]
	v_add_f64 v[58:59], v[72:73], -v[58:59]
	v_add_f64 v[72:73], v[78:79], -v[76:77]
	v_add_f64 v[52:53], v[52:53], -v[72:73]
	v_add_f64 v[72:73], v[78:79], -v[72:73]
	v_add_f64 v[72:73], v[76:77], -v[72:73]
	v_add_f64 v[52:53], v[52:53], v[72:73]
	v_add_f64 v[72:73], v[76:77], -v[56:57]
	v_add_f64 v[50:51], v[50:51], -v[72:73]
	;; [unrolled: 1-line block ×4, first 2 shown]
	v_add_f64 v[50:51], v[50:51], v[72:73]
	v_add_f64 v[58:59], v[70:71], -v[58:59]
	v_add_f64 v[50:51], v[50:51], v[52:53]
	v_fma_f64 v[12:13], v[12:13], v[54:55], -v[56:57]
	v_add_f64 v[70:71], v[58:59], v[78:79]
	v_add_f64 v[12:13], v[12:13], v[50:51]
	v_ldexp_f64 v[50:51], v[74:75], 2
	v_add_f64 v[52:53], v[70:71], v[50:51]
	v_cmp_gt_f64_e64 s[8:9], 0, v[52:53]
	v_cndmask_b32_e64 v23, 0, v63, s[8:9]
	v_add_f64 v[50:51], v[50:51], v[22:23]
	v_add_f64 v[52:53], v[70:71], v[50:51]
	v_cvt_i32_f64_e32 v23, v[52:53]
	v_cvt_f64_i32_e32 v[52:53], v23
	v_add_f64 v[50:51], v[50:51], -v[52:53]
	v_add_f64 v[58:59], v[70:71], -v[58:59]
	v_add_f64 v[52:53], v[70:71], v[50:51]
	v_add_f64 v[58:59], v[78:79], -v[58:59]
	v_add_f64 v[50:51], v[52:53], -v[50:51]
	v_cmp_le_f64_e64 s[8:9], 0.5, v[52:53]
	v_add_f64 v[12:13], v[58:59], v[12:13]
	v_add_f64 v[50:51], v[70:71], -v[50:51]
	v_addc_co_u32_e64 v69, s[10:11], 0, v23, s[8:9]
	v_cndmask_b32_e64 v23, 0, v64, s[8:9]
	v_add_f64 v[12:13], v[12:13], v[50:51]
	v_add_f64 v[50:51], v[52:53], -v[22:23]
	v_add_f64 v[52:53], v[50:51], v[12:13]
	v_add_f64 v[50:51], v[52:53], -v[50:51]
	s_mov_b32 s30, s34
	v_add_f64 v[12:13], v[12:13], -v[50:51]
	v_mul_f64 v[50:51], v[52:53], s[30:31]
	v_fma_f64 v[54:55], v[52:53], s[30:31], -v[50:51]
	s_mov_b32 s39, s37
	v_fmac_f64_e32 v[54:55], s[38:39], v[52:53]
	v_fmac_f64_e32 v[54:55], s[30:31], v[12:13]
	v_add_f64 v[56:57], v[50:51], v[54:55]
	v_add_f64 v[12:13], v[56:57], -v[50:51]
	v_add_f64 v[58:59], v[54:55], -v[12:13]
	s_andn2_saveexec_b64 s[8:9], s[86:87]
	s_cbranch_execnz .LBB138_188
	s_branch .LBB138_189
.LBB138_187:                            ;   in Loop: Header=BB138_4 Depth=1
	s_andn2_saveexec_b64 s[8:9], s[86:87]
	s_cbranch_execz .LBB138_189
.LBB138_188:                            ;   in Loop: Header=BB138_4 Depth=1
	v_mul_f64 v[12:13], |v[4:5]|, s[40:41]
	v_rndne_f64_e32 v[12:13], v[12:13]
	v_fma_f64 v[50:51], v[12:13], s[34:35], |v[4:5]|
	v_mul_f64 v[54:55], v[12:13], s[42:43]
	v_add_f64 v[58:59], v[50:51], v[54:55]
	v_fma_f64 v[52:53], s[42:43], v[12:13], v[50:51]
	s_mov_b32 s36, s42
	v_add_f64 v[50:51], v[50:51], -v[58:59]
	v_fma_f64 v[56:57], s[36:37], v[12:13], v[54:55]
	v_add_f64 v[50:51], v[50:51], v[54:55]
	v_add_f64 v[54:55], v[58:59], -v[52:53]
	v_add_f64 v[50:51], v[54:55], v[50:51]
	v_add_f64 v[50:51], v[50:51], -v[56:57]
	v_fmac_f64_e32 v[50:51], s[44:45], v[12:13]
	v_add_f64 v[56:57], v[52:53], v[50:51]
	v_add_f64 v[52:53], v[56:57], -v[52:53]
	v_add_f64 v[58:59], v[50:51], -v[52:53]
	v_cvt_i32_f64_e32 v69, v[12:13]
.LBB138_189:                            ;   in Loop: Header=BB138_4 Depth=1
	s_or_b64 exec, exec, s[8:9]
	v_mul_f64 v[12:13], v[2:3], v[2:3]
	v_pk_mov_b32 v[70:71], s[62:63], s[62:63] op_sel:[0,1]
	v_mul_f64 v[50:51], v[12:13], 0.5
	v_fma_f64 v[72:73], s[64:65], v[12:13], v[70:71]
	v_add_f64 v[52:53], -v[50:51], 1.0
	v_fma_f64 v[72:73], v[12:13], v[72:73], s[66:67]
	v_add_f64 v[54:55], -v[52:53], 1.0
	v_fma_f64 v[72:73], v[12:13], v[72:73], s[68:69]
	v_add_f64 v[50:51], v[54:55], -v[50:51]
	v_fma_f64 v[72:73], v[12:13], v[72:73], s[70:71]
	v_mul_f64 v[54:55], v[12:13], v[12:13]
	v_fma_f64 v[72:73], v[12:13], v[72:73], s[56:57]
	v_fma_f64 v[50:51], v[2:3], -v[10:11], v[50:51]
	v_fmac_f64_e32 v[50:51], v[54:55], v[72:73]
	v_add_f64 v[50:51], v[52:53], v[50:51]
	v_pk_mov_b32 v[52:53], s[72:73], s[72:73] op_sel:[0,1]
	v_fma_f64 v[54:55], s[74:75], v[12:13], v[52:53]
	v_fma_f64 v[54:55], v[12:13], v[54:55], s[76:77]
	;; [unrolled: 1-line block ×4, first 2 shown]
	v_mul_f64 v[72:73], v[2:3], -v[12:13]
	v_mul_f64 v[74:75], v[10:11], 0.5
	v_fmac_f64_e32 v[74:75], v[72:73], v[54:55]
	v_fma_f64 v[10:11], v[12:13], v[74:75], -v[10:11]
	s_mov_b32 s80, s56
	v_fmac_f64_e32 v[10:11], s[80:81], v[72:73]
	v_add_f64 v[2:3], v[2:3], -v[10:11]
	v_and_b32_e32 v10, 1, v68
	v_xor_b32_e32 v3, 0x80000000, v3
	v_cmp_eq_u32_e64 s[8:9], 0, v10
	v_lshlrev_b32_e32 v10, 30, v68
	v_cndmask_b32_e64 v3, v3, v51, s[8:9]
	v_and_b32_e32 v10, 0x80000000, v10
	v_cndmask_b32_e64 v2, v2, v50, s[8:9]
	v_xor_b32_e32 v3, v3, v10
	v_cmp_class_f64_e64 s[8:9], v[4:5], s82
	v_cndmask_b32_e64 v10, 0, v2, s[8:9]
	v_cndmask_b32_e64 v11, v66, v3, s[8:9]
	v_mul_f64 v[2:3], v[56:57], v[56:57]
	v_mul_f64 v[12:13], v[2:3], 0.5
	v_fmac_f64_e32 v[70:71], s[64:65], v[2:3]
	v_add_f64 v[50:51], -v[12:13], 1.0
	v_fma_f64 v[70:71], v[2:3], v[70:71], s[66:67]
	v_add_f64 v[54:55], -v[50:51], 1.0
	v_fma_f64 v[70:71], v[2:3], v[70:71], s[68:69]
	v_add_f64 v[12:13], v[54:55], -v[12:13]
	v_fma_f64 v[70:71], v[2:3], v[70:71], s[70:71]
	v_mul_f64 v[54:55], v[2:3], v[2:3]
	v_fma_f64 v[70:71], v[2:3], v[70:71], s[56:57]
	v_fma_f64 v[12:13], v[56:57], -v[58:59], v[12:13]
	v_fmac_f64_e32 v[12:13], v[54:55], v[70:71]
	v_fmac_f64_e32 v[52:53], s[74:75], v[2:3]
	v_add_f64 v[12:13], v[50:51], v[12:13]
	v_fma_f64 v[50:51], v[2:3], v[52:53], s[76:77]
	v_fma_f64 v[50:51], v[2:3], v[50:51], s[78:79]
	;; [unrolled: 1-line block ×3, first 2 shown]
	v_mul_f64 v[52:53], v[56:57], -v[2:3]
	v_mul_f64 v[54:55], v[58:59], 0.5
	v_fmac_f64_e32 v[54:55], v[52:53], v[50:51]
	v_fma_f64 v[2:3], v[2:3], v[54:55], -v[58:59]
	v_and_b32_e32 v4, 1, v69
	v_fmac_f64_e32 v[2:3], s[80:81], v[52:53]
	v_cmp_eq_u32_e64 s[10:11], 0, v4
	v_lshlrev_b32_e32 v4, 30, v69
	v_add_f64 v[2:3], v[56:57], -v[2:3]
	v_xor_b32_e32 v4, v4, v5
	v_cndmask_b32_e64 v3, v13, v3, s[10:11]
	v_and_b32_e32 v4, 0x80000000, v4
	v_cndmask_b32_e64 v2, v12, v2, s[10:11]
	v_xor_b32_e32 v3, v3, v4
	v_cndmask_b32_e64 v12, 0, v2, s[8:9]
	v_cndmask_b32_e64 v13, v66, v3, s[8:9]
.LBB138_190:                            ;   in Loop: Header=BB138_4 Depth=1
	s_or_b64 exec, exec, s[12:13]
                                        ; implicit-def: $vgpr2_vgpr3
	s_andn2_saveexec_b64 s[12:13], s[84:85]
	s_cbranch_execnz .LBB138_151
.LBB138_191:                            ;   in Loop: Header=BB138_4 Depth=1
	s_or_b64 exec, exec, s[12:13]
	s_and_saveexec_b64 s[8:9], vcc
	s_xor_b64 s[8:9], exec, s[8:9]
	s_cbranch_execz .LBB138_152
.LBB138_192:                            ;   in Loop: Header=BB138_4 Depth=1
	v_mov_b32_e32 v3, s94
	v_add_co_u32_e32 v2, vcc, s33, v24
	v_addc_co_u32_e32 v3, vcc, 0, v3, vcc
	global_store_dwordx4 v[2:3], v[6:9], off
	s_or_b64 exec, exec, s[8:9]
	s_and_saveexec_b64 s[8:9], s[0:1]
	s_cbranch_execnz .LBB138_153
.LBB138_193:                            ;   in Loop: Header=BB138_4 Depth=1
	s_or_b64 exec, exec, s[8:9]
	s_and_saveexec_b64 s[0:1], s[2:3]
	s_cbranch_execz .LBB138_154
.LBB138_194:                            ;   in Loop: Header=BB138_4 Depth=1
	v_mov_b32_e32 v3, s94
	v_add_co_u32_e32 v2, vcc, s33, v30
	v_addc_co_u32_e32 v3, vcc, v3, v1, vcc
	global_store_dwordx4 v[2:3], v[18:21], off offset:-8
	s_or_b64 exec, exec, s[0:1]
	s_and_saveexec_b64 s[0:1], s[6:7]
	s_cbranch_execz .LBB138_3
.LBB138_195:                            ;   in Loop: Header=BB138_4 Depth=1
	v_mov_b32_e32 v3, s94
	v_add_co_u32_e32 v2, vcc, s33, v26
	v_addc_co_u32_e32 v3, vcc, v3, v27, vcc
	global_store_dwordx4 v[2:3], v[10:13], off offset:-8
	s_branch .LBB138_3
.LBB138_196:
	s_cbranch_execz .LBB138_198
	s_branch .LBB138_377
.LBB138_197:
.LBB138_198:
	v_mov_b32_e32 v20, 0
	v_lshlrev_b32_e32 v2, 2, v0
	v_mov_b32_e32 v3, v20
	s_mov_b32 s33, 0
	v_cmp_gt_i64_e32 vcc, s[14:15], v[2:3]
	s_and_saveexec_b64 s[0:1], vcc
	s_cbranch_execz .LBB138_377
; %bb.199:
	s_load_dword s0, s[4:5], 0xd3c
	v_readlane_b32 s2, v82, 0
	v_readlane_b32 s3, v82, 1
	v_lshlrev_b32_e32 v1, 6, v0
	s_mov_b32 s6, 0
	s_waitcnt lgkmcnt(0)
	s_and_b32 s0, s0, 0xffff
	s_lshl_b32 s80, s0, 2
	s_add_u32 s1, s2, s18
	s_addc_u32 s2, s3, s19
	v_add_lshl_u32 v22, v0, s0, 2
	v_mov_b32_e32 v0, s2
	v_add_co_u32_e32 v24, vcc, s1, v1
	s_mov_b32 s8, 0
	s_mov_b32 s10, 0
	;; [unrolled: 1-line block ×24, first 2 shown]
	v_mov_b32_e32 v23, v20
	v_addc_co_u32_e32 v25, vcc, 0, v0, vcc
	s_lshl_b32 s81, s0, 6
	s_mov_b32 s82, s33
	s_mov_b64 s[4:5], 0
	s_mov_b32 s83, 0x7ff00000
	s_mov_b32 s84, 0x108aa2
	s_mov_b32 s7, 0x41d00000
	s_mov_b32 s9, 0x7b000000
	s_movk_i32 s85, 0xff80
	s_mov_b32 s11, 0x7ff00000
	s_mov_b32 s13, 0x3ff921fb
	;; [unrolled: 1-line block ×26, first 2 shown]
	s_movk_i32 s86, 0x1f8
	s_mov_b32 s67, 0xc0937be3
	s_mov_b64 s[68:69], 0xffff
	v_mov_b32_e32 v48, 0x40100000
	v_mov_b32_e32 v49, 0x3ff00000
	;; [unrolled: 1-line block ×22, first 2 shown]
	s_branch .LBB138_201
.LBB138_200:                            ;   in Loop: Header=BB138_201 Depth=1
	s_or_b64 exec, exec, s[2:3]
	v_cmp_le_i64_e32 vcc, s[14:15], v[22:23]
	v_cmp_lt_u64_e64 s[0:1], s[68:69], v[22:23]
	s_or_b64 s[0:1], vcc, s[0:1]
	v_mov_b32_e32 v0, s33
	v_add_co_u32_e32 v22, vcc, s80, v22
	v_addc_co_u32_e32 v23, vcc, v23, v0, vcc
	global_store_dwordx4 v[24:25], v[4:7], off
	global_store_dwordx4 v[24:25], v[12:15], off offset:16
	global_store_dwordx4 v[24:25], v[16:19], off offset:32
	;; [unrolled: 1-line block ×3, first 2 shown]
	v_mov_b32_e32 v0, s82
	s_and_b64 s[0:1], exec, s[0:1]
	v_add_co_u32_e32 v24, vcc, s81, v24
	s_or_b64 s[4:5], s[0:1], s[4:5]
	v_addc_co_u32_e32 v25, vcc, v25, v0, vcc
	s_andn2_b64 exec, exec, s[4:5]
	s_cbranch_execz .LBB138_377
.LBB138_201:                            ; =>This Inner Loop Header: Depth=1
	global_load_dwordx4 v[12:15], v[24:25], off
	global_load_dwordx4 v[16:19], v[24:25], off offset:16
	global_load_dwordx4 v[0:3], v[24:25], off offset:48
	;; [unrolled: 1-line block ×3, first 2 shown]
                                        ; implicit-def: $vgpr6_vgpr7
	s_waitcnt vmcnt(3)
	v_and_b32_e32 v4, 0x7fffffff, v15
	v_or_b32_e32 v5, v4, v14
	v_cmp_ne_u32_e32 vcc, 0, v5
	s_and_saveexec_b64 s[0:1], vcc
	s_xor_b64 s[70:71], exec, s[0:1]
	s_cbranch_execz .LBB138_243
; %bb.202:                              ;   in Loop: Header=BB138_201 Depth=1
	v_and_b32_e32 v21, 0x7fffffff, v13
	v_or_b32_e32 v5, v21, v12
	v_cmp_ne_u32_e32 vcc, 0, v5
                                        ; implicit-def: $vgpr6_vgpr7
	s_and_saveexec_b64 s[0:1], vcc
	s_xor_b64 s[72:73], exec, s[0:1]
	s_cbranch_execz .LBB138_232
; %bb.203:                              ;   in Loop: Header=BB138_201 Depth=1
	v_cmp_gt_u32_e32 vcc, s83, v4
                                        ; implicit-def: $vgpr6_vgpr7
	s_and_saveexec_b64 s[0:1], vcc
	s_xor_b64 s[74:75], exec, s[0:1]
	s_cbranch_execz .LBB138_225
; %bb.204:                              ;   in Loop: Header=BB138_201 Depth=1
	v_add_u32_e32 v4, 0xbf79d1be, v13
	v_cmp_lt_u32_e32 vcc, s84, v4
                                        ; implicit-def: $vgpr6_vgpr7
	s_and_saveexec_b64 s[0:1], vcc
	s_xor_b64 s[2:3], exec, s[0:1]
	s_cbranch_execz .LBB138_214
; %bb.205:                              ;   in Loop: Header=BB138_201 Depth=1
	v_cmp_nlt_f64_e64 s[76:77], |v[14:15]|, s[6:7]
                                        ; implicit-def: $vgpr52
                                        ; implicit-def: $vgpr4_vgpr5
                                        ; implicit-def: $vgpr6_vgpr7
	s_and_saveexec_b64 s[0:1], s[76:77]
	s_xor_b64 s[78:79], exec, s[0:1]
	s_cbranch_execz .LBB138_207
; %bb.206:                              ;   in Loop: Header=BB138_201 Depth=1
	v_and_b32_e32 v21, 0x7fffffff, v15
	v_ldexp_f64 v[44:45], |v[14:15]|, s85
	v_cmp_ge_f64_e64 vcc, |v[14:15]|, s[8:9]
	v_trig_preop_f64 v[4:5], |v[14:15]|, 0
	v_cndmask_b32_e32 v45, v21, v45, vcc
	v_cndmask_b32_e32 v44, v14, v44, vcc
	v_trig_preop_f64 v[6:7], |v[14:15]|, 1
	v_mul_f64 v[52:53], v[4:5], v[44:45]
	v_mul_f64 v[46:47], v[6:7], v[44:45]
	v_fma_f64 v[4:5], v[4:5], v[44:45], -v[52:53]
	v_add_f64 v[54:55], v[46:47], v[4:5]
	v_add_f64 v[56:57], v[52:53], v[54:55]
	v_ldexp_f64 v[58:59], v[56:57], -2
	v_fract_f64_e32 v[60:61], v[58:59]
	v_cmp_neq_f64_e64 vcc, |v[58:59]|, s[10:11]
	v_cndmask_b32_e32 v59, 0, v61, vcc
	v_cndmask_b32_e32 v58, 0, v60, vcc
	v_add_f64 v[60:61], v[54:55], -v[46:47]
	v_add_f64 v[4:5], v[4:5], -v[60:61]
	;; [unrolled: 1-line block ×4, first 2 shown]
	v_fma_f64 v[6:7], v[6:7], v[44:45], -v[46:47]
	v_trig_preop_f64 v[46:47], |v[14:15]|, 2
	v_add_f64 v[4:5], v[4:5], v[60:61]
	v_mul_f64 v[60:61], v[46:47], v[44:45]
	v_add_f64 v[62:63], v[60:61], v[6:7]
	v_add_f64 v[64:65], v[62:63], v[4:5]
	v_add_f64 v[52:53], v[56:57], -v[52:53]
	v_add_f64 v[56:57], v[64:65], -v[62:63]
	;; [unrolled: 1-line block ×5, first 2 shown]
	v_add_f64 v[4:5], v[4:5], v[56:57]
	v_add_f64 v[56:57], v[62:63], -v[60:61]
	v_add_f64 v[6:7], v[6:7], -v[56:57]
	;; [unrolled: 1-line block ×4, first 2 shown]
	v_add_f64 v[6:7], v[6:7], v[56:57]
	v_add_f64 v[52:53], v[54:55], -v[52:53]
	v_add_f64 v[4:5], v[6:7], v[4:5]
	v_fma_f64 v[6:7], v[46:47], v[44:45], -v[60:61]
	v_add_f64 v[54:55], v[52:53], v[64:65]
	v_add_f64 v[4:5], v[6:7], v[4:5]
	v_ldexp_f64 v[6:7], v[58:59], 2
	v_add_f64 v[44:45], v[54:55], v[6:7]
	v_cmp_gt_f64_e32 vcc, 0, v[44:45]
	v_cndmask_b32_e32 v21, 0, v48, vcc
	v_add_f64 v[6:7], v[6:7], v[20:21]
	v_add_f64 v[44:45], v[54:55], v[6:7]
	v_cvt_i32_f64_e32 v21, v[44:45]
	v_cvt_f64_i32_e32 v[44:45], v21
	v_add_f64 v[6:7], v[6:7], -v[44:45]
	v_add_f64 v[52:53], v[54:55], -v[52:53]
	v_add_f64 v[44:45], v[54:55], v[6:7]
	v_add_f64 v[52:53], v[64:65], -v[52:53]
	v_add_f64 v[6:7], v[44:45], -v[6:7]
	v_cmp_le_f64_e32 vcc, 0.5, v[44:45]
	v_add_f64 v[4:5], v[52:53], v[4:5]
	v_add_f64 v[6:7], v[54:55], -v[6:7]
	v_addc_co_u32_e64 v52, s[0:1], 0, v21, vcc
	v_cndmask_b32_e32 v21, 0, v49, vcc
	v_add_f64 v[4:5], v[4:5], v[6:7]
	v_add_f64 v[6:7], v[44:45], -v[20:21]
	v_add_f64 v[44:45], v[6:7], v[4:5]
	v_add_f64 v[6:7], v[44:45], -v[6:7]
	s_mov_b32 s12, s16
	v_add_f64 v[4:5], v[4:5], -v[6:7]
	v_mul_f64 v[6:7], v[44:45], s[12:13]
	v_fma_f64 v[46:47], v[44:45], s[12:13], -v[6:7]
	s_mov_b32 s21, s19
	v_fmac_f64_e32 v[46:47], s[20:21], v[44:45]
	v_fmac_f64_e32 v[46:47], s[12:13], v[4:5]
	v_add_f64 v[4:5], v[6:7], v[46:47]
	v_add_f64 v[6:7], v[4:5], -v[6:7]
	v_add_f64 v[6:7], v[46:47], -v[6:7]
	s_andn2_saveexec_b64 s[0:1], s[78:79]
	s_cbranch_execz .LBB138_209
	s_branch .LBB138_208
.LBB138_207:                            ;   in Loop: Header=BB138_201 Depth=1
	s_andn2_saveexec_b64 s[0:1], s[78:79]
	s_cbranch_execz .LBB138_209
.LBB138_208:                            ;   in Loop: Header=BB138_201 Depth=1
	v_mul_f64 v[4:5], |v[14:15]|, s[22:23]
	v_rndne_f64_e32 v[44:45], v[4:5]
	v_fma_f64 v[4:5], v[44:45], s[16:17], |v[14:15]|
	v_mul_f64 v[46:47], v[44:45], s[24:25]
	v_add_f64 v[54:55], v[4:5], v[46:47]
	v_fma_f64 v[6:7], s[24:25], v[44:45], v[4:5]
	s_mov_b32 s18, s24
	v_add_f64 v[4:5], v[4:5], -v[54:55]
	v_fma_f64 v[52:53], s[18:19], v[44:45], v[46:47]
	v_add_f64 v[4:5], v[4:5], v[46:47]
	v_add_f64 v[46:47], v[54:55], -v[6:7]
	v_add_f64 v[4:5], v[46:47], v[4:5]
	v_add_f64 v[46:47], v[4:5], -v[52:53]
	v_fmac_f64_e32 v[46:47], s[26:27], v[44:45]
	v_add_f64 v[4:5], v[6:7], v[46:47]
	v_add_f64 v[6:7], v[4:5], -v[6:7]
	v_add_f64 v[6:7], v[46:47], -v[6:7]
	v_cvt_i32_f64_e32 v52, v[44:45]
.LBB138_209:                            ;   in Loop: Header=BB138_201 Depth=1
	s_or_b64 exec, exec, s[0:1]
                                        ; implicit-def: $vgpr53
                                        ; implicit-def: $vgpr44_vgpr45
                                        ; implicit-def: $vgpr46_vgpr47
	s_and_saveexec_b64 s[0:1], s[76:77]
	s_xor_b64 s[76:77], exec, s[0:1]
	s_cbranch_execz .LBB138_211
; %bb.210:                              ;   in Loop: Header=BB138_201 Depth=1
	v_and_b32_e32 v21, 0x7fffffff, v15
	v_ldexp_f64 v[54:55], |v[14:15]|, s85
	v_cmp_ge_f64_e64 vcc, |v[14:15]|, s[8:9]
	v_trig_preop_f64 v[44:45], |v[14:15]|, 0
	v_cndmask_b32_e32 v55, v21, v55, vcc
	v_cndmask_b32_e32 v54, v14, v54, vcc
	v_trig_preop_f64 v[46:47], |v[14:15]|, 1
	v_mul_f64 v[58:59], v[44:45], v[54:55]
	v_mul_f64 v[56:57], v[46:47], v[54:55]
	v_fma_f64 v[44:45], v[44:45], v[54:55], -v[58:59]
	v_add_f64 v[60:61], v[56:57], v[44:45]
	v_add_f64 v[62:63], v[58:59], v[60:61]
	v_ldexp_f64 v[64:65], v[62:63], -2
	v_fract_f64_e32 v[66:67], v[64:65]
	v_cmp_neq_f64_e64 vcc, |v[64:65]|, s[10:11]
	v_cndmask_b32_e32 v65, 0, v67, vcc
	v_cndmask_b32_e32 v64, 0, v66, vcc
	v_add_f64 v[66:67], v[60:61], -v[56:57]
	v_add_f64 v[44:45], v[44:45], -v[66:67]
	;; [unrolled: 1-line block ×4, first 2 shown]
	v_fma_f64 v[46:47], v[46:47], v[54:55], -v[56:57]
	v_trig_preop_f64 v[56:57], |v[14:15]|, 2
	v_add_f64 v[44:45], v[44:45], v[66:67]
	v_mul_f64 v[66:67], v[56:57], v[54:55]
	v_add_f64 v[68:69], v[66:67], v[46:47]
	v_add_f64 v[70:71], v[68:69], v[44:45]
	v_add_f64 v[58:59], v[62:63], -v[58:59]
	v_add_f64 v[62:63], v[70:71], -v[68:69]
	;; [unrolled: 1-line block ×5, first 2 shown]
	v_add_f64 v[44:45], v[44:45], v[62:63]
	v_add_f64 v[62:63], v[68:69], -v[66:67]
	v_add_f64 v[46:47], v[46:47], -v[62:63]
	;; [unrolled: 1-line block ×4, first 2 shown]
	v_add_f64 v[46:47], v[46:47], v[62:63]
	v_add_f64 v[58:59], v[60:61], -v[58:59]
	v_add_f64 v[44:45], v[46:47], v[44:45]
	v_fma_f64 v[46:47], v[56:57], v[54:55], -v[66:67]
	v_add_f64 v[60:61], v[58:59], v[70:71]
	v_add_f64 v[44:45], v[46:47], v[44:45]
	v_ldexp_f64 v[46:47], v[64:65], 2
	v_add_f64 v[54:55], v[60:61], v[46:47]
	v_cmp_gt_f64_e32 vcc, 0, v[54:55]
	v_cndmask_b32_e32 v21, 0, v48, vcc
	v_add_f64 v[46:47], v[46:47], v[20:21]
	v_add_f64 v[54:55], v[60:61], v[46:47]
	v_cvt_i32_f64_e32 v21, v[54:55]
	v_cvt_f64_i32_e32 v[54:55], v21
	v_add_f64 v[46:47], v[46:47], -v[54:55]
	v_add_f64 v[58:59], v[60:61], -v[58:59]
	v_add_f64 v[54:55], v[60:61], v[46:47]
	v_add_f64 v[58:59], v[70:71], -v[58:59]
	v_add_f64 v[46:47], v[54:55], -v[46:47]
	v_cmp_le_f64_e32 vcc, 0.5, v[54:55]
	v_add_f64 v[44:45], v[58:59], v[44:45]
	v_add_f64 v[46:47], v[60:61], -v[46:47]
	v_addc_co_u32_e64 v53, s[0:1], 0, v21, vcc
	v_cndmask_b32_e32 v21, 0, v49, vcc
	v_add_f64 v[44:45], v[44:45], v[46:47]
	v_add_f64 v[46:47], v[54:55], -v[20:21]
	v_add_f64 v[54:55], v[46:47], v[44:45]
	v_add_f64 v[46:47], v[54:55], -v[46:47]
	s_mov_b32 s12, s16
	v_add_f64 v[44:45], v[44:45], -v[46:47]
	v_mul_f64 v[46:47], v[54:55], s[12:13]
	v_fma_f64 v[56:57], v[54:55], s[12:13], -v[46:47]
	s_mov_b32 s21, s19
	v_fmac_f64_e32 v[56:57], s[20:21], v[54:55]
	v_fmac_f64_e32 v[56:57], s[12:13], v[44:45]
	v_add_f64 v[44:45], v[46:47], v[56:57]
	v_add_f64 v[46:47], v[44:45], -v[46:47]
	v_add_f64 v[46:47], v[56:57], -v[46:47]
	s_andn2_saveexec_b64 s[0:1], s[76:77]
	s_cbranch_execnz .LBB138_212
	s_branch .LBB138_213
.LBB138_211:                            ;   in Loop: Header=BB138_201 Depth=1
	s_andn2_saveexec_b64 s[0:1], s[76:77]
	s_cbranch_execz .LBB138_213
.LBB138_212:                            ;   in Loop: Header=BB138_201 Depth=1
	v_mul_f64 v[44:45], |v[14:15]|, s[22:23]
	v_rndne_f64_e32 v[54:55], v[44:45]
	v_fma_f64 v[44:45], v[54:55], s[16:17], |v[14:15]|
	v_mul_f64 v[56:57], v[54:55], s[24:25]
	v_add_f64 v[60:61], v[44:45], v[56:57]
	v_fma_f64 v[46:47], s[24:25], v[54:55], v[44:45]
	s_mov_b32 s18, s24
	v_add_f64 v[44:45], v[44:45], -v[60:61]
	v_fma_f64 v[58:59], s[18:19], v[54:55], v[56:57]
	v_add_f64 v[44:45], v[44:45], v[56:57]
	v_add_f64 v[56:57], v[60:61], -v[46:47]
	v_add_f64 v[44:45], v[56:57], v[44:45]
	v_add_f64 v[56:57], v[44:45], -v[58:59]
	v_fmac_f64_e32 v[56:57], s[26:27], v[54:55]
	v_add_f64 v[44:45], v[46:47], v[56:57]
	v_add_f64 v[46:47], v[44:45], -v[46:47]
	v_add_f64 v[46:47], v[56:57], -v[46:47]
	v_cvt_i32_f64_e32 v53, v[54:55]
.LBB138_213:                            ;   in Loop: Header=BB138_201 Depth=1
	s_or_b64 exec, exec, s[0:1]
	v_mul_f64 v[54:55], v[12:13], s[28:29]
	v_rndne_f64_e32 v[54:55], v[54:55]
	v_fma_f64 v[56:57], s[30:31], v[54:55], v[12:13]
	v_fmac_f64_e32 v[56:57], s[34:35], v[54:55]
	v_pk_mov_b32 v[58:59], v[26:27], v[26:27] op_sel:[0,1]
	v_fmac_f64_e32 v[58:59], s[36:37], v[56:57]
	v_pk_mov_b32 v[60:61], v[28:29], v[28:29] op_sel:[0,1]
	;; [unrolled: 2-line block ×9, first 2 shown]
	v_fmac_f64_e32 v[58:59], v[56:57], v[60:61]
	v_fma_f64 v[58:59], v[56:57], v[58:59], 1.0
	v_fma_f64 v[56:57], v[56:57], v[58:59], 1.0
	v_cvt_i32_f64_e32 v21, v[54:55]
	v_ldexp_f64 v[54:55], v[56:57], v21
	v_cmp_nlt_f64_e32 vcc, s[42:43], v[12:13]
	v_cmp_ngt_f64_e64 s[0:1], s[44:45], v[12:13]
	v_cndmask_b32_e32 v21, v50, v55, vcc
	s_and_b64 vcc, s[0:1], vcc
	v_cndmask_b32_e32 v12, 0, v54, vcc
	v_mul_f64 v[54:55], v[4:5], v[4:5]
	v_pk_mov_b32 v[62:63], s[46:47], s[46:47] op_sel:[0,1]
	v_mul_f64 v[56:57], v[54:55], 0.5
	v_fma_f64 v[64:65], s[48:49], v[54:55], v[62:63]
	v_add_f64 v[58:59], -v[56:57], 1.0
	v_fma_f64 v[64:65], v[54:55], v[64:65], s[50:51]
	v_add_f64 v[60:61], -v[58:59], 1.0
	v_fma_f64 v[64:65], v[54:55], v[64:65], s[52:53]
	v_add_f64 v[56:57], v[60:61], -v[56:57]
	v_fma_f64 v[64:65], v[54:55], v[64:65], s[54:55]
	v_mul_f64 v[60:61], v[54:55], v[54:55]
	v_fma_f64 v[64:65], v[54:55], v[64:65], s[40:41]
	v_fma_f64 v[56:57], v[4:5], -v[6:7], v[56:57]
	v_fmac_f64_e32 v[56:57], v[60:61], v[64:65]
	v_add_f64 v[56:57], v[58:59], v[56:57]
	v_pk_mov_b32 v[58:59], s[56:57], s[56:57] op_sel:[0,1]
	v_fma_f64 v[60:61], s[58:59], v[54:55], v[58:59]
	v_fma_f64 v[60:61], v[54:55], v[60:61], s[60:61]
	;; [unrolled: 1-line block ×4, first 2 shown]
	v_mul_f64 v[64:65], v[4:5], -v[54:55]
	v_mul_f64 v[66:67], v[6:7], 0.5
	v_fmac_f64_e32 v[66:67], v[64:65], v[60:61]
	v_fma_f64 v[6:7], v[54:55], v[66:67], -v[6:7]
	s_mov_b32 s64, s40
	v_fmac_f64_e32 v[6:7], s[64:65], v[64:65]
	v_add_f64 v[4:5], v[4:5], -v[6:7]
	v_and_b32_e32 v6, 1, v52
	v_xor_b32_e32 v5, 0x80000000, v5
	v_cmp_eq_u32_e32 vcc, 0, v6
	v_lshlrev_b32_e32 v6, 30, v52
	v_cndmask_b32_e32 v5, v5, v57, vcc
	v_and_b32_e32 v6, 0x80000000, v6
	v_xor_b32_e32 v5, v5, v6
	v_mul_f64 v[6:7], v[44:45], v[44:45]
	v_mul_f64 v[54:55], v[6:7], 0.5
	v_fmac_f64_e32 v[62:63], s[48:49], v[6:7]
	v_cndmask_b32_e32 v4, v4, v56, vcc
	v_add_f64 v[56:57], -v[54:55], 1.0
	v_fma_f64 v[62:63], v[6:7], v[62:63], s[50:51]
	v_add_f64 v[60:61], -v[56:57], 1.0
	v_fma_f64 v[62:63], v[6:7], v[62:63], s[52:53]
	v_add_f64 v[54:55], v[60:61], -v[54:55]
	v_fma_f64 v[62:63], v[6:7], v[62:63], s[54:55]
	v_mul_f64 v[60:61], v[6:7], v[6:7]
	v_fma_f64 v[62:63], v[6:7], v[62:63], s[40:41]
	v_fma_f64 v[54:55], v[44:45], -v[46:47], v[54:55]
	v_fmac_f64_e32 v[54:55], v[60:61], v[62:63]
	v_fmac_f64_e32 v[58:59], s[58:59], v[6:7]
	v_add_f64 v[54:55], v[56:57], v[54:55]
	v_fma_f64 v[56:57], v[6:7], v[58:59], s[60:61]
	v_fma_f64 v[56:57], v[6:7], v[56:57], s[62:63]
	;; [unrolled: 1-line block ×3, first 2 shown]
	v_mul_f64 v[58:59], v[44:45], -v[6:7]
	v_mul_f64 v[60:61], v[46:47], 0.5
	v_fmac_f64_e32 v[60:61], v[58:59], v[56:57]
	v_cmp_class_f64_e64 vcc, v[14:15], s86
	v_fma_f64 v[6:7], v[6:7], v[60:61], -v[46:47]
	v_and_b32_e32 v14, 1, v53
	v_cndmask_b32_e64 v13, 0, v21, s[0:1]
	v_fmac_f64_e32 v[6:7], s[64:65], v[58:59]
	v_cmp_eq_u32_e64 s[0:1], 0, v14
	v_lshlrev_b32_e32 v14, 30, v53
	v_add_f64 v[6:7], v[44:45], -v[6:7]
	v_xor_b32_e32 v14, v14, v15
	v_cndmask_b32_e64 v7, v55, v7, s[0:1]
	v_and_b32_e32 v14, 0x80000000, v14
	v_cndmask_b32_e64 v6, v54, v6, s[0:1]
	v_xor_b32_e32 v7, v7, v14
	v_cndmask_b32_e32 v4, 0, v4, vcc
	v_cndmask_b32_e32 v5, v51, v5, vcc
	;; [unrolled: 1-line block ×4, first 2 shown]
	v_mul_f64 v[4:5], v[12:13], v[4:5]
	v_mul_f64 v[6:7], v[12:13], v[6:7]
                                        ; implicit-def: $vgpr14_vgpr15
.LBB138_214:                            ;   in Loop: Header=BB138_201 Depth=1
	s_andn2_saveexec_b64 s[76:77], s[2:3]
	s_cbranch_execz .LBB138_217
; %bb.215:                              ;   in Loop: Header=BB138_201 Depth=1
	v_cmp_nlt_f64_e64 s[2:3], |v[14:15]|, s[6:7]
                                        ; implicit-def: $vgpr52
                                        ; implicit-def: $vgpr4_vgpr5
                                        ; implicit-def: $vgpr6_vgpr7
	s_and_saveexec_b64 s[0:1], s[2:3]
	s_xor_b64 s[78:79], exec, s[0:1]
	s_cbranch_execz .LBB138_218
; %bb.216:                              ;   in Loop: Header=BB138_201 Depth=1
	v_and_b32_e32 v21, 0x7fffffff, v15
	v_ldexp_f64 v[44:45], |v[14:15]|, s85
	v_cmp_ge_f64_e64 vcc, |v[14:15]|, s[8:9]
	v_trig_preop_f64 v[4:5], |v[14:15]|, 0
	v_cndmask_b32_e32 v45, v21, v45, vcc
	v_cndmask_b32_e32 v44, v14, v44, vcc
	v_trig_preop_f64 v[6:7], |v[14:15]|, 1
	v_mul_f64 v[52:53], v[4:5], v[44:45]
	v_mul_f64 v[46:47], v[6:7], v[44:45]
	v_fma_f64 v[4:5], v[4:5], v[44:45], -v[52:53]
	v_add_f64 v[54:55], v[46:47], v[4:5]
	v_add_f64 v[56:57], v[52:53], v[54:55]
	v_ldexp_f64 v[58:59], v[56:57], -2
	v_fract_f64_e32 v[60:61], v[58:59]
	v_cmp_neq_f64_e64 vcc, |v[58:59]|, s[10:11]
	v_cndmask_b32_e32 v59, 0, v61, vcc
	v_cndmask_b32_e32 v58, 0, v60, vcc
	v_add_f64 v[60:61], v[54:55], -v[46:47]
	v_add_f64 v[4:5], v[4:5], -v[60:61]
	;; [unrolled: 1-line block ×4, first 2 shown]
	v_fma_f64 v[6:7], v[6:7], v[44:45], -v[46:47]
	v_trig_preop_f64 v[46:47], |v[14:15]|, 2
	v_add_f64 v[4:5], v[4:5], v[60:61]
	v_mul_f64 v[60:61], v[46:47], v[44:45]
	v_add_f64 v[62:63], v[60:61], v[6:7]
	v_add_f64 v[64:65], v[62:63], v[4:5]
	v_add_f64 v[52:53], v[56:57], -v[52:53]
	v_add_f64 v[56:57], v[64:65], -v[62:63]
	;; [unrolled: 1-line block ×5, first 2 shown]
	v_add_f64 v[4:5], v[4:5], v[56:57]
	v_add_f64 v[56:57], v[62:63], -v[60:61]
	v_add_f64 v[6:7], v[6:7], -v[56:57]
	;; [unrolled: 1-line block ×4, first 2 shown]
	v_add_f64 v[6:7], v[6:7], v[56:57]
	v_add_f64 v[52:53], v[54:55], -v[52:53]
	v_add_f64 v[4:5], v[6:7], v[4:5]
	v_fma_f64 v[6:7], v[46:47], v[44:45], -v[60:61]
	v_add_f64 v[54:55], v[52:53], v[64:65]
	v_add_f64 v[4:5], v[6:7], v[4:5]
	v_ldexp_f64 v[6:7], v[58:59], 2
	v_add_f64 v[44:45], v[54:55], v[6:7]
	v_cmp_gt_f64_e32 vcc, 0, v[44:45]
	v_cndmask_b32_e32 v21, 0, v48, vcc
	v_add_f64 v[6:7], v[6:7], v[20:21]
	v_add_f64 v[44:45], v[54:55], v[6:7]
	v_cvt_i32_f64_e32 v21, v[44:45]
	v_cvt_f64_i32_e32 v[44:45], v21
	v_add_f64 v[6:7], v[6:7], -v[44:45]
	v_add_f64 v[52:53], v[54:55], -v[52:53]
	v_add_f64 v[44:45], v[54:55], v[6:7]
	v_add_f64 v[52:53], v[64:65], -v[52:53]
	v_add_f64 v[6:7], v[44:45], -v[6:7]
	v_cmp_le_f64_e32 vcc, 0.5, v[44:45]
	v_add_f64 v[4:5], v[52:53], v[4:5]
	v_add_f64 v[6:7], v[54:55], -v[6:7]
	v_addc_co_u32_e64 v52, s[0:1], 0, v21, vcc
	v_cndmask_b32_e32 v21, 0, v49, vcc
	v_add_f64 v[4:5], v[4:5], v[6:7]
	v_add_f64 v[6:7], v[44:45], -v[20:21]
	v_add_f64 v[44:45], v[6:7], v[4:5]
	v_add_f64 v[6:7], v[44:45], -v[6:7]
	s_mov_b32 s12, s16
	v_add_f64 v[4:5], v[4:5], -v[6:7]
	v_mul_f64 v[6:7], v[44:45], s[12:13]
	v_fma_f64 v[46:47], v[44:45], s[12:13], -v[6:7]
	s_mov_b32 s21, s19
	v_fmac_f64_e32 v[46:47], s[20:21], v[44:45]
	v_fmac_f64_e32 v[46:47], s[12:13], v[4:5]
	v_add_f64 v[4:5], v[6:7], v[46:47]
	v_add_f64 v[6:7], v[4:5], -v[6:7]
	v_add_f64 v[6:7], v[46:47], -v[6:7]
	s_andn2_saveexec_b64 s[0:1], s[78:79]
	s_cbranch_execz .LBB138_220
	s_branch .LBB138_219
.LBB138_217:                            ;   in Loop: Header=BB138_201 Depth=1
	s_or_b64 exec, exec, s[76:77]
                                        ; implicit-def: $vgpr12_vgpr13
                                        ; implicit-def: $vgpr21
	s_andn2_saveexec_b64 s[2:3], s[74:75]
	s_cbranch_execnz .LBB138_226
	s_branch .LBB138_231
.LBB138_218:                            ;   in Loop: Header=BB138_201 Depth=1
	s_andn2_saveexec_b64 s[0:1], s[78:79]
	s_cbranch_execz .LBB138_220
.LBB138_219:                            ;   in Loop: Header=BB138_201 Depth=1
	v_mul_f64 v[4:5], |v[14:15]|, s[22:23]
	v_rndne_f64_e32 v[44:45], v[4:5]
	v_fma_f64 v[4:5], v[44:45], s[16:17], |v[14:15]|
	v_mul_f64 v[46:47], v[44:45], s[24:25]
	v_add_f64 v[54:55], v[4:5], v[46:47]
	v_fma_f64 v[6:7], s[24:25], v[44:45], v[4:5]
	s_mov_b32 s18, s24
	v_add_f64 v[4:5], v[4:5], -v[54:55]
	v_fma_f64 v[52:53], s[18:19], v[44:45], v[46:47]
	v_add_f64 v[4:5], v[4:5], v[46:47]
	v_add_f64 v[46:47], v[54:55], -v[6:7]
	v_add_f64 v[4:5], v[46:47], v[4:5]
	v_add_f64 v[46:47], v[4:5], -v[52:53]
	v_fmac_f64_e32 v[46:47], s[26:27], v[44:45]
	v_add_f64 v[4:5], v[6:7], v[46:47]
	v_add_f64 v[6:7], v[4:5], -v[6:7]
	v_add_f64 v[6:7], v[46:47], -v[6:7]
	v_cvt_i32_f64_e32 v52, v[44:45]
.LBB138_220:                            ;   in Loop: Header=BB138_201 Depth=1
	s_or_b64 exec, exec, s[0:1]
                                        ; implicit-def: $vgpr53
                                        ; implicit-def: $vgpr44_vgpr45
                                        ; implicit-def: $vgpr46_vgpr47
	s_and_saveexec_b64 s[0:1], s[2:3]
	s_xor_b64 s[2:3], exec, s[0:1]
	s_cbranch_execz .LBB138_222
; %bb.221:                              ;   in Loop: Header=BB138_201 Depth=1
	v_and_b32_e32 v21, 0x7fffffff, v15
	v_ldexp_f64 v[54:55], |v[14:15]|, s85
	v_cmp_ge_f64_e64 vcc, |v[14:15]|, s[8:9]
	v_trig_preop_f64 v[44:45], |v[14:15]|, 0
	v_cndmask_b32_e32 v55, v21, v55, vcc
	v_cndmask_b32_e32 v54, v14, v54, vcc
	v_trig_preop_f64 v[46:47], |v[14:15]|, 1
	v_mul_f64 v[58:59], v[44:45], v[54:55]
	v_mul_f64 v[56:57], v[46:47], v[54:55]
	v_fma_f64 v[44:45], v[44:45], v[54:55], -v[58:59]
	v_add_f64 v[60:61], v[56:57], v[44:45]
	v_add_f64 v[62:63], v[58:59], v[60:61]
	v_ldexp_f64 v[64:65], v[62:63], -2
	v_fract_f64_e32 v[66:67], v[64:65]
	v_cmp_neq_f64_e64 vcc, |v[64:65]|, s[10:11]
	v_cndmask_b32_e32 v65, 0, v67, vcc
	v_cndmask_b32_e32 v64, 0, v66, vcc
	v_add_f64 v[66:67], v[60:61], -v[56:57]
	v_add_f64 v[44:45], v[44:45], -v[66:67]
	;; [unrolled: 1-line block ×4, first 2 shown]
	v_fma_f64 v[46:47], v[46:47], v[54:55], -v[56:57]
	v_trig_preop_f64 v[56:57], |v[14:15]|, 2
	v_add_f64 v[44:45], v[44:45], v[66:67]
	v_mul_f64 v[66:67], v[56:57], v[54:55]
	v_add_f64 v[68:69], v[66:67], v[46:47]
	v_add_f64 v[70:71], v[68:69], v[44:45]
	v_add_f64 v[58:59], v[62:63], -v[58:59]
	v_add_f64 v[62:63], v[70:71], -v[68:69]
	;; [unrolled: 1-line block ×5, first 2 shown]
	v_add_f64 v[44:45], v[44:45], v[62:63]
	v_add_f64 v[62:63], v[68:69], -v[66:67]
	v_add_f64 v[46:47], v[46:47], -v[62:63]
	;; [unrolled: 1-line block ×4, first 2 shown]
	v_add_f64 v[46:47], v[46:47], v[62:63]
	v_add_f64 v[58:59], v[60:61], -v[58:59]
	v_add_f64 v[44:45], v[46:47], v[44:45]
	v_fma_f64 v[46:47], v[56:57], v[54:55], -v[66:67]
	v_add_f64 v[60:61], v[58:59], v[70:71]
	v_add_f64 v[44:45], v[46:47], v[44:45]
	v_ldexp_f64 v[46:47], v[64:65], 2
	v_add_f64 v[54:55], v[60:61], v[46:47]
	v_cmp_gt_f64_e32 vcc, 0, v[54:55]
	v_cndmask_b32_e32 v21, 0, v48, vcc
	v_add_f64 v[46:47], v[46:47], v[20:21]
	v_add_f64 v[54:55], v[60:61], v[46:47]
	v_cvt_i32_f64_e32 v21, v[54:55]
	v_cvt_f64_i32_e32 v[54:55], v21
	v_add_f64 v[46:47], v[46:47], -v[54:55]
	v_add_f64 v[58:59], v[60:61], -v[58:59]
	v_add_f64 v[54:55], v[60:61], v[46:47]
	v_add_f64 v[58:59], v[70:71], -v[58:59]
	v_add_f64 v[46:47], v[54:55], -v[46:47]
	v_cmp_le_f64_e32 vcc, 0.5, v[54:55]
	v_add_f64 v[44:45], v[58:59], v[44:45]
	v_add_f64 v[46:47], v[60:61], -v[46:47]
	v_addc_co_u32_e64 v53, s[0:1], 0, v21, vcc
	v_cndmask_b32_e32 v21, 0, v49, vcc
	v_add_f64 v[44:45], v[44:45], v[46:47]
	v_add_f64 v[46:47], v[54:55], -v[20:21]
	v_add_f64 v[54:55], v[46:47], v[44:45]
	v_add_f64 v[46:47], v[54:55], -v[46:47]
	s_mov_b32 s12, s16
	v_add_f64 v[44:45], v[44:45], -v[46:47]
	v_mul_f64 v[46:47], v[54:55], s[12:13]
	v_fma_f64 v[56:57], v[54:55], s[12:13], -v[46:47]
	s_mov_b32 s21, s19
	v_fmac_f64_e32 v[56:57], s[20:21], v[54:55]
	v_fmac_f64_e32 v[56:57], s[12:13], v[44:45]
	v_add_f64 v[44:45], v[46:47], v[56:57]
	v_add_f64 v[46:47], v[44:45], -v[46:47]
	v_add_f64 v[46:47], v[56:57], -v[46:47]
	s_andn2_saveexec_b64 s[0:1], s[2:3]
	s_cbranch_execnz .LBB138_223
	s_branch .LBB138_224
.LBB138_222:                            ;   in Loop: Header=BB138_201 Depth=1
	s_andn2_saveexec_b64 s[0:1], s[2:3]
	s_cbranch_execz .LBB138_224
.LBB138_223:                            ;   in Loop: Header=BB138_201 Depth=1
	v_mul_f64 v[44:45], |v[14:15]|, s[22:23]
	v_rndne_f64_e32 v[54:55], v[44:45]
	v_fma_f64 v[44:45], v[54:55], s[16:17], |v[14:15]|
	v_mul_f64 v[56:57], v[54:55], s[24:25]
	v_add_f64 v[60:61], v[44:45], v[56:57]
	v_fma_f64 v[46:47], s[24:25], v[54:55], v[44:45]
	s_mov_b32 s18, s24
	v_add_f64 v[44:45], v[44:45], -v[60:61]
	v_fma_f64 v[58:59], s[18:19], v[54:55], v[56:57]
	v_add_f64 v[44:45], v[44:45], v[56:57]
	v_add_f64 v[56:57], v[60:61], -v[46:47]
	v_add_f64 v[44:45], v[56:57], v[44:45]
	v_add_f64 v[56:57], v[44:45], -v[58:59]
	v_fmac_f64_e32 v[56:57], s[26:27], v[54:55]
	v_add_f64 v[44:45], v[46:47], v[56:57]
	v_add_f64 v[46:47], v[44:45], -v[46:47]
	v_add_f64 v[46:47], v[56:57], -v[46:47]
	v_cvt_i32_f64_e32 v53, v[54:55]
.LBB138_224:                            ;   in Loop: Header=BB138_201 Depth=1
	s_or_b64 exec, exec, s[0:1]
	v_mul_f64 v[54:55], v[4:5], v[4:5]
	v_pk_mov_b32 v[62:63], s[46:47], s[46:47] op_sel:[0,1]
	v_mul_f64 v[56:57], v[54:55], 0.5
	v_fma_f64 v[64:65], s[48:49], v[54:55], v[62:63]
	v_add_f64 v[58:59], -v[56:57], 1.0
	v_fma_f64 v[64:65], v[54:55], v[64:65], s[50:51]
	v_fma_f64 v[64:65], v[54:55], v[64:65], s[52:53]
	v_add_f64 v[66:67], -v[58:59], 1.0
	v_fma_f64 v[64:65], v[54:55], v[64:65], s[54:55]
	v_add_f64 v[56:57], v[66:67], -v[56:57]
	v_mul_f64 v[60:61], v[54:55], v[54:55]
	v_fma_f64 v[64:65], v[54:55], v[64:65], s[40:41]
	v_fma_f64 v[56:57], v[4:5], -v[6:7], v[56:57]
	v_fmac_f64_e32 v[56:57], v[60:61], v[64:65]
	v_pk_mov_b32 v[60:61], s[56:57], s[56:57] op_sel:[0,1]
	v_fma_f64 v[64:65], s[58:59], v[54:55], v[60:61]
	v_fma_f64 v[64:65], v[54:55], v[64:65], s[60:61]
	;; [unrolled: 1-line block ×3, first 2 shown]
	v_add_f64 v[56:57], v[58:59], v[56:57]
	v_mul_f64 v[58:59], v[4:5], -v[54:55]
	v_fma_f64 v[64:65], v[54:55], v[64:65], s[38:39]
	v_mul_f64 v[66:67], v[6:7], 0.5
	v_fmac_f64_e32 v[66:67], v[58:59], v[64:65]
	v_fma_f64 v[6:7], v[54:55], v[66:67], -v[6:7]
	s_mov_b32 s64, s40
	v_fmac_f64_e32 v[6:7], s[64:65], v[58:59]
	v_and_b32_e32 v21, 1, v52
	v_add_f64 v[4:5], v[4:5], -v[6:7]
	v_xor_b32_e32 v5, 0x80000000, v5
	v_cmp_eq_u32_e32 vcc, 0, v21
	v_lshlrev_b32_e32 v6, 30, v52
	v_cndmask_b32_e32 v5, v5, v57, vcc
	v_and_b32_e32 v6, 0x80000000, v6
	v_xor_b32_e32 v5, v5, v6
	v_add_f64 v[6:7], v[12:13], s[66:67]
	v_mul_f64 v[12:13], v[6:7], s[28:29]
	v_rndne_f64_e32 v[12:13], v[12:13]
	v_fma_f64 v[54:55], s[30:31], v[12:13], v[6:7]
	v_cndmask_b32_e32 v4, v4, v56, vcc
	v_fmac_f64_e32 v[54:55], s[34:35], v[12:13]
	v_pk_mov_b32 v[56:57], v[26:27], v[26:27] op_sel:[0,1]
	v_fmac_f64_e32 v[56:57], s[36:37], v[54:55]
	v_pk_mov_b32 v[58:59], v[28:29], v[28:29] op_sel:[0,1]
	;; [unrolled: 2-line block ×9, first 2 shown]
	v_fmac_f64_e32 v[56:57], v[54:55], v[58:59]
	v_fma_f64 v[56:57], v[54:55], v[56:57], 1.0
	v_fma_f64 v[54:55], v[54:55], v[56:57], 1.0
	v_cvt_i32_f64_e32 v12, v[12:13]
	v_ldexp_f64 v[12:13], v[54:55], v12
	v_mul_f64 v[54:55], v[44:45], v[44:45]
	v_mul_f64 v[56:57], v[54:55], 0.5
	v_fmac_f64_e32 v[62:63], s[48:49], v[54:55]
	v_add_f64 v[58:59], -v[56:57], 1.0
	v_fma_f64 v[62:63], v[54:55], v[62:63], s[50:51]
	v_add_f64 v[64:65], -v[58:59], 1.0
	v_fma_f64 v[62:63], v[54:55], v[62:63], s[52:53]
	v_add_f64 v[56:57], v[64:65], -v[56:57]
	v_fma_f64 v[62:63], v[54:55], v[62:63], s[54:55]
	v_mul_f64 v[64:65], v[54:55], v[54:55]
	v_fma_f64 v[62:63], v[54:55], v[62:63], s[40:41]
	v_fma_f64 v[56:57], v[44:45], -v[46:47], v[56:57]
	v_fmac_f64_e32 v[56:57], v[64:65], v[62:63]
	v_fmac_f64_e32 v[60:61], s[58:59], v[54:55]
	v_add_f64 v[56:57], v[58:59], v[56:57]
	v_fma_f64 v[58:59], v[54:55], v[60:61], s[60:61]
	v_fma_f64 v[58:59], v[54:55], v[58:59], s[62:63]
	;; [unrolled: 1-line block ×3, first 2 shown]
	v_mul_f64 v[60:61], v[44:45], -v[54:55]
	v_mul_f64 v[62:63], v[46:47], 0.5
	v_cmp_nlt_f64_e64 s[0:1], s[42:43], v[6:7]
	v_fmac_f64_e32 v[62:63], v[60:61], v[58:59]
	v_cndmask_b32_e64 v13, v50, v13, s[0:1]
	v_cmp_ngt_f64_e64 s[2:3], s[44:45], v[6:7]
	v_fma_f64 v[46:47], v[54:55], v[62:63], -v[46:47]
	v_cmp_class_f64_e64 vcc, v[14:15], s86
	v_cndmask_b32_e64 v13, 0, v13, s[2:3]
	s_and_b64 s[0:1], s[2:3], s[0:1]
	v_fmac_f64_e32 v[46:47], s[64:65], v[60:61]
	v_and_b32_e32 v14, 1, v53
	v_cndmask_b32_e64 v6, 0, v12, s[0:1]
	v_lshrrev_b32_e32 v12, 20, v13
	v_add_f64 v[44:45], v[44:45], -v[46:47]
	v_cmp_eq_u32_e64 s[0:1], 0, v14
	v_add_u32_e32 v12, 0xffffff09, v12
	v_cndmask_b32_e64 v14, v56, v44, s[0:1]
	v_cndmask_b32_e64 v44, v57, v45, s[0:1]
	v_lshlrev_b32_e32 v45, 30, v53
	v_and_b32_e32 v7, 0xfffff, v13
	v_lshrrev_b16_e32 v13, 15, v12
	v_xor_b32_e32 v15, v45, v15
	v_add_u16_e32 v13, v12, v13
	v_and_b32_e32 v15, 0x80000000, v15
	v_ashrrev_i16_e32 v13, 1, v13
	v_xor_b32_e32 v15, v44, v15
	v_cndmask_b32_e32 v4, 0, v4, vcc
	v_cndmask_b32_e32 v5, v51, v5, vcc
	v_or_b32_e32 v7, 0x7fe00000, v7
	v_bfe_i32 v13, v13, 0, 16
	v_cndmask_b32_e32 v14, 0, v14, vcc
	v_cndmask_b32_e32 v15, v51, v15, vcc
	v_mul_f64 v[4:5], v[6:7], v[4:5]
	v_lshl_add_u32 v21, v13, 20, v49
	v_sub_u32_e32 v12, v12, v13
	v_mul_f64 v[6:7], v[6:7], v[14:15]
	v_mul_f64 v[4:5], v[4:5], v[20:21]
	v_lshl_add_u32 v13, v12, 20, v49
	v_mov_b32_e32 v12, v20
	v_mul_f64 v[6:7], v[6:7], v[20:21]
	v_mul_f64 v[4:5], v[4:5], v[12:13]
	;; [unrolled: 1-line block ×3, first 2 shown]
	s_or_b64 exec, exec, s[76:77]
                                        ; implicit-def: $vgpr12_vgpr13
                                        ; implicit-def: $vgpr21
.LBB138_225:                            ;   in Loop: Header=BB138_201 Depth=1
	s_andn2_saveexec_b64 s[2:3], s[74:75]
	s_cbranch_execz .LBB138_231
.LBB138_226:                            ;   in Loop: Header=BB138_201 Depth=1
	v_cmp_ne_u32_e32 vcc, 0, v12
	v_cmp_ne_u32_e64 s[0:1], s83, v21
	s_or_b64 s[0:1], vcc, s[0:1]
	v_add_f64 v[6:7], v[14:15], -v[14:15]
	s_and_saveexec_b64 s[74:75], s[0:1]
	s_xor_b64 s[0:1], exec, s[74:75]
; %bb.227:                              ;   in Loop: Header=BB138_201 Depth=1
                                        ; implicit-def: $vgpr12_vgpr13
; %bb.228:                              ;   in Loop: Header=BB138_201 Depth=1
	s_or_saveexec_b64 s[0:1], s[0:1]
	v_pk_mov_b32 v[4:5], v[6:7], v[6:7] op_sel:[0,1]
	s_xor_b64 exec, exec, s[0:1]
; %bb.229:                              ;   in Loop: Header=BB138_201 Depth=1
	v_cmp_lt_i64_e32 vcc, -1, v[12:13]
	v_cndmask_b32_e32 v5, 0, v13, vcc
	v_cndmask_b32_e32 v4, 0, v12, vcc
	;; [unrolled: 1-line block ×4, first 2 shown]
; %bb.230:                              ;   in Loop: Header=BB138_201 Depth=1
	s_or_b64 exec, exec, s[0:1]
.LBB138_231:                            ;   in Loop: Header=BB138_201 Depth=1
	s_or_b64 exec, exec, s[2:3]
                                        ; implicit-def: $vgpr14_vgpr15
.LBB138_232:                            ;   in Loop: Header=BB138_201 Depth=1
	s_andn2_saveexec_b64 s[2:3], s[72:73]
	s_cbranch_execz .LBB138_242
; %bb.233:                              ;   in Loop: Header=BB138_201 Depth=1
	v_cmp_nlt_f64_e64 s[72:73], |v[14:15]|, s[6:7]
                                        ; implicit-def: $vgpr46
                                        ; implicit-def: $vgpr4_vgpr5
                                        ; implicit-def: $vgpr6_vgpr7
	s_and_saveexec_b64 s[0:1], s[72:73]
	s_xor_b64 s[74:75], exec, s[0:1]
	s_cbranch_execz .LBB138_235
; %bb.234:                              ;   in Loop: Header=BB138_201 Depth=1
	v_and_b32_e32 v21, 0x7fffffff, v15
	v_ldexp_f64 v[12:13], |v[14:15]|, s85
	v_cmp_ge_f64_e64 vcc, |v[14:15]|, s[8:9]
	v_trig_preop_f64 v[4:5], |v[14:15]|, 0
	v_cndmask_b32_e32 v13, v21, v13, vcc
	v_cndmask_b32_e32 v12, v14, v12, vcc
	v_trig_preop_f64 v[6:7], |v[14:15]|, 1
	v_mul_f64 v[46:47], v[4:5], v[12:13]
	v_mul_f64 v[44:45], v[6:7], v[12:13]
	v_fma_f64 v[4:5], v[4:5], v[12:13], -v[46:47]
	v_add_f64 v[52:53], v[44:45], v[4:5]
	v_add_f64 v[54:55], v[46:47], v[52:53]
	v_ldexp_f64 v[56:57], v[54:55], -2
	v_fract_f64_e32 v[58:59], v[56:57]
	v_cmp_neq_f64_e64 vcc, |v[56:57]|, s[10:11]
	v_cndmask_b32_e32 v57, 0, v59, vcc
	v_cndmask_b32_e32 v56, 0, v58, vcc
	v_add_f64 v[58:59], v[52:53], -v[44:45]
	v_add_f64 v[4:5], v[4:5], -v[58:59]
	;; [unrolled: 1-line block ×4, first 2 shown]
	v_fma_f64 v[6:7], v[6:7], v[12:13], -v[44:45]
	v_trig_preop_f64 v[44:45], |v[14:15]|, 2
	v_add_f64 v[4:5], v[4:5], v[58:59]
	v_mul_f64 v[58:59], v[44:45], v[12:13]
	v_add_f64 v[60:61], v[58:59], v[6:7]
	v_add_f64 v[62:63], v[60:61], v[4:5]
	v_add_f64 v[46:47], v[54:55], -v[46:47]
	v_add_f64 v[54:55], v[62:63], -v[60:61]
	;; [unrolled: 1-line block ×5, first 2 shown]
	v_add_f64 v[4:5], v[4:5], v[54:55]
	v_add_f64 v[54:55], v[60:61], -v[58:59]
	v_add_f64 v[6:7], v[6:7], -v[54:55]
	;; [unrolled: 1-line block ×4, first 2 shown]
	v_add_f64 v[6:7], v[6:7], v[54:55]
	v_add_f64 v[46:47], v[52:53], -v[46:47]
	v_add_f64 v[4:5], v[6:7], v[4:5]
	v_fma_f64 v[6:7], v[44:45], v[12:13], -v[58:59]
	v_add_f64 v[52:53], v[46:47], v[62:63]
	v_add_f64 v[4:5], v[6:7], v[4:5]
	v_ldexp_f64 v[6:7], v[56:57], 2
	v_add_f64 v[12:13], v[52:53], v[6:7]
	v_cmp_gt_f64_e32 vcc, 0, v[12:13]
	v_cndmask_b32_e32 v21, 0, v48, vcc
	v_add_f64 v[6:7], v[6:7], v[20:21]
	v_add_f64 v[12:13], v[52:53], v[6:7]
	v_cvt_i32_f64_e32 v21, v[12:13]
	v_cvt_f64_i32_e32 v[12:13], v21
	v_add_f64 v[6:7], v[6:7], -v[12:13]
	v_add_f64 v[46:47], v[52:53], -v[46:47]
	v_add_f64 v[12:13], v[52:53], v[6:7]
	v_add_f64 v[46:47], v[62:63], -v[46:47]
	v_add_f64 v[6:7], v[12:13], -v[6:7]
	v_cmp_le_f64_e32 vcc, 0.5, v[12:13]
	v_add_f64 v[4:5], v[46:47], v[4:5]
	v_add_f64 v[6:7], v[52:53], -v[6:7]
	v_addc_co_u32_e64 v46, s[0:1], 0, v21, vcc
	v_cndmask_b32_e32 v21, 0, v49, vcc
	v_add_f64 v[4:5], v[4:5], v[6:7]
	v_add_f64 v[6:7], v[12:13], -v[20:21]
	v_add_f64 v[12:13], v[6:7], v[4:5]
	v_add_f64 v[6:7], v[12:13], -v[6:7]
	s_mov_b32 s12, s16
	v_add_f64 v[4:5], v[4:5], -v[6:7]
	v_mul_f64 v[6:7], v[12:13], s[12:13]
	v_fma_f64 v[44:45], v[12:13], s[12:13], -v[6:7]
	s_mov_b32 s21, s19
	v_fmac_f64_e32 v[44:45], s[20:21], v[12:13]
	v_fmac_f64_e32 v[44:45], s[12:13], v[4:5]
	v_add_f64 v[4:5], v[6:7], v[44:45]
	v_add_f64 v[6:7], v[4:5], -v[6:7]
	v_add_f64 v[6:7], v[44:45], -v[6:7]
	s_andn2_saveexec_b64 s[0:1], s[74:75]
	s_cbranch_execz .LBB138_237
	s_branch .LBB138_236
.LBB138_235:                            ;   in Loop: Header=BB138_201 Depth=1
	s_andn2_saveexec_b64 s[0:1], s[74:75]
	s_cbranch_execz .LBB138_237
.LBB138_236:                            ;   in Loop: Header=BB138_201 Depth=1
	v_mul_f64 v[4:5], |v[14:15]|, s[22:23]
	v_rndne_f64_e32 v[12:13], v[4:5]
	v_fma_f64 v[4:5], v[12:13], s[16:17], |v[14:15]|
	v_mul_f64 v[44:45], v[12:13], s[24:25]
	v_add_f64 v[52:53], v[4:5], v[44:45]
	v_fma_f64 v[6:7], s[24:25], v[12:13], v[4:5]
	s_mov_b32 s18, s24
	v_add_f64 v[4:5], v[4:5], -v[52:53]
	v_fma_f64 v[46:47], s[18:19], v[12:13], v[44:45]
	v_add_f64 v[4:5], v[4:5], v[44:45]
	v_add_f64 v[44:45], v[52:53], -v[6:7]
	v_add_f64 v[4:5], v[44:45], v[4:5]
	v_add_f64 v[44:45], v[4:5], -v[46:47]
	v_fmac_f64_e32 v[44:45], s[26:27], v[12:13]
	v_add_f64 v[4:5], v[6:7], v[44:45]
	v_add_f64 v[6:7], v[4:5], -v[6:7]
	v_add_f64 v[6:7], v[44:45], -v[6:7]
	v_cvt_i32_f64_e32 v46, v[12:13]
.LBB138_237:                            ;   in Loop: Header=BB138_201 Depth=1
	s_or_b64 exec, exec, s[0:1]
                                        ; implicit-def: $vgpr47
                                        ; implicit-def: $vgpr12_vgpr13
                                        ; implicit-def: $vgpr44_vgpr45
	s_and_saveexec_b64 s[0:1], s[72:73]
	s_xor_b64 s[72:73], exec, s[0:1]
	s_cbranch_execz .LBB138_239
; %bb.238:                              ;   in Loop: Header=BB138_201 Depth=1
	v_and_b32_e32 v21, 0x7fffffff, v15
	v_ldexp_f64 v[52:53], |v[14:15]|, s85
	v_cmp_ge_f64_e64 vcc, |v[14:15]|, s[8:9]
	v_trig_preop_f64 v[12:13], |v[14:15]|, 0
	v_cndmask_b32_e32 v53, v21, v53, vcc
	v_cndmask_b32_e32 v52, v14, v52, vcc
	v_trig_preop_f64 v[44:45], |v[14:15]|, 1
	v_mul_f64 v[56:57], v[12:13], v[52:53]
	v_mul_f64 v[54:55], v[44:45], v[52:53]
	v_fma_f64 v[12:13], v[12:13], v[52:53], -v[56:57]
	v_add_f64 v[58:59], v[54:55], v[12:13]
	v_add_f64 v[60:61], v[56:57], v[58:59]
	v_ldexp_f64 v[62:63], v[60:61], -2
	v_fract_f64_e32 v[64:65], v[62:63]
	v_cmp_neq_f64_e64 vcc, |v[62:63]|, s[10:11]
	v_cndmask_b32_e32 v63, 0, v65, vcc
	v_cndmask_b32_e32 v62, 0, v64, vcc
	v_add_f64 v[64:65], v[58:59], -v[54:55]
	v_add_f64 v[12:13], v[12:13], -v[64:65]
	;; [unrolled: 1-line block ×4, first 2 shown]
	v_fma_f64 v[44:45], v[44:45], v[52:53], -v[54:55]
	v_trig_preop_f64 v[54:55], |v[14:15]|, 2
	v_add_f64 v[12:13], v[12:13], v[64:65]
	v_mul_f64 v[64:65], v[54:55], v[52:53]
	v_add_f64 v[66:67], v[64:65], v[44:45]
	v_add_f64 v[68:69], v[66:67], v[12:13]
	v_add_f64 v[56:57], v[60:61], -v[56:57]
	v_add_f64 v[60:61], v[68:69], -v[66:67]
	;; [unrolled: 1-line block ×5, first 2 shown]
	v_add_f64 v[12:13], v[12:13], v[60:61]
	v_add_f64 v[60:61], v[66:67], -v[64:65]
	v_add_f64 v[44:45], v[44:45], -v[60:61]
	;; [unrolled: 1-line block ×4, first 2 shown]
	v_add_f64 v[44:45], v[44:45], v[60:61]
	v_add_f64 v[56:57], v[58:59], -v[56:57]
	v_add_f64 v[12:13], v[44:45], v[12:13]
	v_fma_f64 v[44:45], v[54:55], v[52:53], -v[64:65]
	v_add_f64 v[58:59], v[56:57], v[68:69]
	v_add_f64 v[12:13], v[44:45], v[12:13]
	v_ldexp_f64 v[44:45], v[62:63], 2
	v_add_f64 v[52:53], v[58:59], v[44:45]
	v_cmp_gt_f64_e32 vcc, 0, v[52:53]
	v_cndmask_b32_e32 v21, 0, v48, vcc
	v_add_f64 v[44:45], v[44:45], v[20:21]
	v_add_f64 v[52:53], v[58:59], v[44:45]
	v_cvt_i32_f64_e32 v21, v[52:53]
	v_cvt_f64_i32_e32 v[52:53], v21
	v_add_f64 v[44:45], v[44:45], -v[52:53]
	v_add_f64 v[56:57], v[58:59], -v[56:57]
	v_add_f64 v[52:53], v[58:59], v[44:45]
	v_add_f64 v[56:57], v[68:69], -v[56:57]
	v_add_f64 v[44:45], v[52:53], -v[44:45]
	v_cmp_le_f64_e32 vcc, 0.5, v[52:53]
	v_add_f64 v[12:13], v[56:57], v[12:13]
	v_add_f64 v[44:45], v[58:59], -v[44:45]
	v_addc_co_u32_e64 v47, s[0:1], 0, v21, vcc
	v_cndmask_b32_e32 v21, 0, v49, vcc
	v_add_f64 v[12:13], v[12:13], v[44:45]
	v_add_f64 v[44:45], v[52:53], -v[20:21]
	v_add_f64 v[52:53], v[44:45], v[12:13]
	v_add_f64 v[44:45], v[52:53], -v[44:45]
	s_mov_b32 s12, s16
	v_add_f64 v[12:13], v[12:13], -v[44:45]
	v_mul_f64 v[44:45], v[52:53], s[12:13]
	v_fma_f64 v[54:55], v[52:53], s[12:13], -v[44:45]
	s_mov_b32 s21, s19
	v_fmac_f64_e32 v[54:55], s[20:21], v[52:53]
	v_fmac_f64_e32 v[54:55], s[12:13], v[12:13]
	v_add_f64 v[12:13], v[44:45], v[54:55]
	v_add_f64 v[44:45], v[12:13], -v[44:45]
	v_add_f64 v[44:45], v[54:55], -v[44:45]
	s_andn2_saveexec_b64 s[0:1], s[72:73]
	s_cbranch_execnz .LBB138_240
	s_branch .LBB138_241
.LBB138_239:                            ;   in Loop: Header=BB138_201 Depth=1
	s_andn2_saveexec_b64 s[0:1], s[72:73]
	s_cbranch_execz .LBB138_241
.LBB138_240:                            ;   in Loop: Header=BB138_201 Depth=1
	v_mul_f64 v[12:13], |v[14:15]|, s[22:23]
	v_rndne_f64_e32 v[52:53], v[12:13]
	v_fma_f64 v[12:13], v[52:53], s[16:17], |v[14:15]|
	v_mul_f64 v[54:55], v[52:53], s[24:25]
	v_add_f64 v[58:59], v[12:13], v[54:55]
	v_fma_f64 v[44:45], s[24:25], v[52:53], v[12:13]
	s_mov_b32 s18, s24
	v_add_f64 v[12:13], v[12:13], -v[58:59]
	v_fma_f64 v[56:57], s[18:19], v[52:53], v[54:55]
	v_add_f64 v[12:13], v[12:13], v[54:55]
	v_add_f64 v[54:55], v[58:59], -v[44:45]
	v_add_f64 v[12:13], v[54:55], v[12:13]
	v_add_f64 v[54:55], v[12:13], -v[56:57]
	v_fmac_f64_e32 v[54:55], s[26:27], v[52:53]
	v_add_f64 v[12:13], v[44:45], v[54:55]
	v_add_f64 v[44:45], v[12:13], -v[44:45]
	v_add_f64 v[44:45], v[54:55], -v[44:45]
	v_cvt_i32_f64_e32 v47, v[52:53]
.LBB138_241:                            ;   in Loop: Header=BB138_201 Depth=1
	s_or_b64 exec, exec, s[0:1]
	v_mul_f64 v[52:53], v[4:5], v[4:5]
	v_pk_mov_b32 v[60:61], s[46:47], s[46:47] op_sel:[0,1]
	v_mul_f64 v[54:55], v[52:53], 0.5
	v_fma_f64 v[62:63], s[48:49], v[52:53], v[60:61]
	v_add_f64 v[56:57], -v[54:55], 1.0
	v_fma_f64 v[62:63], v[52:53], v[62:63], s[50:51]
	v_add_f64 v[58:59], -v[56:57], 1.0
	v_fma_f64 v[62:63], v[52:53], v[62:63], s[52:53]
	v_add_f64 v[54:55], v[58:59], -v[54:55]
	v_fma_f64 v[62:63], v[52:53], v[62:63], s[54:55]
	v_mul_f64 v[58:59], v[52:53], v[52:53]
	v_fma_f64 v[62:63], v[52:53], v[62:63], s[40:41]
	v_fma_f64 v[54:55], v[4:5], -v[6:7], v[54:55]
	v_fmac_f64_e32 v[54:55], v[58:59], v[62:63]
	v_add_f64 v[54:55], v[56:57], v[54:55]
	v_pk_mov_b32 v[56:57], s[56:57], s[56:57] op_sel:[0,1]
	v_fma_f64 v[58:59], s[58:59], v[52:53], v[56:57]
	v_fma_f64 v[58:59], v[52:53], v[58:59], s[60:61]
	;; [unrolled: 1-line block ×4, first 2 shown]
	v_mul_f64 v[62:63], v[4:5], -v[52:53]
	v_mul_f64 v[64:65], v[6:7], 0.5
	v_fmac_f64_e32 v[64:65], v[62:63], v[58:59]
	v_fma_f64 v[6:7], v[52:53], v[64:65], -v[6:7]
	s_mov_b32 s64, s40
	v_fmac_f64_e32 v[6:7], s[64:65], v[62:63]
	v_add_f64 v[4:5], v[4:5], -v[6:7]
	v_and_b32_e32 v6, 1, v46
	v_xor_b32_e32 v5, 0x80000000, v5
	v_cmp_eq_u32_e32 vcc, 0, v6
	v_lshlrev_b32_e32 v6, 30, v46
	v_cndmask_b32_e32 v5, v5, v55, vcc
	v_and_b32_e32 v6, 0x80000000, v6
	v_xor_b32_e32 v5, v5, v6
	v_mul_f64 v[6:7], v[12:13], v[12:13]
	v_mul_f64 v[52:53], v[6:7], 0.5
	v_fmac_f64_e32 v[60:61], s[48:49], v[6:7]
	v_cndmask_b32_e32 v4, v4, v54, vcc
	v_add_f64 v[54:55], -v[52:53], 1.0
	v_fma_f64 v[60:61], v[6:7], v[60:61], s[50:51]
	v_add_f64 v[58:59], -v[54:55], 1.0
	v_fma_f64 v[60:61], v[6:7], v[60:61], s[52:53]
	v_add_f64 v[52:53], v[58:59], -v[52:53]
	v_fma_f64 v[60:61], v[6:7], v[60:61], s[54:55]
	v_mul_f64 v[58:59], v[6:7], v[6:7]
	v_fma_f64 v[60:61], v[6:7], v[60:61], s[40:41]
	v_fma_f64 v[52:53], v[12:13], -v[44:45], v[52:53]
	v_fmac_f64_e32 v[52:53], v[58:59], v[60:61]
	v_fmac_f64_e32 v[56:57], s[58:59], v[6:7]
	v_add_f64 v[52:53], v[54:55], v[52:53]
	v_fma_f64 v[54:55], v[6:7], v[56:57], s[60:61]
	v_fma_f64 v[54:55], v[6:7], v[54:55], s[62:63]
	;; [unrolled: 1-line block ×3, first 2 shown]
	v_mul_f64 v[56:57], v[12:13], -v[6:7]
	v_mul_f64 v[58:59], v[44:45], 0.5
	v_fmac_f64_e32 v[58:59], v[56:57], v[54:55]
	v_fma_f64 v[6:7], v[6:7], v[58:59], -v[44:45]
	v_fmac_f64_e32 v[6:7], s[64:65], v[56:57]
	v_add_f64 v[6:7], v[12:13], -v[6:7]
	v_and_b32_e32 v12, 1, v47
	v_cmp_eq_u32_e64 s[0:1], 0, v12
	v_lshlrev_b32_e32 v12, 30, v47
	v_xor_b32_e32 v12, v12, v15
	v_cndmask_b32_e64 v7, v53, v7, s[0:1]
	v_and_b32_e32 v12, 0x80000000, v12
	v_cmp_class_f64_e64 vcc, v[14:15], s86
	v_cndmask_b32_e64 v6, v52, v6, s[0:1]
	v_xor_b32_e32 v7, v7, v12
	v_cndmask_b32_e32 v4, 0, v4, vcc
	v_cndmask_b32_e32 v5, v51, v5, vcc
	v_cndmask_b32_e32 v6, 0, v6, vcc
	v_cndmask_b32_e32 v7, v51, v7, vcc
.LBB138_242:                            ;   in Loop: Header=BB138_201 Depth=1
	s_or_b64 exec, exec, s[2:3]
                                        ; implicit-def: $vgpr12_vgpr13
.LBB138_243:                            ;   in Loop: Header=BB138_201 Depth=1
	s_andn2_saveexec_b64 s[2:3], s[70:71]
	s_cbranch_execz .LBB138_245
; %bb.244:                              ;   in Loop: Header=BB138_201 Depth=1
	v_mul_f64 v[4:5], v[12:13], s[28:29]
	v_rndne_f64_e32 v[4:5], v[4:5]
	v_fma_f64 v[6:7], s[30:31], v[4:5], v[12:13]
	v_fmac_f64_e32 v[6:7], s[34:35], v[4:5]
	v_pk_mov_b32 v[44:45], v[26:27], v[26:27] op_sel:[0,1]
	v_fmac_f64_e32 v[44:45], s[36:37], v[6:7]
	v_pk_mov_b32 v[46:47], v[28:29], v[28:29] op_sel:[0,1]
	;; [unrolled: 2-line block ×9, first 2 shown]
	v_fmac_f64_e32 v[44:45], v[6:7], v[46:47]
	v_fma_f64 v[44:45], v[6:7], v[44:45], 1.0
	v_fma_f64 v[6:7], v[6:7], v[44:45], 1.0
	v_cvt_i32_f64_e32 v4, v[4:5]
	v_ldexp_f64 v[4:5], v[6:7], v4
	v_cmp_nlt_f64_e32 vcc, s[42:43], v[12:13]
	v_cmp_ngt_f64_e64 s[0:1], s[44:45], v[12:13]
	v_cndmask_b32_e32 v5, v50, v5, vcc
	s_and_b64 vcc, s[0:1], vcc
	v_cndmask_b32_e64 v5, 0, v5, s[0:1]
	v_cndmask_b32_e32 v4, 0, v4, vcc
	v_pk_mov_b32 v[6:7], v[14:15], v[14:15] op_sel:[0,1]
.LBB138_245:                            ;   in Loop: Header=BB138_201 Depth=1
	s_or_b64 exec, exec, s[2:3]
	s_waitcnt vmcnt(2)
	v_and_b32_e32 v12, 0x7fffffff, v19
	v_or_b32_e32 v13, v12, v18
	v_cmp_ne_u32_e32 vcc, 0, v13
                                        ; implicit-def: $vgpr14_vgpr15
	s_and_saveexec_b64 s[0:1], vcc
	s_xor_b64 s[70:71], exec, s[0:1]
	s_cbranch_execz .LBB138_287
; %bb.246:                              ;   in Loop: Header=BB138_201 Depth=1
	v_and_b32_e32 v21, 0x7fffffff, v17
	v_or_b32_e32 v13, v21, v16
	v_cmp_ne_u32_e32 vcc, 0, v13
                                        ; implicit-def: $vgpr14_vgpr15
	s_and_saveexec_b64 s[0:1], vcc
	s_xor_b64 s[72:73], exec, s[0:1]
	s_cbranch_execz .LBB138_276
; %bb.247:                              ;   in Loop: Header=BB138_201 Depth=1
	v_cmp_gt_u32_e32 vcc, s83, v12
                                        ; implicit-def: $vgpr14_vgpr15
	s_and_saveexec_b64 s[0:1], vcc
	s_xor_b64 s[74:75], exec, s[0:1]
	s_cbranch_execz .LBB138_269
; %bb.248:                              ;   in Loop: Header=BB138_201 Depth=1
	v_add_u32_e32 v12, 0xbf79d1be, v17
	v_cmp_lt_u32_e32 vcc, s84, v12
                                        ; implicit-def: $vgpr14_vgpr15
	s_and_saveexec_b64 s[0:1], vcc
	s_xor_b64 s[2:3], exec, s[0:1]
	s_cbranch_execz .LBB138_258
; %bb.249:                              ;   in Loop: Header=BB138_201 Depth=1
	v_cmp_nlt_f64_e64 s[76:77], |v[18:19]|, s[6:7]
                                        ; implicit-def: $vgpr52
                                        ; implicit-def: $vgpr12_vgpr13
                                        ; implicit-def: $vgpr14_vgpr15
	s_and_saveexec_b64 s[0:1], s[76:77]
	s_xor_b64 s[78:79], exec, s[0:1]
	s_cbranch_execz .LBB138_251
; %bb.250:                              ;   in Loop: Header=BB138_201 Depth=1
	v_and_b32_e32 v21, 0x7fffffff, v19
	v_ldexp_f64 v[44:45], |v[18:19]|, s85
	v_cmp_ge_f64_e64 vcc, |v[18:19]|, s[8:9]
	v_trig_preop_f64 v[12:13], |v[18:19]|, 0
	v_cndmask_b32_e32 v45, v21, v45, vcc
	v_cndmask_b32_e32 v44, v18, v44, vcc
	v_trig_preop_f64 v[14:15], |v[18:19]|, 1
	v_mul_f64 v[52:53], v[12:13], v[44:45]
	v_mul_f64 v[46:47], v[14:15], v[44:45]
	v_fma_f64 v[12:13], v[12:13], v[44:45], -v[52:53]
	v_add_f64 v[54:55], v[46:47], v[12:13]
	v_add_f64 v[56:57], v[52:53], v[54:55]
	v_ldexp_f64 v[58:59], v[56:57], -2
	v_fract_f64_e32 v[60:61], v[58:59]
	v_cmp_neq_f64_e64 vcc, |v[58:59]|, s[10:11]
	v_cndmask_b32_e32 v59, 0, v61, vcc
	v_cndmask_b32_e32 v58, 0, v60, vcc
	v_add_f64 v[60:61], v[54:55], -v[46:47]
	v_add_f64 v[12:13], v[12:13], -v[60:61]
	;; [unrolled: 1-line block ×4, first 2 shown]
	v_fma_f64 v[14:15], v[14:15], v[44:45], -v[46:47]
	v_trig_preop_f64 v[46:47], |v[18:19]|, 2
	v_add_f64 v[12:13], v[12:13], v[60:61]
	v_mul_f64 v[60:61], v[46:47], v[44:45]
	v_add_f64 v[62:63], v[60:61], v[14:15]
	v_add_f64 v[64:65], v[62:63], v[12:13]
	v_add_f64 v[52:53], v[56:57], -v[52:53]
	v_add_f64 v[56:57], v[64:65], -v[62:63]
	;; [unrolled: 1-line block ×5, first 2 shown]
	v_add_f64 v[12:13], v[12:13], v[56:57]
	v_add_f64 v[56:57], v[62:63], -v[60:61]
	v_add_f64 v[14:15], v[14:15], -v[56:57]
	;; [unrolled: 1-line block ×4, first 2 shown]
	v_add_f64 v[14:15], v[14:15], v[56:57]
	v_add_f64 v[52:53], v[54:55], -v[52:53]
	v_add_f64 v[12:13], v[14:15], v[12:13]
	v_fma_f64 v[14:15], v[46:47], v[44:45], -v[60:61]
	v_add_f64 v[54:55], v[52:53], v[64:65]
	v_add_f64 v[12:13], v[14:15], v[12:13]
	v_ldexp_f64 v[14:15], v[58:59], 2
	v_add_f64 v[44:45], v[54:55], v[14:15]
	v_cmp_gt_f64_e32 vcc, 0, v[44:45]
	v_cndmask_b32_e32 v21, 0, v48, vcc
	v_add_f64 v[14:15], v[14:15], v[20:21]
	v_add_f64 v[44:45], v[54:55], v[14:15]
	v_cvt_i32_f64_e32 v21, v[44:45]
	v_cvt_f64_i32_e32 v[44:45], v21
	v_add_f64 v[14:15], v[14:15], -v[44:45]
	v_add_f64 v[52:53], v[54:55], -v[52:53]
	v_add_f64 v[44:45], v[54:55], v[14:15]
	v_add_f64 v[52:53], v[64:65], -v[52:53]
	v_add_f64 v[14:15], v[44:45], -v[14:15]
	v_cmp_le_f64_e32 vcc, 0.5, v[44:45]
	v_add_f64 v[12:13], v[52:53], v[12:13]
	v_add_f64 v[14:15], v[54:55], -v[14:15]
	v_addc_co_u32_e64 v52, s[0:1], 0, v21, vcc
	v_cndmask_b32_e32 v21, 0, v49, vcc
	v_add_f64 v[12:13], v[12:13], v[14:15]
	v_add_f64 v[14:15], v[44:45], -v[20:21]
	v_add_f64 v[44:45], v[14:15], v[12:13]
	v_add_f64 v[14:15], v[44:45], -v[14:15]
	s_mov_b32 s12, s16
	v_add_f64 v[12:13], v[12:13], -v[14:15]
	v_mul_f64 v[14:15], v[44:45], s[12:13]
	v_fma_f64 v[46:47], v[44:45], s[12:13], -v[14:15]
	s_mov_b32 s21, s19
	v_fmac_f64_e32 v[46:47], s[20:21], v[44:45]
	v_fmac_f64_e32 v[46:47], s[12:13], v[12:13]
	v_add_f64 v[12:13], v[14:15], v[46:47]
	v_add_f64 v[14:15], v[12:13], -v[14:15]
	v_add_f64 v[14:15], v[46:47], -v[14:15]
	s_andn2_saveexec_b64 s[0:1], s[78:79]
	s_cbranch_execz .LBB138_253
	s_branch .LBB138_252
.LBB138_251:                            ;   in Loop: Header=BB138_201 Depth=1
	s_andn2_saveexec_b64 s[0:1], s[78:79]
	s_cbranch_execz .LBB138_253
.LBB138_252:                            ;   in Loop: Header=BB138_201 Depth=1
	v_mul_f64 v[12:13], |v[18:19]|, s[22:23]
	v_rndne_f64_e32 v[44:45], v[12:13]
	v_fma_f64 v[12:13], v[44:45], s[16:17], |v[18:19]|
	v_mul_f64 v[46:47], v[44:45], s[24:25]
	v_add_f64 v[54:55], v[12:13], v[46:47]
	v_fma_f64 v[14:15], s[24:25], v[44:45], v[12:13]
	s_mov_b32 s18, s24
	v_add_f64 v[12:13], v[12:13], -v[54:55]
	v_fma_f64 v[52:53], s[18:19], v[44:45], v[46:47]
	v_add_f64 v[12:13], v[12:13], v[46:47]
	v_add_f64 v[46:47], v[54:55], -v[14:15]
	v_add_f64 v[12:13], v[46:47], v[12:13]
	v_add_f64 v[46:47], v[12:13], -v[52:53]
	v_fmac_f64_e32 v[46:47], s[26:27], v[44:45]
	v_add_f64 v[12:13], v[14:15], v[46:47]
	v_add_f64 v[14:15], v[12:13], -v[14:15]
	v_add_f64 v[14:15], v[46:47], -v[14:15]
	v_cvt_i32_f64_e32 v52, v[44:45]
.LBB138_253:                            ;   in Loop: Header=BB138_201 Depth=1
	s_or_b64 exec, exec, s[0:1]
                                        ; implicit-def: $vgpr53
                                        ; implicit-def: $vgpr44_vgpr45
                                        ; implicit-def: $vgpr46_vgpr47
	s_and_saveexec_b64 s[0:1], s[76:77]
	s_xor_b64 s[76:77], exec, s[0:1]
	s_cbranch_execz .LBB138_255
; %bb.254:                              ;   in Loop: Header=BB138_201 Depth=1
	v_and_b32_e32 v21, 0x7fffffff, v19
	v_ldexp_f64 v[54:55], |v[18:19]|, s85
	v_cmp_ge_f64_e64 vcc, |v[18:19]|, s[8:9]
	v_trig_preop_f64 v[44:45], |v[18:19]|, 0
	v_cndmask_b32_e32 v55, v21, v55, vcc
	v_cndmask_b32_e32 v54, v18, v54, vcc
	v_trig_preop_f64 v[46:47], |v[18:19]|, 1
	v_mul_f64 v[58:59], v[44:45], v[54:55]
	v_mul_f64 v[56:57], v[46:47], v[54:55]
	v_fma_f64 v[44:45], v[44:45], v[54:55], -v[58:59]
	v_add_f64 v[60:61], v[56:57], v[44:45]
	v_add_f64 v[62:63], v[58:59], v[60:61]
	v_ldexp_f64 v[64:65], v[62:63], -2
	v_fract_f64_e32 v[66:67], v[64:65]
	v_cmp_neq_f64_e64 vcc, |v[64:65]|, s[10:11]
	v_cndmask_b32_e32 v65, 0, v67, vcc
	v_cndmask_b32_e32 v64, 0, v66, vcc
	v_add_f64 v[66:67], v[60:61], -v[56:57]
	v_add_f64 v[44:45], v[44:45], -v[66:67]
	;; [unrolled: 1-line block ×4, first 2 shown]
	v_fma_f64 v[46:47], v[46:47], v[54:55], -v[56:57]
	v_trig_preop_f64 v[56:57], |v[18:19]|, 2
	v_add_f64 v[44:45], v[44:45], v[66:67]
	v_mul_f64 v[66:67], v[56:57], v[54:55]
	v_add_f64 v[68:69], v[66:67], v[46:47]
	v_add_f64 v[70:71], v[68:69], v[44:45]
	v_add_f64 v[58:59], v[62:63], -v[58:59]
	v_add_f64 v[62:63], v[70:71], -v[68:69]
	;; [unrolled: 1-line block ×5, first 2 shown]
	v_add_f64 v[44:45], v[44:45], v[62:63]
	v_add_f64 v[62:63], v[68:69], -v[66:67]
	v_add_f64 v[46:47], v[46:47], -v[62:63]
	;; [unrolled: 1-line block ×4, first 2 shown]
	v_add_f64 v[46:47], v[46:47], v[62:63]
	v_add_f64 v[58:59], v[60:61], -v[58:59]
	v_add_f64 v[44:45], v[46:47], v[44:45]
	v_fma_f64 v[46:47], v[56:57], v[54:55], -v[66:67]
	v_add_f64 v[60:61], v[58:59], v[70:71]
	v_add_f64 v[44:45], v[46:47], v[44:45]
	v_ldexp_f64 v[46:47], v[64:65], 2
	v_add_f64 v[54:55], v[60:61], v[46:47]
	v_cmp_gt_f64_e32 vcc, 0, v[54:55]
	v_cndmask_b32_e32 v21, 0, v48, vcc
	v_add_f64 v[46:47], v[46:47], v[20:21]
	v_add_f64 v[54:55], v[60:61], v[46:47]
	v_cvt_i32_f64_e32 v21, v[54:55]
	v_cvt_f64_i32_e32 v[54:55], v21
	v_add_f64 v[46:47], v[46:47], -v[54:55]
	v_add_f64 v[58:59], v[60:61], -v[58:59]
	v_add_f64 v[54:55], v[60:61], v[46:47]
	v_add_f64 v[58:59], v[70:71], -v[58:59]
	v_add_f64 v[46:47], v[54:55], -v[46:47]
	v_cmp_le_f64_e32 vcc, 0.5, v[54:55]
	v_add_f64 v[44:45], v[58:59], v[44:45]
	v_add_f64 v[46:47], v[60:61], -v[46:47]
	v_addc_co_u32_e64 v53, s[0:1], 0, v21, vcc
	v_cndmask_b32_e32 v21, 0, v49, vcc
	v_add_f64 v[44:45], v[44:45], v[46:47]
	v_add_f64 v[46:47], v[54:55], -v[20:21]
	v_add_f64 v[54:55], v[46:47], v[44:45]
	v_add_f64 v[46:47], v[54:55], -v[46:47]
	s_mov_b32 s12, s16
	v_add_f64 v[44:45], v[44:45], -v[46:47]
	v_mul_f64 v[46:47], v[54:55], s[12:13]
	v_fma_f64 v[56:57], v[54:55], s[12:13], -v[46:47]
	s_mov_b32 s21, s19
	v_fmac_f64_e32 v[56:57], s[20:21], v[54:55]
	v_fmac_f64_e32 v[56:57], s[12:13], v[44:45]
	v_add_f64 v[44:45], v[46:47], v[56:57]
	v_add_f64 v[46:47], v[44:45], -v[46:47]
	v_add_f64 v[46:47], v[56:57], -v[46:47]
	s_andn2_saveexec_b64 s[0:1], s[76:77]
	s_cbranch_execnz .LBB138_256
	s_branch .LBB138_257
.LBB138_255:                            ;   in Loop: Header=BB138_201 Depth=1
	s_andn2_saveexec_b64 s[0:1], s[76:77]
	s_cbranch_execz .LBB138_257
.LBB138_256:                            ;   in Loop: Header=BB138_201 Depth=1
	v_mul_f64 v[44:45], |v[18:19]|, s[22:23]
	v_rndne_f64_e32 v[54:55], v[44:45]
	v_fma_f64 v[44:45], v[54:55], s[16:17], |v[18:19]|
	v_mul_f64 v[56:57], v[54:55], s[24:25]
	v_add_f64 v[60:61], v[44:45], v[56:57]
	v_fma_f64 v[46:47], s[24:25], v[54:55], v[44:45]
	s_mov_b32 s18, s24
	v_add_f64 v[44:45], v[44:45], -v[60:61]
	v_fma_f64 v[58:59], s[18:19], v[54:55], v[56:57]
	v_add_f64 v[44:45], v[44:45], v[56:57]
	v_add_f64 v[56:57], v[60:61], -v[46:47]
	v_add_f64 v[44:45], v[56:57], v[44:45]
	v_add_f64 v[56:57], v[44:45], -v[58:59]
	v_fmac_f64_e32 v[56:57], s[26:27], v[54:55]
	v_add_f64 v[44:45], v[46:47], v[56:57]
	v_add_f64 v[46:47], v[44:45], -v[46:47]
	v_add_f64 v[46:47], v[56:57], -v[46:47]
	v_cvt_i32_f64_e32 v53, v[54:55]
.LBB138_257:                            ;   in Loop: Header=BB138_201 Depth=1
	s_or_b64 exec, exec, s[0:1]
	v_mul_f64 v[54:55], v[16:17], s[28:29]
	v_rndne_f64_e32 v[54:55], v[54:55]
	v_fma_f64 v[56:57], s[30:31], v[54:55], v[16:17]
	v_fmac_f64_e32 v[56:57], s[34:35], v[54:55]
	v_pk_mov_b32 v[58:59], v[26:27], v[26:27] op_sel:[0,1]
	v_fmac_f64_e32 v[58:59], s[36:37], v[56:57]
	v_pk_mov_b32 v[60:61], v[28:29], v[28:29] op_sel:[0,1]
	;; [unrolled: 2-line block ×9, first 2 shown]
	v_fmac_f64_e32 v[58:59], v[56:57], v[60:61]
	v_fma_f64 v[58:59], v[56:57], v[58:59], 1.0
	v_fma_f64 v[56:57], v[56:57], v[58:59], 1.0
	v_cvt_i32_f64_e32 v21, v[54:55]
	v_ldexp_f64 v[54:55], v[56:57], v21
	v_cmp_nlt_f64_e32 vcc, s[42:43], v[16:17]
	v_cmp_ngt_f64_e64 s[0:1], s[44:45], v[16:17]
	v_cndmask_b32_e32 v21, v50, v55, vcc
	s_and_b64 vcc, s[0:1], vcc
	v_cndmask_b32_e32 v16, 0, v54, vcc
	v_mul_f64 v[54:55], v[12:13], v[12:13]
	v_pk_mov_b32 v[62:63], s[46:47], s[46:47] op_sel:[0,1]
	v_mul_f64 v[56:57], v[54:55], 0.5
	v_fma_f64 v[64:65], s[48:49], v[54:55], v[62:63]
	v_add_f64 v[58:59], -v[56:57], 1.0
	v_fma_f64 v[64:65], v[54:55], v[64:65], s[50:51]
	v_add_f64 v[60:61], -v[58:59], 1.0
	v_fma_f64 v[64:65], v[54:55], v[64:65], s[52:53]
	v_add_f64 v[56:57], v[60:61], -v[56:57]
	v_fma_f64 v[64:65], v[54:55], v[64:65], s[54:55]
	v_mul_f64 v[60:61], v[54:55], v[54:55]
	v_fma_f64 v[64:65], v[54:55], v[64:65], s[40:41]
	v_fma_f64 v[56:57], v[12:13], -v[14:15], v[56:57]
	v_fmac_f64_e32 v[56:57], v[60:61], v[64:65]
	v_add_f64 v[56:57], v[58:59], v[56:57]
	v_pk_mov_b32 v[58:59], s[56:57], s[56:57] op_sel:[0,1]
	v_fma_f64 v[60:61], s[58:59], v[54:55], v[58:59]
	v_fma_f64 v[60:61], v[54:55], v[60:61], s[60:61]
	;; [unrolled: 1-line block ×4, first 2 shown]
	v_mul_f64 v[64:65], v[12:13], -v[54:55]
	v_mul_f64 v[66:67], v[14:15], 0.5
	v_fmac_f64_e32 v[66:67], v[64:65], v[60:61]
	v_fma_f64 v[14:15], v[54:55], v[66:67], -v[14:15]
	s_mov_b32 s64, s40
	v_fmac_f64_e32 v[14:15], s[64:65], v[64:65]
	v_add_f64 v[12:13], v[12:13], -v[14:15]
	v_and_b32_e32 v14, 1, v52
	v_xor_b32_e32 v13, 0x80000000, v13
	v_cmp_eq_u32_e32 vcc, 0, v14
	v_lshlrev_b32_e32 v14, 30, v52
	v_cndmask_b32_e32 v13, v13, v57, vcc
	v_and_b32_e32 v14, 0x80000000, v14
	v_xor_b32_e32 v13, v13, v14
	v_mul_f64 v[14:15], v[44:45], v[44:45]
	v_mul_f64 v[54:55], v[14:15], 0.5
	v_fmac_f64_e32 v[62:63], s[48:49], v[14:15]
	v_cndmask_b32_e32 v12, v12, v56, vcc
	v_add_f64 v[56:57], -v[54:55], 1.0
	v_fma_f64 v[62:63], v[14:15], v[62:63], s[50:51]
	v_add_f64 v[60:61], -v[56:57], 1.0
	v_fma_f64 v[62:63], v[14:15], v[62:63], s[52:53]
	v_add_f64 v[54:55], v[60:61], -v[54:55]
	v_fma_f64 v[62:63], v[14:15], v[62:63], s[54:55]
	v_mul_f64 v[60:61], v[14:15], v[14:15]
	v_fma_f64 v[62:63], v[14:15], v[62:63], s[40:41]
	v_fma_f64 v[54:55], v[44:45], -v[46:47], v[54:55]
	v_fmac_f64_e32 v[54:55], v[60:61], v[62:63]
	v_fmac_f64_e32 v[58:59], s[58:59], v[14:15]
	v_add_f64 v[54:55], v[56:57], v[54:55]
	v_fma_f64 v[56:57], v[14:15], v[58:59], s[60:61]
	v_fma_f64 v[56:57], v[14:15], v[56:57], s[62:63]
	;; [unrolled: 1-line block ×3, first 2 shown]
	v_mul_f64 v[58:59], v[44:45], -v[14:15]
	v_mul_f64 v[60:61], v[46:47], 0.5
	v_fmac_f64_e32 v[60:61], v[58:59], v[56:57]
	v_cmp_class_f64_e64 vcc, v[18:19], s86
	v_fma_f64 v[14:15], v[14:15], v[60:61], -v[46:47]
	v_and_b32_e32 v18, 1, v53
	v_cndmask_b32_e64 v17, 0, v21, s[0:1]
	v_fmac_f64_e32 v[14:15], s[64:65], v[58:59]
	v_cmp_eq_u32_e64 s[0:1], 0, v18
	v_lshlrev_b32_e32 v18, 30, v53
	v_add_f64 v[14:15], v[44:45], -v[14:15]
	v_xor_b32_e32 v18, v18, v19
	v_cndmask_b32_e64 v15, v55, v15, s[0:1]
	v_and_b32_e32 v18, 0x80000000, v18
	v_cndmask_b32_e64 v14, v54, v14, s[0:1]
	v_xor_b32_e32 v15, v15, v18
	v_cndmask_b32_e32 v12, 0, v12, vcc
	v_cndmask_b32_e32 v13, v51, v13, vcc
	;; [unrolled: 1-line block ×4, first 2 shown]
	v_mul_f64 v[12:13], v[16:17], v[12:13]
	v_mul_f64 v[14:15], v[16:17], v[14:15]
                                        ; implicit-def: $vgpr18_vgpr19
.LBB138_258:                            ;   in Loop: Header=BB138_201 Depth=1
	s_andn2_saveexec_b64 s[76:77], s[2:3]
	s_cbranch_execz .LBB138_268
; %bb.259:                              ;   in Loop: Header=BB138_201 Depth=1
	v_cmp_nlt_f64_e64 s[2:3], |v[18:19]|, s[6:7]
                                        ; implicit-def: $vgpr52
                                        ; implicit-def: $vgpr12_vgpr13
                                        ; implicit-def: $vgpr14_vgpr15
	s_and_saveexec_b64 s[0:1], s[2:3]
	s_xor_b64 s[78:79], exec, s[0:1]
	s_cbranch_execz .LBB138_261
; %bb.260:                              ;   in Loop: Header=BB138_201 Depth=1
	v_and_b32_e32 v21, 0x7fffffff, v19
	v_ldexp_f64 v[44:45], |v[18:19]|, s85
	v_cmp_ge_f64_e64 vcc, |v[18:19]|, s[8:9]
	v_trig_preop_f64 v[12:13], |v[18:19]|, 0
	v_cndmask_b32_e32 v45, v21, v45, vcc
	v_cndmask_b32_e32 v44, v18, v44, vcc
	v_trig_preop_f64 v[14:15], |v[18:19]|, 1
	v_mul_f64 v[52:53], v[12:13], v[44:45]
	v_mul_f64 v[46:47], v[14:15], v[44:45]
	v_fma_f64 v[12:13], v[12:13], v[44:45], -v[52:53]
	v_add_f64 v[54:55], v[46:47], v[12:13]
	v_add_f64 v[56:57], v[52:53], v[54:55]
	v_ldexp_f64 v[58:59], v[56:57], -2
	v_fract_f64_e32 v[60:61], v[58:59]
	v_cmp_neq_f64_e64 vcc, |v[58:59]|, s[10:11]
	v_cndmask_b32_e32 v59, 0, v61, vcc
	v_cndmask_b32_e32 v58, 0, v60, vcc
	v_add_f64 v[60:61], v[54:55], -v[46:47]
	v_add_f64 v[12:13], v[12:13], -v[60:61]
	;; [unrolled: 1-line block ×4, first 2 shown]
	v_fma_f64 v[14:15], v[14:15], v[44:45], -v[46:47]
	v_trig_preop_f64 v[46:47], |v[18:19]|, 2
	v_add_f64 v[12:13], v[12:13], v[60:61]
	v_mul_f64 v[60:61], v[46:47], v[44:45]
	v_add_f64 v[62:63], v[60:61], v[14:15]
	v_add_f64 v[64:65], v[62:63], v[12:13]
	v_add_f64 v[52:53], v[56:57], -v[52:53]
	v_add_f64 v[56:57], v[64:65], -v[62:63]
	;; [unrolled: 1-line block ×5, first 2 shown]
	v_add_f64 v[12:13], v[12:13], v[56:57]
	v_add_f64 v[56:57], v[62:63], -v[60:61]
	v_add_f64 v[14:15], v[14:15], -v[56:57]
	v_add_f64 v[56:57], v[62:63], -v[56:57]
	v_add_f64 v[56:57], v[60:61], -v[56:57]
	v_add_f64 v[14:15], v[14:15], v[56:57]
	v_add_f64 v[52:53], v[54:55], -v[52:53]
	v_add_f64 v[12:13], v[14:15], v[12:13]
	v_fma_f64 v[14:15], v[46:47], v[44:45], -v[60:61]
	v_add_f64 v[54:55], v[52:53], v[64:65]
	v_add_f64 v[12:13], v[14:15], v[12:13]
	v_ldexp_f64 v[14:15], v[58:59], 2
	v_add_f64 v[44:45], v[54:55], v[14:15]
	v_cmp_gt_f64_e32 vcc, 0, v[44:45]
	v_cndmask_b32_e32 v21, 0, v48, vcc
	v_add_f64 v[14:15], v[14:15], v[20:21]
	v_add_f64 v[44:45], v[54:55], v[14:15]
	v_cvt_i32_f64_e32 v21, v[44:45]
	v_cvt_f64_i32_e32 v[44:45], v21
	v_add_f64 v[14:15], v[14:15], -v[44:45]
	v_add_f64 v[52:53], v[54:55], -v[52:53]
	v_add_f64 v[44:45], v[54:55], v[14:15]
	v_add_f64 v[52:53], v[64:65], -v[52:53]
	v_add_f64 v[14:15], v[44:45], -v[14:15]
	v_cmp_le_f64_e32 vcc, 0.5, v[44:45]
	v_add_f64 v[12:13], v[52:53], v[12:13]
	v_add_f64 v[14:15], v[54:55], -v[14:15]
	v_addc_co_u32_e64 v52, s[0:1], 0, v21, vcc
	v_cndmask_b32_e32 v21, 0, v49, vcc
	v_add_f64 v[12:13], v[12:13], v[14:15]
	v_add_f64 v[14:15], v[44:45], -v[20:21]
	v_add_f64 v[44:45], v[14:15], v[12:13]
	v_add_f64 v[14:15], v[44:45], -v[14:15]
	s_mov_b32 s12, s16
	v_add_f64 v[12:13], v[12:13], -v[14:15]
	v_mul_f64 v[14:15], v[44:45], s[12:13]
	v_fma_f64 v[46:47], v[44:45], s[12:13], -v[14:15]
	s_mov_b32 s21, s19
	v_fmac_f64_e32 v[46:47], s[20:21], v[44:45]
	v_fmac_f64_e32 v[46:47], s[12:13], v[12:13]
	v_add_f64 v[12:13], v[14:15], v[46:47]
	v_add_f64 v[14:15], v[12:13], -v[14:15]
	v_add_f64 v[14:15], v[46:47], -v[14:15]
	s_andn2_saveexec_b64 s[0:1], s[78:79]
	s_cbranch_execz .LBB138_263
	s_branch .LBB138_262
.LBB138_261:                            ;   in Loop: Header=BB138_201 Depth=1
	s_andn2_saveexec_b64 s[0:1], s[78:79]
	s_cbranch_execz .LBB138_263
.LBB138_262:                            ;   in Loop: Header=BB138_201 Depth=1
	v_mul_f64 v[12:13], |v[18:19]|, s[22:23]
	v_rndne_f64_e32 v[44:45], v[12:13]
	v_fma_f64 v[12:13], v[44:45], s[16:17], |v[18:19]|
	v_mul_f64 v[46:47], v[44:45], s[24:25]
	v_add_f64 v[54:55], v[12:13], v[46:47]
	v_fma_f64 v[14:15], s[24:25], v[44:45], v[12:13]
	s_mov_b32 s18, s24
	v_add_f64 v[12:13], v[12:13], -v[54:55]
	v_fma_f64 v[52:53], s[18:19], v[44:45], v[46:47]
	v_add_f64 v[12:13], v[12:13], v[46:47]
	v_add_f64 v[46:47], v[54:55], -v[14:15]
	v_add_f64 v[12:13], v[46:47], v[12:13]
	v_add_f64 v[46:47], v[12:13], -v[52:53]
	v_fmac_f64_e32 v[46:47], s[26:27], v[44:45]
	v_add_f64 v[12:13], v[14:15], v[46:47]
	v_add_f64 v[14:15], v[12:13], -v[14:15]
	v_add_f64 v[14:15], v[46:47], -v[14:15]
	v_cvt_i32_f64_e32 v52, v[44:45]
.LBB138_263:                            ;   in Loop: Header=BB138_201 Depth=1
	s_or_b64 exec, exec, s[0:1]
                                        ; implicit-def: $vgpr53
                                        ; implicit-def: $vgpr44_vgpr45
                                        ; implicit-def: $vgpr46_vgpr47
	s_and_saveexec_b64 s[0:1], s[2:3]
	s_xor_b64 s[2:3], exec, s[0:1]
	s_cbranch_execz .LBB138_265
; %bb.264:                              ;   in Loop: Header=BB138_201 Depth=1
	v_and_b32_e32 v21, 0x7fffffff, v19
	v_ldexp_f64 v[54:55], |v[18:19]|, s85
	v_cmp_ge_f64_e64 vcc, |v[18:19]|, s[8:9]
	v_trig_preop_f64 v[44:45], |v[18:19]|, 0
	v_cndmask_b32_e32 v55, v21, v55, vcc
	v_cndmask_b32_e32 v54, v18, v54, vcc
	v_trig_preop_f64 v[46:47], |v[18:19]|, 1
	v_mul_f64 v[58:59], v[44:45], v[54:55]
	v_mul_f64 v[56:57], v[46:47], v[54:55]
	v_fma_f64 v[44:45], v[44:45], v[54:55], -v[58:59]
	v_add_f64 v[60:61], v[56:57], v[44:45]
	v_add_f64 v[62:63], v[58:59], v[60:61]
	v_ldexp_f64 v[64:65], v[62:63], -2
	v_fract_f64_e32 v[66:67], v[64:65]
	v_cmp_neq_f64_e64 vcc, |v[64:65]|, s[10:11]
	v_cndmask_b32_e32 v65, 0, v67, vcc
	v_cndmask_b32_e32 v64, 0, v66, vcc
	v_add_f64 v[66:67], v[60:61], -v[56:57]
	v_add_f64 v[44:45], v[44:45], -v[66:67]
	;; [unrolled: 1-line block ×4, first 2 shown]
	v_fma_f64 v[46:47], v[46:47], v[54:55], -v[56:57]
	v_trig_preop_f64 v[56:57], |v[18:19]|, 2
	v_add_f64 v[44:45], v[44:45], v[66:67]
	v_mul_f64 v[66:67], v[56:57], v[54:55]
	v_add_f64 v[68:69], v[66:67], v[46:47]
	v_add_f64 v[70:71], v[68:69], v[44:45]
	v_add_f64 v[58:59], v[62:63], -v[58:59]
	v_add_f64 v[62:63], v[70:71], -v[68:69]
	v_add_f64 v[44:45], v[44:45], -v[62:63]
	v_add_f64 v[62:63], v[70:71], -v[62:63]
	v_add_f64 v[62:63], v[68:69], -v[62:63]
	v_add_f64 v[44:45], v[44:45], v[62:63]
	v_add_f64 v[62:63], v[68:69], -v[66:67]
	v_add_f64 v[46:47], v[46:47], -v[62:63]
	;; [unrolled: 1-line block ×4, first 2 shown]
	v_add_f64 v[46:47], v[46:47], v[62:63]
	v_add_f64 v[58:59], v[60:61], -v[58:59]
	v_add_f64 v[44:45], v[46:47], v[44:45]
	v_fma_f64 v[46:47], v[56:57], v[54:55], -v[66:67]
	v_add_f64 v[60:61], v[58:59], v[70:71]
	v_add_f64 v[44:45], v[46:47], v[44:45]
	v_ldexp_f64 v[46:47], v[64:65], 2
	v_add_f64 v[54:55], v[60:61], v[46:47]
	v_cmp_gt_f64_e32 vcc, 0, v[54:55]
	v_cndmask_b32_e32 v21, 0, v48, vcc
	v_add_f64 v[46:47], v[46:47], v[20:21]
	v_add_f64 v[54:55], v[60:61], v[46:47]
	v_cvt_i32_f64_e32 v21, v[54:55]
	v_cvt_f64_i32_e32 v[54:55], v21
	v_add_f64 v[46:47], v[46:47], -v[54:55]
	v_add_f64 v[58:59], v[60:61], -v[58:59]
	v_add_f64 v[54:55], v[60:61], v[46:47]
	v_add_f64 v[58:59], v[70:71], -v[58:59]
	v_add_f64 v[46:47], v[54:55], -v[46:47]
	v_cmp_le_f64_e32 vcc, 0.5, v[54:55]
	v_add_f64 v[44:45], v[58:59], v[44:45]
	v_add_f64 v[46:47], v[60:61], -v[46:47]
	v_addc_co_u32_e64 v53, s[0:1], 0, v21, vcc
	v_cndmask_b32_e32 v21, 0, v49, vcc
	v_add_f64 v[44:45], v[44:45], v[46:47]
	v_add_f64 v[46:47], v[54:55], -v[20:21]
	v_add_f64 v[54:55], v[46:47], v[44:45]
	v_add_f64 v[46:47], v[54:55], -v[46:47]
	s_mov_b32 s12, s16
	v_add_f64 v[44:45], v[44:45], -v[46:47]
	v_mul_f64 v[46:47], v[54:55], s[12:13]
	v_fma_f64 v[56:57], v[54:55], s[12:13], -v[46:47]
	s_mov_b32 s21, s19
	v_fmac_f64_e32 v[56:57], s[20:21], v[54:55]
	v_fmac_f64_e32 v[56:57], s[12:13], v[44:45]
	v_add_f64 v[44:45], v[46:47], v[56:57]
	v_add_f64 v[46:47], v[44:45], -v[46:47]
	v_add_f64 v[46:47], v[56:57], -v[46:47]
	s_andn2_saveexec_b64 s[0:1], s[2:3]
	s_cbranch_execnz .LBB138_266
	s_branch .LBB138_267
.LBB138_265:                            ;   in Loop: Header=BB138_201 Depth=1
	s_andn2_saveexec_b64 s[0:1], s[2:3]
	s_cbranch_execz .LBB138_267
.LBB138_266:                            ;   in Loop: Header=BB138_201 Depth=1
	v_mul_f64 v[44:45], |v[18:19]|, s[22:23]
	v_rndne_f64_e32 v[54:55], v[44:45]
	v_fma_f64 v[44:45], v[54:55], s[16:17], |v[18:19]|
	v_mul_f64 v[56:57], v[54:55], s[24:25]
	v_add_f64 v[60:61], v[44:45], v[56:57]
	v_fma_f64 v[46:47], s[24:25], v[54:55], v[44:45]
	s_mov_b32 s18, s24
	v_add_f64 v[44:45], v[44:45], -v[60:61]
	v_fma_f64 v[58:59], s[18:19], v[54:55], v[56:57]
	v_add_f64 v[44:45], v[44:45], v[56:57]
	v_add_f64 v[56:57], v[60:61], -v[46:47]
	v_add_f64 v[44:45], v[56:57], v[44:45]
	v_add_f64 v[56:57], v[44:45], -v[58:59]
	v_fmac_f64_e32 v[56:57], s[26:27], v[54:55]
	v_add_f64 v[44:45], v[46:47], v[56:57]
	v_add_f64 v[46:47], v[44:45], -v[46:47]
	v_add_f64 v[46:47], v[56:57], -v[46:47]
	v_cvt_i32_f64_e32 v53, v[54:55]
.LBB138_267:                            ;   in Loop: Header=BB138_201 Depth=1
	s_or_b64 exec, exec, s[0:1]
	v_mul_f64 v[54:55], v[12:13], v[12:13]
	v_pk_mov_b32 v[62:63], s[46:47], s[46:47] op_sel:[0,1]
	v_mul_f64 v[56:57], v[54:55], 0.5
	v_fma_f64 v[64:65], s[48:49], v[54:55], v[62:63]
	v_add_f64 v[58:59], -v[56:57], 1.0
	v_fma_f64 v[64:65], v[54:55], v[64:65], s[50:51]
	v_fma_f64 v[64:65], v[54:55], v[64:65], s[52:53]
	v_add_f64 v[66:67], -v[58:59], 1.0
	v_fma_f64 v[64:65], v[54:55], v[64:65], s[54:55]
	v_add_f64 v[56:57], v[66:67], -v[56:57]
	v_mul_f64 v[60:61], v[54:55], v[54:55]
	v_fma_f64 v[64:65], v[54:55], v[64:65], s[40:41]
	v_fma_f64 v[56:57], v[12:13], -v[14:15], v[56:57]
	v_fmac_f64_e32 v[56:57], v[60:61], v[64:65]
	v_pk_mov_b32 v[60:61], s[56:57], s[56:57] op_sel:[0,1]
	v_fma_f64 v[64:65], s[58:59], v[54:55], v[60:61]
	v_fma_f64 v[64:65], v[54:55], v[64:65], s[60:61]
	;; [unrolled: 1-line block ×3, first 2 shown]
	v_add_f64 v[56:57], v[58:59], v[56:57]
	v_mul_f64 v[58:59], v[12:13], -v[54:55]
	v_fma_f64 v[64:65], v[54:55], v[64:65], s[38:39]
	v_mul_f64 v[66:67], v[14:15], 0.5
	v_fmac_f64_e32 v[66:67], v[58:59], v[64:65]
	v_fma_f64 v[14:15], v[54:55], v[66:67], -v[14:15]
	s_mov_b32 s64, s40
	v_fmac_f64_e32 v[14:15], s[64:65], v[58:59]
	v_and_b32_e32 v21, 1, v52
	v_add_f64 v[12:13], v[12:13], -v[14:15]
	v_xor_b32_e32 v13, 0x80000000, v13
	v_cmp_eq_u32_e32 vcc, 0, v21
	v_lshlrev_b32_e32 v14, 30, v52
	v_cndmask_b32_e32 v13, v13, v57, vcc
	v_and_b32_e32 v14, 0x80000000, v14
	v_xor_b32_e32 v13, v13, v14
	v_add_f64 v[14:15], v[16:17], s[66:67]
	v_mul_f64 v[16:17], v[14:15], s[28:29]
	v_rndne_f64_e32 v[16:17], v[16:17]
	v_fma_f64 v[54:55], s[30:31], v[16:17], v[14:15]
	v_cndmask_b32_e32 v12, v12, v56, vcc
	v_fmac_f64_e32 v[54:55], s[34:35], v[16:17]
	v_pk_mov_b32 v[56:57], v[26:27], v[26:27] op_sel:[0,1]
	v_fmac_f64_e32 v[56:57], s[36:37], v[54:55]
	v_pk_mov_b32 v[58:59], v[28:29], v[28:29] op_sel:[0,1]
	;; [unrolled: 2-line block ×9, first 2 shown]
	v_fmac_f64_e32 v[56:57], v[54:55], v[58:59]
	v_fma_f64 v[56:57], v[54:55], v[56:57], 1.0
	v_fma_f64 v[54:55], v[54:55], v[56:57], 1.0
	v_cvt_i32_f64_e32 v16, v[16:17]
	v_ldexp_f64 v[16:17], v[54:55], v16
	v_mul_f64 v[54:55], v[44:45], v[44:45]
	v_mul_f64 v[56:57], v[54:55], 0.5
	v_fmac_f64_e32 v[62:63], s[48:49], v[54:55]
	v_add_f64 v[58:59], -v[56:57], 1.0
	v_fma_f64 v[62:63], v[54:55], v[62:63], s[50:51]
	v_add_f64 v[64:65], -v[58:59], 1.0
	v_fma_f64 v[62:63], v[54:55], v[62:63], s[52:53]
	v_add_f64 v[56:57], v[64:65], -v[56:57]
	v_fma_f64 v[62:63], v[54:55], v[62:63], s[54:55]
	v_mul_f64 v[64:65], v[54:55], v[54:55]
	v_fma_f64 v[62:63], v[54:55], v[62:63], s[40:41]
	v_fma_f64 v[56:57], v[44:45], -v[46:47], v[56:57]
	v_fmac_f64_e32 v[56:57], v[64:65], v[62:63]
	v_fmac_f64_e32 v[60:61], s[58:59], v[54:55]
	v_add_f64 v[56:57], v[58:59], v[56:57]
	v_fma_f64 v[58:59], v[54:55], v[60:61], s[60:61]
	v_fma_f64 v[58:59], v[54:55], v[58:59], s[62:63]
	;; [unrolled: 1-line block ×3, first 2 shown]
	v_mul_f64 v[60:61], v[44:45], -v[54:55]
	v_mul_f64 v[62:63], v[46:47], 0.5
	v_cmp_nlt_f64_e64 s[0:1], s[42:43], v[14:15]
	v_fmac_f64_e32 v[62:63], v[60:61], v[58:59]
	v_cndmask_b32_e64 v17, v50, v17, s[0:1]
	v_cmp_ngt_f64_e64 s[2:3], s[44:45], v[14:15]
	v_fma_f64 v[46:47], v[54:55], v[62:63], -v[46:47]
	v_cmp_class_f64_e64 vcc, v[18:19], s86
	v_cndmask_b32_e64 v17, 0, v17, s[2:3]
	s_and_b64 s[0:1], s[2:3], s[0:1]
	v_fmac_f64_e32 v[46:47], s[64:65], v[60:61]
	v_and_b32_e32 v18, 1, v53
	v_cndmask_b32_e64 v14, 0, v16, s[0:1]
	v_lshrrev_b32_e32 v16, 20, v17
	v_add_f64 v[44:45], v[44:45], -v[46:47]
	v_cmp_eq_u32_e64 s[0:1], 0, v18
	v_add_u32_e32 v16, 0xffffff09, v16
	v_cndmask_b32_e64 v18, v56, v44, s[0:1]
	v_cndmask_b32_e64 v44, v57, v45, s[0:1]
	v_lshlrev_b32_e32 v45, 30, v53
	v_and_b32_e32 v15, 0xfffff, v17
	v_lshrrev_b16_e32 v17, 15, v16
	v_xor_b32_e32 v19, v45, v19
	v_add_u16_e32 v17, v16, v17
	v_and_b32_e32 v19, 0x80000000, v19
	v_ashrrev_i16_e32 v17, 1, v17
	v_xor_b32_e32 v19, v44, v19
	v_cndmask_b32_e32 v12, 0, v12, vcc
	v_cndmask_b32_e32 v13, v51, v13, vcc
	v_or_b32_e32 v15, 0x7fe00000, v15
	v_bfe_i32 v17, v17, 0, 16
	v_cndmask_b32_e32 v18, 0, v18, vcc
	v_cndmask_b32_e32 v19, v51, v19, vcc
	v_mul_f64 v[12:13], v[14:15], v[12:13]
	v_lshl_add_u32 v21, v17, 20, v49
	v_sub_u32_e32 v16, v16, v17
	v_mul_f64 v[14:15], v[14:15], v[18:19]
	v_mul_f64 v[12:13], v[12:13], v[20:21]
	v_lshl_add_u32 v17, v16, 20, v49
	v_mov_b32_e32 v16, v20
	v_mul_f64 v[14:15], v[14:15], v[20:21]
	v_mul_f64 v[12:13], v[12:13], v[16:17]
	;; [unrolled: 1-line block ×3, first 2 shown]
.LBB138_268:                            ;   in Loop: Header=BB138_201 Depth=1
	s_or_b64 exec, exec, s[76:77]
                                        ; implicit-def: $vgpr16_vgpr17
                                        ; implicit-def: $vgpr21
.LBB138_269:                            ;   in Loop: Header=BB138_201 Depth=1
	s_andn2_saveexec_b64 s[2:3], s[74:75]
	s_cbranch_execz .LBB138_275
; %bb.270:                              ;   in Loop: Header=BB138_201 Depth=1
	v_cmp_ne_u32_e32 vcc, 0, v16
	v_cmp_ne_u32_e64 s[0:1], s83, v21
	s_or_b64 s[0:1], vcc, s[0:1]
	v_add_f64 v[14:15], v[18:19], -v[18:19]
	s_and_saveexec_b64 s[74:75], s[0:1]
	s_xor_b64 s[0:1], exec, s[74:75]
; %bb.271:                              ;   in Loop: Header=BB138_201 Depth=1
                                        ; implicit-def: $vgpr16_vgpr17
; %bb.272:                              ;   in Loop: Header=BB138_201 Depth=1
	s_or_saveexec_b64 s[0:1], s[0:1]
	v_pk_mov_b32 v[12:13], v[14:15], v[14:15] op_sel:[0,1]
	s_xor_b64 exec, exec, s[0:1]
; %bb.273:                              ;   in Loop: Header=BB138_201 Depth=1
	v_cmp_lt_i64_e32 vcc, -1, v[16:17]
	v_cndmask_b32_e32 v13, 0, v17, vcc
	v_cndmask_b32_e32 v12, 0, v16, vcc
	v_cndmask_b32_e32 v15, 0, v15, vcc
	v_cndmask_b32_e32 v14, 0, v14, vcc
; %bb.274:                              ;   in Loop: Header=BB138_201 Depth=1
	s_or_b64 exec, exec, s[0:1]
.LBB138_275:                            ;   in Loop: Header=BB138_201 Depth=1
	s_or_b64 exec, exec, s[2:3]
                                        ; implicit-def: $vgpr18_vgpr19
.LBB138_276:                            ;   in Loop: Header=BB138_201 Depth=1
	s_andn2_saveexec_b64 s[2:3], s[72:73]
	s_cbranch_execz .LBB138_286
; %bb.277:                              ;   in Loop: Header=BB138_201 Depth=1
	v_cmp_nlt_f64_e64 s[72:73], |v[18:19]|, s[6:7]
                                        ; implicit-def: $vgpr46
                                        ; implicit-def: $vgpr12_vgpr13
                                        ; implicit-def: $vgpr14_vgpr15
	s_and_saveexec_b64 s[0:1], s[72:73]
	s_xor_b64 s[74:75], exec, s[0:1]
	s_cbranch_execz .LBB138_279
; %bb.278:                              ;   in Loop: Header=BB138_201 Depth=1
	v_and_b32_e32 v21, 0x7fffffff, v19
	v_ldexp_f64 v[16:17], |v[18:19]|, s85
	v_cmp_ge_f64_e64 vcc, |v[18:19]|, s[8:9]
	v_trig_preop_f64 v[12:13], |v[18:19]|, 0
	v_cndmask_b32_e32 v17, v21, v17, vcc
	v_cndmask_b32_e32 v16, v18, v16, vcc
	v_trig_preop_f64 v[14:15], |v[18:19]|, 1
	v_mul_f64 v[46:47], v[12:13], v[16:17]
	v_mul_f64 v[44:45], v[14:15], v[16:17]
	v_fma_f64 v[12:13], v[12:13], v[16:17], -v[46:47]
	v_add_f64 v[52:53], v[44:45], v[12:13]
	v_add_f64 v[54:55], v[46:47], v[52:53]
	v_ldexp_f64 v[56:57], v[54:55], -2
	v_fract_f64_e32 v[58:59], v[56:57]
	v_cmp_neq_f64_e64 vcc, |v[56:57]|, s[10:11]
	v_cndmask_b32_e32 v57, 0, v59, vcc
	v_cndmask_b32_e32 v56, 0, v58, vcc
	v_add_f64 v[58:59], v[52:53], -v[44:45]
	v_add_f64 v[12:13], v[12:13], -v[58:59]
	;; [unrolled: 1-line block ×4, first 2 shown]
	v_fma_f64 v[14:15], v[14:15], v[16:17], -v[44:45]
	v_trig_preop_f64 v[44:45], |v[18:19]|, 2
	v_add_f64 v[12:13], v[12:13], v[58:59]
	v_mul_f64 v[58:59], v[44:45], v[16:17]
	v_add_f64 v[60:61], v[58:59], v[14:15]
	v_add_f64 v[62:63], v[60:61], v[12:13]
	v_add_f64 v[46:47], v[54:55], -v[46:47]
	v_add_f64 v[54:55], v[62:63], -v[60:61]
	;; [unrolled: 1-line block ×5, first 2 shown]
	v_add_f64 v[12:13], v[12:13], v[54:55]
	v_add_f64 v[54:55], v[60:61], -v[58:59]
	v_add_f64 v[14:15], v[14:15], -v[54:55]
	;; [unrolled: 1-line block ×4, first 2 shown]
	v_add_f64 v[14:15], v[14:15], v[54:55]
	v_add_f64 v[46:47], v[52:53], -v[46:47]
	v_add_f64 v[12:13], v[14:15], v[12:13]
	v_fma_f64 v[14:15], v[44:45], v[16:17], -v[58:59]
	v_add_f64 v[52:53], v[46:47], v[62:63]
	v_add_f64 v[12:13], v[14:15], v[12:13]
	v_ldexp_f64 v[14:15], v[56:57], 2
	v_add_f64 v[16:17], v[52:53], v[14:15]
	v_cmp_gt_f64_e32 vcc, 0, v[16:17]
	v_cndmask_b32_e32 v21, 0, v48, vcc
	v_add_f64 v[14:15], v[14:15], v[20:21]
	v_add_f64 v[16:17], v[52:53], v[14:15]
	v_cvt_i32_f64_e32 v21, v[16:17]
	v_cvt_f64_i32_e32 v[16:17], v21
	v_add_f64 v[14:15], v[14:15], -v[16:17]
	v_add_f64 v[46:47], v[52:53], -v[46:47]
	v_add_f64 v[16:17], v[52:53], v[14:15]
	v_add_f64 v[46:47], v[62:63], -v[46:47]
	v_add_f64 v[14:15], v[16:17], -v[14:15]
	v_cmp_le_f64_e32 vcc, 0.5, v[16:17]
	v_add_f64 v[12:13], v[46:47], v[12:13]
	v_add_f64 v[14:15], v[52:53], -v[14:15]
	v_addc_co_u32_e64 v46, s[0:1], 0, v21, vcc
	v_cndmask_b32_e32 v21, 0, v49, vcc
	v_add_f64 v[12:13], v[12:13], v[14:15]
	v_add_f64 v[14:15], v[16:17], -v[20:21]
	v_add_f64 v[16:17], v[14:15], v[12:13]
	v_add_f64 v[14:15], v[16:17], -v[14:15]
	s_mov_b32 s12, s16
	v_add_f64 v[12:13], v[12:13], -v[14:15]
	v_mul_f64 v[14:15], v[16:17], s[12:13]
	v_fma_f64 v[44:45], v[16:17], s[12:13], -v[14:15]
	s_mov_b32 s21, s19
	v_fmac_f64_e32 v[44:45], s[20:21], v[16:17]
	v_fmac_f64_e32 v[44:45], s[12:13], v[12:13]
	v_add_f64 v[12:13], v[14:15], v[44:45]
	v_add_f64 v[14:15], v[12:13], -v[14:15]
	v_add_f64 v[14:15], v[44:45], -v[14:15]
	s_andn2_saveexec_b64 s[0:1], s[74:75]
	s_cbranch_execz .LBB138_281
	s_branch .LBB138_280
.LBB138_279:                            ;   in Loop: Header=BB138_201 Depth=1
	s_andn2_saveexec_b64 s[0:1], s[74:75]
	s_cbranch_execz .LBB138_281
.LBB138_280:                            ;   in Loop: Header=BB138_201 Depth=1
	v_mul_f64 v[12:13], |v[18:19]|, s[22:23]
	v_rndne_f64_e32 v[16:17], v[12:13]
	v_fma_f64 v[12:13], v[16:17], s[16:17], |v[18:19]|
	v_mul_f64 v[44:45], v[16:17], s[24:25]
	v_add_f64 v[52:53], v[12:13], v[44:45]
	v_fma_f64 v[14:15], s[24:25], v[16:17], v[12:13]
	s_mov_b32 s18, s24
	v_add_f64 v[12:13], v[12:13], -v[52:53]
	v_fma_f64 v[46:47], s[18:19], v[16:17], v[44:45]
	v_add_f64 v[12:13], v[12:13], v[44:45]
	v_add_f64 v[44:45], v[52:53], -v[14:15]
	v_add_f64 v[12:13], v[44:45], v[12:13]
	v_add_f64 v[44:45], v[12:13], -v[46:47]
	v_fmac_f64_e32 v[44:45], s[26:27], v[16:17]
	v_add_f64 v[12:13], v[14:15], v[44:45]
	v_add_f64 v[14:15], v[12:13], -v[14:15]
	v_add_f64 v[14:15], v[44:45], -v[14:15]
	v_cvt_i32_f64_e32 v46, v[16:17]
.LBB138_281:                            ;   in Loop: Header=BB138_201 Depth=1
	s_or_b64 exec, exec, s[0:1]
                                        ; implicit-def: $vgpr47
                                        ; implicit-def: $vgpr16_vgpr17
                                        ; implicit-def: $vgpr44_vgpr45
	s_and_saveexec_b64 s[0:1], s[72:73]
	s_xor_b64 s[72:73], exec, s[0:1]
	s_cbranch_execz .LBB138_283
; %bb.282:                              ;   in Loop: Header=BB138_201 Depth=1
	v_and_b32_e32 v21, 0x7fffffff, v19
	v_ldexp_f64 v[52:53], |v[18:19]|, s85
	v_cmp_ge_f64_e64 vcc, |v[18:19]|, s[8:9]
	v_trig_preop_f64 v[16:17], |v[18:19]|, 0
	v_cndmask_b32_e32 v53, v21, v53, vcc
	v_cndmask_b32_e32 v52, v18, v52, vcc
	v_trig_preop_f64 v[44:45], |v[18:19]|, 1
	v_mul_f64 v[56:57], v[16:17], v[52:53]
	v_mul_f64 v[54:55], v[44:45], v[52:53]
	v_fma_f64 v[16:17], v[16:17], v[52:53], -v[56:57]
	v_add_f64 v[58:59], v[54:55], v[16:17]
	v_add_f64 v[60:61], v[56:57], v[58:59]
	v_ldexp_f64 v[62:63], v[60:61], -2
	v_fract_f64_e32 v[64:65], v[62:63]
	v_cmp_neq_f64_e64 vcc, |v[62:63]|, s[10:11]
	v_cndmask_b32_e32 v63, 0, v65, vcc
	v_cndmask_b32_e32 v62, 0, v64, vcc
	v_add_f64 v[64:65], v[58:59], -v[54:55]
	v_add_f64 v[16:17], v[16:17], -v[64:65]
	;; [unrolled: 1-line block ×4, first 2 shown]
	v_fma_f64 v[44:45], v[44:45], v[52:53], -v[54:55]
	v_trig_preop_f64 v[54:55], |v[18:19]|, 2
	v_add_f64 v[16:17], v[16:17], v[64:65]
	v_mul_f64 v[64:65], v[54:55], v[52:53]
	v_add_f64 v[66:67], v[64:65], v[44:45]
	v_add_f64 v[68:69], v[66:67], v[16:17]
	v_add_f64 v[56:57], v[60:61], -v[56:57]
	v_add_f64 v[60:61], v[68:69], -v[66:67]
	;; [unrolled: 1-line block ×5, first 2 shown]
	v_add_f64 v[16:17], v[16:17], v[60:61]
	v_add_f64 v[60:61], v[66:67], -v[64:65]
	v_add_f64 v[44:45], v[44:45], -v[60:61]
	;; [unrolled: 1-line block ×4, first 2 shown]
	v_add_f64 v[44:45], v[44:45], v[60:61]
	v_add_f64 v[56:57], v[58:59], -v[56:57]
	v_add_f64 v[16:17], v[44:45], v[16:17]
	v_fma_f64 v[44:45], v[54:55], v[52:53], -v[64:65]
	v_add_f64 v[58:59], v[56:57], v[68:69]
	v_add_f64 v[16:17], v[44:45], v[16:17]
	v_ldexp_f64 v[44:45], v[62:63], 2
	v_add_f64 v[52:53], v[58:59], v[44:45]
	v_cmp_gt_f64_e32 vcc, 0, v[52:53]
	v_cndmask_b32_e32 v21, 0, v48, vcc
	v_add_f64 v[44:45], v[44:45], v[20:21]
	v_add_f64 v[52:53], v[58:59], v[44:45]
	v_cvt_i32_f64_e32 v21, v[52:53]
	v_cvt_f64_i32_e32 v[52:53], v21
	v_add_f64 v[44:45], v[44:45], -v[52:53]
	v_add_f64 v[56:57], v[58:59], -v[56:57]
	v_add_f64 v[52:53], v[58:59], v[44:45]
	v_add_f64 v[56:57], v[68:69], -v[56:57]
	v_add_f64 v[44:45], v[52:53], -v[44:45]
	v_cmp_le_f64_e32 vcc, 0.5, v[52:53]
	v_add_f64 v[16:17], v[56:57], v[16:17]
	v_add_f64 v[44:45], v[58:59], -v[44:45]
	v_addc_co_u32_e64 v47, s[0:1], 0, v21, vcc
	v_cndmask_b32_e32 v21, 0, v49, vcc
	v_add_f64 v[16:17], v[16:17], v[44:45]
	v_add_f64 v[44:45], v[52:53], -v[20:21]
	v_add_f64 v[52:53], v[44:45], v[16:17]
	v_add_f64 v[44:45], v[52:53], -v[44:45]
	s_mov_b32 s12, s16
	v_add_f64 v[16:17], v[16:17], -v[44:45]
	v_mul_f64 v[44:45], v[52:53], s[12:13]
	v_fma_f64 v[54:55], v[52:53], s[12:13], -v[44:45]
	s_mov_b32 s21, s19
	v_fmac_f64_e32 v[54:55], s[20:21], v[52:53]
	v_fmac_f64_e32 v[54:55], s[12:13], v[16:17]
	v_add_f64 v[16:17], v[44:45], v[54:55]
	v_add_f64 v[44:45], v[16:17], -v[44:45]
	v_add_f64 v[44:45], v[54:55], -v[44:45]
	s_andn2_saveexec_b64 s[0:1], s[72:73]
	s_cbranch_execnz .LBB138_284
	s_branch .LBB138_285
.LBB138_283:                            ;   in Loop: Header=BB138_201 Depth=1
	s_andn2_saveexec_b64 s[0:1], s[72:73]
	s_cbranch_execz .LBB138_285
.LBB138_284:                            ;   in Loop: Header=BB138_201 Depth=1
	v_mul_f64 v[16:17], |v[18:19]|, s[22:23]
	v_rndne_f64_e32 v[52:53], v[16:17]
	v_fma_f64 v[16:17], v[52:53], s[16:17], |v[18:19]|
	v_mul_f64 v[54:55], v[52:53], s[24:25]
	v_add_f64 v[58:59], v[16:17], v[54:55]
	v_fma_f64 v[44:45], s[24:25], v[52:53], v[16:17]
	s_mov_b32 s18, s24
	v_add_f64 v[16:17], v[16:17], -v[58:59]
	v_fma_f64 v[56:57], s[18:19], v[52:53], v[54:55]
	v_add_f64 v[16:17], v[16:17], v[54:55]
	v_add_f64 v[54:55], v[58:59], -v[44:45]
	v_add_f64 v[16:17], v[54:55], v[16:17]
	v_add_f64 v[54:55], v[16:17], -v[56:57]
	v_fmac_f64_e32 v[54:55], s[26:27], v[52:53]
	v_add_f64 v[16:17], v[44:45], v[54:55]
	v_add_f64 v[44:45], v[16:17], -v[44:45]
	v_add_f64 v[44:45], v[54:55], -v[44:45]
	v_cvt_i32_f64_e32 v47, v[52:53]
.LBB138_285:                            ;   in Loop: Header=BB138_201 Depth=1
	s_or_b64 exec, exec, s[0:1]
	v_mul_f64 v[52:53], v[12:13], v[12:13]
	v_pk_mov_b32 v[60:61], s[46:47], s[46:47] op_sel:[0,1]
	v_mul_f64 v[54:55], v[52:53], 0.5
	v_fma_f64 v[62:63], s[48:49], v[52:53], v[60:61]
	v_add_f64 v[56:57], -v[54:55], 1.0
	v_fma_f64 v[62:63], v[52:53], v[62:63], s[50:51]
	v_add_f64 v[58:59], -v[56:57], 1.0
	v_fma_f64 v[62:63], v[52:53], v[62:63], s[52:53]
	v_add_f64 v[54:55], v[58:59], -v[54:55]
	v_fma_f64 v[62:63], v[52:53], v[62:63], s[54:55]
	v_mul_f64 v[58:59], v[52:53], v[52:53]
	v_fma_f64 v[62:63], v[52:53], v[62:63], s[40:41]
	v_fma_f64 v[54:55], v[12:13], -v[14:15], v[54:55]
	v_fmac_f64_e32 v[54:55], v[58:59], v[62:63]
	v_add_f64 v[54:55], v[56:57], v[54:55]
	v_pk_mov_b32 v[56:57], s[56:57], s[56:57] op_sel:[0,1]
	v_fma_f64 v[58:59], s[58:59], v[52:53], v[56:57]
	v_fma_f64 v[58:59], v[52:53], v[58:59], s[60:61]
	;; [unrolled: 1-line block ×4, first 2 shown]
	v_mul_f64 v[62:63], v[12:13], -v[52:53]
	v_mul_f64 v[64:65], v[14:15], 0.5
	v_fmac_f64_e32 v[64:65], v[62:63], v[58:59]
	v_fma_f64 v[14:15], v[52:53], v[64:65], -v[14:15]
	s_mov_b32 s64, s40
	v_fmac_f64_e32 v[14:15], s[64:65], v[62:63]
	v_add_f64 v[12:13], v[12:13], -v[14:15]
	v_and_b32_e32 v14, 1, v46
	v_xor_b32_e32 v13, 0x80000000, v13
	v_cmp_eq_u32_e32 vcc, 0, v14
	v_lshlrev_b32_e32 v14, 30, v46
	v_cndmask_b32_e32 v13, v13, v55, vcc
	v_and_b32_e32 v14, 0x80000000, v14
	v_xor_b32_e32 v13, v13, v14
	v_mul_f64 v[14:15], v[16:17], v[16:17]
	v_mul_f64 v[52:53], v[14:15], 0.5
	v_fmac_f64_e32 v[60:61], s[48:49], v[14:15]
	v_cndmask_b32_e32 v12, v12, v54, vcc
	v_add_f64 v[54:55], -v[52:53], 1.0
	v_fma_f64 v[60:61], v[14:15], v[60:61], s[50:51]
	v_add_f64 v[58:59], -v[54:55], 1.0
	v_fma_f64 v[60:61], v[14:15], v[60:61], s[52:53]
	v_add_f64 v[52:53], v[58:59], -v[52:53]
	v_fma_f64 v[60:61], v[14:15], v[60:61], s[54:55]
	v_mul_f64 v[58:59], v[14:15], v[14:15]
	v_fma_f64 v[60:61], v[14:15], v[60:61], s[40:41]
	v_fma_f64 v[52:53], v[16:17], -v[44:45], v[52:53]
	v_fmac_f64_e32 v[52:53], v[58:59], v[60:61]
	v_fmac_f64_e32 v[56:57], s[58:59], v[14:15]
	v_add_f64 v[52:53], v[54:55], v[52:53]
	v_fma_f64 v[54:55], v[14:15], v[56:57], s[60:61]
	v_fma_f64 v[54:55], v[14:15], v[54:55], s[62:63]
	;; [unrolled: 1-line block ×3, first 2 shown]
	v_mul_f64 v[56:57], v[16:17], -v[14:15]
	v_mul_f64 v[58:59], v[44:45], 0.5
	v_fmac_f64_e32 v[58:59], v[56:57], v[54:55]
	v_fma_f64 v[14:15], v[14:15], v[58:59], -v[44:45]
	v_fmac_f64_e32 v[14:15], s[64:65], v[56:57]
	v_add_f64 v[14:15], v[16:17], -v[14:15]
	v_and_b32_e32 v16, 1, v47
	v_cmp_eq_u32_e64 s[0:1], 0, v16
	v_lshlrev_b32_e32 v16, 30, v47
	v_xor_b32_e32 v16, v16, v19
	v_cndmask_b32_e64 v15, v53, v15, s[0:1]
	v_and_b32_e32 v16, 0x80000000, v16
	v_cmp_class_f64_e64 vcc, v[18:19], s86
	v_cndmask_b32_e64 v14, v52, v14, s[0:1]
	v_xor_b32_e32 v15, v15, v16
	v_cndmask_b32_e32 v12, 0, v12, vcc
	v_cndmask_b32_e32 v13, v51, v13, vcc
	;; [unrolled: 1-line block ×4, first 2 shown]
.LBB138_286:                            ;   in Loop: Header=BB138_201 Depth=1
	s_or_b64 exec, exec, s[2:3]
                                        ; implicit-def: $vgpr16_vgpr17
.LBB138_287:                            ;   in Loop: Header=BB138_201 Depth=1
	s_andn2_saveexec_b64 s[2:3], s[70:71]
	s_cbranch_execz .LBB138_289
; %bb.288:                              ;   in Loop: Header=BB138_201 Depth=1
	v_mul_f64 v[12:13], v[16:17], s[28:29]
	v_rndne_f64_e32 v[12:13], v[12:13]
	v_fma_f64 v[14:15], s[30:31], v[12:13], v[16:17]
	v_fmac_f64_e32 v[14:15], s[34:35], v[12:13]
	v_pk_mov_b32 v[44:45], v[26:27], v[26:27] op_sel:[0,1]
	v_fmac_f64_e32 v[44:45], s[36:37], v[14:15]
	v_pk_mov_b32 v[46:47], v[28:29], v[28:29] op_sel:[0,1]
	;; [unrolled: 2-line block ×9, first 2 shown]
	v_fmac_f64_e32 v[44:45], v[14:15], v[46:47]
	v_fma_f64 v[44:45], v[14:15], v[44:45], 1.0
	v_fma_f64 v[14:15], v[14:15], v[44:45], 1.0
	v_cvt_i32_f64_e32 v12, v[12:13]
	v_ldexp_f64 v[12:13], v[14:15], v12
	v_cmp_nlt_f64_e32 vcc, s[42:43], v[16:17]
	v_cmp_ngt_f64_e64 s[0:1], s[44:45], v[16:17]
	v_cndmask_b32_e32 v13, v50, v13, vcc
	s_and_b64 vcc, s[0:1], vcc
	v_cndmask_b32_e64 v13, 0, v13, s[0:1]
	v_cndmask_b32_e32 v12, 0, v12, vcc
	v_pk_mov_b32 v[14:15], v[18:19], v[18:19] op_sel:[0,1]
.LBB138_289:                            ;   in Loop: Header=BB138_201 Depth=1
	s_or_b64 exec, exec, s[2:3]
	s_waitcnt vmcnt(0)
	v_and_b32_e32 v16, 0x7fffffff, v11
	v_or_b32_e32 v17, v16, v10
	v_cmp_ne_u32_e32 vcc, 0, v17
                                        ; implicit-def: $vgpr18_vgpr19
	s_and_saveexec_b64 s[0:1], vcc
	s_xor_b64 s[70:71], exec, s[0:1]
	s_cbranch_execz .LBB138_331
; %bb.290:                              ;   in Loop: Header=BB138_201 Depth=1
	v_and_b32_e32 v21, 0x7fffffff, v9
	v_or_b32_e32 v17, v21, v8
	v_cmp_ne_u32_e32 vcc, 0, v17
                                        ; implicit-def: $vgpr18_vgpr19
	s_and_saveexec_b64 s[0:1], vcc
	s_xor_b64 s[72:73], exec, s[0:1]
	s_cbranch_execz .LBB138_320
; %bb.291:                              ;   in Loop: Header=BB138_201 Depth=1
	v_cmp_gt_u32_e32 vcc, s83, v16
                                        ; implicit-def: $vgpr18_vgpr19
	s_and_saveexec_b64 s[0:1], vcc
	s_xor_b64 s[74:75], exec, s[0:1]
	s_cbranch_execz .LBB138_313
; %bb.292:                              ;   in Loop: Header=BB138_201 Depth=1
	v_add_u32_e32 v16, 0xbf79d1be, v9
	v_cmp_lt_u32_e32 vcc, s84, v16
                                        ; implicit-def: $vgpr18_vgpr19
	s_and_saveexec_b64 s[0:1], vcc
	s_xor_b64 s[2:3], exec, s[0:1]
	s_cbranch_execz .LBB138_302
; %bb.293:                              ;   in Loop: Header=BB138_201 Depth=1
	v_cmp_nlt_f64_e64 s[76:77], |v[10:11]|, s[6:7]
                                        ; implicit-def: $vgpr52
                                        ; implicit-def: $vgpr16_vgpr17
                                        ; implicit-def: $vgpr18_vgpr19
	s_and_saveexec_b64 s[0:1], s[76:77]
	s_xor_b64 s[78:79], exec, s[0:1]
	s_cbranch_execz .LBB138_295
; %bb.294:                              ;   in Loop: Header=BB138_201 Depth=1
	v_and_b32_e32 v21, 0x7fffffff, v11
	v_ldexp_f64 v[44:45], |v[10:11]|, s85
	v_cmp_ge_f64_e64 vcc, |v[10:11]|, s[8:9]
	v_trig_preop_f64 v[16:17], |v[10:11]|, 0
	v_cndmask_b32_e32 v45, v21, v45, vcc
	v_cndmask_b32_e32 v44, v10, v44, vcc
	v_trig_preop_f64 v[18:19], |v[10:11]|, 1
	v_mul_f64 v[52:53], v[16:17], v[44:45]
	v_mul_f64 v[46:47], v[18:19], v[44:45]
	v_fma_f64 v[16:17], v[16:17], v[44:45], -v[52:53]
	v_add_f64 v[54:55], v[46:47], v[16:17]
	v_add_f64 v[56:57], v[52:53], v[54:55]
	v_ldexp_f64 v[58:59], v[56:57], -2
	v_fract_f64_e32 v[60:61], v[58:59]
	v_cmp_neq_f64_e64 vcc, |v[58:59]|, s[10:11]
	v_cndmask_b32_e32 v59, 0, v61, vcc
	v_cndmask_b32_e32 v58, 0, v60, vcc
	v_add_f64 v[60:61], v[54:55], -v[46:47]
	v_add_f64 v[16:17], v[16:17], -v[60:61]
	;; [unrolled: 1-line block ×4, first 2 shown]
	v_fma_f64 v[18:19], v[18:19], v[44:45], -v[46:47]
	v_trig_preop_f64 v[46:47], |v[10:11]|, 2
	v_add_f64 v[16:17], v[16:17], v[60:61]
	v_mul_f64 v[60:61], v[46:47], v[44:45]
	v_add_f64 v[62:63], v[60:61], v[18:19]
	v_add_f64 v[64:65], v[62:63], v[16:17]
	v_add_f64 v[52:53], v[56:57], -v[52:53]
	v_add_f64 v[56:57], v[64:65], -v[62:63]
	;; [unrolled: 1-line block ×5, first 2 shown]
	v_add_f64 v[16:17], v[16:17], v[56:57]
	v_add_f64 v[56:57], v[62:63], -v[60:61]
	v_add_f64 v[18:19], v[18:19], -v[56:57]
	;; [unrolled: 1-line block ×4, first 2 shown]
	v_add_f64 v[18:19], v[18:19], v[56:57]
	v_add_f64 v[52:53], v[54:55], -v[52:53]
	v_add_f64 v[16:17], v[18:19], v[16:17]
	v_fma_f64 v[18:19], v[46:47], v[44:45], -v[60:61]
	v_add_f64 v[54:55], v[52:53], v[64:65]
	v_add_f64 v[16:17], v[18:19], v[16:17]
	v_ldexp_f64 v[18:19], v[58:59], 2
	v_add_f64 v[44:45], v[54:55], v[18:19]
	v_cmp_gt_f64_e32 vcc, 0, v[44:45]
	v_cndmask_b32_e32 v21, 0, v48, vcc
	v_add_f64 v[18:19], v[18:19], v[20:21]
	v_add_f64 v[44:45], v[54:55], v[18:19]
	v_cvt_i32_f64_e32 v21, v[44:45]
	v_cvt_f64_i32_e32 v[44:45], v21
	v_add_f64 v[18:19], v[18:19], -v[44:45]
	v_add_f64 v[52:53], v[54:55], -v[52:53]
	v_add_f64 v[44:45], v[54:55], v[18:19]
	v_add_f64 v[52:53], v[64:65], -v[52:53]
	v_add_f64 v[18:19], v[44:45], -v[18:19]
	v_cmp_le_f64_e32 vcc, 0.5, v[44:45]
	v_add_f64 v[16:17], v[52:53], v[16:17]
	v_add_f64 v[18:19], v[54:55], -v[18:19]
	v_addc_co_u32_e64 v52, s[0:1], 0, v21, vcc
	v_cndmask_b32_e32 v21, 0, v49, vcc
	v_add_f64 v[16:17], v[16:17], v[18:19]
	v_add_f64 v[18:19], v[44:45], -v[20:21]
	v_add_f64 v[44:45], v[18:19], v[16:17]
	v_add_f64 v[18:19], v[44:45], -v[18:19]
	s_mov_b32 s12, s16
	v_add_f64 v[16:17], v[16:17], -v[18:19]
	v_mul_f64 v[18:19], v[44:45], s[12:13]
	v_fma_f64 v[46:47], v[44:45], s[12:13], -v[18:19]
	s_mov_b32 s21, s19
	v_fmac_f64_e32 v[46:47], s[20:21], v[44:45]
	v_fmac_f64_e32 v[46:47], s[12:13], v[16:17]
	v_add_f64 v[16:17], v[18:19], v[46:47]
	v_add_f64 v[18:19], v[16:17], -v[18:19]
	v_add_f64 v[18:19], v[46:47], -v[18:19]
	s_andn2_saveexec_b64 s[0:1], s[78:79]
	s_cbranch_execz .LBB138_297
	s_branch .LBB138_296
.LBB138_295:                            ;   in Loop: Header=BB138_201 Depth=1
	s_andn2_saveexec_b64 s[0:1], s[78:79]
	s_cbranch_execz .LBB138_297
.LBB138_296:                            ;   in Loop: Header=BB138_201 Depth=1
	v_mul_f64 v[16:17], |v[10:11]|, s[22:23]
	v_rndne_f64_e32 v[44:45], v[16:17]
	v_fma_f64 v[16:17], v[44:45], s[16:17], |v[10:11]|
	v_mul_f64 v[46:47], v[44:45], s[24:25]
	v_add_f64 v[54:55], v[16:17], v[46:47]
	v_fma_f64 v[18:19], s[24:25], v[44:45], v[16:17]
	s_mov_b32 s18, s24
	v_add_f64 v[16:17], v[16:17], -v[54:55]
	v_fma_f64 v[52:53], s[18:19], v[44:45], v[46:47]
	v_add_f64 v[16:17], v[16:17], v[46:47]
	v_add_f64 v[46:47], v[54:55], -v[18:19]
	v_add_f64 v[16:17], v[46:47], v[16:17]
	v_add_f64 v[46:47], v[16:17], -v[52:53]
	v_fmac_f64_e32 v[46:47], s[26:27], v[44:45]
	v_add_f64 v[16:17], v[18:19], v[46:47]
	v_add_f64 v[18:19], v[16:17], -v[18:19]
	v_add_f64 v[18:19], v[46:47], -v[18:19]
	v_cvt_i32_f64_e32 v52, v[44:45]
.LBB138_297:                            ;   in Loop: Header=BB138_201 Depth=1
	s_or_b64 exec, exec, s[0:1]
                                        ; implicit-def: $vgpr53
                                        ; implicit-def: $vgpr44_vgpr45
                                        ; implicit-def: $vgpr46_vgpr47
	s_and_saveexec_b64 s[0:1], s[76:77]
	s_xor_b64 s[76:77], exec, s[0:1]
	s_cbranch_execz .LBB138_299
; %bb.298:                              ;   in Loop: Header=BB138_201 Depth=1
	v_and_b32_e32 v21, 0x7fffffff, v11
	v_ldexp_f64 v[54:55], |v[10:11]|, s85
	v_cmp_ge_f64_e64 vcc, |v[10:11]|, s[8:9]
	v_trig_preop_f64 v[44:45], |v[10:11]|, 0
	v_cndmask_b32_e32 v55, v21, v55, vcc
	v_cndmask_b32_e32 v54, v10, v54, vcc
	v_trig_preop_f64 v[46:47], |v[10:11]|, 1
	v_mul_f64 v[58:59], v[44:45], v[54:55]
	v_mul_f64 v[56:57], v[46:47], v[54:55]
	v_fma_f64 v[44:45], v[44:45], v[54:55], -v[58:59]
	v_add_f64 v[60:61], v[56:57], v[44:45]
	v_add_f64 v[62:63], v[58:59], v[60:61]
	v_ldexp_f64 v[64:65], v[62:63], -2
	v_fract_f64_e32 v[66:67], v[64:65]
	v_cmp_neq_f64_e64 vcc, |v[64:65]|, s[10:11]
	v_cndmask_b32_e32 v65, 0, v67, vcc
	v_cndmask_b32_e32 v64, 0, v66, vcc
	v_add_f64 v[66:67], v[60:61], -v[56:57]
	v_add_f64 v[44:45], v[44:45], -v[66:67]
	;; [unrolled: 1-line block ×4, first 2 shown]
	v_fma_f64 v[46:47], v[46:47], v[54:55], -v[56:57]
	v_trig_preop_f64 v[56:57], |v[10:11]|, 2
	v_add_f64 v[44:45], v[44:45], v[66:67]
	v_mul_f64 v[66:67], v[56:57], v[54:55]
	v_add_f64 v[68:69], v[66:67], v[46:47]
	v_add_f64 v[70:71], v[68:69], v[44:45]
	v_add_f64 v[58:59], v[62:63], -v[58:59]
	v_add_f64 v[62:63], v[70:71], -v[68:69]
	;; [unrolled: 1-line block ×5, first 2 shown]
	v_add_f64 v[44:45], v[44:45], v[62:63]
	v_add_f64 v[62:63], v[68:69], -v[66:67]
	v_add_f64 v[46:47], v[46:47], -v[62:63]
	;; [unrolled: 1-line block ×4, first 2 shown]
	v_add_f64 v[46:47], v[46:47], v[62:63]
	v_add_f64 v[58:59], v[60:61], -v[58:59]
	v_add_f64 v[44:45], v[46:47], v[44:45]
	v_fma_f64 v[46:47], v[56:57], v[54:55], -v[66:67]
	v_add_f64 v[60:61], v[58:59], v[70:71]
	v_add_f64 v[44:45], v[46:47], v[44:45]
	v_ldexp_f64 v[46:47], v[64:65], 2
	v_add_f64 v[54:55], v[60:61], v[46:47]
	v_cmp_gt_f64_e32 vcc, 0, v[54:55]
	v_cndmask_b32_e32 v21, 0, v48, vcc
	v_add_f64 v[46:47], v[46:47], v[20:21]
	v_add_f64 v[54:55], v[60:61], v[46:47]
	v_cvt_i32_f64_e32 v21, v[54:55]
	v_cvt_f64_i32_e32 v[54:55], v21
	v_add_f64 v[46:47], v[46:47], -v[54:55]
	v_add_f64 v[58:59], v[60:61], -v[58:59]
	v_add_f64 v[54:55], v[60:61], v[46:47]
	v_add_f64 v[58:59], v[70:71], -v[58:59]
	v_add_f64 v[46:47], v[54:55], -v[46:47]
	v_cmp_le_f64_e32 vcc, 0.5, v[54:55]
	v_add_f64 v[44:45], v[58:59], v[44:45]
	v_add_f64 v[46:47], v[60:61], -v[46:47]
	v_addc_co_u32_e64 v53, s[0:1], 0, v21, vcc
	v_cndmask_b32_e32 v21, 0, v49, vcc
	v_add_f64 v[44:45], v[44:45], v[46:47]
	v_add_f64 v[46:47], v[54:55], -v[20:21]
	v_add_f64 v[54:55], v[46:47], v[44:45]
	v_add_f64 v[46:47], v[54:55], -v[46:47]
	s_mov_b32 s12, s16
	v_add_f64 v[44:45], v[44:45], -v[46:47]
	v_mul_f64 v[46:47], v[54:55], s[12:13]
	v_fma_f64 v[56:57], v[54:55], s[12:13], -v[46:47]
	s_mov_b32 s21, s19
	v_fmac_f64_e32 v[56:57], s[20:21], v[54:55]
	v_fmac_f64_e32 v[56:57], s[12:13], v[44:45]
	v_add_f64 v[44:45], v[46:47], v[56:57]
	v_add_f64 v[46:47], v[44:45], -v[46:47]
	v_add_f64 v[46:47], v[56:57], -v[46:47]
	s_andn2_saveexec_b64 s[0:1], s[76:77]
	s_cbranch_execnz .LBB138_300
	s_branch .LBB138_301
.LBB138_299:                            ;   in Loop: Header=BB138_201 Depth=1
	s_andn2_saveexec_b64 s[0:1], s[76:77]
	s_cbranch_execz .LBB138_301
.LBB138_300:                            ;   in Loop: Header=BB138_201 Depth=1
	v_mul_f64 v[44:45], |v[10:11]|, s[22:23]
	v_rndne_f64_e32 v[54:55], v[44:45]
	v_fma_f64 v[44:45], v[54:55], s[16:17], |v[10:11]|
	v_mul_f64 v[56:57], v[54:55], s[24:25]
	v_add_f64 v[60:61], v[44:45], v[56:57]
	v_fma_f64 v[46:47], s[24:25], v[54:55], v[44:45]
	s_mov_b32 s18, s24
	v_add_f64 v[44:45], v[44:45], -v[60:61]
	v_fma_f64 v[58:59], s[18:19], v[54:55], v[56:57]
	v_add_f64 v[44:45], v[44:45], v[56:57]
	v_add_f64 v[56:57], v[60:61], -v[46:47]
	v_add_f64 v[44:45], v[56:57], v[44:45]
	v_add_f64 v[56:57], v[44:45], -v[58:59]
	v_fmac_f64_e32 v[56:57], s[26:27], v[54:55]
	v_add_f64 v[44:45], v[46:47], v[56:57]
	v_add_f64 v[46:47], v[44:45], -v[46:47]
	v_add_f64 v[46:47], v[56:57], -v[46:47]
	v_cvt_i32_f64_e32 v53, v[54:55]
.LBB138_301:                            ;   in Loop: Header=BB138_201 Depth=1
	s_or_b64 exec, exec, s[0:1]
	v_mul_f64 v[54:55], v[8:9], s[28:29]
	v_rndne_f64_e32 v[54:55], v[54:55]
	v_fma_f64 v[56:57], s[30:31], v[54:55], v[8:9]
	v_fmac_f64_e32 v[56:57], s[34:35], v[54:55]
	v_pk_mov_b32 v[58:59], v[26:27], v[26:27] op_sel:[0,1]
	v_fmac_f64_e32 v[58:59], s[36:37], v[56:57]
	v_pk_mov_b32 v[60:61], v[28:29], v[28:29] op_sel:[0,1]
	;; [unrolled: 2-line block ×9, first 2 shown]
	v_fmac_f64_e32 v[58:59], v[56:57], v[60:61]
	v_fma_f64 v[58:59], v[56:57], v[58:59], 1.0
	v_fma_f64 v[56:57], v[56:57], v[58:59], 1.0
	v_cvt_i32_f64_e32 v21, v[54:55]
	v_ldexp_f64 v[54:55], v[56:57], v21
	v_cmp_nlt_f64_e32 vcc, s[42:43], v[8:9]
	v_cmp_ngt_f64_e64 s[0:1], s[44:45], v[8:9]
	v_cndmask_b32_e32 v21, v50, v55, vcc
	s_and_b64 vcc, s[0:1], vcc
	v_cndmask_b32_e32 v8, 0, v54, vcc
	v_mul_f64 v[54:55], v[16:17], v[16:17]
	v_pk_mov_b32 v[62:63], s[46:47], s[46:47] op_sel:[0,1]
	v_mul_f64 v[56:57], v[54:55], 0.5
	v_fma_f64 v[64:65], s[48:49], v[54:55], v[62:63]
	v_add_f64 v[58:59], -v[56:57], 1.0
	v_fma_f64 v[64:65], v[54:55], v[64:65], s[50:51]
	v_add_f64 v[60:61], -v[58:59], 1.0
	v_fma_f64 v[64:65], v[54:55], v[64:65], s[52:53]
	v_add_f64 v[56:57], v[60:61], -v[56:57]
	v_fma_f64 v[64:65], v[54:55], v[64:65], s[54:55]
	v_mul_f64 v[60:61], v[54:55], v[54:55]
	v_fma_f64 v[64:65], v[54:55], v[64:65], s[40:41]
	v_fma_f64 v[56:57], v[16:17], -v[18:19], v[56:57]
	v_fmac_f64_e32 v[56:57], v[60:61], v[64:65]
	v_add_f64 v[56:57], v[58:59], v[56:57]
	v_pk_mov_b32 v[58:59], s[56:57], s[56:57] op_sel:[0,1]
	v_fma_f64 v[60:61], s[58:59], v[54:55], v[58:59]
	v_fma_f64 v[60:61], v[54:55], v[60:61], s[60:61]
	;; [unrolled: 1-line block ×4, first 2 shown]
	v_mul_f64 v[64:65], v[16:17], -v[54:55]
	v_mul_f64 v[66:67], v[18:19], 0.5
	v_fmac_f64_e32 v[66:67], v[64:65], v[60:61]
	v_fma_f64 v[18:19], v[54:55], v[66:67], -v[18:19]
	s_mov_b32 s64, s40
	v_fmac_f64_e32 v[18:19], s[64:65], v[64:65]
	v_add_f64 v[16:17], v[16:17], -v[18:19]
	v_and_b32_e32 v18, 1, v52
	v_xor_b32_e32 v17, 0x80000000, v17
	v_cmp_eq_u32_e32 vcc, 0, v18
	v_lshlrev_b32_e32 v18, 30, v52
	v_cndmask_b32_e32 v17, v17, v57, vcc
	v_and_b32_e32 v18, 0x80000000, v18
	v_xor_b32_e32 v17, v17, v18
	v_mul_f64 v[18:19], v[44:45], v[44:45]
	v_mul_f64 v[54:55], v[18:19], 0.5
	v_fmac_f64_e32 v[62:63], s[48:49], v[18:19]
	v_cndmask_b32_e32 v16, v16, v56, vcc
	v_add_f64 v[56:57], -v[54:55], 1.0
	v_fma_f64 v[62:63], v[18:19], v[62:63], s[50:51]
	v_add_f64 v[60:61], -v[56:57], 1.0
	v_fma_f64 v[62:63], v[18:19], v[62:63], s[52:53]
	v_add_f64 v[54:55], v[60:61], -v[54:55]
	v_fma_f64 v[62:63], v[18:19], v[62:63], s[54:55]
	v_mul_f64 v[60:61], v[18:19], v[18:19]
	v_fma_f64 v[62:63], v[18:19], v[62:63], s[40:41]
	v_fma_f64 v[54:55], v[44:45], -v[46:47], v[54:55]
	v_fmac_f64_e32 v[54:55], v[60:61], v[62:63]
	v_fmac_f64_e32 v[58:59], s[58:59], v[18:19]
	v_add_f64 v[54:55], v[56:57], v[54:55]
	v_fma_f64 v[56:57], v[18:19], v[58:59], s[60:61]
	v_fma_f64 v[56:57], v[18:19], v[56:57], s[62:63]
	;; [unrolled: 1-line block ×3, first 2 shown]
	v_mul_f64 v[58:59], v[44:45], -v[18:19]
	v_mul_f64 v[60:61], v[46:47], 0.5
	v_fmac_f64_e32 v[60:61], v[58:59], v[56:57]
	v_fma_f64 v[18:19], v[18:19], v[60:61], -v[46:47]
	v_cmp_class_f64_e64 vcc, v[10:11], s86
	v_fmac_f64_e32 v[18:19], s[64:65], v[58:59]
	v_and_b32_e32 v10, 1, v53
	v_cndmask_b32_e64 v9, 0, v21, s[0:1]
	v_add_f64 v[18:19], v[44:45], -v[18:19]
	v_cmp_eq_u32_e64 s[0:1], 0, v10
	v_cndmask_b32_e64 v10, v54, v18, s[0:1]
	v_cndmask_b32_e64 v18, v55, v19, s[0:1]
	v_lshlrev_b32_e32 v19, 30, v53
	v_xor_b32_e32 v11, v19, v11
	v_and_b32_e32 v11, 0x80000000, v11
	v_xor_b32_e32 v11, v18, v11
	v_cndmask_b32_e32 v16, 0, v16, vcc
	v_cndmask_b32_e32 v17, v51, v17, vcc
	;; [unrolled: 1-line block ×4, first 2 shown]
	v_mul_f64 v[16:17], v[8:9], v[16:17]
	v_mul_f64 v[18:19], v[8:9], v[10:11]
                                        ; implicit-def: $vgpr10_vgpr11
.LBB138_302:                            ;   in Loop: Header=BB138_201 Depth=1
	s_andn2_saveexec_b64 s[76:77], s[2:3]
	s_cbranch_execz .LBB138_312
; %bb.303:                              ;   in Loop: Header=BB138_201 Depth=1
	v_cmp_nlt_f64_e64 s[2:3], |v[10:11]|, s[6:7]
                                        ; implicit-def: $vgpr52
                                        ; implicit-def: $vgpr16_vgpr17
                                        ; implicit-def: $vgpr18_vgpr19
	s_and_saveexec_b64 s[0:1], s[2:3]
	s_xor_b64 s[78:79], exec, s[0:1]
	s_cbranch_execz .LBB138_305
; %bb.304:                              ;   in Loop: Header=BB138_201 Depth=1
	v_and_b32_e32 v21, 0x7fffffff, v11
	v_ldexp_f64 v[44:45], |v[10:11]|, s85
	v_cmp_ge_f64_e64 vcc, |v[10:11]|, s[8:9]
	v_trig_preop_f64 v[16:17], |v[10:11]|, 0
	v_cndmask_b32_e32 v45, v21, v45, vcc
	v_cndmask_b32_e32 v44, v10, v44, vcc
	v_trig_preop_f64 v[18:19], |v[10:11]|, 1
	v_mul_f64 v[52:53], v[16:17], v[44:45]
	v_mul_f64 v[46:47], v[18:19], v[44:45]
	v_fma_f64 v[16:17], v[16:17], v[44:45], -v[52:53]
	v_add_f64 v[54:55], v[46:47], v[16:17]
	v_add_f64 v[56:57], v[52:53], v[54:55]
	v_ldexp_f64 v[58:59], v[56:57], -2
	v_fract_f64_e32 v[60:61], v[58:59]
	v_cmp_neq_f64_e64 vcc, |v[58:59]|, s[10:11]
	v_cndmask_b32_e32 v59, 0, v61, vcc
	v_cndmask_b32_e32 v58, 0, v60, vcc
	v_add_f64 v[60:61], v[54:55], -v[46:47]
	v_add_f64 v[16:17], v[16:17], -v[60:61]
	;; [unrolled: 1-line block ×4, first 2 shown]
	v_fma_f64 v[18:19], v[18:19], v[44:45], -v[46:47]
	v_trig_preop_f64 v[46:47], |v[10:11]|, 2
	v_add_f64 v[16:17], v[16:17], v[60:61]
	v_mul_f64 v[60:61], v[46:47], v[44:45]
	v_add_f64 v[62:63], v[60:61], v[18:19]
	v_add_f64 v[64:65], v[62:63], v[16:17]
	v_add_f64 v[52:53], v[56:57], -v[52:53]
	v_add_f64 v[56:57], v[64:65], -v[62:63]
	;; [unrolled: 1-line block ×5, first 2 shown]
	v_add_f64 v[16:17], v[16:17], v[56:57]
	v_add_f64 v[56:57], v[62:63], -v[60:61]
	v_add_f64 v[18:19], v[18:19], -v[56:57]
	;; [unrolled: 1-line block ×4, first 2 shown]
	v_add_f64 v[18:19], v[18:19], v[56:57]
	v_add_f64 v[52:53], v[54:55], -v[52:53]
	v_add_f64 v[16:17], v[18:19], v[16:17]
	v_fma_f64 v[18:19], v[46:47], v[44:45], -v[60:61]
	v_add_f64 v[54:55], v[52:53], v[64:65]
	v_add_f64 v[16:17], v[18:19], v[16:17]
	v_ldexp_f64 v[18:19], v[58:59], 2
	v_add_f64 v[44:45], v[54:55], v[18:19]
	v_cmp_gt_f64_e32 vcc, 0, v[44:45]
	v_cndmask_b32_e32 v21, 0, v48, vcc
	v_add_f64 v[18:19], v[18:19], v[20:21]
	v_add_f64 v[44:45], v[54:55], v[18:19]
	v_cvt_i32_f64_e32 v21, v[44:45]
	v_cvt_f64_i32_e32 v[44:45], v21
	v_add_f64 v[18:19], v[18:19], -v[44:45]
	v_add_f64 v[52:53], v[54:55], -v[52:53]
	v_add_f64 v[44:45], v[54:55], v[18:19]
	v_add_f64 v[52:53], v[64:65], -v[52:53]
	v_add_f64 v[18:19], v[44:45], -v[18:19]
	v_cmp_le_f64_e32 vcc, 0.5, v[44:45]
	v_add_f64 v[16:17], v[52:53], v[16:17]
	v_add_f64 v[18:19], v[54:55], -v[18:19]
	v_addc_co_u32_e64 v52, s[0:1], 0, v21, vcc
	v_cndmask_b32_e32 v21, 0, v49, vcc
	v_add_f64 v[16:17], v[16:17], v[18:19]
	v_add_f64 v[18:19], v[44:45], -v[20:21]
	v_add_f64 v[44:45], v[18:19], v[16:17]
	v_add_f64 v[18:19], v[44:45], -v[18:19]
	s_mov_b32 s12, s16
	v_add_f64 v[16:17], v[16:17], -v[18:19]
	v_mul_f64 v[18:19], v[44:45], s[12:13]
	v_fma_f64 v[46:47], v[44:45], s[12:13], -v[18:19]
	s_mov_b32 s21, s19
	v_fmac_f64_e32 v[46:47], s[20:21], v[44:45]
	v_fmac_f64_e32 v[46:47], s[12:13], v[16:17]
	v_add_f64 v[16:17], v[18:19], v[46:47]
	v_add_f64 v[18:19], v[16:17], -v[18:19]
	v_add_f64 v[18:19], v[46:47], -v[18:19]
	s_andn2_saveexec_b64 s[0:1], s[78:79]
	s_cbranch_execz .LBB138_307
	s_branch .LBB138_306
.LBB138_305:                            ;   in Loop: Header=BB138_201 Depth=1
	s_andn2_saveexec_b64 s[0:1], s[78:79]
	s_cbranch_execz .LBB138_307
.LBB138_306:                            ;   in Loop: Header=BB138_201 Depth=1
	v_mul_f64 v[16:17], |v[10:11]|, s[22:23]
	v_rndne_f64_e32 v[44:45], v[16:17]
	v_fma_f64 v[16:17], v[44:45], s[16:17], |v[10:11]|
	v_mul_f64 v[46:47], v[44:45], s[24:25]
	v_add_f64 v[54:55], v[16:17], v[46:47]
	v_fma_f64 v[18:19], s[24:25], v[44:45], v[16:17]
	s_mov_b32 s18, s24
	v_add_f64 v[16:17], v[16:17], -v[54:55]
	v_fma_f64 v[52:53], s[18:19], v[44:45], v[46:47]
	v_add_f64 v[16:17], v[16:17], v[46:47]
	v_add_f64 v[46:47], v[54:55], -v[18:19]
	v_add_f64 v[16:17], v[46:47], v[16:17]
	v_add_f64 v[46:47], v[16:17], -v[52:53]
	v_fmac_f64_e32 v[46:47], s[26:27], v[44:45]
	v_add_f64 v[16:17], v[18:19], v[46:47]
	v_add_f64 v[18:19], v[16:17], -v[18:19]
	v_add_f64 v[18:19], v[46:47], -v[18:19]
	v_cvt_i32_f64_e32 v52, v[44:45]
.LBB138_307:                            ;   in Loop: Header=BB138_201 Depth=1
	s_or_b64 exec, exec, s[0:1]
                                        ; implicit-def: $vgpr53
                                        ; implicit-def: $vgpr44_vgpr45
                                        ; implicit-def: $vgpr46_vgpr47
	s_and_saveexec_b64 s[0:1], s[2:3]
	s_xor_b64 s[2:3], exec, s[0:1]
	s_cbranch_execz .LBB138_309
; %bb.308:                              ;   in Loop: Header=BB138_201 Depth=1
	v_and_b32_e32 v21, 0x7fffffff, v11
	v_ldexp_f64 v[54:55], |v[10:11]|, s85
	v_cmp_ge_f64_e64 vcc, |v[10:11]|, s[8:9]
	v_trig_preop_f64 v[44:45], |v[10:11]|, 0
	v_cndmask_b32_e32 v55, v21, v55, vcc
	v_cndmask_b32_e32 v54, v10, v54, vcc
	v_trig_preop_f64 v[46:47], |v[10:11]|, 1
	v_mul_f64 v[58:59], v[44:45], v[54:55]
	v_mul_f64 v[56:57], v[46:47], v[54:55]
	v_fma_f64 v[44:45], v[44:45], v[54:55], -v[58:59]
	v_add_f64 v[60:61], v[56:57], v[44:45]
	v_add_f64 v[62:63], v[58:59], v[60:61]
	v_ldexp_f64 v[64:65], v[62:63], -2
	v_fract_f64_e32 v[66:67], v[64:65]
	v_cmp_neq_f64_e64 vcc, |v[64:65]|, s[10:11]
	v_cndmask_b32_e32 v65, 0, v67, vcc
	v_cndmask_b32_e32 v64, 0, v66, vcc
	v_add_f64 v[66:67], v[60:61], -v[56:57]
	v_add_f64 v[44:45], v[44:45], -v[66:67]
	;; [unrolled: 1-line block ×4, first 2 shown]
	v_fma_f64 v[46:47], v[46:47], v[54:55], -v[56:57]
	v_trig_preop_f64 v[56:57], |v[10:11]|, 2
	v_add_f64 v[44:45], v[44:45], v[66:67]
	v_mul_f64 v[66:67], v[56:57], v[54:55]
	v_add_f64 v[68:69], v[66:67], v[46:47]
	v_add_f64 v[70:71], v[68:69], v[44:45]
	v_add_f64 v[58:59], v[62:63], -v[58:59]
	v_add_f64 v[62:63], v[70:71], -v[68:69]
	;; [unrolled: 1-line block ×5, first 2 shown]
	v_add_f64 v[44:45], v[44:45], v[62:63]
	v_add_f64 v[62:63], v[68:69], -v[66:67]
	v_add_f64 v[46:47], v[46:47], -v[62:63]
	;; [unrolled: 1-line block ×4, first 2 shown]
	v_add_f64 v[46:47], v[46:47], v[62:63]
	v_add_f64 v[58:59], v[60:61], -v[58:59]
	v_add_f64 v[44:45], v[46:47], v[44:45]
	v_fma_f64 v[46:47], v[56:57], v[54:55], -v[66:67]
	v_add_f64 v[60:61], v[58:59], v[70:71]
	v_add_f64 v[44:45], v[46:47], v[44:45]
	v_ldexp_f64 v[46:47], v[64:65], 2
	v_add_f64 v[54:55], v[60:61], v[46:47]
	v_cmp_gt_f64_e32 vcc, 0, v[54:55]
	v_cndmask_b32_e32 v21, 0, v48, vcc
	v_add_f64 v[46:47], v[46:47], v[20:21]
	v_add_f64 v[54:55], v[60:61], v[46:47]
	v_cvt_i32_f64_e32 v21, v[54:55]
	v_cvt_f64_i32_e32 v[54:55], v21
	v_add_f64 v[46:47], v[46:47], -v[54:55]
	v_add_f64 v[58:59], v[60:61], -v[58:59]
	v_add_f64 v[54:55], v[60:61], v[46:47]
	v_add_f64 v[58:59], v[70:71], -v[58:59]
	v_add_f64 v[46:47], v[54:55], -v[46:47]
	v_cmp_le_f64_e32 vcc, 0.5, v[54:55]
	v_add_f64 v[44:45], v[58:59], v[44:45]
	v_add_f64 v[46:47], v[60:61], -v[46:47]
	v_addc_co_u32_e64 v53, s[0:1], 0, v21, vcc
	v_cndmask_b32_e32 v21, 0, v49, vcc
	v_add_f64 v[44:45], v[44:45], v[46:47]
	v_add_f64 v[46:47], v[54:55], -v[20:21]
	v_add_f64 v[54:55], v[46:47], v[44:45]
	v_add_f64 v[46:47], v[54:55], -v[46:47]
	s_mov_b32 s12, s16
	v_add_f64 v[44:45], v[44:45], -v[46:47]
	v_mul_f64 v[46:47], v[54:55], s[12:13]
	v_fma_f64 v[56:57], v[54:55], s[12:13], -v[46:47]
	s_mov_b32 s21, s19
	v_fmac_f64_e32 v[56:57], s[20:21], v[54:55]
	v_fmac_f64_e32 v[56:57], s[12:13], v[44:45]
	v_add_f64 v[44:45], v[46:47], v[56:57]
	v_add_f64 v[46:47], v[44:45], -v[46:47]
	v_add_f64 v[46:47], v[56:57], -v[46:47]
	s_andn2_saveexec_b64 s[0:1], s[2:3]
	s_cbranch_execnz .LBB138_310
	s_branch .LBB138_311
.LBB138_309:                            ;   in Loop: Header=BB138_201 Depth=1
	s_andn2_saveexec_b64 s[0:1], s[2:3]
	s_cbranch_execz .LBB138_311
.LBB138_310:                            ;   in Loop: Header=BB138_201 Depth=1
	v_mul_f64 v[44:45], |v[10:11]|, s[22:23]
	v_rndne_f64_e32 v[54:55], v[44:45]
	v_fma_f64 v[44:45], v[54:55], s[16:17], |v[10:11]|
	v_mul_f64 v[56:57], v[54:55], s[24:25]
	v_add_f64 v[60:61], v[44:45], v[56:57]
	v_fma_f64 v[46:47], s[24:25], v[54:55], v[44:45]
	s_mov_b32 s18, s24
	v_add_f64 v[44:45], v[44:45], -v[60:61]
	v_fma_f64 v[58:59], s[18:19], v[54:55], v[56:57]
	v_add_f64 v[44:45], v[44:45], v[56:57]
	v_add_f64 v[56:57], v[60:61], -v[46:47]
	v_add_f64 v[44:45], v[56:57], v[44:45]
	v_add_f64 v[56:57], v[44:45], -v[58:59]
	v_fmac_f64_e32 v[56:57], s[26:27], v[54:55]
	v_add_f64 v[44:45], v[46:47], v[56:57]
	v_add_f64 v[46:47], v[44:45], -v[46:47]
	v_add_f64 v[46:47], v[56:57], -v[46:47]
	v_cvt_i32_f64_e32 v53, v[54:55]
.LBB138_311:                            ;   in Loop: Header=BB138_201 Depth=1
	s_or_b64 exec, exec, s[0:1]
	v_mul_f64 v[54:55], v[16:17], v[16:17]
	v_pk_mov_b32 v[62:63], s[46:47], s[46:47] op_sel:[0,1]
	v_mul_f64 v[56:57], v[54:55], 0.5
	v_fma_f64 v[64:65], s[48:49], v[54:55], v[62:63]
	v_add_f64 v[58:59], -v[56:57], 1.0
	v_fma_f64 v[64:65], v[54:55], v[64:65], s[50:51]
	v_fma_f64 v[64:65], v[54:55], v[64:65], s[52:53]
	v_add_f64 v[66:67], -v[58:59], 1.0
	v_fma_f64 v[64:65], v[54:55], v[64:65], s[54:55]
	v_add_f64 v[56:57], v[66:67], -v[56:57]
	v_mul_f64 v[60:61], v[54:55], v[54:55]
	v_fma_f64 v[64:65], v[54:55], v[64:65], s[40:41]
	v_fma_f64 v[56:57], v[16:17], -v[18:19], v[56:57]
	v_fmac_f64_e32 v[56:57], v[60:61], v[64:65]
	v_pk_mov_b32 v[60:61], s[56:57], s[56:57] op_sel:[0,1]
	v_fma_f64 v[64:65], s[58:59], v[54:55], v[60:61]
	v_fma_f64 v[64:65], v[54:55], v[64:65], s[60:61]
	;; [unrolled: 1-line block ×3, first 2 shown]
	v_add_f64 v[56:57], v[58:59], v[56:57]
	v_mul_f64 v[58:59], v[16:17], -v[54:55]
	v_fma_f64 v[64:65], v[54:55], v[64:65], s[38:39]
	v_mul_f64 v[66:67], v[18:19], 0.5
	v_fmac_f64_e32 v[66:67], v[58:59], v[64:65]
	v_fma_f64 v[18:19], v[54:55], v[66:67], -v[18:19]
	s_mov_b32 s64, s40
	v_fmac_f64_e32 v[18:19], s[64:65], v[58:59]
	v_and_b32_e32 v21, 1, v52
	v_add_f64 v[16:17], v[16:17], -v[18:19]
	v_xor_b32_e32 v17, 0x80000000, v17
	v_cmp_eq_u32_e32 vcc, 0, v21
	v_lshlrev_b32_e32 v18, 30, v52
	v_cndmask_b32_e32 v17, v17, v57, vcc
	v_and_b32_e32 v18, 0x80000000, v18
	v_add_f64 v[8:9], v[8:9], s[66:67]
	v_xor_b32_e32 v17, v17, v18
	v_mul_f64 v[18:19], v[8:9], s[28:29]
	v_rndne_f64_e32 v[18:19], v[18:19]
	v_fma_f64 v[54:55], s[30:31], v[18:19], v[8:9]
	v_cndmask_b32_e32 v16, v16, v56, vcc
	v_fmac_f64_e32 v[54:55], s[34:35], v[18:19]
	v_pk_mov_b32 v[56:57], v[26:27], v[26:27] op_sel:[0,1]
	v_fmac_f64_e32 v[56:57], s[36:37], v[54:55]
	v_pk_mov_b32 v[58:59], v[28:29], v[28:29] op_sel:[0,1]
	;; [unrolled: 2-line block ×9, first 2 shown]
	v_fmac_f64_e32 v[56:57], v[54:55], v[58:59]
	v_fma_f64 v[56:57], v[54:55], v[56:57], 1.0
	v_cmp_class_f64_e64 vcc, v[10:11], s86
	v_fma_f64 v[54:55], v[54:55], v[56:57], 1.0
	v_cvt_i32_f64_e32 v10, v[18:19]
	v_ldexp_f64 v[18:19], v[54:55], v10
	v_mul_f64 v[54:55], v[44:45], v[44:45]
	v_mul_f64 v[56:57], v[54:55], 0.5
	v_fmac_f64_e32 v[62:63], s[48:49], v[54:55]
	v_cmp_nlt_f64_e64 s[0:1], s[42:43], v[8:9]
	v_add_f64 v[58:59], -v[56:57], 1.0
	v_fma_f64 v[62:63], v[54:55], v[62:63], s[50:51]
	v_cndmask_b32_e64 v10, v50, v19, s[0:1]
	v_cmp_ngt_f64_e64 s[2:3], s[44:45], v[8:9]
	v_add_f64 v[64:65], -v[58:59], 1.0
	v_fma_f64 v[62:63], v[54:55], v[62:63], s[52:53]
	v_cndmask_b32_e64 v10, 0, v10, s[2:3]
	v_add_f64 v[56:57], v[64:65], -v[56:57]
	v_fma_f64 v[62:63], v[54:55], v[62:63], s[54:55]
	v_and_b32_e32 v9, 0xfffff, v10
	v_lshrrev_b32_e32 v10, 20, v10
	v_mul_f64 v[64:65], v[54:55], v[54:55]
	v_fma_f64 v[62:63], v[54:55], v[62:63], s[40:41]
	v_fma_f64 v[56:57], v[44:45], -v[46:47], v[56:57]
	s_and_b64 s[0:1], s[2:3], s[0:1]
	v_add_u32_e32 v10, 0xffffff09, v10
	v_fmac_f64_e32 v[56:57], v[64:65], v[62:63]
	v_fmac_f64_e32 v[60:61], s[58:59], v[54:55]
	v_cndmask_b32_e64 v8, 0, v18, s[0:1]
	v_lshrrev_b16_e32 v18, 15, v10
	v_add_f64 v[56:57], v[58:59], v[56:57]
	v_fma_f64 v[58:59], v[54:55], v[60:61], s[60:61]
	v_add_u16_e32 v18, v10, v18
	v_fma_f64 v[58:59], v[54:55], v[58:59], s[62:63]
	v_ashrrev_i16_e32 v18, 1, v18
	v_fma_f64 v[58:59], v[54:55], v[58:59], s[38:39]
	v_mul_f64 v[60:61], v[44:45], -v[54:55]
	v_mul_f64 v[62:63], v[46:47], 0.5
	v_bfe_i32 v18, v18, 0, 16
	v_fmac_f64_e32 v[62:63], v[60:61], v[58:59]
	v_sub_u32_e32 v10, v10, v18
	v_fma_f64 v[46:47], v[54:55], v[62:63], -v[46:47]
	v_lshl_add_u32 v19, v10, 20, v49
	v_fmac_f64_e32 v[46:47], s[64:65], v[60:61]
	v_and_b32_e32 v10, 1, v53
	v_add_f64 v[44:45], v[44:45], -v[46:47]
	v_cmp_eq_u32_e64 s[0:1], 0, v10
	v_cndmask_b32_e64 v10, v56, v44, s[0:1]
	v_cndmask_b32_e64 v44, v57, v45, s[0:1]
	v_lshlrev_b32_e32 v45, 30, v53
	v_xor_b32_e32 v11, v45, v11
	v_and_b32_e32 v11, 0x80000000, v11
	v_xor_b32_e32 v11, v44, v11
	v_cndmask_b32_e32 v16, 0, v16, vcc
	v_cndmask_b32_e32 v17, v51, v17, vcc
	v_or_b32_e32 v9, 0x7fe00000, v9
	v_cndmask_b32_e32 v10, 0, v10, vcc
	v_cndmask_b32_e32 v11, v51, v11, vcc
	v_mul_f64 v[16:17], v[8:9], v[16:17]
	v_lshl_add_u32 v21, v18, 20, v49
	v_mul_f64 v[8:9], v[8:9], v[10:11]
	v_mul_f64 v[16:17], v[16:17], v[20:21]
	v_mov_b32_e32 v18, v20
	v_mul_f64 v[8:9], v[8:9], v[20:21]
	v_mul_f64 v[16:17], v[16:17], v[18:19]
	;; [unrolled: 1-line block ×3, first 2 shown]
.LBB138_312:                            ;   in Loop: Header=BB138_201 Depth=1
	s_or_b64 exec, exec, s[76:77]
                                        ; implicit-def: $vgpr8_vgpr9
                                        ; implicit-def: $vgpr21
.LBB138_313:                            ;   in Loop: Header=BB138_201 Depth=1
	s_andn2_saveexec_b64 s[2:3], s[74:75]
	s_cbranch_execz .LBB138_319
; %bb.314:                              ;   in Loop: Header=BB138_201 Depth=1
	v_cmp_ne_u32_e32 vcc, 0, v8
	v_cmp_ne_u32_e64 s[0:1], s83, v21
	s_or_b64 s[0:1], vcc, s[0:1]
	v_add_f64 v[18:19], v[10:11], -v[10:11]
	s_and_saveexec_b64 s[74:75], s[0:1]
	s_xor_b64 s[0:1], exec, s[74:75]
; %bb.315:                              ;   in Loop: Header=BB138_201 Depth=1
                                        ; implicit-def: $vgpr8_vgpr9
; %bb.316:                              ;   in Loop: Header=BB138_201 Depth=1
	s_or_saveexec_b64 s[0:1], s[0:1]
	v_pk_mov_b32 v[16:17], v[18:19], v[18:19] op_sel:[0,1]
	s_xor_b64 exec, exec, s[0:1]
; %bb.317:                              ;   in Loop: Header=BB138_201 Depth=1
	v_cmp_lt_i64_e32 vcc, -1, v[8:9]
	v_cndmask_b32_e32 v17, 0, v9, vcc
	v_cndmask_b32_e32 v16, 0, v8, vcc
	;; [unrolled: 1-line block ×4, first 2 shown]
; %bb.318:                              ;   in Loop: Header=BB138_201 Depth=1
	s_or_b64 exec, exec, s[0:1]
.LBB138_319:                            ;   in Loop: Header=BB138_201 Depth=1
	s_or_b64 exec, exec, s[2:3]
                                        ; implicit-def: $vgpr10_vgpr11
.LBB138_320:                            ;   in Loop: Header=BB138_201 Depth=1
	s_andn2_saveexec_b64 s[2:3], s[72:73]
	s_cbranch_execz .LBB138_330
; %bb.321:                              ;   in Loop: Header=BB138_201 Depth=1
	v_cmp_nlt_f64_e64 s[72:73], |v[10:11]|, s[6:7]
                                        ; implicit-def: $vgpr46
                                        ; implicit-def: $vgpr8_vgpr9
                                        ; implicit-def: $vgpr16_vgpr17
	s_and_saveexec_b64 s[0:1], s[72:73]
	s_xor_b64 s[74:75], exec, s[0:1]
	s_cbranch_execz .LBB138_323
; %bb.322:                              ;   in Loop: Header=BB138_201 Depth=1
	v_and_b32_e32 v21, 0x7fffffff, v11
	v_ldexp_f64 v[18:19], |v[10:11]|, s85
	v_cmp_ge_f64_e64 vcc, |v[10:11]|, s[8:9]
	v_trig_preop_f64 v[8:9], |v[10:11]|, 0
	v_cndmask_b32_e32 v19, v21, v19, vcc
	v_cndmask_b32_e32 v18, v10, v18, vcc
	v_trig_preop_f64 v[16:17], |v[10:11]|, 1
	v_mul_f64 v[46:47], v[8:9], v[18:19]
	v_mul_f64 v[44:45], v[16:17], v[18:19]
	v_fma_f64 v[8:9], v[8:9], v[18:19], -v[46:47]
	v_add_f64 v[52:53], v[44:45], v[8:9]
	v_add_f64 v[54:55], v[46:47], v[52:53]
	v_ldexp_f64 v[56:57], v[54:55], -2
	v_fract_f64_e32 v[58:59], v[56:57]
	v_cmp_neq_f64_e64 vcc, |v[56:57]|, s[10:11]
	v_cndmask_b32_e32 v57, 0, v59, vcc
	v_cndmask_b32_e32 v56, 0, v58, vcc
	v_add_f64 v[58:59], v[52:53], -v[44:45]
	v_add_f64 v[8:9], v[8:9], -v[58:59]
	;; [unrolled: 1-line block ×4, first 2 shown]
	v_fma_f64 v[16:17], v[16:17], v[18:19], -v[44:45]
	v_trig_preop_f64 v[44:45], |v[10:11]|, 2
	v_add_f64 v[8:9], v[8:9], v[58:59]
	v_mul_f64 v[58:59], v[44:45], v[18:19]
	v_add_f64 v[60:61], v[58:59], v[16:17]
	v_add_f64 v[62:63], v[60:61], v[8:9]
	v_add_f64 v[46:47], v[54:55], -v[46:47]
	v_add_f64 v[54:55], v[62:63], -v[60:61]
	;; [unrolled: 1-line block ×5, first 2 shown]
	v_add_f64 v[8:9], v[8:9], v[54:55]
	v_add_f64 v[54:55], v[60:61], -v[58:59]
	v_add_f64 v[16:17], v[16:17], -v[54:55]
	;; [unrolled: 1-line block ×4, first 2 shown]
	v_add_f64 v[16:17], v[16:17], v[54:55]
	v_add_f64 v[46:47], v[52:53], -v[46:47]
	v_add_f64 v[8:9], v[16:17], v[8:9]
	v_fma_f64 v[16:17], v[44:45], v[18:19], -v[58:59]
	v_add_f64 v[52:53], v[46:47], v[62:63]
	v_add_f64 v[8:9], v[16:17], v[8:9]
	v_ldexp_f64 v[16:17], v[56:57], 2
	v_add_f64 v[18:19], v[52:53], v[16:17]
	v_cmp_gt_f64_e32 vcc, 0, v[18:19]
	v_cndmask_b32_e32 v21, 0, v48, vcc
	v_add_f64 v[16:17], v[16:17], v[20:21]
	v_add_f64 v[18:19], v[52:53], v[16:17]
	v_cvt_i32_f64_e32 v21, v[18:19]
	v_cvt_f64_i32_e32 v[18:19], v21
	v_add_f64 v[16:17], v[16:17], -v[18:19]
	v_add_f64 v[46:47], v[52:53], -v[46:47]
	v_add_f64 v[18:19], v[52:53], v[16:17]
	v_add_f64 v[46:47], v[62:63], -v[46:47]
	v_add_f64 v[16:17], v[18:19], -v[16:17]
	v_cmp_le_f64_e32 vcc, 0.5, v[18:19]
	v_add_f64 v[8:9], v[46:47], v[8:9]
	v_add_f64 v[16:17], v[52:53], -v[16:17]
	v_addc_co_u32_e64 v46, s[0:1], 0, v21, vcc
	v_cndmask_b32_e32 v21, 0, v49, vcc
	v_add_f64 v[8:9], v[8:9], v[16:17]
	v_add_f64 v[16:17], v[18:19], -v[20:21]
	v_add_f64 v[18:19], v[16:17], v[8:9]
	v_add_f64 v[16:17], v[18:19], -v[16:17]
	s_mov_b32 s12, s16
	v_add_f64 v[8:9], v[8:9], -v[16:17]
	v_mul_f64 v[16:17], v[18:19], s[12:13]
	v_fma_f64 v[44:45], v[18:19], s[12:13], -v[16:17]
	s_mov_b32 s21, s19
	v_fmac_f64_e32 v[44:45], s[20:21], v[18:19]
	v_fmac_f64_e32 v[44:45], s[12:13], v[8:9]
	v_add_f64 v[8:9], v[16:17], v[44:45]
	v_add_f64 v[16:17], v[8:9], -v[16:17]
	v_add_f64 v[16:17], v[44:45], -v[16:17]
	s_andn2_saveexec_b64 s[0:1], s[74:75]
	s_cbranch_execz .LBB138_325
	s_branch .LBB138_324
.LBB138_323:                            ;   in Loop: Header=BB138_201 Depth=1
	s_andn2_saveexec_b64 s[0:1], s[74:75]
	s_cbranch_execz .LBB138_325
.LBB138_324:                            ;   in Loop: Header=BB138_201 Depth=1
	v_mul_f64 v[8:9], |v[10:11]|, s[22:23]
	v_rndne_f64_e32 v[18:19], v[8:9]
	v_fma_f64 v[8:9], v[18:19], s[16:17], |v[10:11]|
	v_mul_f64 v[44:45], v[18:19], s[24:25]
	v_add_f64 v[52:53], v[8:9], v[44:45]
	v_fma_f64 v[16:17], s[24:25], v[18:19], v[8:9]
	s_mov_b32 s18, s24
	v_add_f64 v[8:9], v[8:9], -v[52:53]
	v_fma_f64 v[46:47], s[18:19], v[18:19], v[44:45]
	v_add_f64 v[8:9], v[8:9], v[44:45]
	v_add_f64 v[44:45], v[52:53], -v[16:17]
	v_add_f64 v[8:9], v[44:45], v[8:9]
	v_add_f64 v[44:45], v[8:9], -v[46:47]
	v_fmac_f64_e32 v[44:45], s[26:27], v[18:19]
	v_add_f64 v[8:9], v[16:17], v[44:45]
	v_add_f64 v[16:17], v[8:9], -v[16:17]
	v_add_f64 v[16:17], v[44:45], -v[16:17]
	v_cvt_i32_f64_e32 v46, v[18:19]
.LBB138_325:                            ;   in Loop: Header=BB138_201 Depth=1
	s_or_b64 exec, exec, s[0:1]
                                        ; implicit-def: $vgpr47
                                        ; implicit-def: $vgpr18_vgpr19
                                        ; implicit-def: $vgpr44_vgpr45
	s_and_saveexec_b64 s[0:1], s[72:73]
	s_xor_b64 s[72:73], exec, s[0:1]
	s_cbranch_execz .LBB138_327
; %bb.326:                              ;   in Loop: Header=BB138_201 Depth=1
	v_and_b32_e32 v21, 0x7fffffff, v11
	v_ldexp_f64 v[52:53], |v[10:11]|, s85
	v_cmp_ge_f64_e64 vcc, |v[10:11]|, s[8:9]
	v_trig_preop_f64 v[18:19], |v[10:11]|, 0
	v_cndmask_b32_e32 v53, v21, v53, vcc
	v_cndmask_b32_e32 v52, v10, v52, vcc
	v_trig_preop_f64 v[44:45], |v[10:11]|, 1
	v_mul_f64 v[56:57], v[18:19], v[52:53]
	v_mul_f64 v[54:55], v[44:45], v[52:53]
	v_fma_f64 v[18:19], v[18:19], v[52:53], -v[56:57]
	v_add_f64 v[58:59], v[54:55], v[18:19]
	v_add_f64 v[60:61], v[56:57], v[58:59]
	v_ldexp_f64 v[62:63], v[60:61], -2
	v_fract_f64_e32 v[64:65], v[62:63]
	v_cmp_neq_f64_e64 vcc, |v[62:63]|, s[10:11]
	v_cndmask_b32_e32 v63, 0, v65, vcc
	v_cndmask_b32_e32 v62, 0, v64, vcc
	v_add_f64 v[64:65], v[58:59], -v[54:55]
	v_add_f64 v[18:19], v[18:19], -v[64:65]
	;; [unrolled: 1-line block ×4, first 2 shown]
	v_fma_f64 v[44:45], v[44:45], v[52:53], -v[54:55]
	v_trig_preop_f64 v[54:55], |v[10:11]|, 2
	v_add_f64 v[18:19], v[18:19], v[64:65]
	v_mul_f64 v[64:65], v[54:55], v[52:53]
	v_add_f64 v[66:67], v[64:65], v[44:45]
	v_add_f64 v[68:69], v[66:67], v[18:19]
	v_add_f64 v[56:57], v[60:61], -v[56:57]
	v_add_f64 v[60:61], v[68:69], -v[66:67]
	;; [unrolled: 1-line block ×5, first 2 shown]
	v_add_f64 v[18:19], v[18:19], v[60:61]
	v_add_f64 v[60:61], v[66:67], -v[64:65]
	v_add_f64 v[44:45], v[44:45], -v[60:61]
	;; [unrolled: 1-line block ×4, first 2 shown]
	v_add_f64 v[44:45], v[44:45], v[60:61]
	v_add_f64 v[56:57], v[58:59], -v[56:57]
	v_add_f64 v[18:19], v[44:45], v[18:19]
	v_fma_f64 v[44:45], v[54:55], v[52:53], -v[64:65]
	v_add_f64 v[58:59], v[56:57], v[68:69]
	v_add_f64 v[18:19], v[44:45], v[18:19]
	v_ldexp_f64 v[44:45], v[62:63], 2
	v_add_f64 v[52:53], v[58:59], v[44:45]
	v_cmp_gt_f64_e32 vcc, 0, v[52:53]
	v_cndmask_b32_e32 v21, 0, v48, vcc
	v_add_f64 v[44:45], v[44:45], v[20:21]
	v_add_f64 v[52:53], v[58:59], v[44:45]
	v_cvt_i32_f64_e32 v21, v[52:53]
	v_cvt_f64_i32_e32 v[52:53], v21
	v_add_f64 v[44:45], v[44:45], -v[52:53]
	v_add_f64 v[56:57], v[58:59], -v[56:57]
	v_add_f64 v[52:53], v[58:59], v[44:45]
	v_add_f64 v[56:57], v[68:69], -v[56:57]
	v_add_f64 v[44:45], v[52:53], -v[44:45]
	v_cmp_le_f64_e32 vcc, 0.5, v[52:53]
	v_add_f64 v[18:19], v[56:57], v[18:19]
	v_add_f64 v[44:45], v[58:59], -v[44:45]
	v_addc_co_u32_e64 v47, s[0:1], 0, v21, vcc
	v_cndmask_b32_e32 v21, 0, v49, vcc
	v_add_f64 v[18:19], v[18:19], v[44:45]
	v_add_f64 v[44:45], v[52:53], -v[20:21]
	v_add_f64 v[52:53], v[44:45], v[18:19]
	v_add_f64 v[44:45], v[52:53], -v[44:45]
	s_mov_b32 s12, s16
	v_add_f64 v[18:19], v[18:19], -v[44:45]
	v_mul_f64 v[44:45], v[52:53], s[12:13]
	v_fma_f64 v[54:55], v[52:53], s[12:13], -v[44:45]
	s_mov_b32 s21, s19
	v_fmac_f64_e32 v[54:55], s[20:21], v[52:53]
	v_fmac_f64_e32 v[54:55], s[12:13], v[18:19]
	v_add_f64 v[18:19], v[44:45], v[54:55]
	v_add_f64 v[44:45], v[18:19], -v[44:45]
	v_add_f64 v[44:45], v[54:55], -v[44:45]
	s_andn2_saveexec_b64 s[0:1], s[72:73]
	s_cbranch_execnz .LBB138_328
	s_branch .LBB138_329
.LBB138_327:                            ;   in Loop: Header=BB138_201 Depth=1
	s_andn2_saveexec_b64 s[0:1], s[72:73]
	s_cbranch_execz .LBB138_329
.LBB138_328:                            ;   in Loop: Header=BB138_201 Depth=1
	v_mul_f64 v[18:19], |v[10:11]|, s[22:23]
	v_rndne_f64_e32 v[52:53], v[18:19]
	v_fma_f64 v[18:19], v[52:53], s[16:17], |v[10:11]|
	v_mul_f64 v[54:55], v[52:53], s[24:25]
	v_add_f64 v[58:59], v[18:19], v[54:55]
	v_fma_f64 v[44:45], s[24:25], v[52:53], v[18:19]
	s_mov_b32 s18, s24
	v_add_f64 v[18:19], v[18:19], -v[58:59]
	v_fma_f64 v[56:57], s[18:19], v[52:53], v[54:55]
	v_add_f64 v[18:19], v[18:19], v[54:55]
	v_add_f64 v[54:55], v[58:59], -v[44:45]
	v_add_f64 v[18:19], v[54:55], v[18:19]
	v_add_f64 v[54:55], v[18:19], -v[56:57]
	v_fmac_f64_e32 v[54:55], s[26:27], v[52:53]
	v_add_f64 v[18:19], v[44:45], v[54:55]
	v_add_f64 v[44:45], v[18:19], -v[44:45]
	v_add_f64 v[44:45], v[54:55], -v[44:45]
	v_cvt_i32_f64_e32 v47, v[52:53]
.LBB138_329:                            ;   in Loop: Header=BB138_201 Depth=1
	s_or_b64 exec, exec, s[0:1]
	v_mul_f64 v[52:53], v[8:9], v[8:9]
	v_pk_mov_b32 v[60:61], s[46:47], s[46:47] op_sel:[0,1]
	v_mul_f64 v[54:55], v[52:53], 0.5
	v_fma_f64 v[62:63], s[48:49], v[52:53], v[60:61]
	v_add_f64 v[56:57], -v[54:55], 1.0
	v_fma_f64 v[62:63], v[52:53], v[62:63], s[50:51]
	v_add_f64 v[58:59], -v[56:57], 1.0
	v_fma_f64 v[62:63], v[52:53], v[62:63], s[52:53]
	v_add_f64 v[54:55], v[58:59], -v[54:55]
	v_fma_f64 v[62:63], v[52:53], v[62:63], s[54:55]
	v_mul_f64 v[58:59], v[52:53], v[52:53]
	v_fma_f64 v[62:63], v[52:53], v[62:63], s[40:41]
	v_fma_f64 v[54:55], v[8:9], -v[16:17], v[54:55]
	v_fmac_f64_e32 v[54:55], v[58:59], v[62:63]
	v_add_f64 v[54:55], v[56:57], v[54:55]
	v_pk_mov_b32 v[56:57], s[56:57], s[56:57] op_sel:[0,1]
	v_fma_f64 v[58:59], s[58:59], v[52:53], v[56:57]
	v_fma_f64 v[58:59], v[52:53], v[58:59], s[60:61]
	;; [unrolled: 1-line block ×4, first 2 shown]
	v_mul_f64 v[62:63], v[8:9], -v[52:53]
	v_mul_f64 v[64:65], v[16:17], 0.5
	v_fmac_f64_e32 v[64:65], v[62:63], v[58:59]
	v_fma_f64 v[16:17], v[52:53], v[64:65], -v[16:17]
	s_mov_b32 s64, s40
	v_fmac_f64_e32 v[16:17], s[64:65], v[62:63]
	v_add_f64 v[8:9], v[8:9], -v[16:17]
	v_and_b32_e32 v16, 1, v46
	v_xor_b32_e32 v9, 0x80000000, v9
	v_cmp_eq_u32_e32 vcc, 0, v16
	v_lshlrev_b32_e32 v16, 30, v46
	v_cndmask_b32_e32 v9, v9, v55, vcc
	v_and_b32_e32 v16, 0x80000000, v16
	v_cndmask_b32_e32 v8, v8, v54, vcc
	v_xor_b32_e32 v9, v9, v16
	v_cmp_class_f64_e64 vcc, v[10:11], s86
	v_cndmask_b32_e32 v16, 0, v8, vcc
	v_cndmask_b32_e32 v17, v51, v9, vcc
	v_mul_f64 v[8:9], v[18:19], v[18:19]
	v_mul_f64 v[52:53], v[8:9], 0.5
	v_fmac_f64_e32 v[60:61], s[48:49], v[8:9]
	v_add_f64 v[54:55], -v[52:53], 1.0
	v_fma_f64 v[60:61], v[8:9], v[60:61], s[50:51]
	v_add_f64 v[58:59], -v[54:55], 1.0
	v_fma_f64 v[60:61], v[8:9], v[60:61], s[52:53]
	v_add_f64 v[52:53], v[58:59], -v[52:53]
	v_fma_f64 v[60:61], v[8:9], v[60:61], s[54:55]
	v_mul_f64 v[58:59], v[8:9], v[8:9]
	v_fma_f64 v[60:61], v[8:9], v[60:61], s[40:41]
	v_fma_f64 v[52:53], v[18:19], -v[44:45], v[52:53]
	v_fmac_f64_e32 v[52:53], v[58:59], v[60:61]
	v_fmac_f64_e32 v[56:57], s[58:59], v[8:9]
	v_add_f64 v[52:53], v[54:55], v[52:53]
	v_fma_f64 v[54:55], v[8:9], v[56:57], s[60:61]
	v_fma_f64 v[54:55], v[8:9], v[54:55], s[62:63]
	;; [unrolled: 1-line block ×3, first 2 shown]
	v_mul_f64 v[56:57], v[18:19], -v[8:9]
	v_mul_f64 v[58:59], v[44:45], 0.5
	v_fmac_f64_e32 v[58:59], v[56:57], v[54:55]
	v_fma_f64 v[8:9], v[8:9], v[58:59], -v[44:45]
	v_and_b32_e32 v10, 1, v47
	v_fmac_f64_e32 v[8:9], s[64:65], v[56:57]
	v_cmp_eq_u32_e64 s[0:1], 0, v10
	v_lshlrev_b32_e32 v10, 30, v47
	v_add_f64 v[8:9], v[18:19], -v[8:9]
	v_xor_b32_e32 v10, v10, v11
	v_cndmask_b32_e64 v9, v53, v9, s[0:1]
	v_and_b32_e32 v10, 0x80000000, v10
	v_cndmask_b32_e64 v8, v52, v8, s[0:1]
	v_xor_b32_e32 v9, v9, v10
	v_cndmask_b32_e32 v18, 0, v8, vcc
	v_cndmask_b32_e32 v19, v51, v9, vcc
.LBB138_330:                            ;   in Loop: Header=BB138_201 Depth=1
	s_or_b64 exec, exec, s[2:3]
                                        ; implicit-def: $vgpr8_vgpr9
.LBB138_331:                            ;   in Loop: Header=BB138_201 Depth=1
	s_andn2_saveexec_b64 s[2:3], s[70:71]
	s_cbranch_execz .LBB138_333
; %bb.332:                              ;   in Loop: Header=BB138_201 Depth=1
	v_mul_f64 v[16:17], v[8:9], s[28:29]
	v_rndne_f64_e32 v[16:17], v[16:17]
	v_fma_f64 v[18:19], s[30:31], v[16:17], v[8:9]
	v_fmac_f64_e32 v[18:19], s[34:35], v[16:17]
	v_pk_mov_b32 v[44:45], v[26:27], v[26:27] op_sel:[0,1]
	v_fmac_f64_e32 v[44:45], s[36:37], v[18:19]
	v_pk_mov_b32 v[46:47], v[28:29], v[28:29] op_sel:[0,1]
	;; [unrolled: 2-line block ×9, first 2 shown]
	v_fmac_f64_e32 v[44:45], v[18:19], v[46:47]
	v_fma_f64 v[44:45], v[18:19], v[44:45], 1.0
	v_fma_f64 v[18:19], v[18:19], v[44:45], 1.0
	v_cvt_i32_f64_e32 v16, v[16:17]
	v_ldexp_f64 v[16:17], v[18:19], v16
	v_cmp_nlt_f64_e32 vcc, s[42:43], v[8:9]
	v_cmp_ngt_f64_e64 s[0:1], s[44:45], v[8:9]
	v_cndmask_b32_e32 v17, v50, v17, vcc
	s_and_b64 vcc, s[0:1], vcc
	v_cndmask_b32_e64 v17, 0, v17, s[0:1]
	v_cndmask_b32_e32 v16, 0, v16, vcc
	v_pk_mov_b32 v[18:19], v[10:11], v[10:11] op_sel:[0,1]
.LBB138_333:                            ;   in Loop: Header=BB138_201 Depth=1
	s_or_b64 exec, exec, s[2:3]
	v_and_b32_e32 v8, 0x7fffffff, v3
	v_or_b32_e32 v9, v8, v2
	v_cmp_ne_u32_e32 vcc, 0, v9
                                        ; implicit-def: $vgpr10_vgpr11
	s_and_saveexec_b64 s[0:1], vcc
	s_xor_b64 s[70:71], exec, s[0:1]
	s_cbranch_execz .LBB138_375
; %bb.334:                              ;   in Loop: Header=BB138_201 Depth=1
	v_and_b32_e32 v21, 0x7fffffff, v1
	v_or_b32_e32 v9, v21, v0
	v_cmp_ne_u32_e32 vcc, 0, v9
                                        ; implicit-def: $vgpr10_vgpr11
	s_and_saveexec_b64 s[0:1], vcc
	s_xor_b64 s[72:73], exec, s[0:1]
	s_cbranch_execz .LBB138_364
; %bb.335:                              ;   in Loop: Header=BB138_201 Depth=1
	v_cmp_gt_u32_e32 vcc, s83, v8
                                        ; implicit-def: $vgpr10_vgpr11
	s_and_saveexec_b64 s[0:1], vcc
	s_xor_b64 s[74:75], exec, s[0:1]
	s_cbranch_execz .LBB138_357
; %bb.336:                              ;   in Loop: Header=BB138_201 Depth=1
	v_add_u32_e32 v8, 0xbf79d1be, v1
	v_cmp_lt_u32_e32 vcc, s84, v8
                                        ; implicit-def: $vgpr10_vgpr11
	s_and_saveexec_b64 s[0:1], vcc
	s_xor_b64 s[2:3], exec, s[0:1]
	s_cbranch_execz .LBB138_346
; %bb.337:                              ;   in Loop: Header=BB138_201 Depth=1
	v_cmp_nlt_f64_e64 s[76:77], |v[2:3]|, s[6:7]
                                        ; implicit-def: $vgpr52
                                        ; implicit-def: $vgpr8_vgpr9
                                        ; implicit-def: $vgpr10_vgpr11
	s_and_saveexec_b64 s[0:1], s[76:77]
	s_xor_b64 s[78:79], exec, s[0:1]
	s_cbranch_execz .LBB138_339
; %bb.338:                              ;   in Loop: Header=BB138_201 Depth=1
	v_and_b32_e32 v21, 0x7fffffff, v3
	v_ldexp_f64 v[44:45], |v[2:3]|, s85
	v_cmp_ge_f64_e64 vcc, |v[2:3]|, s[8:9]
	v_trig_preop_f64 v[8:9], |v[2:3]|, 0
	v_cndmask_b32_e32 v45, v21, v45, vcc
	v_cndmask_b32_e32 v44, v2, v44, vcc
	v_trig_preop_f64 v[10:11], |v[2:3]|, 1
	v_mul_f64 v[52:53], v[8:9], v[44:45]
	v_mul_f64 v[46:47], v[10:11], v[44:45]
	v_fma_f64 v[8:9], v[8:9], v[44:45], -v[52:53]
	v_add_f64 v[54:55], v[46:47], v[8:9]
	v_add_f64 v[56:57], v[52:53], v[54:55]
	v_ldexp_f64 v[58:59], v[56:57], -2
	v_fract_f64_e32 v[60:61], v[58:59]
	v_cmp_neq_f64_e64 vcc, |v[58:59]|, s[10:11]
	v_cndmask_b32_e32 v59, 0, v61, vcc
	v_cndmask_b32_e32 v58, 0, v60, vcc
	v_add_f64 v[60:61], v[54:55], -v[46:47]
	v_add_f64 v[8:9], v[8:9], -v[60:61]
	;; [unrolled: 1-line block ×4, first 2 shown]
	v_fma_f64 v[10:11], v[10:11], v[44:45], -v[46:47]
	v_trig_preop_f64 v[46:47], |v[2:3]|, 2
	v_add_f64 v[8:9], v[8:9], v[60:61]
	v_mul_f64 v[60:61], v[46:47], v[44:45]
	v_add_f64 v[62:63], v[60:61], v[10:11]
	v_add_f64 v[64:65], v[62:63], v[8:9]
	v_add_f64 v[52:53], v[56:57], -v[52:53]
	v_add_f64 v[56:57], v[64:65], -v[62:63]
	;; [unrolled: 1-line block ×5, first 2 shown]
	v_add_f64 v[8:9], v[8:9], v[56:57]
	v_add_f64 v[56:57], v[62:63], -v[60:61]
	v_add_f64 v[10:11], v[10:11], -v[56:57]
	;; [unrolled: 1-line block ×4, first 2 shown]
	v_add_f64 v[10:11], v[10:11], v[56:57]
	v_add_f64 v[52:53], v[54:55], -v[52:53]
	v_add_f64 v[8:9], v[10:11], v[8:9]
	v_fma_f64 v[10:11], v[46:47], v[44:45], -v[60:61]
	v_add_f64 v[54:55], v[52:53], v[64:65]
	v_add_f64 v[8:9], v[10:11], v[8:9]
	v_ldexp_f64 v[10:11], v[58:59], 2
	v_add_f64 v[44:45], v[54:55], v[10:11]
	v_cmp_gt_f64_e32 vcc, 0, v[44:45]
	v_cndmask_b32_e32 v21, 0, v48, vcc
	v_add_f64 v[10:11], v[10:11], v[20:21]
	v_add_f64 v[44:45], v[54:55], v[10:11]
	v_cvt_i32_f64_e32 v21, v[44:45]
	v_cvt_f64_i32_e32 v[44:45], v21
	v_add_f64 v[10:11], v[10:11], -v[44:45]
	v_add_f64 v[52:53], v[54:55], -v[52:53]
	v_add_f64 v[44:45], v[54:55], v[10:11]
	v_add_f64 v[52:53], v[64:65], -v[52:53]
	v_add_f64 v[10:11], v[44:45], -v[10:11]
	v_cmp_le_f64_e32 vcc, 0.5, v[44:45]
	v_add_f64 v[8:9], v[52:53], v[8:9]
	v_add_f64 v[10:11], v[54:55], -v[10:11]
	v_addc_co_u32_e64 v52, s[0:1], 0, v21, vcc
	v_cndmask_b32_e32 v21, 0, v49, vcc
	v_add_f64 v[8:9], v[8:9], v[10:11]
	v_add_f64 v[10:11], v[44:45], -v[20:21]
	v_add_f64 v[44:45], v[10:11], v[8:9]
	v_add_f64 v[10:11], v[44:45], -v[10:11]
	s_mov_b32 s12, s16
	v_add_f64 v[8:9], v[8:9], -v[10:11]
	v_mul_f64 v[10:11], v[44:45], s[12:13]
	v_fma_f64 v[46:47], v[44:45], s[12:13], -v[10:11]
	s_mov_b32 s21, s19
	v_fmac_f64_e32 v[46:47], s[20:21], v[44:45]
	v_fmac_f64_e32 v[46:47], s[12:13], v[8:9]
	v_add_f64 v[8:9], v[10:11], v[46:47]
	v_add_f64 v[10:11], v[8:9], -v[10:11]
	v_add_f64 v[10:11], v[46:47], -v[10:11]
	s_andn2_saveexec_b64 s[0:1], s[78:79]
	s_cbranch_execz .LBB138_341
	s_branch .LBB138_340
.LBB138_339:                            ;   in Loop: Header=BB138_201 Depth=1
	s_andn2_saveexec_b64 s[0:1], s[78:79]
	s_cbranch_execz .LBB138_341
.LBB138_340:                            ;   in Loop: Header=BB138_201 Depth=1
	v_mul_f64 v[8:9], |v[2:3]|, s[22:23]
	v_rndne_f64_e32 v[44:45], v[8:9]
	v_fma_f64 v[8:9], v[44:45], s[16:17], |v[2:3]|
	v_mul_f64 v[46:47], v[44:45], s[24:25]
	v_add_f64 v[54:55], v[8:9], v[46:47]
	v_fma_f64 v[10:11], s[24:25], v[44:45], v[8:9]
	s_mov_b32 s18, s24
	v_add_f64 v[8:9], v[8:9], -v[54:55]
	v_fma_f64 v[52:53], s[18:19], v[44:45], v[46:47]
	v_add_f64 v[8:9], v[8:9], v[46:47]
	v_add_f64 v[46:47], v[54:55], -v[10:11]
	v_add_f64 v[8:9], v[46:47], v[8:9]
	v_add_f64 v[46:47], v[8:9], -v[52:53]
	v_fmac_f64_e32 v[46:47], s[26:27], v[44:45]
	v_add_f64 v[8:9], v[10:11], v[46:47]
	v_add_f64 v[10:11], v[8:9], -v[10:11]
	v_add_f64 v[10:11], v[46:47], -v[10:11]
	v_cvt_i32_f64_e32 v52, v[44:45]
.LBB138_341:                            ;   in Loop: Header=BB138_201 Depth=1
	s_or_b64 exec, exec, s[0:1]
                                        ; implicit-def: $vgpr53
                                        ; implicit-def: $vgpr44_vgpr45
                                        ; implicit-def: $vgpr46_vgpr47
	s_and_saveexec_b64 s[0:1], s[76:77]
	s_xor_b64 s[76:77], exec, s[0:1]
	s_cbranch_execz .LBB138_343
; %bb.342:                              ;   in Loop: Header=BB138_201 Depth=1
	v_and_b32_e32 v21, 0x7fffffff, v3
	v_ldexp_f64 v[54:55], |v[2:3]|, s85
	v_cmp_ge_f64_e64 vcc, |v[2:3]|, s[8:9]
	v_trig_preop_f64 v[44:45], |v[2:3]|, 0
	v_cndmask_b32_e32 v55, v21, v55, vcc
	v_cndmask_b32_e32 v54, v2, v54, vcc
	v_trig_preop_f64 v[46:47], |v[2:3]|, 1
	v_mul_f64 v[58:59], v[44:45], v[54:55]
	v_mul_f64 v[56:57], v[46:47], v[54:55]
	v_fma_f64 v[44:45], v[44:45], v[54:55], -v[58:59]
	v_add_f64 v[60:61], v[56:57], v[44:45]
	v_add_f64 v[62:63], v[58:59], v[60:61]
	v_ldexp_f64 v[64:65], v[62:63], -2
	v_fract_f64_e32 v[66:67], v[64:65]
	v_cmp_neq_f64_e64 vcc, |v[64:65]|, s[10:11]
	v_cndmask_b32_e32 v65, 0, v67, vcc
	v_cndmask_b32_e32 v64, 0, v66, vcc
	v_add_f64 v[66:67], v[60:61], -v[56:57]
	v_add_f64 v[44:45], v[44:45], -v[66:67]
	;; [unrolled: 1-line block ×4, first 2 shown]
	v_fma_f64 v[46:47], v[46:47], v[54:55], -v[56:57]
	v_trig_preop_f64 v[56:57], |v[2:3]|, 2
	v_add_f64 v[44:45], v[44:45], v[66:67]
	v_mul_f64 v[66:67], v[56:57], v[54:55]
	v_add_f64 v[68:69], v[66:67], v[46:47]
	v_add_f64 v[70:71], v[68:69], v[44:45]
	v_add_f64 v[58:59], v[62:63], -v[58:59]
	v_add_f64 v[62:63], v[70:71], -v[68:69]
	;; [unrolled: 1-line block ×5, first 2 shown]
	v_add_f64 v[44:45], v[44:45], v[62:63]
	v_add_f64 v[62:63], v[68:69], -v[66:67]
	v_add_f64 v[46:47], v[46:47], -v[62:63]
	;; [unrolled: 1-line block ×4, first 2 shown]
	v_add_f64 v[46:47], v[46:47], v[62:63]
	v_add_f64 v[58:59], v[60:61], -v[58:59]
	v_add_f64 v[44:45], v[46:47], v[44:45]
	v_fma_f64 v[46:47], v[56:57], v[54:55], -v[66:67]
	v_add_f64 v[60:61], v[58:59], v[70:71]
	v_add_f64 v[44:45], v[46:47], v[44:45]
	v_ldexp_f64 v[46:47], v[64:65], 2
	v_add_f64 v[54:55], v[60:61], v[46:47]
	v_cmp_gt_f64_e32 vcc, 0, v[54:55]
	v_cndmask_b32_e32 v21, 0, v48, vcc
	v_add_f64 v[46:47], v[46:47], v[20:21]
	v_add_f64 v[54:55], v[60:61], v[46:47]
	v_cvt_i32_f64_e32 v21, v[54:55]
	v_cvt_f64_i32_e32 v[54:55], v21
	v_add_f64 v[46:47], v[46:47], -v[54:55]
	v_add_f64 v[58:59], v[60:61], -v[58:59]
	v_add_f64 v[54:55], v[60:61], v[46:47]
	v_add_f64 v[58:59], v[70:71], -v[58:59]
	v_add_f64 v[46:47], v[54:55], -v[46:47]
	v_cmp_le_f64_e32 vcc, 0.5, v[54:55]
	v_add_f64 v[44:45], v[58:59], v[44:45]
	v_add_f64 v[46:47], v[60:61], -v[46:47]
	v_addc_co_u32_e64 v53, s[0:1], 0, v21, vcc
	v_cndmask_b32_e32 v21, 0, v49, vcc
	v_add_f64 v[44:45], v[44:45], v[46:47]
	v_add_f64 v[46:47], v[54:55], -v[20:21]
	v_add_f64 v[54:55], v[46:47], v[44:45]
	v_add_f64 v[46:47], v[54:55], -v[46:47]
	s_mov_b32 s12, s16
	v_add_f64 v[44:45], v[44:45], -v[46:47]
	v_mul_f64 v[46:47], v[54:55], s[12:13]
	v_fma_f64 v[56:57], v[54:55], s[12:13], -v[46:47]
	s_mov_b32 s21, s19
	v_fmac_f64_e32 v[56:57], s[20:21], v[54:55]
	v_fmac_f64_e32 v[56:57], s[12:13], v[44:45]
	v_add_f64 v[44:45], v[46:47], v[56:57]
	v_add_f64 v[46:47], v[44:45], -v[46:47]
	v_add_f64 v[46:47], v[56:57], -v[46:47]
	s_andn2_saveexec_b64 s[0:1], s[76:77]
	s_cbranch_execnz .LBB138_344
	s_branch .LBB138_345
.LBB138_343:                            ;   in Loop: Header=BB138_201 Depth=1
	s_andn2_saveexec_b64 s[0:1], s[76:77]
	s_cbranch_execz .LBB138_345
.LBB138_344:                            ;   in Loop: Header=BB138_201 Depth=1
	v_mul_f64 v[44:45], |v[2:3]|, s[22:23]
	v_rndne_f64_e32 v[54:55], v[44:45]
	v_fma_f64 v[44:45], v[54:55], s[16:17], |v[2:3]|
	v_mul_f64 v[56:57], v[54:55], s[24:25]
	v_add_f64 v[60:61], v[44:45], v[56:57]
	v_fma_f64 v[46:47], s[24:25], v[54:55], v[44:45]
	s_mov_b32 s18, s24
	v_add_f64 v[44:45], v[44:45], -v[60:61]
	v_fma_f64 v[58:59], s[18:19], v[54:55], v[56:57]
	v_add_f64 v[44:45], v[44:45], v[56:57]
	v_add_f64 v[56:57], v[60:61], -v[46:47]
	v_add_f64 v[44:45], v[56:57], v[44:45]
	v_add_f64 v[56:57], v[44:45], -v[58:59]
	v_fmac_f64_e32 v[56:57], s[26:27], v[54:55]
	v_add_f64 v[44:45], v[46:47], v[56:57]
	v_add_f64 v[46:47], v[44:45], -v[46:47]
	v_add_f64 v[46:47], v[56:57], -v[46:47]
	v_cvt_i32_f64_e32 v53, v[54:55]
.LBB138_345:                            ;   in Loop: Header=BB138_201 Depth=1
	s_or_b64 exec, exec, s[0:1]
	v_mul_f64 v[54:55], v[0:1], s[28:29]
	v_rndne_f64_e32 v[54:55], v[54:55]
	v_fma_f64 v[56:57], s[30:31], v[54:55], v[0:1]
	v_fmac_f64_e32 v[56:57], s[34:35], v[54:55]
	v_pk_mov_b32 v[58:59], v[26:27], v[26:27] op_sel:[0,1]
	v_fmac_f64_e32 v[58:59], s[36:37], v[56:57]
	v_pk_mov_b32 v[60:61], v[28:29], v[28:29] op_sel:[0,1]
	;; [unrolled: 2-line block ×9, first 2 shown]
	v_fmac_f64_e32 v[58:59], v[56:57], v[60:61]
	v_fma_f64 v[58:59], v[56:57], v[58:59], 1.0
	v_fma_f64 v[56:57], v[56:57], v[58:59], 1.0
	v_cvt_i32_f64_e32 v21, v[54:55]
	v_ldexp_f64 v[54:55], v[56:57], v21
	v_cmp_nlt_f64_e32 vcc, s[42:43], v[0:1]
	v_cmp_ngt_f64_e64 s[0:1], s[44:45], v[0:1]
	v_cndmask_b32_e32 v21, v50, v55, vcc
	s_and_b64 vcc, s[0:1], vcc
	v_cndmask_b32_e32 v0, 0, v54, vcc
	v_mul_f64 v[54:55], v[8:9], v[8:9]
	v_pk_mov_b32 v[62:63], s[46:47], s[46:47] op_sel:[0,1]
	v_mul_f64 v[56:57], v[54:55], 0.5
	v_fma_f64 v[64:65], s[48:49], v[54:55], v[62:63]
	v_add_f64 v[58:59], -v[56:57], 1.0
	v_fma_f64 v[64:65], v[54:55], v[64:65], s[50:51]
	v_add_f64 v[60:61], -v[58:59], 1.0
	v_fma_f64 v[64:65], v[54:55], v[64:65], s[52:53]
	v_add_f64 v[56:57], v[60:61], -v[56:57]
	v_fma_f64 v[64:65], v[54:55], v[64:65], s[54:55]
	v_mul_f64 v[60:61], v[54:55], v[54:55]
	v_fma_f64 v[64:65], v[54:55], v[64:65], s[40:41]
	v_fma_f64 v[56:57], v[8:9], -v[10:11], v[56:57]
	v_fmac_f64_e32 v[56:57], v[60:61], v[64:65]
	v_add_f64 v[56:57], v[58:59], v[56:57]
	v_pk_mov_b32 v[58:59], s[56:57], s[56:57] op_sel:[0,1]
	v_fma_f64 v[60:61], s[58:59], v[54:55], v[58:59]
	v_fma_f64 v[60:61], v[54:55], v[60:61], s[60:61]
	;; [unrolled: 1-line block ×4, first 2 shown]
	v_mul_f64 v[64:65], v[8:9], -v[54:55]
	v_mul_f64 v[66:67], v[10:11], 0.5
	v_fmac_f64_e32 v[66:67], v[64:65], v[60:61]
	v_fma_f64 v[10:11], v[54:55], v[66:67], -v[10:11]
	s_mov_b32 s64, s40
	v_fmac_f64_e32 v[10:11], s[64:65], v[64:65]
	v_add_f64 v[8:9], v[8:9], -v[10:11]
	v_and_b32_e32 v10, 1, v52
	v_xor_b32_e32 v9, 0x80000000, v9
	v_cmp_eq_u32_e32 vcc, 0, v10
	v_lshlrev_b32_e32 v10, 30, v52
	v_cndmask_b32_e32 v9, v9, v57, vcc
	v_and_b32_e32 v10, 0x80000000, v10
	v_xor_b32_e32 v9, v9, v10
	v_mul_f64 v[10:11], v[44:45], v[44:45]
	v_mul_f64 v[54:55], v[10:11], 0.5
	v_fmac_f64_e32 v[62:63], s[48:49], v[10:11]
	v_cndmask_b32_e32 v8, v8, v56, vcc
	v_add_f64 v[56:57], -v[54:55], 1.0
	v_fma_f64 v[62:63], v[10:11], v[62:63], s[50:51]
	v_add_f64 v[60:61], -v[56:57], 1.0
	v_fma_f64 v[62:63], v[10:11], v[62:63], s[52:53]
	v_add_f64 v[54:55], v[60:61], -v[54:55]
	v_fma_f64 v[62:63], v[10:11], v[62:63], s[54:55]
	v_mul_f64 v[60:61], v[10:11], v[10:11]
	v_fma_f64 v[62:63], v[10:11], v[62:63], s[40:41]
	v_fma_f64 v[54:55], v[44:45], -v[46:47], v[54:55]
	v_fmac_f64_e32 v[54:55], v[60:61], v[62:63]
	v_fmac_f64_e32 v[58:59], s[58:59], v[10:11]
	v_add_f64 v[54:55], v[56:57], v[54:55]
	v_fma_f64 v[56:57], v[10:11], v[58:59], s[60:61]
	v_fma_f64 v[56:57], v[10:11], v[56:57], s[62:63]
	;; [unrolled: 1-line block ×3, first 2 shown]
	v_mul_f64 v[58:59], v[44:45], -v[10:11]
	v_mul_f64 v[60:61], v[46:47], 0.5
	v_fmac_f64_e32 v[60:61], v[58:59], v[56:57]
	v_fma_f64 v[10:11], v[10:11], v[60:61], -v[46:47]
	v_cmp_class_f64_e64 vcc, v[2:3], s86
	v_fmac_f64_e32 v[10:11], s[64:65], v[58:59]
	v_and_b32_e32 v2, 1, v53
	v_cndmask_b32_e64 v1, 0, v21, s[0:1]
	v_add_f64 v[10:11], v[44:45], -v[10:11]
	v_cmp_eq_u32_e64 s[0:1], 0, v2
	v_cndmask_b32_e64 v2, v54, v10, s[0:1]
	v_cndmask_b32_e64 v10, v55, v11, s[0:1]
	v_lshlrev_b32_e32 v11, 30, v53
	v_xor_b32_e32 v3, v11, v3
	v_and_b32_e32 v3, 0x80000000, v3
	v_xor_b32_e32 v3, v10, v3
	v_cndmask_b32_e32 v8, 0, v8, vcc
	v_cndmask_b32_e32 v9, v51, v9, vcc
	v_cndmask_b32_e32 v2, 0, v2, vcc
	v_cndmask_b32_e32 v3, v51, v3, vcc
	v_mul_f64 v[8:9], v[0:1], v[8:9]
	v_mul_f64 v[10:11], v[0:1], v[2:3]
                                        ; implicit-def: $vgpr2_vgpr3
.LBB138_346:                            ;   in Loop: Header=BB138_201 Depth=1
	s_andn2_saveexec_b64 s[76:77], s[2:3]
	s_cbranch_execz .LBB138_356
; %bb.347:                              ;   in Loop: Header=BB138_201 Depth=1
	v_cmp_nlt_f64_e64 s[2:3], |v[2:3]|, s[6:7]
                                        ; implicit-def: $vgpr52
                                        ; implicit-def: $vgpr8_vgpr9
                                        ; implicit-def: $vgpr10_vgpr11
	s_and_saveexec_b64 s[0:1], s[2:3]
	s_xor_b64 s[78:79], exec, s[0:1]
	s_cbranch_execz .LBB138_349
; %bb.348:                              ;   in Loop: Header=BB138_201 Depth=1
	v_and_b32_e32 v21, 0x7fffffff, v3
	v_ldexp_f64 v[44:45], |v[2:3]|, s85
	v_cmp_ge_f64_e64 vcc, |v[2:3]|, s[8:9]
	v_trig_preop_f64 v[8:9], |v[2:3]|, 0
	v_cndmask_b32_e32 v45, v21, v45, vcc
	v_cndmask_b32_e32 v44, v2, v44, vcc
	v_trig_preop_f64 v[10:11], |v[2:3]|, 1
	v_mul_f64 v[52:53], v[8:9], v[44:45]
	v_mul_f64 v[46:47], v[10:11], v[44:45]
	v_fma_f64 v[8:9], v[8:9], v[44:45], -v[52:53]
	v_add_f64 v[54:55], v[46:47], v[8:9]
	v_add_f64 v[56:57], v[52:53], v[54:55]
	v_ldexp_f64 v[58:59], v[56:57], -2
	v_fract_f64_e32 v[60:61], v[58:59]
	v_cmp_neq_f64_e64 vcc, |v[58:59]|, s[10:11]
	v_cndmask_b32_e32 v59, 0, v61, vcc
	v_cndmask_b32_e32 v58, 0, v60, vcc
	v_add_f64 v[60:61], v[54:55], -v[46:47]
	v_add_f64 v[8:9], v[8:9], -v[60:61]
	v_add_f64 v[60:61], v[54:55], -v[60:61]
	v_add_f64 v[60:61], v[46:47], -v[60:61]
	v_fma_f64 v[10:11], v[10:11], v[44:45], -v[46:47]
	v_trig_preop_f64 v[46:47], |v[2:3]|, 2
	v_add_f64 v[8:9], v[8:9], v[60:61]
	v_mul_f64 v[60:61], v[46:47], v[44:45]
	v_add_f64 v[62:63], v[60:61], v[10:11]
	v_add_f64 v[64:65], v[62:63], v[8:9]
	v_add_f64 v[52:53], v[56:57], -v[52:53]
	v_add_f64 v[56:57], v[64:65], -v[62:63]
	;; [unrolled: 1-line block ×5, first 2 shown]
	v_add_f64 v[8:9], v[8:9], v[56:57]
	v_add_f64 v[56:57], v[62:63], -v[60:61]
	v_add_f64 v[10:11], v[10:11], -v[56:57]
	;; [unrolled: 1-line block ×4, first 2 shown]
	v_add_f64 v[10:11], v[10:11], v[56:57]
	v_add_f64 v[52:53], v[54:55], -v[52:53]
	v_add_f64 v[8:9], v[10:11], v[8:9]
	v_fma_f64 v[10:11], v[46:47], v[44:45], -v[60:61]
	v_add_f64 v[54:55], v[52:53], v[64:65]
	v_add_f64 v[8:9], v[10:11], v[8:9]
	v_ldexp_f64 v[10:11], v[58:59], 2
	v_add_f64 v[44:45], v[54:55], v[10:11]
	v_cmp_gt_f64_e32 vcc, 0, v[44:45]
	v_cndmask_b32_e32 v21, 0, v48, vcc
	v_add_f64 v[10:11], v[10:11], v[20:21]
	v_add_f64 v[44:45], v[54:55], v[10:11]
	v_cvt_i32_f64_e32 v21, v[44:45]
	v_cvt_f64_i32_e32 v[44:45], v21
	v_add_f64 v[10:11], v[10:11], -v[44:45]
	v_add_f64 v[52:53], v[54:55], -v[52:53]
	v_add_f64 v[44:45], v[54:55], v[10:11]
	v_add_f64 v[52:53], v[64:65], -v[52:53]
	v_add_f64 v[10:11], v[44:45], -v[10:11]
	v_cmp_le_f64_e32 vcc, 0.5, v[44:45]
	v_add_f64 v[8:9], v[52:53], v[8:9]
	v_add_f64 v[10:11], v[54:55], -v[10:11]
	v_addc_co_u32_e64 v52, s[0:1], 0, v21, vcc
	v_cndmask_b32_e32 v21, 0, v49, vcc
	v_add_f64 v[8:9], v[8:9], v[10:11]
	v_add_f64 v[10:11], v[44:45], -v[20:21]
	v_add_f64 v[44:45], v[10:11], v[8:9]
	v_add_f64 v[10:11], v[44:45], -v[10:11]
	s_mov_b32 s12, s16
	v_add_f64 v[8:9], v[8:9], -v[10:11]
	v_mul_f64 v[10:11], v[44:45], s[12:13]
	v_fma_f64 v[46:47], v[44:45], s[12:13], -v[10:11]
	s_mov_b32 s21, s19
	v_fmac_f64_e32 v[46:47], s[20:21], v[44:45]
	v_fmac_f64_e32 v[46:47], s[12:13], v[8:9]
	v_add_f64 v[8:9], v[10:11], v[46:47]
	v_add_f64 v[10:11], v[8:9], -v[10:11]
	v_add_f64 v[10:11], v[46:47], -v[10:11]
	s_andn2_saveexec_b64 s[0:1], s[78:79]
	s_cbranch_execz .LBB138_351
	s_branch .LBB138_350
.LBB138_349:                            ;   in Loop: Header=BB138_201 Depth=1
	s_andn2_saveexec_b64 s[0:1], s[78:79]
	s_cbranch_execz .LBB138_351
.LBB138_350:                            ;   in Loop: Header=BB138_201 Depth=1
	v_mul_f64 v[8:9], |v[2:3]|, s[22:23]
	v_rndne_f64_e32 v[44:45], v[8:9]
	v_fma_f64 v[8:9], v[44:45], s[16:17], |v[2:3]|
	v_mul_f64 v[46:47], v[44:45], s[24:25]
	v_add_f64 v[54:55], v[8:9], v[46:47]
	v_fma_f64 v[10:11], s[24:25], v[44:45], v[8:9]
	s_mov_b32 s18, s24
	v_add_f64 v[8:9], v[8:9], -v[54:55]
	v_fma_f64 v[52:53], s[18:19], v[44:45], v[46:47]
	v_add_f64 v[8:9], v[8:9], v[46:47]
	v_add_f64 v[46:47], v[54:55], -v[10:11]
	v_add_f64 v[8:9], v[46:47], v[8:9]
	v_add_f64 v[46:47], v[8:9], -v[52:53]
	v_fmac_f64_e32 v[46:47], s[26:27], v[44:45]
	v_add_f64 v[8:9], v[10:11], v[46:47]
	v_add_f64 v[10:11], v[8:9], -v[10:11]
	v_add_f64 v[10:11], v[46:47], -v[10:11]
	v_cvt_i32_f64_e32 v52, v[44:45]
.LBB138_351:                            ;   in Loop: Header=BB138_201 Depth=1
	s_or_b64 exec, exec, s[0:1]
                                        ; implicit-def: $vgpr53
                                        ; implicit-def: $vgpr44_vgpr45
                                        ; implicit-def: $vgpr46_vgpr47
	s_and_saveexec_b64 s[0:1], s[2:3]
	s_xor_b64 s[2:3], exec, s[0:1]
	s_cbranch_execz .LBB138_353
; %bb.352:                              ;   in Loop: Header=BB138_201 Depth=1
	v_and_b32_e32 v21, 0x7fffffff, v3
	v_ldexp_f64 v[54:55], |v[2:3]|, s85
	v_cmp_ge_f64_e64 vcc, |v[2:3]|, s[8:9]
	v_trig_preop_f64 v[44:45], |v[2:3]|, 0
	v_cndmask_b32_e32 v55, v21, v55, vcc
	v_cndmask_b32_e32 v54, v2, v54, vcc
	v_trig_preop_f64 v[46:47], |v[2:3]|, 1
	v_mul_f64 v[58:59], v[44:45], v[54:55]
	v_mul_f64 v[56:57], v[46:47], v[54:55]
	v_fma_f64 v[44:45], v[44:45], v[54:55], -v[58:59]
	v_add_f64 v[60:61], v[56:57], v[44:45]
	v_add_f64 v[62:63], v[58:59], v[60:61]
	v_ldexp_f64 v[64:65], v[62:63], -2
	v_fract_f64_e32 v[66:67], v[64:65]
	v_cmp_neq_f64_e64 vcc, |v[64:65]|, s[10:11]
	v_cndmask_b32_e32 v65, 0, v67, vcc
	v_cndmask_b32_e32 v64, 0, v66, vcc
	v_add_f64 v[66:67], v[60:61], -v[56:57]
	v_add_f64 v[44:45], v[44:45], -v[66:67]
	;; [unrolled: 1-line block ×4, first 2 shown]
	v_fma_f64 v[46:47], v[46:47], v[54:55], -v[56:57]
	v_trig_preop_f64 v[56:57], |v[2:3]|, 2
	v_add_f64 v[44:45], v[44:45], v[66:67]
	v_mul_f64 v[66:67], v[56:57], v[54:55]
	v_add_f64 v[68:69], v[66:67], v[46:47]
	v_add_f64 v[70:71], v[68:69], v[44:45]
	v_add_f64 v[58:59], v[62:63], -v[58:59]
	v_add_f64 v[62:63], v[70:71], -v[68:69]
	;; [unrolled: 1-line block ×5, first 2 shown]
	v_add_f64 v[44:45], v[44:45], v[62:63]
	v_add_f64 v[62:63], v[68:69], -v[66:67]
	v_add_f64 v[46:47], v[46:47], -v[62:63]
	;; [unrolled: 1-line block ×4, first 2 shown]
	v_add_f64 v[46:47], v[46:47], v[62:63]
	v_add_f64 v[58:59], v[60:61], -v[58:59]
	v_add_f64 v[44:45], v[46:47], v[44:45]
	v_fma_f64 v[46:47], v[56:57], v[54:55], -v[66:67]
	v_add_f64 v[60:61], v[58:59], v[70:71]
	v_add_f64 v[44:45], v[46:47], v[44:45]
	v_ldexp_f64 v[46:47], v[64:65], 2
	v_add_f64 v[54:55], v[60:61], v[46:47]
	v_cmp_gt_f64_e32 vcc, 0, v[54:55]
	v_cndmask_b32_e32 v21, 0, v48, vcc
	v_add_f64 v[46:47], v[46:47], v[20:21]
	v_add_f64 v[54:55], v[60:61], v[46:47]
	v_cvt_i32_f64_e32 v21, v[54:55]
	v_cvt_f64_i32_e32 v[54:55], v21
	v_add_f64 v[46:47], v[46:47], -v[54:55]
	v_add_f64 v[58:59], v[60:61], -v[58:59]
	v_add_f64 v[54:55], v[60:61], v[46:47]
	v_add_f64 v[58:59], v[70:71], -v[58:59]
	v_add_f64 v[46:47], v[54:55], -v[46:47]
	v_cmp_le_f64_e32 vcc, 0.5, v[54:55]
	v_add_f64 v[44:45], v[58:59], v[44:45]
	v_add_f64 v[46:47], v[60:61], -v[46:47]
	v_addc_co_u32_e64 v53, s[0:1], 0, v21, vcc
	v_cndmask_b32_e32 v21, 0, v49, vcc
	v_add_f64 v[44:45], v[44:45], v[46:47]
	v_add_f64 v[46:47], v[54:55], -v[20:21]
	v_add_f64 v[54:55], v[46:47], v[44:45]
	v_add_f64 v[46:47], v[54:55], -v[46:47]
	s_mov_b32 s12, s16
	v_add_f64 v[44:45], v[44:45], -v[46:47]
	v_mul_f64 v[46:47], v[54:55], s[12:13]
	v_fma_f64 v[56:57], v[54:55], s[12:13], -v[46:47]
	s_mov_b32 s21, s19
	v_fmac_f64_e32 v[56:57], s[20:21], v[54:55]
	v_fmac_f64_e32 v[56:57], s[12:13], v[44:45]
	v_add_f64 v[44:45], v[46:47], v[56:57]
	v_add_f64 v[46:47], v[44:45], -v[46:47]
	v_add_f64 v[46:47], v[56:57], -v[46:47]
	s_andn2_saveexec_b64 s[0:1], s[2:3]
	s_cbranch_execnz .LBB138_354
	s_branch .LBB138_355
.LBB138_353:                            ;   in Loop: Header=BB138_201 Depth=1
	s_andn2_saveexec_b64 s[0:1], s[2:3]
	s_cbranch_execz .LBB138_355
.LBB138_354:                            ;   in Loop: Header=BB138_201 Depth=1
	v_mul_f64 v[44:45], |v[2:3]|, s[22:23]
	v_rndne_f64_e32 v[54:55], v[44:45]
	v_fma_f64 v[44:45], v[54:55], s[16:17], |v[2:3]|
	v_mul_f64 v[56:57], v[54:55], s[24:25]
	v_add_f64 v[60:61], v[44:45], v[56:57]
	v_fma_f64 v[46:47], s[24:25], v[54:55], v[44:45]
	s_mov_b32 s18, s24
	v_add_f64 v[44:45], v[44:45], -v[60:61]
	v_fma_f64 v[58:59], s[18:19], v[54:55], v[56:57]
	v_add_f64 v[44:45], v[44:45], v[56:57]
	v_add_f64 v[56:57], v[60:61], -v[46:47]
	v_add_f64 v[44:45], v[56:57], v[44:45]
	v_add_f64 v[56:57], v[44:45], -v[58:59]
	v_fmac_f64_e32 v[56:57], s[26:27], v[54:55]
	v_add_f64 v[44:45], v[46:47], v[56:57]
	v_add_f64 v[46:47], v[44:45], -v[46:47]
	v_add_f64 v[46:47], v[56:57], -v[46:47]
	v_cvt_i32_f64_e32 v53, v[54:55]
.LBB138_355:                            ;   in Loop: Header=BB138_201 Depth=1
	s_or_b64 exec, exec, s[0:1]
	v_mul_f64 v[54:55], v[8:9], v[8:9]
	v_pk_mov_b32 v[62:63], s[46:47], s[46:47] op_sel:[0,1]
	v_mul_f64 v[56:57], v[54:55], 0.5
	v_fma_f64 v[64:65], s[48:49], v[54:55], v[62:63]
	v_add_f64 v[58:59], -v[56:57], 1.0
	v_fma_f64 v[64:65], v[54:55], v[64:65], s[50:51]
	v_fma_f64 v[64:65], v[54:55], v[64:65], s[52:53]
	v_add_f64 v[66:67], -v[58:59], 1.0
	v_fma_f64 v[64:65], v[54:55], v[64:65], s[54:55]
	v_add_f64 v[56:57], v[66:67], -v[56:57]
	v_mul_f64 v[60:61], v[54:55], v[54:55]
	v_fma_f64 v[64:65], v[54:55], v[64:65], s[40:41]
	v_fma_f64 v[56:57], v[8:9], -v[10:11], v[56:57]
	v_fmac_f64_e32 v[56:57], v[60:61], v[64:65]
	v_pk_mov_b32 v[60:61], s[56:57], s[56:57] op_sel:[0,1]
	v_fma_f64 v[64:65], s[58:59], v[54:55], v[60:61]
	v_fma_f64 v[64:65], v[54:55], v[64:65], s[60:61]
	v_fma_f64 v[64:65], v[54:55], v[64:65], s[62:63]
	v_add_f64 v[56:57], v[58:59], v[56:57]
	v_mul_f64 v[58:59], v[8:9], -v[54:55]
	v_fma_f64 v[64:65], v[54:55], v[64:65], s[38:39]
	v_mul_f64 v[66:67], v[10:11], 0.5
	v_fmac_f64_e32 v[66:67], v[58:59], v[64:65]
	v_fma_f64 v[10:11], v[54:55], v[66:67], -v[10:11]
	s_mov_b32 s64, s40
	v_fmac_f64_e32 v[10:11], s[64:65], v[58:59]
	v_and_b32_e32 v21, 1, v52
	v_add_f64 v[8:9], v[8:9], -v[10:11]
	v_xor_b32_e32 v9, 0x80000000, v9
	v_cmp_eq_u32_e32 vcc, 0, v21
	v_lshlrev_b32_e32 v10, 30, v52
	v_cndmask_b32_e32 v9, v9, v57, vcc
	v_and_b32_e32 v10, 0x80000000, v10
	v_add_f64 v[0:1], v[0:1], s[66:67]
	v_xor_b32_e32 v9, v9, v10
	v_mul_f64 v[10:11], v[0:1], s[28:29]
	v_rndne_f64_e32 v[10:11], v[10:11]
	v_fma_f64 v[54:55], s[30:31], v[10:11], v[0:1]
	v_cndmask_b32_e32 v8, v8, v56, vcc
	v_fmac_f64_e32 v[54:55], s[34:35], v[10:11]
	v_pk_mov_b32 v[56:57], v[26:27], v[26:27] op_sel:[0,1]
	v_fmac_f64_e32 v[56:57], s[36:37], v[54:55]
	v_pk_mov_b32 v[58:59], v[28:29], v[28:29] op_sel:[0,1]
	;; [unrolled: 2-line block ×9, first 2 shown]
	v_fmac_f64_e32 v[56:57], v[54:55], v[58:59]
	v_fma_f64 v[56:57], v[54:55], v[56:57], 1.0
	v_cmp_class_f64_e64 vcc, v[2:3], s86
	v_fma_f64 v[54:55], v[54:55], v[56:57], 1.0
	v_cvt_i32_f64_e32 v2, v[10:11]
	v_ldexp_f64 v[10:11], v[54:55], v2
	v_mul_f64 v[54:55], v[44:45], v[44:45]
	v_mul_f64 v[56:57], v[54:55], 0.5
	v_fmac_f64_e32 v[62:63], s[48:49], v[54:55]
	v_cmp_nlt_f64_e64 s[0:1], s[42:43], v[0:1]
	v_add_f64 v[58:59], -v[56:57], 1.0
	v_fma_f64 v[62:63], v[54:55], v[62:63], s[50:51]
	v_cndmask_b32_e64 v2, v50, v11, s[0:1]
	v_cmp_ngt_f64_e64 s[2:3], s[44:45], v[0:1]
	v_add_f64 v[64:65], -v[58:59], 1.0
	v_fma_f64 v[62:63], v[54:55], v[62:63], s[52:53]
	v_cndmask_b32_e64 v2, 0, v2, s[2:3]
	v_add_f64 v[56:57], v[64:65], -v[56:57]
	v_fma_f64 v[62:63], v[54:55], v[62:63], s[54:55]
	v_and_b32_e32 v1, 0xfffff, v2
	v_lshrrev_b32_e32 v2, 20, v2
	v_mul_f64 v[64:65], v[54:55], v[54:55]
	v_fma_f64 v[62:63], v[54:55], v[62:63], s[40:41]
	v_fma_f64 v[56:57], v[44:45], -v[46:47], v[56:57]
	s_and_b64 s[0:1], s[2:3], s[0:1]
	v_add_u32_e32 v2, 0xffffff09, v2
	v_fmac_f64_e32 v[56:57], v[64:65], v[62:63]
	v_fmac_f64_e32 v[60:61], s[58:59], v[54:55]
	v_cndmask_b32_e64 v0, 0, v10, s[0:1]
	v_lshrrev_b16_e32 v10, 15, v2
	v_add_f64 v[56:57], v[58:59], v[56:57]
	v_fma_f64 v[58:59], v[54:55], v[60:61], s[60:61]
	v_add_u16_e32 v10, v2, v10
	v_fma_f64 v[58:59], v[54:55], v[58:59], s[62:63]
	v_ashrrev_i16_e32 v10, 1, v10
	v_fma_f64 v[58:59], v[54:55], v[58:59], s[38:39]
	v_mul_f64 v[60:61], v[44:45], -v[54:55]
	v_mul_f64 v[62:63], v[46:47], 0.5
	v_bfe_i32 v10, v10, 0, 16
	v_fmac_f64_e32 v[62:63], v[60:61], v[58:59]
	v_sub_u32_e32 v2, v2, v10
	v_fma_f64 v[46:47], v[54:55], v[62:63], -v[46:47]
	v_lshl_add_u32 v11, v2, 20, v49
	v_fmac_f64_e32 v[46:47], s[64:65], v[60:61]
	v_and_b32_e32 v2, 1, v53
	v_add_f64 v[44:45], v[44:45], -v[46:47]
	v_cmp_eq_u32_e64 s[0:1], 0, v2
	v_cndmask_b32_e64 v2, v56, v44, s[0:1]
	v_cndmask_b32_e64 v44, v57, v45, s[0:1]
	v_lshlrev_b32_e32 v45, 30, v53
	v_xor_b32_e32 v3, v45, v3
	v_and_b32_e32 v3, 0x80000000, v3
	v_xor_b32_e32 v3, v44, v3
	v_cndmask_b32_e32 v8, 0, v8, vcc
	v_cndmask_b32_e32 v9, v51, v9, vcc
	v_or_b32_e32 v1, 0x7fe00000, v1
	v_cndmask_b32_e32 v2, 0, v2, vcc
	v_cndmask_b32_e32 v3, v51, v3, vcc
	v_mul_f64 v[8:9], v[0:1], v[8:9]
	v_lshl_add_u32 v21, v10, 20, v49
	v_mul_f64 v[0:1], v[0:1], v[2:3]
	v_mul_f64 v[8:9], v[8:9], v[20:21]
	v_mov_b32_e32 v10, v20
	v_mul_f64 v[0:1], v[0:1], v[20:21]
	v_mul_f64 v[8:9], v[8:9], v[10:11]
	;; [unrolled: 1-line block ×3, first 2 shown]
.LBB138_356:                            ;   in Loop: Header=BB138_201 Depth=1
	s_or_b64 exec, exec, s[76:77]
                                        ; implicit-def: $vgpr0_vgpr1
                                        ; implicit-def: $vgpr21
.LBB138_357:                            ;   in Loop: Header=BB138_201 Depth=1
	s_andn2_saveexec_b64 s[2:3], s[74:75]
	s_cbranch_execz .LBB138_363
; %bb.358:                              ;   in Loop: Header=BB138_201 Depth=1
	v_cmp_ne_u32_e32 vcc, 0, v0
	v_cmp_ne_u32_e64 s[0:1], s83, v21
	s_or_b64 s[0:1], vcc, s[0:1]
	v_add_f64 v[10:11], v[2:3], -v[2:3]
	s_and_saveexec_b64 s[74:75], s[0:1]
	s_xor_b64 s[0:1], exec, s[74:75]
; %bb.359:                              ;   in Loop: Header=BB138_201 Depth=1
                                        ; implicit-def: $vgpr0_vgpr1
; %bb.360:                              ;   in Loop: Header=BB138_201 Depth=1
	s_or_saveexec_b64 s[0:1], s[0:1]
	v_pk_mov_b32 v[8:9], v[10:11], v[10:11] op_sel:[0,1]
	s_xor_b64 exec, exec, s[0:1]
; %bb.361:                              ;   in Loop: Header=BB138_201 Depth=1
	v_cmp_lt_i64_e32 vcc, -1, v[0:1]
	v_cndmask_b32_e32 v9, 0, v1, vcc
	v_cndmask_b32_e32 v8, 0, v0, vcc
	;; [unrolled: 1-line block ×4, first 2 shown]
; %bb.362:                              ;   in Loop: Header=BB138_201 Depth=1
	s_or_b64 exec, exec, s[0:1]
.LBB138_363:                            ;   in Loop: Header=BB138_201 Depth=1
	s_or_b64 exec, exec, s[2:3]
                                        ; implicit-def: $vgpr2_vgpr3
.LBB138_364:                            ;   in Loop: Header=BB138_201 Depth=1
	s_andn2_saveexec_b64 s[2:3], s[72:73]
	s_cbranch_execz .LBB138_374
; %bb.365:                              ;   in Loop: Header=BB138_201 Depth=1
	v_cmp_nlt_f64_e64 s[72:73], |v[2:3]|, s[6:7]
                                        ; implicit-def: $vgpr46
                                        ; implicit-def: $vgpr0_vgpr1
                                        ; implicit-def: $vgpr8_vgpr9
	s_and_saveexec_b64 s[0:1], s[72:73]
	s_xor_b64 s[74:75], exec, s[0:1]
	s_cbranch_execz .LBB138_367
; %bb.366:                              ;   in Loop: Header=BB138_201 Depth=1
	v_and_b32_e32 v21, 0x7fffffff, v3
	v_ldexp_f64 v[10:11], |v[2:3]|, s85
	v_cmp_ge_f64_e64 vcc, |v[2:3]|, s[8:9]
	v_trig_preop_f64 v[0:1], |v[2:3]|, 0
	v_cndmask_b32_e32 v11, v21, v11, vcc
	v_cndmask_b32_e32 v10, v2, v10, vcc
	v_trig_preop_f64 v[8:9], |v[2:3]|, 1
	v_mul_f64 v[46:47], v[0:1], v[10:11]
	v_mul_f64 v[44:45], v[8:9], v[10:11]
	v_fma_f64 v[0:1], v[0:1], v[10:11], -v[46:47]
	v_add_f64 v[52:53], v[44:45], v[0:1]
	v_add_f64 v[54:55], v[46:47], v[52:53]
	v_ldexp_f64 v[56:57], v[54:55], -2
	v_fract_f64_e32 v[58:59], v[56:57]
	v_cmp_neq_f64_e64 vcc, |v[56:57]|, s[10:11]
	v_cndmask_b32_e32 v57, 0, v59, vcc
	v_cndmask_b32_e32 v56, 0, v58, vcc
	v_add_f64 v[58:59], v[52:53], -v[44:45]
	v_add_f64 v[0:1], v[0:1], -v[58:59]
	;; [unrolled: 1-line block ×4, first 2 shown]
	v_fma_f64 v[8:9], v[8:9], v[10:11], -v[44:45]
	v_trig_preop_f64 v[44:45], |v[2:3]|, 2
	v_add_f64 v[0:1], v[0:1], v[58:59]
	v_mul_f64 v[58:59], v[44:45], v[10:11]
	v_add_f64 v[60:61], v[58:59], v[8:9]
	v_add_f64 v[62:63], v[60:61], v[0:1]
	v_add_f64 v[46:47], v[54:55], -v[46:47]
	v_add_f64 v[54:55], v[62:63], -v[60:61]
	;; [unrolled: 1-line block ×5, first 2 shown]
	v_add_f64 v[0:1], v[0:1], v[54:55]
	v_add_f64 v[54:55], v[60:61], -v[58:59]
	v_add_f64 v[8:9], v[8:9], -v[54:55]
	;; [unrolled: 1-line block ×4, first 2 shown]
	v_add_f64 v[8:9], v[8:9], v[54:55]
	v_add_f64 v[46:47], v[52:53], -v[46:47]
	v_add_f64 v[0:1], v[8:9], v[0:1]
	v_fma_f64 v[8:9], v[44:45], v[10:11], -v[58:59]
	v_add_f64 v[52:53], v[46:47], v[62:63]
	v_add_f64 v[0:1], v[8:9], v[0:1]
	v_ldexp_f64 v[8:9], v[56:57], 2
	v_add_f64 v[10:11], v[52:53], v[8:9]
	v_cmp_gt_f64_e32 vcc, 0, v[10:11]
	v_cndmask_b32_e32 v21, 0, v48, vcc
	v_add_f64 v[8:9], v[8:9], v[20:21]
	v_add_f64 v[10:11], v[52:53], v[8:9]
	v_cvt_i32_f64_e32 v21, v[10:11]
	v_cvt_f64_i32_e32 v[10:11], v21
	v_add_f64 v[8:9], v[8:9], -v[10:11]
	v_add_f64 v[46:47], v[52:53], -v[46:47]
	v_add_f64 v[10:11], v[52:53], v[8:9]
	v_add_f64 v[46:47], v[62:63], -v[46:47]
	v_add_f64 v[8:9], v[10:11], -v[8:9]
	v_cmp_le_f64_e32 vcc, 0.5, v[10:11]
	v_add_f64 v[0:1], v[46:47], v[0:1]
	v_add_f64 v[8:9], v[52:53], -v[8:9]
	v_addc_co_u32_e64 v46, s[0:1], 0, v21, vcc
	v_cndmask_b32_e32 v21, 0, v49, vcc
	v_add_f64 v[0:1], v[0:1], v[8:9]
	v_add_f64 v[8:9], v[10:11], -v[20:21]
	v_add_f64 v[10:11], v[8:9], v[0:1]
	v_add_f64 v[8:9], v[10:11], -v[8:9]
	s_mov_b32 s12, s16
	v_add_f64 v[0:1], v[0:1], -v[8:9]
	v_mul_f64 v[8:9], v[10:11], s[12:13]
	v_fma_f64 v[44:45], v[10:11], s[12:13], -v[8:9]
	s_mov_b32 s21, s19
	v_fmac_f64_e32 v[44:45], s[20:21], v[10:11]
	v_fmac_f64_e32 v[44:45], s[12:13], v[0:1]
	v_add_f64 v[0:1], v[8:9], v[44:45]
	v_add_f64 v[8:9], v[0:1], -v[8:9]
	v_add_f64 v[8:9], v[44:45], -v[8:9]
	s_andn2_saveexec_b64 s[0:1], s[74:75]
	s_cbranch_execz .LBB138_369
	s_branch .LBB138_368
.LBB138_367:                            ;   in Loop: Header=BB138_201 Depth=1
	s_andn2_saveexec_b64 s[0:1], s[74:75]
	s_cbranch_execz .LBB138_369
.LBB138_368:                            ;   in Loop: Header=BB138_201 Depth=1
	v_mul_f64 v[0:1], |v[2:3]|, s[22:23]
	v_rndne_f64_e32 v[10:11], v[0:1]
	v_fma_f64 v[0:1], v[10:11], s[16:17], |v[2:3]|
	v_mul_f64 v[44:45], v[10:11], s[24:25]
	v_add_f64 v[52:53], v[0:1], v[44:45]
	v_fma_f64 v[8:9], s[24:25], v[10:11], v[0:1]
	s_mov_b32 s18, s24
	v_add_f64 v[0:1], v[0:1], -v[52:53]
	v_fma_f64 v[46:47], s[18:19], v[10:11], v[44:45]
	v_add_f64 v[0:1], v[0:1], v[44:45]
	v_add_f64 v[44:45], v[52:53], -v[8:9]
	v_add_f64 v[0:1], v[44:45], v[0:1]
	v_add_f64 v[44:45], v[0:1], -v[46:47]
	v_fmac_f64_e32 v[44:45], s[26:27], v[10:11]
	v_add_f64 v[0:1], v[8:9], v[44:45]
	v_add_f64 v[8:9], v[0:1], -v[8:9]
	v_add_f64 v[8:9], v[44:45], -v[8:9]
	v_cvt_i32_f64_e32 v46, v[10:11]
.LBB138_369:                            ;   in Loop: Header=BB138_201 Depth=1
	s_or_b64 exec, exec, s[0:1]
                                        ; implicit-def: $vgpr47
                                        ; implicit-def: $vgpr10_vgpr11
                                        ; implicit-def: $vgpr44_vgpr45
	s_and_saveexec_b64 s[0:1], s[72:73]
	s_xor_b64 s[72:73], exec, s[0:1]
	s_cbranch_execz .LBB138_371
; %bb.370:                              ;   in Loop: Header=BB138_201 Depth=1
	v_and_b32_e32 v21, 0x7fffffff, v3
	v_ldexp_f64 v[52:53], |v[2:3]|, s85
	v_cmp_ge_f64_e64 vcc, |v[2:3]|, s[8:9]
	v_trig_preop_f64 v[10:11], |v[2:3]|, 0
	v_cndmask_b32_e32 v53, v21, v53, vcc
	v_cndmask_b32_e32 v52, v2, v52, vcc
	v_trig_preop_f64 v[44:45], |v[2:3]|, 1
	v_mul_f64 v[56:57], v[10:11], v[52:53]
	v_mul_f64 v[54:55], v[44:45], v[52:53]
	v_fma_f64 v[10:11], v[10:11], v[52:53], -v[56:57]
	v_add_f64 v[58:59], v[54:55], v[10:11]
	v_add_f64 v[60:61], v[56:57], v[58:59]
	v_ldexp_f64 v[62:63], v[60:61], -2
	v_fract_f64_e32 v[64:65], v[62:63]
	v_cmp_neq_f64_e64 vcc, |v[62:63]|, s[10:11]
	v_cndmask_b32_e32 v63, 0, v65, vcc
	v_cndmask_b32_e32 v62, 0, v64, vcc
	v_add_f64 v[64:65], v[58:59], -v[54:55]
	v_add_f64 v[10:11], v[10:11], -v[64:65]
	;; [unrolled: 1-line block ×4, first 2 shown]
	v_fma_f64 v[44:45], v[44:45], v[52:53], -v[54:55]
	v_trig_preop_f64 v[54:55], |v[2:3]|, 2
	v_add_f64 v[10:11], v[10:11], v[64:65]
	v_mul_f64 v[64:65], v[54:55], v[52:53]
	v_add_f64 v[66:67], v[64:65], v[44:45]
	v_add_f64 v[68:69], v[66:67], v[10:11]
	v_add_f64 v[56:57], v[60:61], -v[56:57]
	v_add_f64 v[60:61], v[68:69], -v[66:67]
	;; [unrolled: 1-line block ×5, first 2 shown]
	v_add_f64 v[10:11], v[10:11], v[60:61]
	v_add_f64 v[60:61], v[66:67], -v[64:65]
	v_add_f64 v[44:45], v[44:45], -v[60:61]
	;; [unrolled: 1-line block ×4, first 2 shown]
	v_add_f64 v[44:45], v[44:45], v[60:61]
	v_add_f64 v[56:57], v[58:59], -v[56:57]
	v_add_f64 v[10:11], v[44:45], v[10:11]
	v_fma_f64 v[44:45], v[54:55], v[52:53], -v[64:65]
	v_add_f64 v[58:59], v[56:57], v[68:69]
	v_add_f64 v[10:11], v[44:45], v[10:11]
	v_ldexp_f64 v[44:45], v[62:63], 2
	v_add_f64 v[52:53], v[58:59], v[44:45]
	v_cmp_gt_f64_e32 vcc, 0, v[52:53]
	v_cndmask_b32_e32 v21, 0, v48, vcc
	v_add_f64 v[44:45], v[44:45], v[20:21]
	v_add_f64 v[52:53], v[58:59], v[44:45]
	v_cvt_i32_f64_e32 v21, v[52:53]
	v_cvt_f64_i32_e32 v[52:53], v21
	v_add_f64 v[44:45], v[44:45], -v[52:53]
	v_add_f64 v[56:57], v[58:59], -v[56:57]
	v_add_f64 v[52:53], v[58:59], v[44:45]
	v_add_f64 v[56:57], v[68:69], -v[56:57]
	v_add_f64 v[44:45], v[52:53], -v[44:45]
	v_cmp_le_f64_e32 vcc, 0.5, v[52:53]
	v_add_f64 v[10:11], v[56:57], v[10:11]
	v_add_f64 v[44:45], v[58:59], -v[44:45]
	v_addc_co_u32_e64 v47, s[0:1], 0, v21, vcc
	v_cndmask_b32_e32 v21, 0, v49, vcc
	v_add_f64 v[10:11], v[10:11], v[44:45]
	v_add_f64 v[44:45], v[52:53], -v[20:21]
	v_add_f64 v[52:53], v[44:45], v[10:11]
	v_add_f64 v[44:45], v[52:53], -v[44:45]
	s_mov_b32 s12, s16
	v_add_f64 v[10:11], v[10:11], -v[44:45]
	v_mul_f64 v[44:45], v[52:53], s[12:13]
	v_fma_f64 v[54:55], v[52:53], s[12:13], -v[44:45]
	s_mov_b32 s21, s19
	v_fmac_f64_e32 v[54:55], s[20:21], v[52:53]
	v_fmac_f64_e32 v[54:55], s[12:13], v[10:11]
	v_add_f64 v[10:11], v[44:45], v[54:55]
	v_add_f64 v[44:45], v[10:11], -v[44:45]
	v_add_f64 v[44:45], v[54:55], -v[44:45]
	s_andn2_saveexec_b64 s[0:1], s[72:73]
	s_cbranch_execnz .LBB138_372
	s_branch .LBB138_373
.LBB138_371:                            ;   in Loop: Header=BB138_201 Depth=1
	s_andn2_saveexec_b64 s[0:1], s[72:73]
	s_cbranch_execz .LBB138_373
.LBB138_372:                            ;   in Loop: Header=BB138_201 Depth=1
	v_mul_f64 v[10:11], |v[2:3]|, s[22:23]
	v_rndne_f64_e32 v[52:53], v[10:11]
	v_fma_f64 v[10:11], v[52:53], s[16:17], |v[2:3]|
	v_mul_f64 v[54:55], v[52:53], s[24:25]
	v_add_f64 v[58:59], v[10:11], v[54:55]
	v_fma_f64 v[44:45], s[24:25], v[52:53], v[10:11]
	s_mov_b32 s18, s24
	v_add_f64 v[10:11], v[10:11], -v[58:59]
	v_fma_f64 v[56:57], s[18:19], v[52:53], v[54:55]
	v_add_f64 v[10:11], v[10:11], v[54:55]
	v_add_f64 v[54:55], v[58:59], -v[44:45]
	v_add_f64 v[10:11], v[54:55], v[10:11]
	v_add_f64 v[54:55], v[10:11], -v[56:57]
	v_fmac_f64_e32 v[54:55], s[26:27], v[52:53]
	v_add_f64 v[10:11], v[44:45], v[54:55]
	v_add_f64 v[44:45], v[10:11], -v[44:45]
	v_add_f64 v[44:45], v[54:55], -v[44:45]
	v_cvt_i32_f64_e32 v47, v[52:53]
.LBB138_373:                            ;   in Loop: Header=BB138_201 Depth=1
	s_or_b64 exec, exec, s[0:1]
	v_mul_f64 v[52:53], v[0:1], v[0:1]
	v_pk_mov_b32 v[60:61], s[46:47], s[46:47] op_sel:[0,1]
	v_mul_f64 v[54:55], v[52:53], 0.5
	v_fma_f64 v[62:63], s[48:49], v[52:53], v[60:61]
	v_add_f64 v[56:57], -v[54:55], 1.0
	v_fma_f64 v[62:63], v[52:53], v[62:63], s[50:51]
	v_add_f64 v[58:59], -v[56:57], 1.0
	v_fma_f64 v[62:63], v[52:53], v[62:63], s[52:53]
	v_add_f64 v[54:55], v[58:59], -v[54:55]
	v_fma_f64 v[62:63], v[52:53], v[62:63], s[54:55]
	v_mul_f64 v[58:59], v[52:53], v[52:53]
	v_fma_f64 v[62:63], v[52:53], v[62:63], s[40:41]
	v_fma_f64 v[54:55], v[0:1], -v[8:9], v[54:55]
	v_fmac_f64_e32 v[54:55], v[58:59], v[62:63]
	v_add_f64 v[54:55], v[56:57], v[54:55]
	v_pk_mov_b32 v[56:57], s[56:57], s[56:57] op_sel:[0,1]
	v_fma_f64 v[58:59], s[58:59], v[52:53], v[56:57]
	v_fma_f64 v[58:59], v[52:53], v[58:59], s[60:61]
	;; [unrolled: 1-line block ×4, first 2 shown]
	v_mul_f64 v[62:63], v[0:1], -v[52:53]
	v_mul_f64 v[64:65], v[8:9], 0.5
	v_fmac_f64_e32 v[64:65], v[62:63], v[58:59]
	v_fma_f64 v[8:9], v[52:53], v[64:65], -v[8:9]
	s_mov_b32 s64, s40
	v_fmac_f64_e32 v[8:9], s[64:65], v[62:63]
	v_add_f64 v[0:1], v[0:1], -v[8:9]
	v_and_b32_e32 v8, 1, v46
	v_xor_b32_e32 v1, 0x80000000, v1
	v_cmp_eq_u32_e32 vcc, 0, v8
	v_lshlrev_b32_e32 v8, 30, v46
	v_cndmask_b32_e32 v1, v1, v55, vcc
	v_and_b32_e32 v8, 0x80000000, v8
	v_cndmask_b32_e32 v0, v0, v54, vcc
	v_xor_b32_e32 v1, v1, v8
	v_cmp_class_f64_e64 vcc, v[2:3], s86
	v_cndmask_b32_e32 v8, 0, v0, vcc
	v_cndmask_b32_e32 v9, v51, v1, vcc
	v_mul_f64 v[0:1], v[10:11], v[10:11]
	v_mul_f64 v[52:53], v[0:1], 0.5
	v_fmac_f64_e32 v[60:61], s[48:49], v[0:1]
	v_add_f64 v[54:55], -v[52:53], 1.0
	v_fma_f64 v[60:61], v[0:1], v[60:61], s[50:51]
	v_add_f64 v[58:59], -v[54:55], 1.0
	v_fma_f64 v[60:61], v[0:1], v[60:61], s[52:53]
	v_add_f64 v[52:53], v[58:59], -v[52:53]
	v_fma_f64 v[60:61], v[0:1], v[60:61], s[54:55]
	v_mul_f64 v[58:59], v[0:1], v[0:1]
	v_fma_f64 v[60:61], v[0:1], v[60:61], s[40:41]
	v_fma_f64 v[52:53], v[10:11], -v[44:45], v[52:53]
	v_fmac_f64_e32 v[52:53], v[58:59], v[60:61]
	v_fmac_f64_e32 v[56:57], s[58:59], v[0:1]
	v_add_f64 v[52:53], v[54:55], v[52:53]
	v_fma_f64 v[54:55], v[0:1], v[56:57], s[60:61]
	v_fma_f64 v[54:55], v[0:1], v[54:55], s[62:63]
	;; [unrolled: 1-line block ×3, first 2 shown]
	v_mul_f64 v[56:57], v[10:11], -v[0:1]
	v_mul_f64 v[58:59], v[44:45], 0.5
	v_fmac_f64_e32 v[58:59], v[56:57], v[54:55]
	v_fma_f64 v[0:1], v[0:1], v[58:59], -v[44:45]
	v_and_b32_e32 v2, 1, v47
	v_fmac_f64_e32 v[0:1], s[64:65], v[56:57]
	v_cmp_eq_u32_e64 s[0:1], 0, v2
	v_lshlrev_b32_e32 v2, 30, v47
	v_add_f64 v[0:1], v[10:11], -v[0:1]
	v_xor_b32_e32 v2, v2, v3
	v_cndmask_b32_e64 v1, v53, v1, s[0:1]
	v_and_b32_e32 v2, 0x80000000, v2
	v_cndmask_b32_e64 v0, v52, v0, s[0:1]
	v_xor_b32_e32 v1, v1, v2
	v_cndmask_b32_e32 v10, 0, v0, vcc
	v_cndmask_b32_e32 v11, v51, v1, vcc
.LBB138_374:                            ;   in Loop: Header=BB138_201 Depth=1
	s_or_b64 exec, exec, s[2:3]
                                        ; implicit-def: $vgpr0_vgpr1
.LBB138_375:                            ;   in Loop: Header=BB138_201 Depth=1
	s_andn2_saveexec_b64 s[2:3], s[70:71]
	s_cbranch_execz .LBB138_200
; %bb.376:                              ;   in Loop: Header=BB138_201 Depth=1
	v_mul_f64 v[8:9], v[0:1], s[28:29]
	v_rndne_f64_e32 v[8:9], v[8:9]
	v_fma_f64 v[10:11], s[30:31], v[8:9], v[0:1]
	v_fmac_f64_e32 v[10:11], s[34:35], v[8:9]
	v_pk_mov_b32 v[44:45], v[26:27], v[26:27] op_sel:[0,1]
	v_fmac_f64_e32 v[44:45], s[36:37], v[10:11]
	v_pk_mov_b32 v[46:47], v[28:29], v[28:29] op_sel:[0,1]
	;; [unrolled: 2-line block ×9, first 2 shown]
	v_fmac_f64_e32 v[44:45], v[10:11], v[46:47]
	v_fma_f64 v[44:45], v[10:11], v[44:45], 1.0
	v_fma_f64 v[10:11], v[10:11], v[44:45], 1.0
	v_cvt_i32_f64_e32 v8, v[8:9]
	v_ldexp_f64 v[8:9], v[10:11], v8
	v_cmp_nlt_f64_e32 vcc, s[42:43], v[0:1]
	v_cmp_ngt_f64_e64 s[0:1], s[44:45], v[0:1]
	v_cndmask_b32_e32 v9, v50, v9, vcc
	s_and_b64 vcc, s[0:1], vcc
	v_cndmask_b32_e64 v9, 0, v9, s[0:1]
	v_cndmask_b32_e32 v8, 0, v8, vcc
	v_pk_mov_b32 v[10:11], v[2:3], v[2:3] op_sel:[0,1]
	s_branch .LBB138_200
.LBB138_377:
	s_endpgm
	.section	.rodata,"a",@progbits
	.p2align	6, 0x0
	.amdhsa_kernel _ZN2at6native12_GLOBAL__N_125multi_tensor_apply_kernelINS1_18TensorListMetadataILi1EEENS1_14UnaryOpFunctorIN3c107complexIdEELi1ELi1ELi0EEEJNS0_3ExpIS8_EEEEEvT_T0_DpT1_
		.amdhsa_group_segment_fixed_size 0
		.amdhsa_private_segment_fixed_size 0
		.amdhsa_kernarg_size 3632
		.amdhsa_user_sgpr_count 6
		.amdhsa_user_sgpr_private_segment_buffer 1
		.amdhsa_user_sgpr_dispatch_ptr 0
		.amdhsa_user_sgpr_queue_ptr 0
		.amdhsa_user_sgpr_kernarg_segment_ptr 1
		.amdhsa_user_sgpr_dispatch_id 0
		.amdhsa_user_sgpr_flat_scratch_init 0
		.amdhsa_user_sgpr_kernarg_preload_length 0
		.amdhsa_user_sgpr_kernarg_preload_offset 0
		.amdhsa_user_sgpr_private_segment_size 0
		.amdhsa_uses_dynamic_stack 0
		.amdhsa_system_sgpr_private_segment_wavefront_offset 0
		.amdhsa_system_sgpr_workgroup_id_x 1
		.amdhsa_system_sgpr_workgroup_id_y 0
		.amdhsa_system_sgpr_workgroup_id_z 0
		.amdhsa_system_sgpr_workgroup_info 0
		.amdhsa_system_vgpr_workitem_id 0
		.amdhsa_next_free_vgpr 83
		.amdhsa_next_free_sgpr 96
		.amdhsa_accum_offset 84
		.amdhsa_reserve_vcc 1
		.amdhsa_reserve_flat_scratch 0
		.amdhsa_float_round_mode_32 0
		.amdhsa_float_round_mode_16_64 0
		.amdhsa_float_denorm_mode_32 3
		.amdhsa_float_denorm_mode_16_64 3
		.amdhsa_dx10_clamp 1
		.amdhsa_ieee_mode 1
		.amdhsa_fp16_overflow 0
		.amdhsa_tg_split 0
		.amdhsa_exception_fp_ieee_invalid_op 0
		.amdhsa_exception_fp_denorm_src 0
		.amdhsa_exception_fp_ieee_div_zero 0
		.amdhsa_exception_fp_ieee_overflow 0
		.amdhsa_exception_fp_ieee_underflow 0
		.amdhsa_exception_fp_ieee_inexact 0
		.amdhsa_exception_int_div_zero 0
	.end_amdhsa_kernel
	.section	.text._ZN2at6native12_GLOBAL__N_125multi_tensor_apply_kernelINS1_18TensorListMetadataILi1EEENS1_14UnaryOpFunctorIN3c107complexIdEELi1ELi1ELi0EEEJNS0_3ExpIS8_EEEEEvT_T0_DpT1_,"axG",@progbits,_ZN2at6native12_GLOBAL__N_125multi_tensor_apply_kernelINS1_18TensorListMetadataILi1EEENS1_14UnaryOpFunctorIN3c107complexIdEELi1ELi1ELi0EEEJNS0_3ExpIS8_EEEEEvT_T0_DpT1_,comdat
.Lfunc_end138:
	.size	_ZN2at6native12_GLOBAL__N_125multi_tensor_apply_kernelINS1_18TensorListMetadataILi1EEENS1_14UnaryOpFunctorIN3c107complexIdEELi1ELi1ELi0EEEJNS0_3ExpIS8_EEEEEvT_T0_DpT1_, .Lfunc_end138-_ZN2at6native12_GLOBAL__N_125multi_tensor_apply_kernelINS1_18TensorListMetadataILi1EEENS1_14UnaryOpFunctorIN3c107complexIdEELi1ELi1ELi0EEEJNS0_3ExpIS8_EEEEEvT_T0_DpT1_
                                        ; -- End function
	.section	.AMDGPU.csdata,"",@progbits
; Kernel info:
; codeLenInByte = 56796
; NumSgprs: 100
; NumVgprs: 83
; NumAgprs: 0
; TotalNumVgprs: 83
; ScratchSize: 0
; MemoryBound: 1
; FloatMode: 240
; IeeeMode: 1
; LDSByteSize: 0 bytes/workgroup (compile time only)
; SGPRBlocks: 12
; VGPRBlocks: 10
; NumSGPRsForWavesPerEU: 100
; NumVGPRsForWavesPerEU: 83
; AccumOffset: 84
; Occupancy: 5
; WaveLimiterHint : 0
; COMPUTE_PGM_RSRC2:SCRATCH_EN: 0
; COMPUTE_PGM_RSRC2:USER_SGPR: 6
; COMPUTE_PGM_RSRC2:TRAP_HANDLER: 0
; COMPUTE_PGM_RSRC2:TGID_X_EN: 1
; COMPUTE_PGM_RSRC2:TGID_Y_EN: 0
; COMPUTE_PGM_RSRC2:TGID_Z_EN: 0
; COMPUTE_PGM_RSRC2:TIDIG_COMP_CNT: 0
; COMPUTE_PGM_RSRC3_GFX90A:ACCUM_OFFSET: 20
; COMPUTE_PGM_RSRC3_GFX90A:TG_SPLIT: 0
	.section	.text._ZN2at6native12_GLOBAL__N_125multi_tensor_apply_kernelINS1_18TensorListMetadataILi1EEENS1_14UnaryOpFunctorIN3c107complexIfEELi1ELi1ELi0EEEJNS0_3ExpIS8_EEEEEvT_T0_DpT1_,"axG",@progbits,_ZN2at6native12_GLOBAL__N_125multi_tensor_apply_kernelINS1_18TensorListMetadataILi1EEENS1_14UnaryOpFunctorIN3c107complexIfEELi1ELi1ELi0EEEJNS0_3ExpIS8_EEEEEvT_T0_DpT1_,comdat
	.globl	_ZN2at6native12_GLOBAL__N_125multi_tensor_apply_kernelINS1_18TensorListMetadataILi1EEENS1_14UnaryOpFunctorIN3c107complexIfEELi1ELi1ELi0EEEJNS0_3ExpIS8_EEEEEvT_T0_DpT1_ ; -- Begin function _ZN2at6native12_GLOBAL__N_125multi_tensor_apply_kernelINS1_18TensorListMetadataILi1EEENS1_14UnaryOpFunctorIN3c107complexIfEELi1ELi1ELi0EEEJNS0_3ExpIS8_EEEEEvT_T0_DpT1_
	.p2align	8
	.type	_ZN2at6native12_GLOBAL__N_125multi_tensor_apply_kernelINS1_18TensorListMetadataILi1EEENS1_14UnaryOpFunctorIN3c107complexIfEELi1ELi1ELi0EEEJNS0_3ExpIS8_EEEEEvT_T0_DpT1_,@function
_ZN2at6native12_GLOBAL__N_125multi_tensor_apply_kernelINS1_18TensorListMetadataILi1EEENS1_14UnaryOpFunctorIN3c107complexIfEELi1ELi1ELi0EEEJNS0_3ExpIS8_EEEEEvT_T0_DpT1_: ; @_ZN2at6native12_GLOBAL__N_125multi_tensor_apply_kernelINS1_18TensorListMetadataILi1EEENS1_14UnaryOpFunctorIN3c107complexIfEELi1ELi1ELi0EEEJNS0_3ExpIS8_EEEEEvT_T0_DpT1_
; %bb.0:
	v_mov_b32_e32 v1, s6
	global_load_ubyte v1, v1, s[4:5] offset:1760
	s_add_u32 s0, s4, s6
	s_mul_hi_u32 s1, s6, 3
	s_mul_i32 s6, s6, 3
	s_addc_u32 s2, s5, 0
	s_add_u32 s0, s0, s6
	s_addc_u32 s1, s2, s1
	s_load_dword s0, s[0:1], 0x820
	s_mov_b32 s7, 0
	s_waitcnt vmcnt(0)
	v_readfirstlane_b32 s1, v1
	s_lshl_b32 s1, s1, 3
	s_load_dwordx2 s[18:19], s[4:5], s1 offset:0x0
	s_load_dwordx2 s[2:3], s[4:5], s1 offset:0x370
	s_waitcnt lgkmcnt(0)
	s_ashr_i32 s1, s0, 31
	s_lshl_b64 s[20:21], s[0:1], 19
	s_add_u32 s33, s18, s20
	s_addc_u32 s40, s19, s21
	s_lshl_b64 s[0:1], s[0:1], 16
	s_and_b32 s6, s33, 31
	s_sub_u32 s16, s2, s0
	s_subb_u32 s17, s3, s1
	s_and_b32 s0, s2, 3
	s_mov_b32 s1, s7
	s_or_b64 s[0:1], s[6:7], s[0:1]
	s_cmp_eq_u64 s[0:1], 0
	s_cbranch_scc1 .LBB139_197
; %bb.1:
	v_cmp_lt_i64_e64 s[0:1], s[16:17], 1
	s_and_b64 vcc, exec, s[0:1]
	s_cbranch_vccnz .LBB139_196
; %bb.2:
	s_load_dword s0, s[4:5], 0xd3c
	v_mov_b32_e32 v4, 0x10000
	v_mov_b32_e32 v5, 0
	;; [unrolled: 1-line block ×3, first 2 shown]
	v_cmp_lt_u64_e32 vcc, s[16:17], v[4:5]
	s_waitcnt lgkmcnt(0)
	s_and_b32 s2, s0, 0xffff
	s_mul_i32 s6, s2, 3
	s_and_b64 s[0:1], vcc, exec
	v_lshlrev_b32_e32 v4, 3, v0
	v_mov_b32_e32 v5, v3
	v_add_co_u32_e32 v1, vcc, s6, v0
	v_mad_u64_u32 v[6:7], s[0:1], s2, 24, v[4:5]
	v_addc_co_u32_e64 v5, s[0:1], 0, 0, vcc
	s_cselect_b32 s23, s17, 0
	s_cselect_b32 s22, s16, 0x10000
	s_lshl_b32 s0, s2, 4
	s_lshl_b32 s3, s2, 1
	v_add_co_u32_e32 v9, vcc, s0, v4
	v_addc_co_u32_e64 v20, s[0:1], 0, 0, vcc
	v_add_co_u32_e32 v21, vcc, s3, v0
	v_addc_co_u32_e64 v22, s[0:1], 0, 0, vcc
	v_add_co_u32_e32 v23, vcc, s2, v0
	s_lshl_b32 s41, s2, 2
	s_lshl_b32 s42, s2, 5
	v_addc_co_u32_e64 v24, s[0:1], 0, 0, vcc
	v_lshlrev_b32_e32 v8, 3, v23
	s_mov_b64 s[24:25], 0
	s_mov_b32 s43, 0x7f800000
	s_mov_b32 s44, 0x8e8e5c
	s_brev_b32 s45, 18
	s_mov_b32 s46, 0xfe5163ab
	s_mov_b32 s47, 0x3c439041
	;; [unrolled: 1-line block ×13, first 2 shown]
	v_mov_b32_e32 v25, 0xbe2aaa9d
	v_mov_b32_e32 v26, 0x3d2aabf7
	;; [unrolled: 1-line block ×3, first 2 shown]
	s_brev_b32 s59, 1
	s_movk_i32 s60, 0x1f8
	v_not_b32_e32 v28, 63
	v_not_b32_e32 v29, 31
	v_mov_b32_e32 v30, 0x7f800000
	v_mov_b32_e32 v31, 0x7fc00000
	s_branch .LBB139_4
.LBB139_3:                              ;   in Loop: Header=BB139_4 Depth=1
	s_or_b64 exec, exec, s[0:1]
	s_add_u32 s24, s24, s41
	s_addc_u32 s25, s25, 0
	v_pk_mov_b32 v[10:11], s[16:17], s[16:17] op_sel:[0,1]
	v_cmp_ge_i64_e32 vcc, s[24:25], v[10:11]
	v_mov_b32_e32 v10, 0xffff
	v_mov_b32_e32 v11, 0
	v_cmp_gt_u64_e64 s[0:1], s[24:25], v[10:11]
	s_or_b64 s[0:1], vcc, s[0:1]
	s_add_u32 s33, s33, s42
	s_addc_u32 s40, s40, 0
	s_and_b64 vcc, exec, s[0:1]
	s_cbranch_vccnz .LBB139_196
.LBB139_4:                              ; =>This Inner Loop Header: Depth=1
	v_mov_b32_e32 v2, s25
	v_add_co_u32_e32 v10, vcc, s24, v0
	v_addc_co_u32_e32 v11, vcc, 0, v2, vcc
	v_cmp_gt_u64_e32 vcc, s[22:23], v[10:11]
	v_mov_b32_e32 v16, 0
	v_mov_b32_e32 v17, 0
	s_and_saveexec_b64 s[2:3], vcc
	s_cbranch_execz .LBB139_6
; %bb.5:                                ;   in Loop: Header=BB139_4 Depth=1
	v_mov_b32_e32 v2, s40
	v_add_co_u32_e64 v10, s[0:1], s33, v4
	v_addc_co_u32_e64 v11, s[0:1], 0, v2, s[0:1]
	global_load_dwordx2 v[16:17], v[10:11], off
.LBB139_6:                              ;   in Loop: Header=BB139_4 Depth=1
	s_or_b64 exec, exec, s[2:3]
	v_mov_b32_e32 v2, s25
	v_add_co_u32_e64 v10, s[0:1], s24, v23
	v_addc_co_u32_e64 v11, s[0:1], v24, v2, s[0:1]
	v_cmp_gt_u64_e64 s[0:1], s[22:23], v[10:11]
	v_mov_b32_e32 v14, 0
	v_mov_b32_e32 v18, 0
	;; [unrolled: 1-line block ×3, first 2 shown]
	s_and_saveexec_b64 s[6:7], s[0:1]
	s_cbranch_execz .LBB139_8
; %bb.7:                                ;   in Loop: Header=BB139_4 Depth=1
	v_mov_b32_e32 v2, s40
	v_add_co_u32_e64 v10, s[2:3], s33, v8
	v_addc_co_u32_e64 v11, s[2:3], 0, v2, s[2:3]
	global_load_dwordx2 v[18:19], v[10:11], off
.LBB139_8:                              ;   in Loop: Header=BB139_4 Depth=1
	s_or_b64 exec, exec, s[6:7]
	v_mov_b32_e32 v2, s25
	v_add_co_u32_e64 v10, s[2:3], s24, v21
	v_addc_co_u32_e64 v11, s[2:3], v22, v2, s[2:3]
	v_cmp_gt_u64_e64 s[2:3], s[22:23], v[10:11]
	v_mov_b32_e32 v15, 0
	s_and_saveexec_b64 s[8:9], s[2:3]
	s_cbranch_execz .LBB139_10
; %bb.9:                                ;   in Loop: Header=BB139_4 Depth=1
	v_mov_b32_e32 v2, s40
	v_add_co_u32_e64 v10, s[6:7], s33, v9
	v_addc_co_u32_e64 v11, s[6:7], v2, v20, s[6:7]
	global_load_dwordx2 v[14:15], v[10:11], off
.LBB139_10:                             ;   in Loop: Header=BB139_4 Depth=1
	s_or_b64 exec, exec, s[8:9]
	v_mov_b32_e32 v2, s25
	v_add_co_u32_e64 v10, s[6:7], s24, v1
	v_addc_co_u32_e64 v11, s[6:7], v5, v2, s[6:7]
	v_cmp_gt_u64_e64 s[6:7], s[22:23], v[10:11]
	v_mov_b32_e32 v10, 0
	v_mov_b32_e32 v11, 0
	s_and_saveexec_b64 s[10:11], s[6:7]
	s_cbranch_execz .LBB139_12
; %bb.11:                               ;   in Loop: Header=BB139_4 Depth=1
	v_mov_b32_e32 v2, s40
	v_add_co_u32_e64 v10, s[8:9], s33, v6
	v_addc_co_u32_e64 v11, s[8:9], v2, v7, s[8:9]
	global_load_dwordx2 v[10:11], v[10:11], off
.LBB139_12:                             ;   in Loop: Header=BB139_4 Depth=1
	s_or_b64 exec, exec, s[10:11]
	s_waitcnt vmcnt(0)
	v_and_b32_e32 v32, 0x7fffffff, v17
	v_cmp_ne_u32_e64 s[8:9], 0, v32
                                        ; implicit-def: $vgpr13
	s_and_saveexec_b64 s[10:11], s[8:9]
	s_xor_b64 s[26:27], exec, s[10:11]
	s_cbranch_execz .LBB139_54
; %bb.13:                               ;   in Loop: Header=BB139_4 Depth=1
	v_and_b32_e32 v2, 0x7fffffff, v16
	v_cmp_ne_u32_e64 s[8:9], 0, v2
                                        ; implicit-def: $vgpr13
	s_and_saveexec_b64 s[10:11], s[8:9]
	s_xor_b64 s[28:29], exec, s[10:11]
	s_cbranch_execz .LBB139_43
; %bb.14:                               ;   in Loop: Header=BB139_4 Depth=1
	v_cmp_gt_u32_e64 s[8:9], s43, v32
                                        ; implicit-def: $vgpr13
	s_and_saveexec_b64 s[10:11], s[8:9]
	s_xor_b64 s[30:31], exec, s[10:11]
	s_cbranch_execz .LBB139_36
; %bb.15:                               ;   in Loop: Header=BB139_4 Depth=1
	v_add_u32_e32 v2, 0xbd4e8de8, v16
	v_cmp_lt_u32_e64 s[8:9], s44, v2
                                        ; implicit-def: $vgpr13
	s_and_saveexec_b64 s[10:11], s[8:9]
	s_xor_b64 s[34:35], exec, s[10:11]
	s_cbranch_execz .LBB139_25
; %bb.16:                               ;   in Loop: Header=BB139_4 Depth=1
	v_cmp_nlt_f32_e64 s[36:37], |v17|, s45
                                        ; implicit-def: $vgpr12
                                        ; implicit-def: $vgpr13
	s_and_saveexec_b64 s[8:9], s[36:37]
	s_xor_b64 s[38:39], exec, s[8:9]
	s_cbranch_execz .LBB139_18
; %bb.17:                               ;   in Loop: Header=BB139_4 Depth=1
	v_lshrrev_b32_e32 v2, 23, v32
	v_add_u32_e32 v2, 0xffffff88, v2
	v_cmp_lt_u32_e64 s[8:9], 63, v2
	v_cndmask_b32_e64 v12, 0, v28, s[8:9]
	v_add_u32_e32 v2, v12, v2
	v_cmp_lt_u32_e64 s[10:11], 31, v2
	v_cndmask_b32_e64 v12, 0, v29, s[10:11]
	;; [unrolled: 3-line block ×3, first 2 shown]
	v_add_u32_e32 v33, v12, v2
	v_and_b32_e32 v2, 0x7fffff, v32
	v_or_b32_e32 v44, 0x800000, v2
	v_mad_u64_u32 v[12:13], s[14:15], v44, s46, 0
	v_mov_b32_e32 v2, v13
	v_mad_u64_u32 v[34:35], s[14:15], v44, s47, v[2:3]
	v_mov_b32_e32 v2, v35
	v_mad_u64_u32 v[36:37], s[14:15], v44, s48, v[2:3]
	v_mov_b32_e32 v2, v37
	v_mad_u64_u32 v[38:39], s[14:15], v44, s49, v[2:3]
	v_mov_b32_e32 v2, v39
	v_mad_u64_u32 v[40:41], s[14:15], v44, s50, v[2:3]
	v_mov_b32_e32 v2, v41
	v_mad_u64_u32 v[42:43], s[14:15], v44, s51, v[2:3]
	v_mov_b32_e32 v2, v43
	v_mad_u64_u32 v[44:45], s[14:15], v44, s52, v[2:3]
	v_cndmask_b32_e64 v13, v42, v38, s[8:9]
	v_cndmask_b32_e64 v2, v44, v40, s[8:9]
	;; [unrolled: 1-line block ×7, first 2 shown]
	v_sub_u32_e32 v39, 32, v33
	v_cmp_eq_u32_e64 s[14:15], 0, v33
	v_cndmask_b32_e64 v33, v38, v34, s[8:9]
	v_cndmask_b32_e64 v2, v2, v35, s[12:13]
	;; [unrolled: 1-line block ×4, first 2 shown]
	v_alignbit_b32 v40, v2, v35, v39
	v_cndmask_b32_e64 v13, v13, v34, s[12:13]
	v_cndmask_b32_e64 v2, v40, v2, s[14:15]
	v_alignbit_b32 v37, v35, v13, v39
	v_cndmask_b32_e64 v35, v37, v35, s[14:15]
	v_bfe_u32 v40, v2, 29, 1
	v_cndmask_b32_e64 v12, v36, v12, s[8:9]
	v_alignbit_b32 v37, v2, v35, 30
	v_sub_u32_e32 v41, 0, v40
	v_cndmask_b32_e64 v12, v33, v12, s[10:11]
	v_xor_b32_e32 v42, v37, v41
	v_cndmask_b32_e64 v12, v34, v12, s[12:13]
	v_alignbit_b32 v33, v13, v12, v39
	v_ffbh_u32_e32 v34, v42
	v_cndmask_b32_e64 v13, v33, v13, s[14:15]
	v_add_u32_e32 v34, 1, v34
	v_cmp_ne_u32_e64 s[8:9], v37, v41
	v_alignbit_b32 v33, v35, v13, 30
	v_cndmask_b32_e64 v34, 33, v34, s[8:9]
	v_alignbit_b32 v12, v13, v12, 30
	v_xor_b32_e32 v33, v33, v41
	v_sub_u32_e32 v35, 32, v34
	v_xor_b32_e32 v12, v12, v41
	v_alignbit_b32 v36, v42, v33, v35
	v_alignbit_b32 v12, v33, v12, v35
	;; [unrolled: 1-line block ×3, first 2 shown]
	v_ffbh_u32_e32 v33, v13
	v_min_u32_e32 v33, 32, v33
	v_lshrrev_b32_e32 v38, 29, v2
	v_sub_u32_e32 v35, 31, v33
	v_alignbit_b32 v12, v13, v12, v35
	v_lshlrev_b32_e32 v13, 31, v38
	v_or_b32_e32 v35, 0x33800000, v13
	v_add_lshl_u32 v33, v33, v34, 23
	v_lshrrev_b32_e32 v12, 9, v12
	v_sub_u32_e32 v33, v35, v33
	v_or_b32_e32 v12, v33, v12
	v_alignbit_b32 v33, v34, v36, 9
	v_or_b32_e32 v13, v33, v13
	v_xor_b32_e32 v13, 1.0, v13
	v_mul_f32_e32 v33, 0x3fc90fda, v13
	v_fma_f32 v34, v13, s53, -v33
	v_fmac_f32_e32 v34, 0x33a22168, v13
	v_fmac_f32_e32 v34, 0x3fc90fda, v12
	v_lshrrev_b32_e32 v2, 30, v2
	v_add_f32_e32 v13, v33, v34
	v_add_u32_e32 v12, v40, v2
	s_andn2_saveexec_b64 s[8:9], s[38:39]
	s_branch .LBB139_19
.LBB139_18:                             ;   in Loop: Header=BB139_4 Depth=1
	s_andn2_saveexec_b64 s[8:9], s[38:39]
.LBB139_19:                             ;   in Loop: Header=BB139_4 Depth=1
	v_mul_f32_e64 v2, |v17|, s54
	v_rndne_f32_e32 v2, v2
	v_cvt_i32_f32_e32 v12, v2
	v_fma_f32 v13, v2, s55, |v17|
	v_fmac_f32_e32 v13, 0xb3a22168, v2
	v_fmac_f32_e32 v13, 0xa7c234c4, v2
; %bb.20:                               ;   in Loop: Header=BB139_4 Depth=1
	s_or_b64 exec, exec, s[8:9]
                                        ; implicit-def: $vgpr2
                                        ; implicit-def: $vgpr33
	s_and_saveexec_b64 s[8:9], s[36:37]
	s_xor_b64 s[36:37], exec, s[8:9]
	s_cbranch_execz .LBB139_22
; %bb.21:                               ;   in Loop: Header=BB139_4 Depth=1
	v_lshrrev_b32_e32 v2, 23, v32
	v_add_u32_e32 v2, 0xffffff88, v2
	v_cmp_lt_u32_e64 s[8:9], 63, v2
	v_cndmask_b32_e64 v33, 0, v28, s[8:9]
	v_add_u32_e32 v2, v33, v2
	v_cmp_lt_u32_e64 s[10:11], 31, v2
	v_cndmask_b32_e64 v33, 0, v29, s[10:11]
	;; [unrolled: 3-line block ×3, first 2 shown]
	v_add_u32_e32 v33, v33, v2
	v_and_b32_e32 v2, 0x7fffff, v32
	v_or_b32_e32 v46, 0x800000, v2
	v_mad_u64_u32 v[34:35], s[14:15], v46, s46, 0
	v_mov_b32_e32 v2, v35
	v_mad_u64_u32 v[36:37], s[14:15], v46, s47, v[2:3]
	v_mov_b32_e32 v2, v37
	;; [unrolled: 2-line block ×6, first 2 shown]
	v_mad_u64_u32 v[46:47], s[14:15], v46, s52, v[2:3]
	v_cndmask_b32_e64 v35, v44, v40, s[8:9]
	v_cndmask_b32_e64 v2, v46, v42, s[8:9]
	;; [unrolled: 1-line block ×7, first 2 shown]
	v_sub_u32_e32 v41, 32, v33
	v_cmp_eq_u32_e64 s[14:15], 0, v33
	v_cndmask_b32_e64 v33, v40, v36, s[8:9]
	v_cndmask_b32_e64 v2, v2, v37, s[12:13]
	;; [unrolled: 1-line block ×4, first 2 shown]
	v_alignbit_b32 v42, v2, v37, v41
	v_cndmask_b32_e64 v35, v35, v36, s[12:13]
	v_cndmask_b32_e64 v2, v42, v2, s[14:15]
	v_alignbit_b32 v39, v37, v35, v41
	v_cndmask_b32_e64 v37, v39, v37, s[14:15]
	v_bfe_u32 v42, v2, 29, 1
	v_cndmask_b32_e64 v34, v38, v34, s[8:9]
	v_alignbit_b32 v39, v2, v37, 30
	v_sub_u32_e32 v43, 0, v42
	v_cndmask_b32_e64 v33, v33, v34, s[10:11]
	v_xor_b32_e32 v44, v39, v43
	v_cndmask_b32_e64 v33, v36, v33, s[12:13]
	v_alignbit_b32 v34, v35, v33, v41
	v_ffbh_u32_e32 v36, v44
	v_cndmask_b32_e64 v34, v34, v35, s[14:15]
	v_add_u32_e32 v36, 1, v36
	v_cmp_ne_u32_e64 s[8:9], v39, v43
	v_alignbit_b32 v35, v37, v34, 30
	v_cndmask_b32_e64 v36, 33, v36, s[8:9]
	v_alignbit_b32 v33, v34, v33, 30
	v_xor_b32_e32 v35, v35, v43
	v_sub_u32_e32 v37, 32, v36
	v_xor_b32_e32 v33, v33, v43
	v_alignbit_b32 v38, v44, v35, v37
	v_alignbit_b32 v33, v35, v33, v37
	;; [unrolled: 1-line block ×3, first 2 shown]
	v_ffbh_u32_e32 v35, v34
	v_min_u32_e32 v35, 32, v35
	v_lshrrev_b32_e32 v40, 29, v2
	v_sub_u32_e32 v37, 31, v35
	v_alignbit_b32 v33, v34, v33, v37
	v_lshlrev_b32_e32 v34, 31, v40
	v_or_b32_e32 v37, 0x33800000, v34
	v_add_lshl_u32 v35, v35, v36, 23
	v_lshrrev_b32_e32 v33, 9, v33
	v_sub_u32_e32 v35, v37, v35
	v_or_b32_e32 v33, v35, v33
	v_alignbit_b32 v35, v36, v38, 9
	v_or_b32_e32 v34, v35, v34
	v_xor_b32_e32 v34, 1.0, v34
	v_mul_f32_e32 v35, 0x3fc90fda, v34
	v_fma_f32 v36, v34, s53, -v35
	v_fmac_f32_e32 v36, 0x33a22168, v34
	v_fmac_f32_e32 v36, 0x3fc90fda, v33
	v_lshrrev_b32_e32 v2, 30, v2
	v_add_f32_e32 v33, v35, v36
	v_add_u32_e32 v2, v42, v2
	s_andn2_saveexec_b64 s[8:9], s[36:37]
	s_cbranch_execnz .LBB139_23
	s_branch .LBB139_24
.LBB139_22:                             ;   in Loop: Header=BB139_4 Depth=1
	s_andn2_saveexec_b64 s[8:9], s[36:37]
.LBB139_23:                             ;   in Loop: Header=BB139_4 Depth=1
	v_mul_f32_e64 v2, |v17|, s54
	v_rndne_f32_e32 v34, v2
	v_cvt_i32_f32_e32 v2, v34
	v_fma_f32 v33, v34, s55, |v17|
	v_fmac_f32_e32 v33, 0xb3a22168, v34
	v_fmac_f32_e32 v33, 0xa7c234c4, v34
.LBB139_24:                             ;   in Loop: Header=BB139_4 Depth=1
	s_or_b64 exec, exec, s[8:9]
	v_mul_f32_e32 v34, 0x3fb8aa3b, v16
	v_rndne_f32_e32 v35, v34
	v_sub_f32_e32 v36, v34, v35
	v_fma_f32 v34, v16, s56, -v34
	v_fmac_f32_e32 v34, 0x32a5705f, v16
	v_add_f32_e32 v34, v36, v34
	v_cvt_i32_f32_e32 v35, v35
	v_exp_f32_e32 v34, v34
	v_cmp_ngt_f32_e64 s[8:9], s57, v16
	v_ldexp_f32 v34, v34, v35
	v_cndmask_b32_e64 v34, 0, v34, s[8:9]
	v_cmp_nlt_f32_e64 s[8:9], s58, v16
	v_cndmask_b32_e64 v16, v30, v34, s[8:9]
	v_mul_f32_e32 v34, v13, v13
	v_mov_b32_e32 v35, 0x3c0881c4
	v_fmac_f32_e32 v35, 0xb94c1982, v34
	v_fma_f32 v35, v34, v35, v25
	v_mul_f32_e32 v35, v34, v35
	v_fmac_f32_e32 v13, v13, v35
	v_mov_b32_e32 v35, 0xbab64f3b
	v_fmac_f32_e32 v35, 0x37d75334, v34
	v_fma_f32 v35, v34, v35, v26
	v_fma_f32 v35, v34, v35, v27
	v_fma_f32 v34, v34, v35, 1.0
	v_and_b32_e32 v35, 1, v12
	v_cmp_eq_u32_e64 s[8:9], 0, v35
	v_lshlrev_b32_e32 v12, 30, v12
	v_cndmask_b32_e64 v13, -v13, v34, s[8:9]
	v_and_b32_e32 v12, 0x80000000, v12
	v_xor_b32_e32 v12, v12, v13
	v_mul_f32_e32 v13, v33, v33
	v_mov_b32_e32 v34, 0x3c0881c4
	v_fmac_f32_e32 v34, 0xb94c1982, v13
	v_fma_f32 v34, v13, v34, v25
	v_mul_f32_e32 v34, v13, v34
	v_fmac_f32_e32 v33, v33, v34
	v_mov_b32_e32 v34, 0xbab64f3b
	v_fmac_f32_e32 v34, 0x37d75334, v13
	v_fma_f32 v34, v13, v34, v26
	v_fma_f32 v34, v13, v34, v27
	v_fma_f32 v13, v13, v34, 1.0
	v_and_b32_e32 v34, 1, v2
	v_cmp_eq_u32_e64 s[10:11], 0, v34
	v_lshlrev_b32_e32 v2, 30, v2
	v_cndmask_b32_e64 v13, v13, v33, s[10:11]
	v_and_or_b32 v2, v2, s59, v32
	v_xor_b32_e32 v2, v2, v13
	v_cmp_class_f32_e64 s[8:9], v17, s60
	v_xor_b32_e32 v2, v2, v17
	v_cndmask_b32_e64 v12, v31, v12, s[8:9]
	v_cndmask_b32_e64 v2, v31, v2, s[8:9]
	v_mul_f32_e32 v12, v16, v12
	v_mul_f32_e32 v13, v16, v2
                                        ; implicit-def: $vgpr17
                                        ; implicit-def: $vgpr32
.LBB139_25:                             ;   in Loop: Header=BB139_4 Depth=1
	s_andn2_saveexec_b64 s[34:35], s[34:35]
	s_cbranch_execz .LBB139_28
; %bb.26:                               ;   in Loop: Header=BB139_4 Depth=1
	v_cmp_nlt_f32_e64 s[36:37], |v17|, s45
                                        ; implicit-def: $vgpr13
                                        ; implicit-def: $vgpr12
	s_and_saveexec_b64 s[8:9], s[36:37]
	s_xor_b64 s[38:39], exec, s[8:9]
	s_cbranch_execz .LBB139_29
; %bb.27:                               ;   in Loop: Header=BB139_4 Depth=1
	v_lshrrev_b32_e32 v2, 23, v32
	v_add_u32_e32 v2, 0xffffff88, v2
	v_cmp_lt_u32_e64 s[8:9], 63, v2
	v_cndmask_b32_e64 v12, 0, v28, s[8:9]
	v_add_u32_e32 v2, v12, v2
	v_cmp_lt_u32_e64 s[10:11], 31, v2
	v_cndmask_b32_e64 v12, 0, v29, s[10:11]
	;; [unrolled: 3-line block ×3, first 2 shown]
	v_add_u32_e32 v33, v12, v2
	v_and_b32_e32 v2, 0x7fffff, v32
	v_or_b32_e32 v44, 0x800000, v2
	v_mad_u64_u32 v[12:13], s[14:15], v44, s46, 0
	v_mov_b32_e32 v2, v13
	v_mad_u64_u32 v[34:35], s[14:15], v44, s47, v[2:3]
	v_mov_b32_e32 v2, v35
	;; [unrolled: 2-line block ×6, first 2 shown]
	v_mad_u64_u32 v[44:45], s[14:15], v44, s52, v[2:3]
	v_cndmask_b32_e64 v13, v42, v38, s[8:9]
	v_cndmask_b32_e64 v2, v44, v40, s[8:9]
	;; [unrolled: 1-line block ×7, first 2 shown]
	v_sub_u32_e32 v39, 32, v33
	v_cmp_eq_u32_e64 s[14:15], 0, v33
	v_cndmask_b32_e64 v33, v38, v34, s[8:9]
	v_cndmask_b32_e64 v2, v2, v35, s[12:13]
	;; [unrolled: 1-line block ×4, first 2 shown]
	v_alignbit_b32 v40, v2, v35, v39
	v_cndmask_b32_e64 v13, v13, v34, s[12:13]
	v_cndmask_b32_e64 v2, v40, v2, s[14:15]
	v_alignbit_b32 v37, v35, v13, v39
	v_cndmask_b32_e64 v35, v37, v35, s[14:15]
	v_bfe_u32 v40, v2, 29, 1
	v_cndmask_b32_e64 v12, v36, v12, s[8:9]
	v_alignbit_b32 v37, v2, v35, 30
	v_sub_u32_e32 v41, 0, v40
	v_cndmask_b32_e64 v12, v33, v12, s[10:11]
	v_xor_b32_e32 v42, v37, v41
	v_cndmask_b32_e64 v12, v34, v12, s[12:13]
	v_alignbit_b32 v33, v13, v12, v39
	v_ffbh_u32_e32 v34, v42
	v_cndmask_b32_e64 v13, v33, v13, s[14:15]
	v_add_u32_e32 v34, 1, v34
	v_cmp_ne_u32_e64 s[8:9], v37, v41
	v_alignbit_b32 v33, v35, v13, 30
	v_cndmask_b32_e64 v34, 33, v34, s[8:9]
	v_alignbit_b32 v12, v13, v12, 30
	v_xor_b32_e32 v33, v33, v41
	v_sub_u32_e32 v35, 32, v34
	v_xor_b32_e32 v12, v12, v41
	v_alignbit_b32 v36, v42, v33, v35
	v_alignbit_b32 v12, v33, v12, v35
	;; [unrolled: 1-line block ×3, first 2 shown]
	v_ffbh_u32_e32 v33, v13
	v_min_u32_e32 v33, 32, v33
	v_lshrrev_b32_e32 v38, 29, v2
	v_sub_u32_e32 v35, 31, v33
	v_alignbit_b32 v12, v13, v12, v35
	v_lshlrev_b32_e32 v13, 31, v38
	v_or_b32_e32 v35, 0x33800000, v13
	v_add_lshl_u32 v33, v33, v34, 23
	v_lshrrev_b32_e32 v12, 9, v12
	v_sub_u32_e32 v33, v35, v33
	v_or_b32_e32 v12, v33, v12
	v_alignbit_b32 v33, v34, v36, 9
	v_or_b32_e32 v13, v33, v13
	v_xor_b32_e32 v13, 1.0, v13
	v_mul_f32_e32 v33, 0x3fc90fda, v13
	v_fma_f32 v34, v13, s53, -v33
	v_fmac_f32_e32 v34, 0x33a22168, v13
	v_fmac_f32_e32 v34, 0x3fc90fda, v12
	v_lshrrev_b32_e32 v2, 30, v2
	v_add_f32_e32 v12, v33, v34
	v_add_u32_e32 v13, v40, v2
	s_andn2_saveexec_b64 s[8:9], s[38:39]
	s_branch .LBB139_30
.LBB139_28:                             ;   in Loop: Header=BB139_4 Depth=1
	s_or_b64 exec, exec, s[34:35]
                                        ; implicit-def: $vgpr16
                                        ; implicit-def: $vgpr2
	s_andn2_saveexec_b64 s[10:11], s[30:31]
	s_cbranch_execnz .LBB139_37
	s_branch .LBB139_42
.LBB139_29:                             ;   in Loop: Header=BB139_4 Depth=1
	s_andn2_saveexec_b64 s[8:9], s[38:39]
.LBB139_30:                             ;   in Loop: Header=BB139_4 Depth=1
	v_mul_f32_e64 v2, |v17|, s54
	v_rndne_f32_e32 v2, v2
	v_cvt_i32_f32_e32 v13, v2
	v_fma_f32 v12, v2, s55, |v17|
	v_fmac_f32_e32 v12, 0xb3a22168, v2
	v_fmac_f32_e32 v12, 0xa7c234c4, v2
; %bb.31:                               ;   in Loop: Header=BB139_4 Depth=1
	s_or_b64 exec, exec, s[8:9]
                                        ; implicit-def: $vgpr2
                                        ; implicit-def: $vgpr33
	s_and_saveexec_b64 s[8:9], s[36:37]
	s_xor_b64 s[36:37], exec, s[8:9]
	s_cbranch_execz .LBB139_33
; %bb.32:                               ;   in Loop: Header=BB139_4 Depth=1
	v_lshrrev_b32_e32 v2, 23, v32
	v_add_u32_e32 v2, 0xffffff88, v2
	v_cmp_lt_u32_e64 s[8:9], 63, v2
	v_cndmask_b32_e64 v33, 0, v28, s[8:9]
	v_add_u32_e32 v2, v33, v2
	v_cmp_lt_u32_e64 s[10:11], 31, v2
	v_cndmask_b32_e64 v33, 0, v29, s[10:11]
	;; [unrolled: 3-line block ×3, first 2 shown]
	v_add_u32_e32 v33, v33, v2
	v_and_b32_e32 v2, 0x7fffff, v32
	v_or_b32_e32 v46, 0x800000, v2
	v_mad_u64_u32 v[34:35], s[14:15], v46, s46, 0
	v_mov_b32_e32 v2, v35
	v_mad_u64_u32 v[36:37], s[14:15], v46, s47, v[2:3]
	v_mov_b32_e32 v2, v37
	;; [unrolled: 2-line block ×6, first 2 shown]
	v_mad_u64_u32 v[46:47], s[14:15], v46, s52, v[2:3]
	v_cndmask_b32_e64 v35, v44, v40, s[8:9]
	v_cndmask_b32_e64 v2, v46, v42, s[8:9]
	;; [unrolled: 1-line block ×7, first 2 shown]
	v_sub_u32_e32 v41, 32, v33
	v_cmp_eq_u32_e64 s[14:15], 0, v33
	v_cndmask_b32_e64 v33, v40, v36, s[8:9]
	v_cndmask_b32_e64 v2, v2, v37, s[12:13]
	;; [unrolled: 1-line block ×4, first 2 shown]
	v_alignbit_b32 v42, v2, v37, v41
	v_cndmask_b32_e64 v35, v35, v36, s[12:13]
	v_cndmask_b32_e64 v2, v42, v2, s[14:15]
	v_alignbit_b32 v39, v37, v35, v41
	v_cndmask_b32_e64 v37, v39, v37, s[14:15]
	v_bfe_u32 v42, v2, 29, 1
	v_cndmask_b32_e64 v34, v38, v34, s[8:9]
	v_alignbit_b32 v39, v2, v37, 30
	v_sub_u32_e32 v43, 0, v42
	v_cndmask_b32_e64 v33, v33, v34, s[10:11]
	v_xor_b32_e32 v44, v39, v43
	v_cndmask_b32_e64 v33, v36, v33, s[12:13]
	v_alignbit_b32 v34, v35, v33, v41
	v_ffbh_u32_e32 v36, v44
	v_cndmask_b32_e64 v34, v34, v35, s[14:15]
	v_add_u32_e32 v36, 1, v36
	v_cmp_ne_u32_e64 s[8:9], v39, v43
	v_alignbit_b32 v35, v37, v34, 30
	v_cndmask_b32_e64 v36, 33, v36, s[8:9]
	v_alignbit_b32 v33, v34, v33, 30
	v_xor_b32_e32 v35, v35, v43
	v_sub_u32_e32 v37, 32, v36
	v_xor_b32_e32 v33, v33, v43
	v_alignbit_b32 v38, v44, v35, v37
	v_alignbit_b32 v33, v35, v33, v37
	;; [unrolled: 1-line block ×3, first 2 shown]
	v_ffbh_u32_e32 v35, v34
	v_min_u32_e32 v35, 32, v35
	v_lshrrev_b32_e32 v40, 29, v2
	v_sub_u32_e32 v37, 31, v35
	v_alignbit_b32 v33, v34, v33, v37
	v_lshlrev_b32_e32 v34, 31, v40
	v_or_b32_e32 v37, 0x33800000, v34
	v_add_lshl_u32 v35, v35, v36, 23
	v_lshrrev_b32_e32 v33, 9, v33
	v_sub_u32_e32 v35, v37, v35
	v_or_b32_e32 v33, v35, v33
	v_alignbit_b32 v35, v36, v38, 9
	v_or_b32_e32 v34, v35, v34
	v_xor_b32_e32 v34, 1.0, v34
	v_mul_f32_e32 v35, 0x3fc90fda, v34
	v_fma_f32 v36, v34, s53, -v35
	v_fmac_f32_e32 v36, 0x33a22168, v34
	v_fmac_f32_e32 v36, 0x3fc90fda, v33
	v_lshrrev_b32_e32 v2, 30, v2
	v_add_f32_e32 v33, v35, v36
	v_add_u32_e32 v2, v42, v2
	s_andn2_saveexec_b64 s[8:9], s[36:37]
	s_cbranch_execnz .LBB139_34
	s_branch .LBB139_35
.LBB139_33:                             ;   in Loop: Header=BB139_4 Depth=1
	s_andn2_saveexec_b64 s[8:9], s[36:37]
.LBB139_34:                             ;   in Loop: Header=BB139_4 Depth=1
	v_mul_f32_e64 v2, |v17|, s54
	v_rndne_f32_e32 v34, v2
	v_cvt_i32_f32_e32 v2, v34
	v_fma_f32 v33, v34, s55, |v17|
	v_fmac_f32_e32 v33, 0xb3a22168, v34
	v_fmac_f32_e32 v33, 0xa7c234c4, v34
.LBB139_35:                             ;   in Loop: Header=BB139_4 Depth=1
	s_or_b64 exec, exec, s[8:9]
	v_mul_f32_e32 v35, v12, v12
	v_mov_b32_e32 v36, 0xbab64f3b
	v_fmac_f32_e32 v36, 0x37d75334, v35
	v_mov_b32_e32 v37, 0x3c0881c4
	v_fma_f32 v36, v35, v36, v26
	v_fmac_f32_e32 v37, 0xb94c1982, v35
	v_lshlrev_b32_e32 v34, 30, v13
	v_and_b32_e32 v13, 1, v13
	v_fma_f32 v36, v35, v36, v27
	v_fma_f32 v37, v35, v37, v25
	v_fma_f32 v36, v35, v36, 1.0
	v_mul_f32_e32 v35, v35, v37
	v_cmp_eq_u32_e64 s[8:9], 0, v13
	v_add_f32_e32 v13, 0xc322e3bc, v16
	v_fmac_f32_e32 v12, v12, v35
	v_mul_f32_e32 v16, 0x3fb8aa3b, v13
	v_cndmask_b32_e64 v12, -v12, v36, s[8:9]
	v_fma_f32 v35, v13, s56, -v16
	v_rndne_f32_e32 v36, v16
	v_fmac_f32_e32 v35, 0x32a5705f, v13
	v_sub_f32_e32 v16, v16, v36
	v_add_f32_e32 v16, v16, v35
	v_exp_f32_e32 v16, v16
	v_cvt_i32_f32_e32 v35, v36
	v_cmp_ngt_f32_e64 s[10:11], s57, v13
	v_and_b32_e32 v34, 0x80000000, v34
	v_xor_b32_e32 v12, v34, v12
	v_ldexp_f32 v16, v16, v35
	v_cndmask_b32_e64 v16, 0, v16, s[10:11]
	v_cmp_nlt_f32_e64 s[10:11], s58, v13
	v_cndmask_b32_e64 v13, v30, v16, s[10:11]
	v_and_b32_e32 v16, 0x7fffff, v13
	v_lshrrev_b32_e32 v13, 23, v13
	v_subrev_u32_e32 v13, 19, v13
	v_lshrrev_b16_e32 v34, 15, v13
	v_add_u16_e32 v34, v13, v34
	v_ashrrev_i16_e32 v34, 1, v34
	v_bfe_i32 v34, v34, 0, 16
	v_lshl_add_u32 v35, v34, 23, 1.0
	v_sub_u32_e32 v13, v13, v34
	v_mul_f32_e32 v34, v33, v33
	v_mov_b32_e32 v36, 0x3c0881c4
	v_fmac_f32_e32 v36, 0xb94c1982, v34
	v_fma_f32 v36, v34, v36, v25
	v_mul_f32_e32 v36, v34, v36
	v_fmac_f32_e32 v33, v33, v36
	v_mov_b32_e32 v36, 0xbab64f3b
	v_fmac_f32_e32 v36, 0x37d75334, v34
	v_fma_f32 v36, v34, v36, v26
	v_fma_f32 v36, v34, v36, v27
	v_fma_f32 v34, v34, v36, 1.0
	v_and_b32_e32 v36, 1, v2
	v_cmp_eq_u32_e64 s[10:11], 0, v36
	v_lshlrev_b32_e32 v2, 30, v2
	v_cndmask_b32_e64 v33, v34, v33, s[10:11]
	v_and_or_b32 v2, v2, s59, v32
	v_xor_b32_e32 v2, v2, v33
	v_cmp_class_f32_e64 s[8:9], v17, s60
	v_xor_b32_e32 v2, v2, v17
	v_cndmask_b32_e64 v12, v31, v12, s[8:9]
	v_or_b32_e32 v16, 0x7f000000, v16
	v_cndmask_b32_e64 v2, v31, v2, s[8:9]
	v_mul_f32_e32 v12, v12, v16
	v_mul_f32_e32 v2, v2, v16
	;; [unrolled: 1-line block ×3, first 2 shown]
	v_lshl_add_u32 v13, v13, 23, 1.0
	v_mul_f32_e32 v2, v2, v35
	v_mul_f32_e32 v12, v12, v13
	;; [unrolled: 1-line block ×3, first 2 shown]
	s_or_b64 exec, exec, s[34:35]
                                        ; implicit-def: $vgpr16
                                        ; implicit-def: $vgpr2
.LBB139_36:                             ;   in Loop: Header=BB139_4 Depth=1
	s_andn2_saveexec_b64 s[10:11], s[30:31]
	s_cbranch_execz .LBB139_42
.LBB139_37:                             ;   in Loop: Header=BB139_4 Depth=1
	v_cmp_ne_u32_e64 s[8:9], s43, v2
	v_sub_f32_e32 v13, v17, v17
	s_and_saveexec_b64 s[12:13], s[8:9]
	s_xor_b64 s[8:9], exec, s[12:13]
; %bb.38:                               ;   in Loop: Header=BB139_4 Depth=1
                                        ; implicit-def: $vgpr16
; %bb.39:                               ;   in Loop: Header=BB139_4 Depth=1
	s_or_saveexec_b64 s[12:13], s[8:9]
	v_mov_b32_e32 v12, v13
	s_xor_b64 exec, exec, s[12:13]
; %bb.40:                               ;   in Loop: Header=BB139_4 Depth=1
	v_cmp_lt_i32_e64 s[8:9], -1, v16
	v_cndmask_b32_e64 v12, 0, v16, s[8:9]
	v_cndmask_b32_e64 v13, 0, v13, s[8:9]
; %bb.41:                               ;   in Loop: Header=BB139_4 Depth=1
	s_or_b64 exec, exec, s[12:13]
.LBB139_42:                             ;   in Loop: Header=BB139_4 Depth=1
	s_or_b64 exec, exec, s[10:11]
                                        ; implicit-def: $vgpr17
                                        ; implicit-def: $vgpr32
.LBB139_43:                             ;   in Loop: Header=BB139_4 Depth=1
	s_andn2_saveexec_b64 s[28:29], s[28:29]
	s_cbranch_execz .LBB139_53
; %bb.44:                               ;   in Loop: Header=BB139_4 Depth=1
	v_lshrrev_b32_e32 v2, 23, v32
	v_and_b32_e32 v12, 0x7fffff, v32
	v_cmp_nlt_f32_e64 s[30:31], |v17|, s45
	v_add_u32_e32 v33, 0xffffff88, v2
	v_or_b32_e32 v16, 0x800000, v12
                                        ; implicit-def: $vgpr12
                                        ; implicit-def: $vgpr13
	s_and_saveexec_b64 s[8:9], s[30:31]
	s_xor_b64 s[34:35], exec, s[8:9]
	s_cbranch_execz .LBB139_46
; %bb.45:                               ;   in Loop: Header=BB139_4 Depth=1
	v_cmp_lt_u32_e64 s[8:9], 63, v33
	v_cndmask_b32_e64 v2, 0, v28, s[8:9]
	v_add_u32_e32 v2, v2, v33
	v_cmp_lt_u32_e64 s[10:11], 31, v2
	v_cndmask_b32_e64 v12, 0, v29, s[10:11]
	v_add_u32_e32 v2, v12, v2
	;; [unrolled: 3-line block ×3, first 2 shown]
	v_mad_u64_u32 v[12:13], s[14:15], v16, s46, 0
	v_mov_b32_e32 v2, v13
	v_mad_u64_u32 v[34:35], s[14:15], v16, s47, v[2:3]
	v_mov_b32_e32 v2, v35
	;; [unrolled: 2-line block ×6, first 2 shown]
	v_mad_u64_u32 v[44:45], s[14:15], v16, s52, v[2:3]
	v_cndmask_b32_e64 v13, v42, v38, s[8:9]
	v_cndmask_b32_e64 v2, v44, v40, s[8:9]
	;; [unrolled: 1-line block ×10, first 2 shown]
	v_sub_u32_e32 v39, 32, v46
	v_cndmask_b32_e64 v37, v37, v34, s[10:11]
	v_alignbit_b32 v40, v2, v35, v39
	v_cmp_eq_u32_e64 s[14:15], 0, v46
	v_cndmask_b32_e64 v13, v13, v37, s[12:13]
	v_cndmask_b32_e64 v12, v36, v12, s[8:9]
	;; [unrolled: 1-line block ×3, first 2 shown]
	v_alignbit_b32 v38, v35, v13, v39
	v_cndmask_b32_e64 v12, v34, v12, s[10:11]
	v_cndmask_b32_e64 v35, v38, v35, s[14:15]
	v_bfe_u32 v41, v2, 29, 1
	v_cndmask_b32_e64 v12, v37, v12, s[12:13]
	v_alignbit_b32 v38, v2, v35, 30
	v_sub_u32_e32 v42, 0, v41
	v_alignbit_b32 v34, v13, v12, v39
	v_xor_b32_e32 v43, v38, v42
	v_cndmask_b32_e64 v13, v34, v13, s[14:15]
	v_alignbit_b32 v34, v35, v13, 30
	v_ffbh_u32_e32 v35, v43
	v_add_u32_e32 v35, 1, v35
	v_cmp_ne_u32_e64 s[8:9], v38, v42
	v_cndmask_b32_e64 v35, 33, v35, s[8:9]
	v_alignbit_b32 v12, v13, v12, 30
	v_xor_b32_e32 v34, v34, v42
	v_sub_u32_e32 v36, 32, v35
	v_xor_b32_e32 v12, v12, v42
	v_alignbit_b32 v37, v43, v34, v36
	v_alignbit_b32 v12, v34, v12, v36
	;; [unrolled: 1-line block ×3, first 2 shown]
	v_ffbh_u32_e32 v34, v13
	v_min_u32_e32 v34, 32, v34
	v_lshrrev_b32_e32 v40, 29, v2
	v_sub_u32_e32 v36, 31, v34
	v_alignbit_b32 v12, v13, v12, v36
	v_lshlrev_b32_e32 v13, 31, v40
	v_or_b32_e32 v36, 0x33800000, v13
	v_add_lshl_u32 v34, v34, v35, 23
	v_lshrrev_b32_e32 v12, 9, v12
	v_sub_u32_e32 v34, v36, v34
	v_or_b32_e32 v12, v34, v12
	v_alignbit_b32 v34, v35, v37, 9
	v_or_b32_e32 v13, v34, v13
	v_xor_b32_e32 v13, 1.0, v13
	v_mul_f32_e32 v34, 0x3fc90fda, v13
	v_fma_f32 v35, v13, s53, -v34
	v_fmac_f32_e32 v35, 0x33a22168, v13
	v_fmac_f32_e32 v35, 0x3fc90fda, v12
	v_lshrrev_b32_e32 v2, 30, v2
	v_add_f32_e32 v13, v34, v35
	v_add_u32_e32 v12, v41, v2
.LBB139_46:                             ;   in Loop: Header=BB139_4 Depth=1
	s_or_saveexec_b64 s[8:9], s[34:35]
	v_mul_f32_e64 v2, |v17|, s54
	v_rndne_f32_e32 v35, v2
	s_xor_b64 exec, exec, s[8:9]
; %bb.47:                               ;   in Loop: Header=BB139_4 Depth=1
	v_cvt_i32_f32_e32 v12, v35
	v_fma_f32 v13, v35, s55, |v17|
	v_fmac_f32_e32 v13, 0xb3a22168, v35
	v_fmac_f32_e32 v13, 0xa7c234c4, v35
; %bb.48:                               ;   in Loop: Header=BB139_4 Depth=1
	s_or_b64 exec, exec, s[8:9]
                                        ; implicit-def: $vgpr2
                                        ; implicit-def: $vgpr34
	s_and_saveexec_b64 s[8:9], s[30:31]
	s_xor_b64 s[30:31], exec, s[8:9]
	s_cbranch_execz .LBB139_50
; %bb.49:                               ;   in Loop: Header=BB139_4 Depth=1
	v_cmp_lt_u32_e64 s[8:9], 63, v33
	v_cndmask_b32_e64 v2, 0, v28, s[8:9]
	v_add_u32_e32 v2, v2, v33
	v_cmp_lt_u32_e64 s[10:11], 31, v2
	v_cndmask_b32_e64 v33, 0, v29, s[10:11]
	v_add_u32_e32 v2, v33, v2
	v_cmp_lt_u32_e64 s[12:13], 31, v2
	v_cndmask_b32_e64 v33, 0, v29, s[12:13]
	v_mad_u64_u32 v[34:35], s[14:15], v16, s46, 0
	v_add_u32_e32 v33, v33, v2
	v_mov_b32_e32 v2, v35
	v_mad_u64_u32 v[36:37], s[14:15], v16, s47, v[2:3]
	v_mov_b32_e32 v2, v37
	v_mad_u64_u32 v[38:39], s[14:15], v16, s48, v[2:3]
	;; [unrolled: 2-line block ×6, first 2 shown]
	v_cndmask_b32_e64 v35, v44, v40, s[8:9]
	v_cndmask_b32_e64 v2, v46, v42, s[8:9]
	;; [unrolled: 1-line block ×7, first 2 shown]
	v_sub_u32_e32 v39, 32, v33
	v_cmp_eq_u32_e64 s[14:15], 0, v33
	v_cndmask_b32_e64 v33, v40, v36, s[8:9]
	v_cndmask_b32_e64 v2, v2, v16, s[12:13]
	;; [unrolled: 1-line block ×4, first 2 shown]
	v_alignbit_b32 v41, v2, v16, v39
	v_cndmask_b32_e64 v35, v35, v36, s[12:13]
	v_cndmask_b32_e64 v2, v41, v2, s[14:15]
	v_alignbit_b32 v37, v16, v35, v39
	v_cndmask_b32_e64 v34, v38, v34, s[8:9]
	v_cndmask_b32_e64 v16, v37, v16, s[14:15]
	v_bfe_u32 v41, v2, 29, 1
	v_cndmask_b32_e64 v33, v33, v34, s[10:11]
	v_alignbit_b32 v37, v2, v16, 30
	v_sub_u32_e32 v42, 0, v41
	v_cndmask_b32_e64 v33, v36, v33, s[12:13]
	v_xor_b32_e32 v43, v37, v42
	v_alignbit_b32 v34, v35, v33, v39
	v_cndmask_b32_e64 v34, v34, v35, s[14:15]
	v_ffbh_u32_e32 v35, v43
	v_add_u32_e32 v35, 1, v35
	v_cmp_ne_u32_e64 s[8:9], v37, v42
	v_alignbit_b32 v16, v16, v34, 30
	v_cndmask_b32_e64 v35, 33, v35, s[8:9]
	v_alignbit_b32 v33, v34, v33, 30
	v_xor_b32_e32 v16, v16, v42
	v_sub_u32_e32 v36, 32, v35
	v_xor_b32_e32 v33, v33, v42
	v_alignbit_b32 v37, v43, v16, v36
	v_alignbit_b32 v16, v16, v33, v36
	;; [unrolled: 1-line block ×3, first 2 shown]
	v_ffbh_u32_e32 v34, v33
	v_min_u32_e32 v34, 32, v34
	v_lshrrev_b32_e32 v40, 29, v2
	v_sub_u32_e32 v36, 31, v34
	v_alignbit_b32 v16, v33, v16, v36
	v_lshlrev_b32_e32 v33, 31, v40
	v_or_b32_e32 v36, 0x33800000, v33
	v_add_lshl_u32 v34, v34, v35, 23
	v_lshrrev_b32_e32 v16, 9, v16
	v_sub_u32_e32 v34, v36, v34
	v_or_b32_e32 v16, v34, v16
	v_alignbit_b32 v34, v35, v37, 9
	v_or_b32_e32 v33, v34, v33
	v_xor_b32_e32 v33, 1.0, v33
	v_mul_f32_e32 v34, 0x3fc90fda, v33
	v_fma_f32 v35, v33, s53, -v34
	v_fmac_f32_e32 v35, 0x33a22168, v33
	v_fmac_f32_e32 v35, 0x3fc90fda, v16
	v_lshrrev_b32_e32 v2, 30, v2
	v_add_f32_e32 v34, v34, v35
	v_add_u32_e32 v2, v41, v2
                                        ; implicit-def: $vgpr35
	s_andn2_saveexec_b64 s[8:9], s[30:31]
	s_cbranch_execnz .LBB139_51
	s_branch .LBB139_52
.LBB139_50:                             ;   in Loop: Header=BB139_4 Depth=1
	s_andn2_saveexec_b64 s[8:9], s[30:31]
.LBB139_51:                             ;   in Loop: Header=BB139_4 Depth=1
	v_cvt_i32_f32_e32 v2, v35
	v_fma_f32 v34, v35, s55, |v17|
	v_fmac_f32_e32 v34, 0xb3a22168, v35
	v_fmac_f32_e32 v34, 0xa7c234c4, v35
.LBB139_52:                             ;   in Loop: Header=BB139_4 Depth=1
	s_or_b64 exec, exec, s[8:9]
	v_mul_f32_e32 v16, v13, v13
	v_mov_b32_e32 v33, 0x3c0881c4
	v_fmac_f32_e32 v33, 0xb94c1982, v16
	v_fma_f32 v33, v16, v33, v25
	v_mul_f32_e32 v33, v16, v33
	v_fmac_f32_e32 v13, v13, v33
	v_mov_b32_e32 v33, 0xbab64f3b
	v_fmac_f32_e32 v33, 0x37d75334, v16
	v_fma_f32 v33, v16, v33, v26
	v_fma_f32 v33, v16, v33, v27
	v_fma_f32 v16, v16, v33, 1.0
	v_and_b32_e32 v33, 1, v12
	v_cmp_eq_u32_e64 s[8:9], 0, v33
	v_lshlrev_b32_e32 v12, 30, v12
	v_cndmask_b32_e64 v13, -v13, v16, s[8:9]
	v_and_b32_e32 v12, 0x80000000, v12
	v_xor_b32_e32 v12, v12, v13
	v_mul_f32_e32 v13, v34, v34
	v_mov_b32_e32 v16, 0x3c0881c4
	v_fmac_f32_e32 v16, 0xb94c1982, v13
	v_fma_f32 v16, v13, v16, v25
	v_mul_f32_e32 v16, v13, v16
	v_fmac_f32_e32 v34, v34, v16
	v_mov_b32_e32 v16, 0xbab64f3b
	v_fmac_f32_e32 v16, 0x37d75334, v13
	v_fma_f32 v16, v13, v16, v26
	v_fma_f32 v16, v13, v16, v27
	v_fma_f32 v13, v13, v16, 1.0
	v_and_b32_e32 v16, 1, v2
	v_cmp_eq_u32_e64 s[10:11], 0, v16
	v_lshlrev_b32_e32 v2, 30, v2
	v_cndmask_b32_e64 v13, v13, v34, s[10:11]
	v_and_or_b32 v2, v2, s59, v32
	v_xor_b32_e32 v2, v2, v13
	v_cmp_class_f32_e64 s[8:9], v17, s60
	v_xor_b32_e32 v2, v2, v17
	v_cndmask_b32_e64 v12, v31, v12, s[8:9]
	v_cndmask_b32_e64 v13, v31, v2, s[8:9]
.LBB139_53:                             ;   in Loop: Header=BB139_4 Depth=1
	s_or_b64 exec, exec, s[28:29]
                                        ; implicit-def: $vgpr16
.LBB139_54:                             ;   in Loop: Header=BB139_4 Depth=1
	s_andn2_saveexec_b64 s[10:11], s[26:27]
	s_cbranch_execz .LBB139_56
; %bb.55:                               ;   in Loop: Header=BB139_4 Depth=1
	v_mul_f32_e32 v2, 0x3fb8aa3b, v16
	v_rndne_f32_e32 v12, v2
	v_sub_f32_e32 v13, v2, v12
	v_fma_f32 v2, v16, s56, -v2
	v_fmac_f32_e32 v2, 0x32a5705f, v16
	v_add_f32_e32 v2, v13, v2
	v_cvt_i32_f32_e32 v12, v12
	v_exp_f32_e32 v2, v2
	v_cmp_ngt_f32_e64 s[8:9], s57, v16
	v_mov_b32_e32 v13, v17
	v_ldexp_f32 v2, v2, v12
	v_cndmask_b32_e64 v2, 0, v2, s[8:9]
	v_cmp_nlt_f32_e64 s[8:9], s58, v16
	v_cndmask_b32_e64 v12, v30, v2, s[8:9]
.LBB139_56:                             ;   in Loop: Header=BB139_4 Depth=1
	s_or_b64 exec, exec, s[10:11]
	v_and_b32_e32 v32, 0x7fffffff, v19
	v_cmp_ne_u32_e64 s[8:9], 0, v32
                                        ; implicit-def: $vgpr17
	s_and_saveexec_b64 s[10:11], s[8:9]
	s_xor_b64 s[26:27], exec, s[10:11]
	s_cbranch_execz .LBB139_98
; %bb.57:                               ;   in Loop: Header=BB139_4 Depth=1
	v_and_b32_e32 v2, 0x7fffffff, v18
	v_cmp_ne_u32_e64 s[8:9], 0, v2
                                        ; implicit-def: $vgpr17
	s_and_saveexec_b64 s[10:11], s[8:9]
	s_xor_b64 s[28:29], exec, s[10:11]
	s_cbranch_execz .LBB139_87
; %bb.58:                               ;   in Loop: Header=BB139_4 Depth=1
	v_cmp_gt_u32_e64 s[8:9], s43, v32
                                        ; implicit-def: $vgpr17
	s_and_saveexec_b64 s[10:11], s[8:9]
	s_xor_b64 s[30:31], exec, s[10:11]
	s_cbranch_execz .LBB139_80
; %bb.59:                               ;   in Loop: Header=BB139_4 Depth=1
	v_add_u32_e32 v2, 0xbd4e8de8, v18
	v_cmp_lt_u32_e64 s[8:9], s44, v2
                                        ; implicit-def: $vgpr17
	s_and_saveexec_b64 s[10:11], s[8:9]
	s_xor_b64 s[34:35], exec, s[10:11]
	s_cbranch_execz .LBB139_69
; %bb.60:                               ;   in Loop: Header=BB139_4 Depth=1
	v_cmp_nlt_f32_e64 s[36:37], |v19|, s45
                                        ; implicit-def: $vgpr16
                                        ; implicit-def: $vgpr17
	s_and_saveexec_b64 s[8:9], s[36:37]
	s_xor_b64 s[38:39], exec, s[8:9]
	s_cbranch_execz .LBB139_62
; %bb.61:                               ;   in Loop: Header=BB139_4 Depth=1
	v_lshrrev_b32_e32 v2, 23, v32
	v_add_u32_e32 v2, 0xffffff88, v2
	v_cmp_lt_u32_e64 s[8:9], 63, v2
	v_cndmask_b32_e64 v16, 0, v28, s[8:9]
	v_add_u32_e32 v2, v16, v2
	v_cmp_lt_u32_e64 s[10:11], 31, v2
	v_cndmask_b32_e64 v16, 0, v29, s[10:11]
	;; [unrolled: 3-line block ×3, first 2 shown]
	v_add_u32_e32 v33, v16, v2
	v_and_b32_e32 v2, 0x7fffff, v32
	v_or_b32_e32 v44, 0x800000, v2
	v_mad_u64_u32 v[16:17], s[14:15], v44, s46, 0
	v_mov_b32_e32 v2, v17
	v_mad_u64_u32 v[34:35], s[14:15], v44, s47, v[2:3]
	v_mov_b32_e32 v2, v35
	v_mad_u64_u32 v[36:37], s[14:15], v44, s48, v[2:3]
	v_mov_b32_e32 v2, v37
	v_mad_u64_u32 v[38:39], s[14:15], v44, s49, v[2:3]
	v_mov_b32_e32 v2, v39
	v_mad_u64_u32 v[40:41], s[14:15], v44, s50, v[2:3]
	v_mov_b32_e32 v2, v41
	v_mad_u64_u32 v[42:43], s[14:15], v44, s51, v[2:3]
	v_mov_b32_e32 v2, v43
	v_mad_u64_u32 v[44:45], s[14:15], v44, s52, v[2:3]
	v_cndmask_b32_e64 v17, v42, v38, s[8:9]
	v_cndmask_b32_e64 v2, v44, v40, s[8:9]
	;; [unrolled: 1-line block ×7, first 2 shown]
	v_sub_u32_e32 v39, 32, v33
	v_cmp_eq_u32_e64 s[14:15], 0, v33
	v_cndmask_b32_e64 v33, v38, v34, s[8:9]
	v_cndmask_b32_e64 v2, v2, v35, s[12:13]
	;; [unrolled: 1-line block ×4, first 2 shown]
	v_alignbit_b32 v40, v2, v35, v39
	v_cndmask_b32_e64 v17, v17, v34, s[12:13]
	v_cndmask_b32_e64 v2, v40, v2, s[14:15]
	v_alignbit_b32 v37, v35, v17, v39
	v_cndmask_b32_e64 v35, v37, v35, s[14:15]
	v_bfe_u32 v40, v2, 29, 1
	v_cndmask_b32_e64 v16, v36, v16, s[8:9]
	v_alignbit_b32 v37, v2, v35, 30
	v_sub_u32_e32 v41, 0, v40
	v_cndmask_b32_e64 v16, v33, v16, s[10:11]
	v_xor_b32_e32 v42, v37, v41
	v_cndmask_b32_e64 v16, v34, v16, s[12:13]
	v_alignbit_b32 v33, v17, v16, v39
	v_ffbh_u32_e32 v34, v42
	v_cndmask_b32_e64 v17, v33, v17, s[14:15]
	v_add_u32_e32 v34, 1, v34
	v_cmp_ne_u32_e64 s[8:9], v37, v41
	v_alignbit_b32 v33, v35, v17, 30
	v_cndmask_b32_e64 v34, 33, v34, s[8:9]
	v_alignbit_b32 v16, v17, v16, 30
	v_xor_b32_e32 v33, v33, v41
	v_sub_u32_e32 v35, 32, v34
	v_xor_b32_e32 v16, v16, v41
	v_alignbit_b32 v36, v42, v33, v35
	v_alignbit_b32 v16, v33, v16, v35
	;; [unrolled: 1-line block ×3, first 2 shown]
	v_ffbh_u32_e32 v33, v17
	v_min_u32_e32 v33, 32, v33
	v_lshrrev_b32_e32 v38, 29, v2
	v_sub_u32_e32 v35, 31, v33
	v_alignbit_b32 v16, v17, v16, v35
	v_lshlrev_b32_e32 v17, 31, v38
	v_or_b32_e32 v35, 0x33800000, v17
	v_add_lshl_u32 v33, v33, v34, 23
	v_lshrrev_b32_e32 v16, 9, v16
	v_sub_u32_e32 v33, v35, v33
	v_or_b32_e32 v16, v33, v16
	v_alignbit_b32 v33, v34, v36, 9
	v_or_b32_e32 v17, v33, v17
	v_xor_b32_e32 v17, 1.0, v17
	v_mul_f32_e32 v33, 0x3fc90fda, v17
	v_fma_f32 v34, v17, s53, -v33
	v_fmac_f32_e32 v34, 0x33a22168, v17
	v_fmac_f32_e32 v34, 0x3fc90fda, v16
	v_lshrrev_b32_e32 v2, 30, v2
	v_add_f32_e32 v17, v33, v34
	v_add_u32_e32 v16, v40, v2
	s_andn2_saveexec_b64 s[8:9], s[38:39]
	s_branch .LBB139_63
.LBB139_62:                             ;   in Loop: Header=BB139_4 Depth=1
	s_andn2_saveexec_b64 s[8:9], s[38:39]
.LBB139_63:                             ;   in Loop: Header=BB139_4 Depth=1
	v_mul_f32_e64 v2, |v19|, s54
	v_rndne_f32_e32 v2, v2
	v_cvt_i32_f32_e32 v16, v2
	v_fma_f32 v17, v2, s55, |v19|
	v_fmac_f32_e32 v17, 0xb3a22168, v2
	v_fmac_f32_e32 v17, 0xa7c234c4, v2
; %bb.64:                               ;   in Loop: Header=BB139_4 Depth=1
	s_or_b64 exec, exec, s[8:9]
                                        ; implicit-def: $vgpr2
                                        ; implicit-def: $vgpr33
	s_and_saveexec_b64 s[8:9], s[36:37]
	s_xor_b64 s[36:37], exec, s[8:9]
	s_cbranch_execz .LBB139_66
; %bb.65:                               ;   in Loop: Header=BB139_4 Depth=1
	v_lshrrev_b32_e32 v2, 23, v32
	v_add_u32_e32 v2, 0xffffff88, v2
	v_cmp_lt_u32_e64 s[8:9], 63, v2
	v_cndmask_b32_e64 v33, 0, v28, s[8:9]
	v_add_u32_e32 v2, v33, v2
	v_cmp_lt_u32_e64 s[10:11], 31, v2
	v_cndmask_b32_e64 v33, 0, v29, s[10:11]
	;; [unrolled: 3-line block ×3, first 2 shown]
	v_add_u32_e32 v33, v33, v2
	v_and_b32_e32 v2, 0x7fffff, v32
	v_or_b32_e32 v46, 0x800000, v2
	v_mad_u64_u32 v[34:35], s[14:15], v46, s46, 0
	v_mov_b32_e32 v2, v35
	v_mad_u64_u32 v[36:37], s[14:15], v46, s47, v[2:3]
	v_mov_b32_e32 v2, v37
	;; [unrolled: 2-line block ×6, first 2 shown]
	v_mad_u64_u32 v[46:47], s[14:15], v46, s52, v[2:3]
	v_cndmask_b32_e64 v35, v44, v40, s[8:9]
	v_cndmask_b32_e64 v2, v46, v42, s[8:9]
	;; [unrolled: 1-line block ×7, first 2 shown]
	v_sub_u32_e32 v41, 32, v33
	v_cmp_eq_u32_e64 s[14:15], 0, v33
	v_cndmask_b32_e64 v33, v40, v36, s[8:9]
	v_cndmask_b32_e64 v2, v2, v37, s[12:13]
	;; [unrolled: 1-line block ×4, first 2 shown]
	v_alignbit_b32 v42, v2, v37, v41
	v_cndmask_b32_e64 v35, v35, v36, s[12:13]
	v_cndmask_b32_e64 v2, v42, v2, s[14:15]
	v_alignbit_b32 v39, v37, v35, v41
	v_cndmask_b32_e64 v37, v39, v37, s[14:15]
	v_bfe_u32 v42, v2, 29, 1
	v_cndmask_b32_e64 v34, v38, v34, s[8:9]
	v_alignbit_b32 v39, v2, v37, 30
	v_sub_u32_e32 v43, 0, v42
	v_cndmask_b32_e64 v33, v33, v34, s[10:11]
	v_xor_b32_e32 v44, v39, v43
	v_cndmask_b32_e64 v33, v36, v33, s[12:13]
	v_alignbit_b32 v34, v35, v33, v41
	v_ffbh_u32_e32 v36, v44
	v_cndmask_b32_e64 v34, v34, v35, s[14:15]
	v_add_u32_e32 v36, 1, v36
	v_cmp_ne_u32_e64 s[8:9], v39, v43
	v_alignbit_b32 v35, v37, v34, 30
	v_cndmask_b32_e64 v36, 33, v36, s[8:9]
	v_alignbit_b32 v33, v34, v33, 30
	v_xor_b32_e32 v35, v35, v43
	v_sub_u32_e32 v37, 32, v36
	v_xor_b32_e32 v33, v33, v43
	v_alignbit_b32 v38, v44, v35, v37
	v_alignbit_b32 v33, v35, v33, v37
	v_alignbit_b32 v34, v38, v33, 9
	v_ffbh_u32_e32 v35, v34
	v_min_u32_e32 v35, 32, v35
	v_lshrrev_b32_e32 v40, 29, v2
	v_sub_u32_e32 v37, 31, v35
	v_alignbit_b32 v33, v34, v33, v37
	v_lshlrev_b32_e32 v34, 31, v40
	v_or_b32_e32 v37, 0x33800000, v34
	v_add_lshl_u32 v35, v35, v36, 23
	v_lshrrev_b32_e32 v33, 9, v33
	v_sub_u32_e32 v35, v37, v35
	v_or_b32_e32 v33, v35, v33
	v_alignbit_b32 v35, v36, v38, 9
	v_or_b32_e32 v34, v35, v34
	v_xor_b32_e32 v34, 1.0, v34
	v_mul_f32_e32 v35, 0x3fc90fda, v34
	v_fma_f32 v36, v34, s53, -v35
	v_fmac_f32_e32 v36, 0x33a22168, v34
	v_fmac_f32_e32 v36, 0x3fc90fda, v33
	v_lshrrev_b32_e32 v2, 30, v2
	v_add_f32_e32 v33, v35, v36
	v_add_u32_e32 v2, v42, v2
	s_andn2_saveexec_b64 s[8:9], s[36:37]
	s_cbranch_execnz .LBB139_67
	s_branch .LBB139_68
.LBB139_66:                             ;   in Loop: Header=BB139_4 Depth=1
	s_andn2_saveexec_b64 s[8:9], s[36:37]
.LBB139_67:                             ;   in Loop: Header=BB139_4 Depth=1
	v_mul_f32_e64 v2, |v19|, s54
	v_rndne_f32_e32 v34, v2
	v_cvt_i32_f32_e32 v2, v34
	v_fma_f32 v33, v34, s55, |v19|
	v_fmac_f32_e32 v33, 0xb3a22168, v34
	v_fmac_f32_e32 v33, 0xa7c234c4, v34
.LBB139_68:                             ;   in Loop: Header=BB139_4 Depth=1
	s_or_b64 exec, exec, s[8:9]
	v_mul_f32_e32 v34, 0x3fb8aa3b, v18
	v_rndne_f32_e32 v35, v34
	v_sub_f32_e32 v36, v34, v35
	v_fma_f32 v34, v18, s56, -v34
	v_fmac_f32_e32 v34, 0x32a5705f, v18
	v_add_f32_e32 v34, v36, v34
	v_cvt_i32_f32_e32 v35, v35
	v_exp_f32_e32 v34, v34
	v_cmp_ngt_f32_e64 s[8:9], s57, v18
	v_ldexp_f32 v34, v34, v35
	v_cndmask_b32_e64 v34, 0, v34, s[8:9]
	v_cmp_nlt_f32_e64 s[8:9], s58, v18
	v_cndmask_b32_e64 v18, v30, v34, s[8:9]
	v_mul_f32_e32 v34, v17, v17
	v_mov_b32_e32 v35, 0x3c0881c4
	v_fmac_f32_e32 v35, 0xb94c1982, v34
	v_fma_f32 v35, v34, v35, v25
	v_mul_f32_e32 v35, v34, v35
	v_fmac_f32_e32 v17, v17, v35
	v_mov_b32_e32 v35, 0xbab64f3b
	v_fmac_f32_e32 v35, 0x37d75334, v34
	v_fma_f32 v35, v34, v35, v26
	v_fma_f32 v35, v34, v35, v27
	v_fma_f32 v34, v34, v35, 1.0
	v_and_b32_e32 v35, 1, v16
	v_cmp_eq_u32_e64 s[8:9], 0, v35
	v_lshlrev_b32_e32 v16, 30, v16
	v_cndmask_b32_e64 v17, -v17, v34, s[8:9]
	v_and_b32_e32 v16, 0x80000000, v16
	v_xor_b32_e32 v16, v16, v17
	v_mul_f32_e32 v17, v33, v33
	v_mov_b32_e32 v34, 0x3c0881c4
	v_fmac_f32_e32 v34, 0xb94c1982, v17
	v_fma_f32 v34, v17, v34, v25
	v_mul_f32_e32 v34, v17, v34
	v_fmac_f32_e32 v33, v33, v34
	v_mov_b32_e32 v34, 0xbab64f3b
	v_fmac_f32_e32 v34, 0x37d75334, v17
	v_fma_f32 v34, v17, v34, v26
	v_fma_f32 v34, v17, v34, v27
	v_fma_f32 v17, v17, v34, 1.0
	v_and_b32_e32 v34, 1, v2
	v_cmp_eq_u32_e64 s[10:11], 0, v34
	v_lshlrev_b32_e32 v2, 30, v2
	v_cndmask_b32_e64 v17, v17, v33, s[10:11]
	v_and_or_b32 v2, v2, s59, v32
	v_xor_b32_e32 v2, v2, v17
	v_cmp_class_f32_e64 s[8:9], v19, s60
	v_xor_b32_e32 v2, v2, v19
	v_cndmask_b32_e64 v16, v31, v16, s[8:9]
	v_cndmask_b32_e64 v2, v31, v2, s[8:9]
	v_mul_f32_e32 v16, v18, v16
	v_mul_f32_e32 v17, v18, v2
                                        ; implicit-def: $vgpr19
                                        ; implicit-def: $vgpr32
.LBB139_69:                             ;   in Loop: Header=BB139_4 Depth=1
	s_andn2_saveexec_b64 s[34:35], s[34:35]
	s_cbranch_execz .LBB139_79
; %bb.70:                               ;   in Loop: Header=BB139_4 Depth=1
	v_cmp_nlt_f32_e64 s[36:37], |v19|, s45
                                        ; implicit-def: $vgpr17
                                        ; implicit-def: $vgpr16
	s_and_saveexec_b64 s[8:9], s[36:37]
	s_xor_b64 s[38:39], exec, s[8:9]
	s_cbranch_execz .LBB139_72
; %bb.71:                               ;   in Loop: Header=BB139_4 Depth=1
	v_lshrrev_b32_e32 v2, 23, v32
	v_add_u32_e32 v2, 0xffffff88, v2
	v_cmp_lt_u32_e64 s[8:9], 63, v2
	v_cndmask_b32_e64 v16, 0, v28, s[8:9]
	v_add_u32_e32 v2, v16, v2
	v_cmp_lt_u32_e64 s[10:11], 31, v2
	v_cndmask_b32_e64 v16, 0, v29, s[10:11]
	;; [unrolled: 3-line block ×3, first 2 shown]
	v_add_u32_e32 v33, v16, v2
	v_and_b32_e32 v2, 0x7fffff, v32
	v_or_b32_e32 v44, 0x800000, v2
	v_mad_u64_u32 v[16:17], s[14:15], v44, s46, 0
	v_mov_b32_e32 v2, v17
	v_mad_u64_u32 v[34:35], s[14:15], v44, s47, v[2:3]
	v_mov_b32_e32 v2, v35
	;; [unrolled: 2-line block ×6, first 2 shown]
	v_mad_u64_u32 v[44:45], s[14:15], v44, s52, v[2:3]
	v_cndmask_b32_e64 v17, v42, v38, s[8:9]
	v_cndmask_b32_e64 v2, v44, v40, s[8:9]
	;; [unrolled: 1-line block ×7, first 2 shown]
	v_sub_u32_e32 v39, 32, v33
	v_cmp_eq_u32_e64 s[14:15], 0, v33
	v_cndmask_b32_e64 v33, v38, v34, s[8:9]
	v_cndmask_b32_e64 v2, v2, v35, s[12:13]
	;; [unrolled: 1-line block ×4, first 2 shown]
	v_alignbit_b32 v40, v2, v35, v39
	v_cndmask_b32_e64 v17, v17, v34, s[12:13]
	v_cndmask_b32_e64 v2, v40, v2, s[14:15]
	v_alignbit_b32 v37, v35, v17, v39
	v_cndmask_b32_e64 v35, v37, v35, s[14:15]
	v_bfe_u32 v40, v2, 29, 1
	v_cndmask_b32_e64 v16, v36, v16, s[8:9]
	v_alignbit_b32 v37, v2, v35, 30
	v_sub_u32_e32 v41, 0, v40
	v_cndmask_b32_e64 v16, v33, v16, s[10:11]
	v_xor_b32_e32 v42, v37, v41
	v_cndmask_b32_e64 v16, v34, v16, s[12:13]
	v_alignbit_b32 v33, v17, v16, v39
	v_ffbh_u32_e32 v34, v42
	v_cndmask_b32_e64 v17, v33, v17, s[14:15]
	v_add_u32_e32 v34, 1, v34
	v_cmp_ne_u32_e64 s[8:9], v37, v41
	v_alignbit_b32 v33, v35, v17, 30
	v_cndmask_b32_e64 v34, 33, v34, s[8:9]
	v_alignbit_b32 v16, v17, v16, 30
	v_xor_b32_e32 v33, v33, v41
	v_sub_u32_e32 v35, 32, v34
	v_xor_b32_e32 v16, v16, v41
	v_alignbit_b32 v36, v42, v33, v35
	v_alignbit_b32 v16, v33, v16, v35
	;; [unrolled: 1-line block ×3, first 2 shown]
	v_ffbh_u32_e32 v33, v17
	v_min_u32_e32 v33, 32, v33
	v_lshrrev_b32_e32 v38, 29, v2
	v_sub_u32_e32 v35, 31, v33
	v_alignbit_b32 v16, v17, v16, v35
	v_lshlrev_b32_e32 v17, 31, v38
	v_or_b32_e32 v35, 0x33800000, v17
	v_add_lshl_u32 v33, v33, v34, 23
	v_lshrrev_b32_e32 v16, 9, v16
	v_sub_u32_e32 v33, v35, v33
	v_or_b32_e32 v16, v33, v16
	v_alignbit_b32 v33, v34, v36, 9
	v_or_b32_e32 v17, v33, v17
	v_xor_b32_e32 v17, 1.0, v17
	v_mul_f32_e32 v33, 0x3fc90fda, v17
	v_fma_f32 v34, v17, s53, -v33
	v_fmac_f32_e32 v34, 0x33a22168, v17
	v_fmac_f32_e32 v34, 0x3fc90fda, v16
	v_lshrrev_b32_e32 v2, 30, v2
	v_add_f32_e32 v16, v33, v34
	v_add_u32_e32 v17, v40, v2
	s_andn2_saveexec_b64 s[8:9], s[38:39]
	s_branch .LBB139_73
.LBB139_72:                             ;   in Loop: Header=BB139_4 Depth=1
	s_andn2_saveexec_b64 s[8:9], s[38:39]
.LBB139_73:                             ;   in Loop: Header=BB139_4 Depth=1
	v_mul_f32_e64 v2, |v19|, s54
	v_rndne_f32_e32 v2, v2
	v_cvt_i32_f32_e32 v17, v2
	v_fma_f32 v16, v2, s55, |v19|
	v_fmac_f32_e32 v16, 0xb3a22168, v2
	v_fmac_f32_e32 v16, 0xa7c234c4, v2
; %bb.74:                               ;   in Loop: Header=BB139_4 Depth=1
	s_or_b64 exec, exec, s[8:9]
                                        ; implicit-def: $vgpr2
                                        ; implicit-def: $vgpr33
	s_and_saveexec_b64 s[8:9], s[36:37]
	s_xor_b64 s[36:37], exec, s[8:9]
	s_cbranch_execz .LBB139_76
; %bb.75:                               ;   in Loop: Header=BB139_4 Depth=1
	v_lshrrev_b32_e32 v2, 23, v32
	v_add_u32_e32 v2, 0xffffff88, v2
	v_cmp_lt_u32_e64 s[8:9], 63, v2
	v_cndmask_b32_e64 v33, 0, v28, s[8:9]
	v_add_u32_e32 v2, v33, v2
	v_cmp_lt_u32_e64 s[10:11], 31, v2
	v_cndmask_b32_e64 v33, 0, v29, s[10:11]
	;; [unrolled: 3-line block ×3, first 2 shown]
	v_add_u32_e32 v33, v33, v2
	v_and_b32_e32 v2, 0x7fffff, v32
	v_or_b32_e32 v46, 0x800000, v2
	v_mad_u64_u32 v[34:35], s[14:15], v46, s46, 0
	v_mov_b32_e32 v2, v35
	v_mad_u64_u32 v[36:37], s[14:15], v46, s47, v[2:3]
	v_mov_b32_e32 v2, v37
	;; [unrolled: 2-line block ×6, first 2 shown]
	v_mad_u64_u32 v[46:47], s[14:15], v46, s52, v[2:3]
	v_cndmask_b32_e64 v35, v44, v40, s[8:9]
	v_cndmask_b32_e64 v2, v46, v42, s[8:9]
	;; [unrolled: 1-line block ×7, first 2 shown]
	v_sub_u32_e32 v41, 32, v33
	v_cmp_eq_u32_e64 s[14:15], 0, v33
	v_cndmask_b32_e64 v33, v40, v36, s[8:9]
	v_cndmask_b32_e64 v2, v2, v37, s[12:13]
	;; [unrolled: 1-line block ×4, first 2 shown]
	v_alignbit_b32 v42, v2, v37, v41
	v_cndmask_b32_e64 v35, v35, v36, s[12:13]
	v_cndmask_b32_e64 v2, v42, v2, s[14:15]
	v_alignbit_b32 v39, v37, v35, v41
	v_cndmask_b32_e64 v37, v39, v37, s[14:15]
	v_bfe_u32 v42, v2, 29, 1
	v_cndmask_b32_e64 v34, v38, v34, s[8:9]
	v_alignbit_b32 v39, v2, v37, 30
	v_sub_u32_e32 v43, 0, v42
	v_cndmask_b32_e64 v33, v33, v34, s[10:11]
	v_xor_b32_e32 v44, v39, v43
	v_cndmask_b32_e64 v33, v36, v33, s[12:13]
	v_alignbit_b32 v34, v35, v33, v41
	v_ffbh_u32_e32 v36, v44
	v_cndmask_b32_e64 v34, v34, v35, s[14:15]
	v_add_u32_e32 v36, 1, v36
	v_cmp_ne_u32_e64 s[8:9], v39, v43
	v_alignbit_b32 v35, v37, v34, 30
	v_cndmask_b32_e64 v36, 33, v36, s[8:9]
	v_alignbit_b32 v33, v34, v33, 30
	v_xor_b32_e32 v35, v35, v43
	v_sub_u32_e32 v37, 32, v36
	v_xor_b32_e32 v33, v33, v43
	v_alignbit_b32 v38, v44, v35, v37
	v_alignbit_b32 v33, v35, v33, v37
	;; [unrolled: 1-line block ×3, first 2 shown]
	v_ffbh_u32_e32 v35, v34
	v_min_u32_e32 v35, 32, v35
	v_lshrrev_b32_e32 v40, 29, v2
	v_sub_u32_e32 v37, 31, v35
	v_alignbit_b32 v33, v34, v33, v37
	v_lshlrev_b32_e32 v34, 31, v40
	v_or_b32_e32 v37, 0x33800000, v34
	v_add_lshl_u32 v35, v35, v36, 23
	v_lshrrev_b32_e32 v33, 9, v33
	v_sub_u32_e32 v35, v37, v35
	v_or_b32_e32 v33, v35, v33
	v_alignbit_b32 v35, v36, v38, 9
	v_or_b32_e32 v34, v35, v34
	v_xor_b32_e32 v34, 1.0, v34
	v_mul_f32_e32 v35, 0x3fc90fda, v34
	v_fma_f32 v36, v34, s53, -v35
	v_fmac_f32_e32 v36, 0x33a22168, v34
	v_fmac_f32_e32 v36, 0x3fc90fda, v33
	v_lshrrev_b32_e32 v2, 30, v2
	v_add_f32_e32 v33, v35, v36
	v_add_u32_e32 v2, v42, v2
	s_andn2_saveexec_b64 s[8:9], s[36:37]
	s_cbranch_execnz .LBB139_77
	s_branch .LBB139_78
.LBB139_76:                             ;   in Loop: Header=BB139_4 Depth=1
	s_andn2_saveexec_b64 s[8:9], s[36:37]
.LBB139_77:                             ;   in Loop: Header=BB139_4 Depth=1
	v_mul_f32_e64 v2, |v19|, s54
	v_rndne_f32_e32 v34, v2
	v_cvt_i32_f32_e32 v2, v34
	v_fma_f32 v33, v34, s55, |v19|
	v_fmac_f32_e32 v33, 0xb3a22168, v34
	v_fmac_f32_e32 v33, 0xa7c234c4, v34
.LBB139_78:                             ;   in Loop: Header=BB139_4 Depth=1
	s_or_b64 exec, exec, s[8:9]
	v_mul_f32_e32 v35, v16, v16
	v_mov_b32_e32 v36, 0xbab64f3b
	v_fmac_f32_e32 v36, 0x37d75334, v35
	v_mov_b32_e32 v37, 0x3c0881c4
	v_fma_f32 v36, v35, v36, v26
	v_fmac_f32_e32 v37, 0xb94c1982, v35
	v_lshlrev_b32_e32 v34, 30, v17
	v_and_b32_e32 v17, 1, v17
	v_fma_f32 v36, v35, v36, v27
	v_fma_f32 v37, v35, v37, v25
	v_fma_f32 v36, v35, v36, 1.0
	v_mul_f32_e32 v35, v35, v37
	v_cmp_eq_u32_e64 s[8:9], 0, v17
	v_add_f32_e32 v17, 0xc322e3bc, v18
	v_fmac_f32_e32 v16, v16, v35
	v_mul_f32_e32 v18, 0x3fb8aa3b, v17
	v_cndmask_b32_e64 v16, -v16, v36, s[8:9]
	v_fma_f32 v35, v17, s56, -v18
	v_rndne_f32_e32 v36, v18
	v_fmac_f32_e32 v35, 0x32a5705f, v17
	v_sub_f32_e32 v18, v18, v36
	v_add_f32_e32 v18, v18, v35
	v_exp_f32_e32 v18, v18
	v_cvt_i32_f32_e32 v35, v36
	v_cmp_ngt_f32_e64 s[10:11], s57, v17
	v_and_b32_e32 v34, 0x80000000, v34
	v_xor_b32_e32 v16, v34, v16
	v_ldexp_f32 v18, v18, v35
	v_cndmask_b32_e64 v18, 0, v18, s[10:11]
	v_cmp_nlt_f32_e64 s[10:11], s58, v17
	v_cndmask_b32_e64 v17, v30, v18, s[10:11]
	v_and_b32_e32 v18, 0x7fffff, v17
	v_lshrrev_b32_e32 v17, 23, v17
	v_subrev_u32_e32 v17, 19, v17
	v_lshrrev_b16_e32 v34, 15, v17
	v_add_u16_e32 v34, v17, v34
	v_ashrrev_i16_e32 v34, 1, v34
	v_bfe_i32 v34, v34, 0, 16
	v_lshl_add_u32 v35, v34, 23, 1.0
	v_sub_u32_e32 v17, v17, v34
	v_mul_f32_e32 v34, v33, v33
	v_mov_b32_e32 v36, 0x3c0881c4
	v_fmac_f32_e32 v36, 0xb94c1982, v34
	v_fma_f32 v36, v34, v36, v25
	v_mul_f32_e32 v36, v34, v36
	v_fmac_f32_e32 v33, v33, v36
	v_mov_b32_e32 v36, 0xbab64f3b
	v_fmac_f32_e32 v36, 0x37d75334, v34
	v_fma_f32 v36, v34, v36, v26
	v_fma_f32 v36, v34, v36, v27
	v_fma_f32 v34, v34, v36, 1.0
	v_and_b32_e32 v36, 1, v2
	v_cmp_eq_u32_e64 s[10:11], 0, v36
	v_lshlrev_b32_e32 v2, 30, v2
	v_cndmask_b32_e64 v33, v34, v33, s[10:11]
	v_and_or_b32 v2, v2, s59, v32
	v_xor_b32_e32 v2, v2, v33
	v_cmp_class_f32_e64 s[8:9], v19, s60
	v_xor_b32_e32 v2, v2, v19
	v_cndmask_b32_e64 v16, v31, v16, s[8:9]
	v_or_b32_e32 v18, 0x7f000000, v18
	v_cndmask_b32_e64 v2, v31, v2, s[8:9]
	v_mul_f32_e32 v16, v16, v18
	v_mul_f32_e32 v2, v2, v18
	;; [unrolled: 1-line block ×3, first 2 shown]
	v_lshl_add_u32 v17, v17, 23, 1.0
	v_mul_f32_e32 v2, v2, v35
	v_mul_f32_e32 v16, v16, v17
	v_mul_f32_e32 v17, v2, v17
.LBB139_79:                             ;   in Loop: Header=BB139_4 Depth=1
	s_or_b64 exec, exec, s[34:35]
                                        ; implicit-def: $vgpr18
                                        ; implicit-def: $vgpr2
.LBB139_80:                             ;   in Loop: Header=BB139_4 Depth=1
	s_andn2_saveexec_b64 s[10:11], s[30:31]
	s_cbranch_execz .LBB139_86
; %bb.81:                               ;   in Loop: Header=BB139_4 Depth=1
	v_cmp_ne_u32_e64 s[8:9], s43, v2
	v_sub_f32_e32 v17, v19, v19
	s_and_saveexec_b64 s[12:13], s[8:9]
	s_xor_b64 s[8:9], exec, s[12:13]
; %bb.82:                               ;   in Loop: Header=BB139_4 Depth=1
                                        ; implicit-def: $vgpr18
; %bb.83:                               ;   in Loop: Header=BB139_4 Depth=1
	s_or_saveexec_b64 s[12:13], s[8:9]
	v_mov_b32_e32 v16, v17
	s_xor_b64 exec, exec, s[12:13]
; %bb.84:                               ;   in Loop: Header=BB139_4 Depth=1
	v_cmp_lt_i32_e64 s[8:9], -1, v18
	v_cndmask_b32_e64 v16, 0, v18, s[8:9]
	v_cndmask_b32_e64 v17, 0, v17, s[8:9]
; %bb.85:                               ;   in Loop: Header=BB139_4 Depth=1
	s_or_b64 exec, exec, s[12:13]
.LBB139_86:                             ;   in Loop: Header=BB139_4 Depth=1
	s_or_b64 exec, exec, s[10:11]
                                        ; implicit-def: $vgpr19
                                        ; implicit-def: $vgpr32
.LBB139_87:                             ;   in Loop: Header=BB139_4 Depth=1
	s_andn2_saveexec_b64 s[28:29], s[28:29]
	s_cbranch_execz .LBB139_97
; %bb.88:                               ;   in Loop: Header=BB139_4 Depth=1
	v_lshrrev_b32_e32 v2, 23, v32
	v_and_b32_e32 v16, 0x7fffff, v32
	v_cmp_nlt_f32_e64 s[30:31], |v19|, s45
	v_add_u32_e32 v33, 0xffffff88, v2
	v_or_b32_e32 v18, 0x800000, v16
                                        ; implicit-def: $vgpr16
                                        ; implicit-def: $vgpr17
	s_and_saveexec_b64 s[8:9], s[30:31]
	s_xor_b64 s[34:35], exec, s[8:9]
	s_cbranch_execz .LBB139_90
; %bb.89:                               ;   in Loop: Header=BB139_4 Depth=1
	v_cmp_lt_u32_e64 s[8:9], 63, v33
	v_cndmask_b32_e64 v2, 0, v28, s[8:9]
	v_add_u32_e32 v2, v2, v33
	v_cmp_lt_u32_e64 s[10:11], 31, v2
	v_cndmask_b32_e64 v16, 0, v29, s[10:11]
	v_add_u32_e32 v2, v16, v2
	v_cmp_lt_u32_e64 s[12:13], 31, v2
	v_cndmask_b32_e64 v16, 0, v29, s[12:13]
	v_add_u32_e32 v46, v16, v2
	v_mad_u64_u32 v[16:17], s[14:15], v18, s46, 0
	v_mov_b32_e32 v2, v17
	v_mad_u64_u32 v[34:35], s[14:15], v18, s47, v[2:3]
	v_mov_b32_e32 v2, v35
	;; [unrolled: 2-line block ×6, first 2 shown]
	v_mad_u64_u32 v[44:45], s[14:15], v18, s52, v[2:3]
	v_cndmask_b32_e64 v17, v42, v38, s[8:9]
	v_cndmask_b32_e64 v2, v44, v40, s[8:9]
	;; [unrolled: 1-line block ×10, first 2 shown]
	v_sub_u32_e32 v39, 32, v46
	v_cndmask_b32_e64 v37, v37, v34, s[10:11]
	v_alignbit_b32 v40, v2, v35, v39
	v_cmp_eq_u32_e64 s[14:15], 0, v46
	v_cndmask_b32_e64 v17, v17, v37, s[12:13]
	v_cndmask_b32_e64 v16, v36, v16, s[8:9]
	;; [unrolled: 1-line block ×3, first 2 shown]
	v_alignbit_b32 v38, v35, v17, v39
	v_cndmask_b32_e64 v16, v34, v16, s[10:11]
	v_cndmask_b32_e64 v35, v38, v35, s[14:15]
	v_bfe_u32 v41, v2, 29, 1
	v_cndmask_b32_e64 v16, v37, v16, s[12:13]
	v_alignbit_b32 v38, v2, v35, 30
	v_sub_u32_e32 v42, 0, v41
	v_alignbit_b32 v34, v17, v16, v39
	v_xor_b32_e32 v43, v38, v42
	v_cndmask_b32_e64 v17, v34, v17, s[14:15]
	v_alignbit_b32 v34, v35, v17, 30
	v_ffbh_u32_e32 v35, v43
	v_add_u32_e32 v35, 1, v35
	v_cmp_ne_u32_e64 s[8:9], v38, v42
	v_cndmask_b32_e64 v35, 33, v35, s[8:9]
	v_alignbit_b32 v16, v17, v16, 30
	v_xor_b32_e32 v34, v34, v42
	v_sub_u32_e32 v36, 32, v35
	v_xor_b32_e32 v16, v16, v42
	v_alignbit_b32 v37, v43, v34, v36
	v_alignbit_b32 v16, v34, v16, v36
	;; [unrolled: 1-line block ×3, first 2 shown]
	v_ffbh_u32_e32 v34, v17
	v_min_u32_e32 v34, 32, v34
	v_lshrrev_b32_e32 v40, 29, v2
	v_sub_u32_e32 v36, 31, v34
	v_alignbit_b32 v16, v17, v16, v36
	v_lshlrev_b32_e32 v17, 31, v40
	v_or_b32_e32 v36, 0x33800000, v17
	v_add_lshl_u32 v34, v34, v35, 23
	v_lshrrev_b32_e32 v16, 9, v16
	v_sub_u32_e32 v34, v36, v34
	v_or_b32_e32 v16, v34, v16
	v_alignbit_b32 v34, v35, v37, 9
	v_or_b32_e32 v17, v34, v17
	v_xor_b32_e32 v17, 1.0, v17
	v_mul_f32_e32 v34, 0x3fc90fda, v17
	v_fma_f32 v35, v17, s53, -v34
	v_fmac_f32_e32 v35, 0x33a22168, v17
	v_fmac_f32_e32 v35, 0x3fc90fda, v16
	v_lshrrev_b32_e32 v2, 30, v2
	v_add_f32_e32 v17, v34, v35
	v_add_u32_e32 v16, v41, v2
.LBB139_90:                             ;   in Loop: Header=BB139_4 Depth=1
	s_or_saveexec_b64 s[8:9], s[34:35]
	v_mul_f32_e64 v2, |v19|, s54
	v_rndne_f32_e32 v35, v2
	s_xor_b64 exec, exec, s[8:9]
; %bb.91:                               ;   in Loop: Header=BB139_4 Depth=1
	v_cvt_i32_f32_e32 v16, v35
	v_fma_f32 v17, v35, s55, |v19|
	v_fmac_f32_e32 v17, 0xb3a22168, v35
	v_fmac_f32_e32 v17, 0xa7c234c4, v35
; %bb.92:                               ;   in Loop: Header=BB139_4 Depth=1
	s_or_b64 exec, exec, s[8:9]
                                        ; implicit-def: $vgpr2
                                        ; implicit-def: $vgpr34
	s_and_saveexec_b64 s[8:9], s[30:31]
	s_xor_b64 s[30:31], exec, s[8:9]
	s_cbranch_execz .LBB139_94
; %bb.93:                               ;   in Loop: Header=BB139_4 Depth=1
	v_cmp_lt_u32_e64 s[8:9], 63, v33
	v_cndmask_b32_e64 v2, 0, v28, s[8:9]
	v_add_u32_e32 v2, v2, v33
	v_cmp_lt_u32_e64 s[10:11], 31, v2
	v_cndmask_b32_e64 v33, 0, v29, s[10:11]
	v_add_u32_e32 v2, v33, v2
	v_cmp_lt_u32_e64 s[12:13], 31, v2
	v_cndmask_b32_e64 v33, 0, v29, s[12:13]
	v_mad_u64_u32 v[34:35], s[14:15], v18, s46, 0
	v_add_u32_e32 v33, v33, v2
	v_mov_b32_e32 v2, v35
	v_mad_u64_u32 v[36:37], s[14:15], v18, s47, v[2:3]
	v_mov_b32_e32 v2, v37
	v_mad_u64_u32 v[38:39], s[14:15], v18, s48, v[2:3]
	;; [unrolled: 2-line block ×6, first 2 shown]
	v_cndmask_b32_e64 v35, v44, v40, s[8:9]
	v_cndmask_b32_e64 v2, v46, v42, s[8:9]
	;; [unrolled: 1-line block ×7, first 2 shown]
	v_sub_u32_e32 v39, 32, v33
	v_cmp_eq_u32_e64 s[14:15], 0, v33
	v_cndmask_b32_e64 v33, v40, v36, s[8:9]
	v_cndmask_b32_e64 v2, v2, v18, s[12:13]
	;; [unrolled: 1-line block ×4, first 2 shown]
	v_alignbit_b32 v41, v2, v18, v39
	v_cndmask_b32_e64 v35, v35, v36, s[12:13]
	v_cndmask_b32_e64 v2, v41, v2, s[14:15]
	v_alignbit_b32 v37, v18, v35, v39
	v_cndmask_b32_e64 v34, v38, v34, s[8:9]
	v_cndmask_b32_e64 v18, v37, v18, s[14:15]
	v_bfe_u32 v41, v2, 29, 1
	v_cndmask_b32_e64 v33, v33, v34, s[10:11]
	v_alignbit_b32 v37, v2, v18, 30
	v_sub_u32_e32 v42, 0, v41
	v_cndmask_b32_e64 v33, v36, v33, s[12:13]
	v_xor_b32_e32 v43, v37, v42
	v_alignbit_b32 v34, v35, v33, v39
	v_cndmask_b32_e64 v34, v34, v35, s[14:15]
	v_ffbh_u32_e32 v35, v43
	v_add_u32_e32 v35, 1, v35
	v_cmp_ne_u32_e64 s[8:9], v37, v42
	v_alignbit_b32 v18, v18, v34, 30
	v_cndmask_b32_e64 v35, 33, v35, s[8:9]
	v_alignbit_b32 v33, v34, v33, 30
	v_xor_b32_e32 v18, v18, v42
	v_sub_u32_e32 v36, 32, v35
	v_xor_b32_e32 v33, v33, v42
	v_alignbit_b32 v37, v43, v18, v36
	v_alignbit_b32 v18, v18, v33, v36
	;; [unrolled: 1-line block ×3, first 2 shown]
	v_ffbh_u32_e32 v34, v33
	v_min_u32_e32 v34, 32, v34
	v_lshrrev_b32_e32 v40, 29, v2
	v_sub_u32_e32 v36, 31, v34
	v_alignbit_b32 v18, v33, v18, v36
	v_lshlrev_b32_e32 v33, 31, v40
	v_or_b32_e32 v36, 0x33800000, v33
	v_add_lshl_u32 v34, v34, v35, 23
	v_lshrrev_b32_e32 v18, 9, v18
	v_sub_u32_e32 v34, v36, v34
	v_or_b32_e32 v18, v34, v18
	v_alignbit_b32 v34, v35, v37, 9
	v_or_b32_e32 v33, v34, v33
	v_xor_b32_e32 v33, 1.0, v33
	v_mul_f32_e32 v34, 0x3fc90fda, v33
	v_fma_f32 v35, v33, s53, -v34
	v_fmac_f32_e32 v35, 0x33a22168, v33
	v_fmac_f32_e32 v35, 0x3fc90fda, v18
	v_lshrrev_b32_e32 v2, 30, v2
	v_add_f32_e32 v34, v34, v35
	v_add_u32_e32 v2, v41, v2
                                        ; implicit-def: $vgpr35
	s_andn2_saveexec_b64 s[8:9], s[30:31]
	s_cbranch_execnz .LBB139_95
	s_branch .LBB139_96
.LBB139_94:                             ;   in Loop: Header=BB139_4 Depth=1
	s_andn2_saveexec_b64 s[8:9], s[30:31]
.LBB139_95:                             ;   in Loop: Header=BB139_4 Depth=1
	v_cvt_i32_f32_e32 v2, v35
	v_fma_f32 v34, v35, s55, |v19|
	v_fmac_f32_e32 v34, 0xb3a22168, v35
	v_fmac_f32_e32 v34, 0xa7c234c4, v35
.LBB139_96:                             ;   in Loop: Header=BB139_4 Depth=1
	s_or_b64 exec, exec, s[8:9]
	v_mul_f32_e32 v18, v17, v17
	v_mov_b32_e32 v33, 0x3c0881c4
	v_fmac_f32_e32 v33, 0xb94c1982, v18
	v_fma_f32 v33, v18, v33, v25
	v_mul_f32_e32 v33, v18, v33
	v_fmac_f32_e32 v17, v17, v33
	v_mov_b32_e32 v33, 0xbab64f3b
	v_fmac_f32_e32 v33, 0x37d75334, v18
	v_fma_f32 v33, v18, v33, v26
	v_fma_f32 v33, v18, v33, v27
	v_fma_f32 v18, v18, v33, 1.0
	v_and_b32_e32 v33, 1, v16
	v_cmp_eq_u32_e64 s[8:9], 0, v33
	v_lshlrev_b32_e32 v16, 30, v16
	v_cndmask_b32_e64 v17, -v17, v18, s[8:9]
	v_and_b32_e32 v16, 0x80000000, v16
	v_xor_b32_e32 v16, v16, v17
	v_mul_f32_e32 v17, v34, v34
	v_mov_b32_e32 v18, 0x3c0881c4
	v_fmac_f32_e32 v18, 0xb94c1982, v17
	v_fma_f32 v18, v17, v18, v25
	v_mul_f32_e32 v18, v17, v18
	v_fmac_f32_e32 v34, v34, v18
	v_mov_b32_e32 v18, 0xbab64f3b
	v_fmac_f32_e32 v18, 0x37d75334, v17
	v_fma_f32 v18, v17, v18, v26
	v_fma_f32 v18, v17, v18, v27
	v_fma_f32 v17, v17, v18, 1.0
	v_and_b32_e32 v18, 1, v2
	v_cmp_eq_u32_e64 s[10:11], 0, v18
	v_lshlrev_b32_e32 v2, 30, v2
	v_cndmask_b32_e64 v17, v17, v34, s[10:11]
	v_and_or_b32 v2, v2, s59, v32
	v_xor_b32_e32 v2, v2, v17
	v_cmp_class_f32_e64 s[8:9], v19, s60
	v_xor_b32_e32 v2, v2, v19
	v_cndmask_b32_e64 v16, v31, v16, s[8:9]
	v_cndmask_b32_e64 v17, v31, v2, s[8:9]
.LBB139_97:                             ;   in Loop: Header=BB139_4 Depth=1
	s_or_b64 exec, exec, s[28:29]
                                        ; implicit-def: $vgpr18
.LBB139_98:                             ;   in Loop: Header=BB139_4 Depth=1
	s_andn2_saveexec_b64 s[10:11], s[26:27]
	s_cbranch_execz .LBB139_100
; %bb.99:                               ;   in Loop: Header=BB139_4 Depth=1
	v_mul_f32_e32 v2, 0x3fb8aa3b, v18
	v_rndne_f32_e32 v16, v2
	v_sub_f32_e32 v17, v2, v16
	v_fma_f32 v2, v18, s56, -v2
	v_fmac_f32_e32 v2, 0x32a5705f, v18
	v_add_f32_e32 v2, v17, v2
	v_cvt_i32_f32_e32 v16, v16
	v_exp_f32_e32 v2, v2
	v_cmp_ngt_f32_e64 s[8:9], s57, v18
	v_mov_b32_e32 v17, v19
	v_ldexp_f32 v2, v2, v16
	v_cndmask_b32_e64 v2, 0, v2, s[8:9]
	v_cmp_nlt_f32_e64 s[8:9], s58, v18
	v_cndmask_b32_e64 v16, v30, v2, s[8:9]
.LBB139_100:                            ;   in Loop: Header=BB139_4 Depth=1
	s_or_b64 exec, exec, s[10:11]
	v_and_b32_e32 v32, 0x7fffffff, v15
	v_cmp_ne_u32_e64 s[8:9], 0, v32
                                        ; implicit-def: $vgpr19
	s_and_saveexec_b64 s[10:11], s[8:9]
	s_xor_b64 s[26:27], exec, s[10:11]
	s_cbranch_execz .LBB139_142
; %bb.101:                              ;   in Loop: Header=BB139_4 Depth=1
	v_and_b32_e32 v2, 0x7fffffff, v14
	v_cmp_ne_u32_e64 s[8:9], 0, v2
                                        ; implicit-def: $vgpr19
	s_and_saveexec_b64 s[10:11], s[8:9]
	s_xor_b64 s[28:29], exec, s[10:11]
	s_cbranch_execz .LBB139_131
; %bb.102:                              ;   in Loop: Header=BB139_4 Depth=1
	v_cmp_gt_u32_e64 s[8:9], s43, v32
                                        ; implicit-def: $vgpr19
	s_and_saveexec_b64 s[10:11], s[8:9]
	s_xor_b64 s[30:31], exec, s[10:11]
	s_cbranch_execz .LBB139_124
; %bb.103:                              ;   in Loop: Header=BB139_4 Depth=1
	v_add_u32_e32 v2, 0xbd4e8de8, v14
	v_cmp_lt_u32_e64 s[8:9], s44, v2
                                        ; implicit-def: $vgpr19
	s_and_saveexec_b64 s[10:11], s[8:9]
	s_xor_b64 s[34:35], exec, s[10:11]
	s_cbranch_execz .LBB139_113
; %bb.104:                              ;   in Loop: Header=BB139_4 Depth=1
	v_cmp_nlt_f32_e64 s[36:37], |v15|, s45
                                        ; implicit-def: $vgpr18
                                        ; implicit-def: $vgpr19
	s_and_saveexec_b64 s[8:9], s[36:37]
	s_xor_b64 s[38:39], exec, s[8:9]
	s_cbranch_execz .LBB139_106
; %bb.105:                              ;   in Loop: Header=BB139_4 Depth=1
	v_lshrrev_b32_e32 v2, 23, v32
	v_add_u32_e32 v2, 0xffffff88, v2
	v_cmp_lt_u32_e64 s[8:9], 63, v2
	v_cndmask_b32_e64 v18, 0, v28, s[8:9]
	v_add_u32_e32 v2, v18, v2
	v_cmp_lt_u32_e64 s[10:11], 31, v2
	v_cndmask_b32_e64 v18, 0, v29, s[10:11]
	;; [unrolled: 3-line block ×3, first 2 shown]
	v_add_u32_e32 v33, v18, v2
	v_and_b32_e32 v2, 0x7fffff, v32
	v_or_b32_e32 v44, 0x800000, v2
	v_mad_u64_u32 v[18:19], s[14:15], v44, s46, 0
	v_mov_b32_e32 v2, v19
	v_mad_u64_u32 v[34:35], s[14:15], v44, s47, v[2:3]
	v_mov_b32_e32 v2, v35
	;; [unrolled: 2-line block ×6, first 2 shown]
	v_mad_u64_u32 v[44:45], s[14:15], v44, s52, v[2:3]
	v_cndmask_b32_e64 v19, v42, v38, s[8:9]
	v_cndmask_b32_e64 v2, v44, v40, s[8:9]
	;; [unrolled: 1-line block ×7, first 2 shown]
	v_sub_u32_e32 v39, 32, v33
	v_cmp_eq_u32_e64 s[14:15], 0, v33
	v_cndmask_b32_e64 v33, v38, v34, s[8:9]
	v_cndmask_b32_e64 v2, v2, v35, s[12:13]
	;; [unrolled: 1-line block ×4, first 2 shown]
	v_alignbit_b32 v40, v2, v35, v39
	v_cndmask_b32_e64 v19, v19, v34, s[12:13]
	v_cndmask_b32_e64 v2, v40, v2, s[14:15]
	v_alignbit_b32 v37, v35, v19, v39
	v_cndmask_b32_e64 v35, v37, v35, s[14:15]
	v_bfe_u32 v40, v2, 29, 1
	v_cndmask_b32_e64 v18, v36, v18, s[8:9]
	v_alignbit_b32 v37, v2, v35, 30
	v_sub_u32_e32 v41, 0, v40
	v_cndmask_b32_e64 v18, v33, v18, s[10:11]
	v_xor_b32_e32 v42, v37, v41
	v_cndmask_b32_e64 v18, v34, v18, s[12:13]
	v_alignbit_b32 v33, v19, v18, v39
	v_ffbh_u32_e32 v34, v42
	v_cndmask_b32_e64 v19, v33, v19, s[14:15]
	v_add_u32_e32 v34, 1, v34
	v_cmp_ne_u32_e64 s[8:9], v37, v41
	v_alignbit_b32 v33, v35, v19, 30
	v_cndmask_b32_e64 v34, 33, v34, s[8:9]
	v_alignbit_b32 v18, v19, v18, 30
	v_xor_b32_e32 v33, v33, v41
	v_sub_u32_e32 v35, 32, v34
	v_xor_b32_e32 v18, v18, v41
	v_alignbit_b32 v36, v42, v33, v35
	v_alignbit_b32 v18, v33, v18, v35
	;; [unrolled: 1-line block ×3, first 2 shown]
	v_ffbh_u32_e32 v33, v19
	v_min_u32_e32 v33, 32, v33
	v_lshrrev_b32_e32 v38, 29, v2
	v_sub_u32_e32 v35, 31, v33
	v_alignbit_b32 v18, v19, v18, v35
	v_lshlrev_b32_e32 v19, 31, v38
	v_or_b32_e32 v35, 0x33800000, v19
	v_add_lshl_u32 v33, v33, v34, 23
	v_lshrrev_b32_e32 v18, 9, v18
	v_sub_u32_e32 v33, v35, v33
	v_or_b32_e32 v18, v33, v18
	v_alignbit_b32 v33, v34, v36, 9
	v_or_b32_e32 v19, v33, v19
	v_xor_b32_e32 v19, 1.0, v19
	v_mul_f32_e32 v33, 0x3fc90fda, v19
	v_fma_f32 v34, v19, s53, -v33
	v_fmac_f32_e32 v34, 0x33a22168, v19
	v_fmac_f32_e32 v34, 0x3fc90fda, v18
	v_lshrrev_b32_e32 v2, 30, v2
	v_add_f32_e32 v19, v33, v34
	v_add_u32_e32 v18, v40, v2
	s_andn2_saveexec_b64 s[8:9], s[38:39]
	s_branch .LBB139_107
.LBB139_106:                            ;   in Loop: Header=BB139_4 Depth=1
	s_andn2_saveexec_b64 s[8:9], s[38:39]
.LBB139_107:                            ;   in Loop: Header=BB139_4 Depth=1
	v_mul_f32_e64 v2, |v15|, s54
	v_rndne_f32_e32 v2, v2
	v_cvt_i32_f32_e32 v18, v2
	v_fma_f32 v19, v2, s55, |v15|
	v_fmac_f32_e32 v19, 0xb3a22168, v2
	v_fmac_f32_e32 v19, 0xa7c234c4, v2
; %bb.108:                              ;   in Loop: Header=BB139_4 Depth=1
	s_or_b64 exec, exec, s[8:9]
                                        ; implicit-def: $vgpr2
                                        ; implicit-def: $vgpr33
	s_and_saveexec_b64 s[8:9], s[36:37]
	s_xor_b64 s[36:37], exec, s[8:9]
	s_cbranch_execz .LBB139_110
; %bb.109:                              ;   in Loop: Header=BB139_4 Depth=1
	v_lshrrev_b32_e32 v2, 23, v32
	v_add_u32_e32 v2, 0xffffff88, v2
	v_cmp_lt_u32_e64 s[8:9], 63, v2
	v_cndmask_b32_e64 v33, 0, v28, s[8:9]
	v_add_u32_e32 v2, v33, v2
	v_cmp_lt_u32_e64 s[10:11], 31, v2
	v_cndmask_b32_e64 v33, 0, v29, s[10:11]
	;; [unrolled: 3-line block ×3, first 2 shown]
	v_add_u32_e32 v33, v33, v2
	v_and_b32_e32 v2, 0x7fffff, v32
	v_or_b32_e32 v46, 0x800000, v2
	v_mad_u64_u32 v[34:35], s[14:15], v46, s46, 0
	v_mov_b32_e32 v2, v35
	v_mad_u64_u32 v[36:37], s[14:15], v46, s47, v[2:3]
	v_mov_b32_e32 v2, v37
	;; [unrolled: 2-line block ×6, first 2 shown]
	v_mad_u64_u32 v[46:47], s[14:15], v46, s52, v[2:3]
	v_cndmask_b32_e64 v35, v44, v40, s[8:9]
	v_cndmask_b32_e64 v2, v46, v42, s[8:9]
	;; [unrolled: 1-line block ×7, first 2 shown]
	v_sub_u32_e32 v41, 32, v33
	v_cmp_eq_u32_e64 s[14:15], 0, v33
	v_cndmask_b32_e64 v33, v40, v36, s[8:9]
	v_cndmask_b32_e64 v2, v2, v37, s[12:13]
	;; [unrolled: 1-line block ×4, first 2 shown]
	v_alignbit_b32 v42, v2, v37, v41
	v_cndmask_b32_e64 v35, v35, v36, s[12:13]
	v_cndmask_b32_e64 v2, v42, v2, s[14:15]
	v_alignbit_b32 v39, v37, v35, v41
	v_cndmask_b32_e64 v37, v39, v37, s[14:15]
	v_bfe_u32 v42, v2, 29, 1
	v_cndmask_b32_e64 v34, v38, v34, s[8:9]
	v_alignbit_b32 v39, v2, v37, 30
	v_sub_u32_e32 v43, 0, v42
	v_cndmask_b32_e64 v33, v33, v34, s[10:11]
	v_xor_b32_e32 v44, v39, v43
	v_cndmask_b32_e64 v33, v36, v33, s[12:13]
	v_alignbit_b32 v34, v35, v33, v41
	v_ffbh_u32_e32 v36, v44
	v_cndmask_b32_e64 v34, v34, v35, s[14:15]
	v_add_u32_e32 v36, 1, v36
	v_cmp_ne_u32_e64 s[8:9], v39, v43
	v_alignbit_b32 v35, v37, v34, 30
	v_cndmask_b32_e64 v36, 33, v36, s[8:9]
	v_alignbit_b32 v33, v34, v33, 30
	v_xor_b32_e32 v35, v35, v43
	v_sub_u32_e32 v37, 32, v36
	v_xor_b32_e32 v33, v33, v43
	v_alignbit_b32 v38, v44, v35, v37
	v_alignbit_b32 v33, v35, v33, v37
	;; [unrolled: 1-line block ×3, first 2 shown]
	v_ffbh_u32_e32 v35, v34
	v_min_u32_e32 v35, 32, v35
	v_lshrrev_b32_e32 v40, 29, v2
	v_sub_u32_e32 v37, 31, v35
	v_alignbit_b32 v33, v34, v33, v37
	v_lshlrev_b32_e32 v34, 31, v40
	v_or_b32_e32 v37, 0x33800000, v34
	v_add_lshl_u32 v35, v35, v36, 23
	v_lshrrev_b32_e32 v33, 9, v33
	v_sub_u32_e32 v35, v37, v35
	v_or_b32_e32 v33, v35, v33
	v_alignbit_b32 v35, v36, v38, 9
	v_or_b32_e32 v34, v35, v34
	v_xor_b32_e32 v34, 1.0, v34
	v_mul_f32_e32 v35, 0x3fc90fda, v34
	v_fma_f32 v36, v34, s53, -v35
	v_fmac_f32_e32 v36, 0x33a22168, v34
	v_fmac_f32_e32 v36, 0x3fc90fda, v33
	v_lshrrev_b32_e32 v2, 30, v2
	v_add_f32_e32 v33, v35, v36
	v_add_u32_e32 v2, v42, v2
	s_andn2_saveexec_b64 s[8:9], s[36:37]
	s_cbranch_execnz .LBB139_111
	s_branch .LBB139_112
.LBB139_110:                            ;   in Loop: Header=BB139_4 Depth=1
	s_andn2_saveexec_b64 s[8:9], s[36:37]
.LBB139_111:                            ;   in Loop: Header=BB139_4 Depth=1
	v_mul_f32_e64 v2, |v15|, s54
	v_rndne_f32_e32 v34, v2
	v_cvt_i32_f32_e32 v2, v34
	v_fma_f32 v33, v34, s55, |v15|
	v_fmac_f32_e32 v33, 0xb3a22168, v34
	v_fmac_f32_e32 v33, 0xa7c234c4, v34
.LBB139_112:                            ;   in Loop: Header=BB139_4 Depth=1
	s_or_b64 exec, exec, s[8:9]
	v_mul_f32_e32 v34, 0x3fb8aa3b, v14
	v_rndne_f32_e32 v35, v34
	v_sub_f32_e32 v36, v34, v35
	v_fma_f32 v34, v14, s56, -v34
	v_fmac_f32_e32 v34, 0x32a5705f, v14
	v_add_f32_e32 v34, v36, v34
	v_cvt_i32_f32_e32 v35, v35
	v_exp_f32_e32 v34, v34
	v_cmp_ngt_f32_e64 s[8:9], s57, v14
	v_ldexp_f32 v34, v34, v35
	v_cndmask_b32_e64 v34, 0, v34, s[8:9]
	v_cmp_nlt_f32_e64 s[8:9], s58, v14
	v_cndmask_b32_e64 v14, v30, v34, s[8:9]
	v_mul_f32_e32 v34, v19, v19
	v_mov_b32_e32 v35, 0x3c0881c4
	v_fmac_f32_e32 v35, 0xb94c1982, v34
	v_fma_f32 v35, v34, v35, v25
	v_mul_f32_e32 v35, v34, v35
	v_fmac_f32_e32 v19, v19, v35
	v_mov_b32_e32 v35, 0xbab64f3b
	v_fmac_f32_e32 v35, 0x37d75334, v34
	v_fma_f32 v35, v34, v35, v26
	v_fma_f32 v35, v34, v35, v27
	v_fma_f32 v34, v34, v35, 1.0
	v_and_b32_e32 v35, 1, v18
	v_cmp_eq_u32_e64 s[8:9], 0, v35
	v_lshlrev_b32_e32 v18, 30, v18
	v_cndmask_b32_e64 v19, -v19, v34, s[8:9]
	v_and_b32_e32 v18, 0x80000000, v18
	v_xor_b32_e32 v18, v18, v19
	v_mul_f32_e32 v19, v33, v33
	v_mov_b32_e32 v34, 0x3c0881c4
	v_fmac_f32_e32 v34, 0xb94c1982, v19
	v_fma_f32 v34, v19, v34, v25
	v_mul_f32_e32 v34, v19, v34
	v_fmac_f32_e32 v33, v33, v34
	v_mov_b32_e32 v34, 0xbab64f3b
	v_fmac_f32_e32 v34, 0x37d75334, v19
	v_fma_f32 v34, v19, v34, v26
	v_fma_f32 v34, v19, v34, v27
	v_fma_f32 v19, v19, v34, 1.0
	v_and_b32_e32 v34, 1, v2
	v_cmp_eq_u32_e64 s[10:11], 0, v34
	v_lshlrev_b32_e32 v2, 30, v2
	v_cndmask_b32_e64 v19, v19, v33, s[10:11]
	v_and_or_b32 v2, v2, s59, v32
	v_xor_b32_e32 v2, v2, v19
	v_cmp_class_f32_e64 s[8:9], v15, s60
	v_xor_b32_e32 v2, v2, v15
	v_cndmask_b32_e64 v18, v31, v18, s[8:9]
	v_cndmask_b32_e64 v2, v31, v2, s[8:9]
	v_mul_f32_e32 v18, v14, v18
	v_mul_f32_e32 v19, v14, v2
                                        ; implicit-def: $vgpr15
                                        ; implicit-def: $vgpr32
.LBB139_113:                            ;   in Loop: Header=BB139_4 Depth=1
	s_andn2_saveexec_b64 s[34:35], s[34:35]
	s_cbranch_execz .LBB139_123
; %bb.114:                              ;   in Loop: Header=BB139_4 Depth=1
	v_cmp_nlt_f32_e64 s[36:37], |v15|, s45
                                        ; implicit-def: $vgpr19
                                        ; implicit-def: $vgpr18
	s_and_saveexec_b64 s[8:9], s[36:37]
	s_xor_b64 s[38:39], exec, s[8:9]
	s_cbranch_execz .LBB139_116
; %bb.115:                              ;   in Loop: Header=BB139_4 Depth=1
	v_lshrrev_b32_e32 v2, 23, v32
	v_add_u32_e32 v2, 0xffffff88, v2
	v_cmp_lt_u32_e64 s[8:9], 63, v2
	v_cndmask_b32_e64 v18, 0, v28, s[8:9]
	v_add_u32_e32 v2, v18, v2
	v_cmp_lt_u32_e64 s[10:11], 31, v2
	v_cndmask_b32_e64 v18, 0, v29, s[10:11]
	;; [unrolled: 3-line block ×3, first 2 shown]
	v_add_u32_e32 v33, v18, v2
	v_and_b32_e32 v2, 0x7fffff, v32
	v_or_b32_e32 v44, 0x800000, v2
	v_mad_u64_u32 v[18:19], s[14:15], v44, s46, 0
	v_mov_b32_e32 v2, v19
	v_mad_u64_u32 v[34:35], s[14:15], v44, s47, v[2:3]
	v_mov_b32_e32 v2, v35
	;; [unrolled: 2-line block ×6, first 2 shown]
	v_mad_u64_u32 v[44:45], s[14:15], v44, s52, v[2:3]
	v_cndmask_b32_e64 v19, v42, v38, s[8:9]
	v_cndmask_b32_e64 v2, v44, v40, s[8:9]
	;; [unrolled: 1-line block ×7, first 2 shown]
	v_sub_u32_e32 v39, 32, v33
	v_cmp_eq_u32_e64 s[14:15], 0, v33
	v_cndmask_b32_e64 v33, v38, v34, s[8:9]
	v_cndmask_b32_e64 v2, v2, v35, s[12:13]
	;; [unrolled: 1-line block ×4, first 2 shown]
	v_alignbit_b32 v40, v2, v35, v39
	v_cndmask_b32_e64 v19, v19, v34, s[12:13]
	v_cndmask_b32_e64 v2, v40, v2, s[14:15]
	v_alignbit_b32 v37, v35, v19, v39
	v_cndmask_b32_e64 v35, v37, v35, s[14:15]
	v_bfe_u32 v40, v2, 29, 1
	v_cndmask_b32_e64 v18, v36, v18, s[8:9]
	v_alignbit_b32 v37, v2, v35, 30
	v_sub_u32_e32 v41, 0, v40
	v_cndmask_b32_e64 v18, v33, v18, s[10:11]
	v_xor_b32_e32 v42, v37, v41
	v_cndmask_b32_e64 v18, v34, v18, s[12:13]
	v_alignbit_b32 v33, v19, v18, v39
	v_ffbh_u32_e32 v34, v42
	v_cndmask_b32_e64 v19, v33, v19, s[14:15]
	v_add_u32_e32 v34, 1, v34
	v_cmp_ne_u32_e64 s[8:9], v37, v41
	v_alignbit_b32 v33, v35, v19, 30
	v_cndmask_b32_e64 v34, 33, v34, s[8:9]
	v_alignbit_b32 v18, v19, v18, 30
	v_xor_b32_e32 v33, v33, v41
	v_sub_u32_e32 v35, 32, v34
	v_xor_b32_e32 v18, v18, v41
	v_alignbit_b32 v36, v42, v33, v35
	v_alignbit_b32 v18, v33, v18, v35
	;; [unrolled: 1-line block ×3, first 2 shown]
	v_ffbh_u32_e32 v33, v19
	v_min_u32_e32 v33, 32, v33
	v_lshrrev_b32_e32 v38, 29, v2
	v_sub_u32_e32 v35, 31, v33
	v_alignbit_b32 v18, v19, v18, v35
	v_lshlrev_b32_e32 v19, 31, v38
	v_or_b32_e32 v35, 0x33800000, v19
	v_add_lshl_u32 v33, v33, v34, 23
	v_lshrrev_b32_e32 v18, 9, v18
	v_sub_u32_e32 v33, v35, v33
	v_or_b32_e32 v18, v33, v18
	v_alignbit_b32 v33, v34, v36, 9
	v_or_b32_e32 v19, v33, v19
	v_xor_b32_e32 v19, 1.0, v19
	v_mul_f32_e32 v33, 0x3fc90fda, v19
	v_fma_f32 v34, v19, s53, -v33
	v_fmac_f32_e32 v34, 0x33a22168, v19
	v_fmac_f32_e32 v34, 0x3fc90fda, v18
	v_lshrrev_b32_e32 v2, 30, v2
	v_add_f32_e32 v18, v33, v34
	v_add_u32_e32 v19, v40, v2
	s_andn2_saveexec_b64 s[8:9], s[38:39]
	s_branch .LBB139_117
.LBB139_116:                            ;   in Loop: Header=BB139_4 Depth=1
	s_andn2_saveexec_b64 s[8:9], s[38:39]
.LBB139_117:                            ;   in Loop: Header=BB139_4 Depth=1
	v_mul_f32_e64 v2, |v15|, s54
	v_rndne_f32_e32 v2, v2
	v_cvt_i32_f32_e32 v19, v2
	v_fma_f32 v18, v2, s55, |v15|
	v_fmac_f32_e32 v18, 0xb3a22168, v2
	v_fmac_f32_e32 v18, 0xa7c234c4, v2
; %bb.118:                              ;   in Loop: Header=BB139_4 Depth=1
	s_or_b64 exec, exec, s[8:9]
                                        ; implicit-def: $vgpr2
                                        ; implicit-def: $vgpr33
	s_and_saveexec_b64 s[8:9], s[36:37]
	s_xor_b64 s[36:37], exec, s[8:9]
	s_cbranch_execz .LBB139_120
; %bb.119:                              ;   in Loop: Header=BB139_4 Depth=1
	v_lshrrev_b32_e32 v2, 23, v32
	v_add_u32_e32 v2, 0xffffff88, v2
	v_cmp_lt_u32_e64 s[8:9], 63, v2
	v_cndmask_b32_e64 v33, 0, v28, s[8:9]
	v_add_u32_e32 v2, v33, v2
	v_cmp_lt_u32_e64 s[10:11], 31, v2
	v_cndmask_b32_e64 v33, 0, v29, s[10:11]
	;; [unrolled: 3-line block ×3, first 2 shown]
	v_add_u32_e32 v33, v33, v2
	v_and_b32_e32 v2, 0x7fffff, v32
	v_or_b32_e32 v46, 0x800000, v2
	v_mad_u64_u32 v[34:35], s[14:15], v46, s46, 0
	v_mov_b32_e32 v2, v35
	v_mad_u64_u32 v[36:37], s[14:15], v46, s47, v[2:3]
	v_mov_b32_e32 v2, v37
	;; [unrolled: 2-line block ×6, first 2 shown]
	v_mad_u64_u32 v[46:47], s[14:15], v46, s52, v[2:3]
	v_cndmask_b32_e64 v35, v44, v40, s[8:9]
	v_cndmask_b32_e64 v2, v46, v42, s[8:9]
	;; [unrolled: 1-line block ×7, first 2 shown]
	v_sub_u32_e32 v41, 32, v33
	v_cmp_eq_u32_e64 s[14:15], 0, v33
	v_cndmask_b32_e64 v33, v40, v36, s[8:9]
	v_cndmask_b32_e64 v2, v2, v37, s[12:13]
	;; [unrolled: 1-line block ×4, first 2 shown]
	v_alignbit_b32 v42, v2, v37, v41
	v_cndmask_b32_e64 v35, v35, v36, s[12:13]
	v_cndmask_b32_e64 v2, v42, v2, s[14:15]
	v_alignbit_b32 v39, v37, v35, v41
	v_cndmask_b32_e64 v37, v39, v37, s[14:15]
	v_bfe_u32 v42, v2, 29, 1
	v_cndmask_b32_e64 v34, v38, v34, s[8:9]
	v_alignbit_b32 v39, v2, v37, 30
	v_sub_u32_e32 v43, 0, v42
	v_cndmask_b32_e64 v33, v33, v34, s[10:11]
	v_xor_b32_e32 v44, v39, v43
	v_cndmask_b32_e64 v33, v36, v33, s[12:13]
	v_alignbit_b32 v34, v35, v33, v41
	v_ffbh_u32_e32 v36, v44
	v_cndmask_b32_e64 v34, v34, v35, s[14:15]
	v_add_u32_e32 v36, 1, v36
	v_cmp_ne_u32_e64 s[8:9], v39, v43
	v_alignbit_b32 v35, v37, v34, 30
	v_cndmask_b32_e64 v36, 33, v36, s[8:9]
	v_alignbit_b32 v33, v34, v33, 30
	v_xor_b32_e32 v35, v35, v43
	v_sub_u32_e32 v37, 32, v36
	v_xor_b32_e32 v33, v33, v43
	v_alignbit_b32 v38, v44, v35, v37
	v_alignbit_b32 v33, v35, v33, v37
	;; [unrolled: 1-line block ×3, first 2 shown]
	v_ffbh_u32_e32 v35, v34
	v_min_u32_e32 v35, 32, v35
	v_lshrrev_b32_e32 v40, 29, v2
	v_sub_u32_e32 v37, 31, v35
	v_alignbit_b32 v33, v34, v33, v37
	v_lshlrev_b32_e32 v34, 31, v40
	v_or_b32_e32 v37, 0x33800000, v34
	v_add_lshl_u32 v35, v35, v36, 23
	v_lshrrev_b32_e32 v33, 9, v33
	v_sub_u32_e32 v35, v37, v35
	v_or_b32_e32 v33, v35, v33
	v_alignbit_b32 v35, v36, v38, 9
	v_or_b32_e32 v34, v35, v34
	v_xor_b32_e32 v34, 1.0, v34
	v_mul_f32_e32 v35, 0x3fc90fda, v34
	v_fma_f32 v36, v34, s53, -v35
	v_fmac_f32_e32 v36, 0x33a22168, v34
	v_fmac_f32_e32 v36, 0x3fc90fda, v33
	v_lshrrev_b32_e32 v2, 30, v2
	v_add_f32_e32 v33, v35, v36
	v_add_u32_e32 v2, v42, v2
	s_andn2_saveexec_b64 s[8:9], s[36:37]
	s_cbranch_execnz .LBB139_121
	s_branch .LBB139_122
.LBB139_120:                            ;   in Loop: Header=BB139_4 Depth=1
	s_andn2_saveexec_b64 s[8:9], s[36:37]
.LBB139_121:                            ;   in Loop: Header=BB139_4 Depth=1
	v_mul_f32_e64 v2, |v15|, s54
	v_rndne_f32_e32 v34, v2
	v_cvt_i32_f32_e32 v2, v34
	v_fma_f32 v33, v34, s55, |v15|
	v_fmac_f32_e32 v33, 0xb3a22168, v34
	v_fmac_f32_e32 v33, 0xa7c234c4, v34
.LBB139_122:                            ;   in Loop: Header=BB139_4 Depth=1
	s_or_b64 exec, exec, s[8:9]
	v_mul_f32_e32 v35, v18, v18
	v_mov_b32_e32 v36, 0xbab64f3b
	v_fmac_f32_e32 v36, 0x37d75334, v35
	v_mov_b32_e32 v37, 0x3c0881c4
	v_fma_f32 v36, v35, v36, v26
	v_fmac_f32_e32 v37, 0xb94c1982, v35
	v_fma_f32 v36, v35, v36, v27
	v_fma_f32 v37, v35, v37, v25
	v_lshlrev_b32_e32 v34, 30, v19
	v_and_b32_e32 v19, 1, v19
	v_fma_f32 v36, v35, v36, 1.0
	v_mul_f32_e32 v35, v35, v37
	v_add_f32_e32 v14, 0xc322e3bc, v14
	v_fmac_f32_e32 v18, v18, v35
	v_cmp_eq_u32_e64 s[8:9], 0, v19
	v_mul_f32_e32 v19, 0x3fb8aa3b, v14
	v_cndmask_b32_e64 v18, -v18, v36, s[8:9]
	v_fma_f32 v35, v14, s56, -v19
	v_rndne_f32_e32 v36, v19
	v_fmac_f32_e32 v35, 0x32a5705f, v14
	v_sub_f32_e32 v19, v19, v36
	v_add_f32_e32 v19, v19, v35
	v_exp_f32_e32 v19, v19
	v_cvt_i32_f32_e32 v35, v36
	v_cmp_ngt_f32_e64 s[10:11], s57, v14
	v_and_b32_e32 v34, 0x80000000, v34
	v_xor_b32_e32 v18, v34, v18
	v_ldexp_f32 v19, v19, v35
	v_cndmask_b32_e64 v19, 0, v19, s[10:11]
	v_cmp_nlt_f32_e64 s[10:11], s58, v14
	v_cndmask_b32_e64 v14, v30, v19, s[10:11]
	v_and_b32_e32 v19, 0x7fffff, v14
	v_lshrrev_b32_e32 v14, 23, v14
	v_subrev_u32_e32 v14, 19, v14
	v_lshrrev_b16_e32 v34, 15, v14
	v_add_u16_e32 v34, v14, v34
	v_ashrrev_i16_e32 v34, 1, v34
	v_bfe_i32 v34, v34, 0, 16
	v_lshl_add_u32 v35, v34, 23, 1.0
	v_sub_u32_e32 v14, v14, v34
	v_mul_f32_e32 v34, v33, v33
	v_mov_b32_e32 v36, 0x3c0881c4
	v_fmac_f32_e32 v36, 0xb94c1982, v34
	v_fma_f32 v36, v34, v36, v25
	v_mul_f32_e32 v36, v34, v36
	v_fmac_f32_e32 v33, v33, v36
	v_mov_b32_e32 v36, 0xbab64f3b
	v_fmac_f32_e32 v36, 0x37d75334, v34
	v_fma_f32 v36, v34, v36, v26
	v_fma_f32 v36, v34, v36, v27
	v_fma_f32 v34, v34, v36, 1.0
	v_and_b32_e32 v36, 1, v2
	v_cmp_eq_u32_e64 s[10:11], 0, v36
	v_lshlrev_b32_e32 v2, 30, v2
	v_cndmask_b32_e64 v33, v34, v33, s[10:11]
	v_and_or_b32 v2, v2, s59, v32
	v_xor_b32_e32 v2, v2, v33
	v_cmp_class_f32_e64 s[8:9], v15, s60
	v_xor_b32_e32 v2, v2, v15
	v_cndmask_b32_e64 v18, v31, v18, s[8:9]
	v_or_b32_e32 v19, 0x7f000000, v19
	v_cndmask_b32_e64 v2, v31, v2, s[8:9]
	v_mul_f32_e32 v18, v18, v19
	v_mul_f32_e32 v2, v2, v19
	;; [unrolled: 1-line block ×3, first 2 shown]
	v_lshl_add_u32 v14, v14, 23, 1.0
	v_mul_f32_e32 v2, v2, v35
	v_mul_f32_e32 v18, v18, v14
	;; [unrolled: 1-line block ×3, first 2 shown]
.LBB139_123:                            ;   in Loop: Header=BB139_4 Depth=1
	s_or_b64 exec, exec, s[34:35]
                                        ; implicit-def: $vgpr14
                                        ; implicit-def: $vgpr2
.LBB139_124:                            ;   in Loop: Header=BB139_4 Depth=1
	s_andn2_saveexec_b64 s[10:11], s[30:31]
	s_cbranch_execz .LBB139_130
; %bb.125:                              ;   in Loop: Header=BB139_4 Depth=1
	v_cmp_ne_u32_e64 s[8:9], s43, v2
	v_sub_f32_e32 v19, v15, v15
	s_and_saveexec_b64 s[12:13], s[8:9]
	s_xor_b64 s[8:9], exec, s[12:13]
; %bb.126:                              ;   in Loop: Header=BB139_4 Depth=1
                                        ; implicit-def: $vgpr14
; %bb.127:                              ;   in Loop: Header=BB139_4 Depth=1
	s_or_saveexec_b64 s[12:13], s[8:9]
	v_mov_b32_e32 v18, v19
	s_xor_b64 exec, exec, s[12:13]
; %bb.128:                              ;   in Loop: Header=BB139_4 Depth=1
	v_cmp_lt_i32_e64 s[8:9], -1, v14
	v_cndmask_b32_e64 v18, 0, v14, s[8:9]
	v_cndmask_b32_e64 v19, 0, v19, s[8:9]
; %bb.129:                              ;   in Loop: Header=BB139_4 Depth=1
	s_or_b64 exec, exec, s[12:13]
.LBB139_130:                            ;   in Loop: Header=BB139_4 Depth=1
	s_or_b64 exec, exec, s[10:11]
                                        ; implicit-def: $vgpr15
                                        ; implicit-def: $vgpr32
.LBB139_131:                            ;   in Loop: Header=BB139_4 Depth=1
	s_andn2_saveexec_b64 s[28:29], s[28:29]
	s_cbranch_execz .LBB139_141
; %bb.132:                              ;   in Loop: Header=BB139_4 Depth=1
	v_lshrrev_b32_e32 v2, 23, v32
	v_and_b32_e32 v14, 0x7fffff, v32
	v_cmp_nlt_f32_e64 s[30:31], |v15|, s45
	v_add_u32_e32 v33, 0xffffff88, v2
	v_or_b32_e32 v19, 0x800000, v14
                                        ; implicit-def: $vgpr14
                                        ; implicit-def: $vgpr18
	s_and_saveexec_b64 s[8:9], s[30:31]
	s_xor_b64 s[34:35], exec, s[8:9]
	s_cbranch_execz .LBB139_134
; %bb.133:                              ;   in Loop: Header=BB139_4 Depth=1
	v_cmp_lt_u32_e64 s[8:9], 63, v33
	v_cndmask_b32_e64 v2, 0, v28, s[8:9]
	v_add_u32_e32 v2, v2, v33
	v_cmp_lt_u32_e64 s[10:11], 31, v2
	v_cndmask_b32_e64 v14, 0, v29, s[10:11]
	v_add_u32_e32 v2, v14, v2
	v_cmp_lt_u32_e64 s[12:13], 31, v2
	v_cndmask_b32_e64 v14, 0, v29, s[12:13]
	v_mad_u64_u32 v[34:35], s[14:15], v19, s46, 0
	v_add_u32_e32 v14, v14, v2
	v_mov_b32_e32 v2, v35
	v_mad_u64_u32 v[36:37], s[14:15], v19, s47, v[2:3]
	v_mov_b32_e32 v2, v37
	v_mad_u64_u32 v[38:39], s[14:15], v19, s48, v[2:3]
	;; [unrolled: 2-line block ×6, first 2 shown]
	v_cndmask_b32_e64 v18, v44, v40, s[8:9]
	v_cndmask_b32_e64 v2, v46, v42, s[8:9]
	;; [unrolled: 1-line block ×7, first 2 shown]
	v_sub_u32_e32 v39, 32, v14
	v_cmp_eq_u32_e64 s[14:15], 0, v14
	v_cndmask_b32_e64 v14, v40, v36, s[8:9]
	v_cndmask_b32_e64 v2, v2, v35, s[12:13]
	v_cndmask_b32_e64 v35, v35, v18, s[12:13]
	v_cndmask_b32_e64 v36, v37, v14, s[10:11]
	v_alignbit_b32 v41, v2, v35, v39
	v_cndmask_b32_e64 v18, v18, v36, s[12:13]
	v_cndmask_b32_e64 v34, v38, v34, s[8:9]
	;; [unrolled: 1-line block ×3, first 2 shown]
	v_alignbit_b32 v37, v35, v18, v39
	v_cndmask_b32_e64 v14, v14, v34, s[10:11]
	v_cndmask_b32_e64 v35, v37, v35, s[14:15]
	v_bfe_u32 v41, v2, 29, 1
	v_cndmask_b32_e64 v14, v36, v14, s[12:13]
	v_alignbit_b32 v37, v2, v35, 30
	v_sub_u32_e32 v42, 0, v41
	v_alignbit_b32 v34, v18, v14, v39
	v_xor_b32_e32 v43, v37, v42
	v_cndmask_b32_e64 v18, v34, v18, s[14:15]
	v_alignbit_b32 v34, v35, v18, 30
	v_ffbh_u32_e32 v35, v43
	v_add_u32_e32 v35, 1, v35
	v_cmp_ne_u32_e64 s[8:9], v37, v42
	v_cndmask_b32_e64 v35, 33, v35, s[8:9]
	v_alignbit_b32 v14, v18, v14, 30
	v_xor_b32_e32 v34, v34, v42
	v_sub_u32_e32 v36, 32, v35
	v_xor_b32_e32 v14, v14, v42
	v_alignbit_b32 v37, v43, v34, v36
	v_alignbit_b32 v14, v34, v14, v36
	;; [unrolled: 1-line block ×3, first 2 shown]
	v_ffbh_u32_e32 v34, v18
	v_min_u32_e32 v34, 32, v34
	v_lshrrev_b32_e32 v40, 29, v2
	v_sub_u32_e32 v36, 31, v34
	v_alignbit_b32 v14, v18, v14, v36
	v_lshlrev_b32_e32 v18, 31, v40
	v_or_b32_e32 v36, 0x33800000, v18
	v_add_lshl_u32 v34, v34, v35, 23
	v_lshrrev_b32_e32 v14, 9, v14
	v_sub_u32_e32 v34, v36, v34
	v_or_b32_e32 v14, v34, v14
	v_alignbit_b32 v34, v35, v37, 9
	v_or_b32_e32 v18, v34, v18
	v_xor_b32_e32 v18, 1.0, v18
	v_mul_f32_e32 v34, 0x3fc90fda, v18
	v_fma_f32 v35, v18, s53, -v34
	v_fmac_f32_e32 v35, 0x33a22168, v18
	v_fmac_f32_e32 v35, 0x3fc90fda, v14
	v_lshrrev_b32_e32 v2, 30, v2
	v_add_f32_e32 v18, v34, v35
	v_add_u32_e32 v14, v41, v2
.LBB139_134:                            ;   in Loop: Header=BB139_4 Depth=1
	s_or_saveexec_b64 s[8:9], s[34:35]
	v_mul_f32_e64 v2, |v15|, s54
	v_rndne_f32_e32 v35, v2
	s_xor_b64 exec, exec, s[8:9]
; %bb.135:                              ;   in Loop: Header=BB139_4 Depth=1
	v_cvt_i32_f32_e32 v14, v35
	v_fma_f32 v18, v35, s55, |v15|
	v_fmac_f32_e32 v18, 0xb3a22168, v35
	v_fmac_f32_e32 v18, 0xa7c234c4, v35
; %bb.136:                              ;   in Loop: Header=BB139_4 Depth=1
	s_or_b64 exec, exec, s[8:9]
                                        ; implicit-def: $vgpr2
                                        ; implicit-def: $vgpr34
	s_and_saveexec_b64 s[8:9], s[30:31]
	s_xor_b64 s[30:31], exec, s[8:9]
	s_cbranch_execz .LBB139_138
; %bb.137:                              ;   in Loop: Header=BB139_4 Depth=1
	v_cmp_lt_u32_e64 s[8:9], 63, v33
	v_cndmask_b32_e64 v2, 0, v28, s[8:9]
	v_add_u32_e32 v2, v2, v33
	v_cmp_lt_u32_e64 s[10:11], 31, v2
	v_cndmask_b32_e64 v33, 0, v29, s[10:11]
	v_add_u32_e32 v2, v33, v2
	v_cmp_lt_u32_e64 s[12:13], 31, v2
	v_cndmask_b32_e64 v33, 0, v29, s[12:13]
	v_mad_u64_u32 v[34:35], s[14:15], v19, s46, 0
	v_add_u32_e32 v33, v33, v2
	v_mov_b32_e32 v2, v35
	v_mad_u64_u32 v[36:37], s[14:15], v19, s47, v[2:3]
	v_mov_b32_e32 v2, v37
	v_mad_u64_u32 v[38:39], s[14:15], v19, s48, v[2:3]
	;; [unrolled: 2-line block ×6, first 2 shown]
	v_cndmask_b32_e64 v35, v44, v40, s[8:9]
	v_cndmask_b32_e64 v2, v46, v42, s[8:9]
	;; [unrolled: 1-line block ×7, first 2 shown]
	v_sub_u32_e32 v39, 32, v33
	v_cmp_eq_u32_e64 s[14:15], 0, v33
	v_cndmask_b32_e64 v33, v40, v36, s[8:9]
	v_cndmask_b32_e64 v2, v2, v19, s[12:13]
	;; [unrolled: 1-line block ×4, first 2 shown]
	v_alignbit_b32 v41, v2, v19, v39
	v_cndmask_b32_e64 v35, v35, v36, s[12:13]
	v_cndmask_b32_e64 v2, v41, v2, s[14:15]
	v_alignbit_b32 v37, v19, v35, v39
	v_cndmask_b32_e64 v34, v38, v34, s[8:9]
	v_cndmask_b32_e64 v19, v37, v19, s[14:15]
	v_bfe_u32 v41, v2, 29, 1
	v_cndmask_b32_e64 v33, v33, v34, s[10:11]
	v_alignbit_b32 v37, v2, v19, 30
	v_sub_u32_e32 v42, 0, v41
	v_cndmask_b32_e64 v33, v36, v33, s[12:13]
	v_xor_b32_e32 v43, v37, v42
	v_alignbit_b32 v34, v35, v33, v39
	v_cndmask_b32_e64 v34, v34, v35, s[14:15]
	v_ffbh_u32_e32 v35, v43
	v_add_u32_e32 v35, 1, v35
	v_cmp_ne_u32_e64 s[8:9], v37, v42
	v_alignbit_b32 v19, v19, v34, 30
	v_cndmask_b32_e64 v35, 33, v35, s[8:9]
	v_alignbit_b32 v33, v34, v33, 30
	v_xor_b32_e32 v19, v19, v42
	v_sub_u32_e32 v36, 32, v35
	v_xor_b32_e32 v33, v33, v42
	v_alignbit_b32 v37, v43, v19, v36
	v_alignbit_b32 v19, v19, v33, v36
	;; [unrolled: 1-line block ×3, first 2 shown]
	v_ffbh_u32_e32 v34, v33
	v_min_u32_e32 v34, 32, v34
	v_lshrrev_b32_e32 v40, 29, v2
	v_sub_u32_e32 v36, 31, v34
	v_alignbit_b32 v19, v33, v19, v36
	v_lshlrev_b32_e32 v33, 31, v40
	v_or_b32_e32 v36, 0x33800000, v33
	v_add_lshl_u32 v34, v34, v35, 23
	v_lshrrev_b32_e32 v19, 9, v19
	v_sub_u32_e32 v34, v36, v34
	v_or_b32_e32 v19, v34, v19
	v_alignbit_b32 v34, v35, v37, 9
	v_or_b32_e32 v33, v34, v33
	v_xor_b32_e32 v33, 1.0, v33
	v_mul_f32_e32 v34, 0x3fc90fda, v33
	v_fma_f32 v35, v33, s53, -v34
	v_fmac_f32_e32 v35, 0x33a22168, v33
	v_fmac_f32_e32 v35, 0x3fc90fda, v19
	v_lshrrev_b32_e32 v2, 30, v2
	v_add_f32_e32 v34, v34, v35
	v_add_u32_e32 v2, v41, v2
                                        ; implicit-def: $vgpr35
	s_andn2_saveexec_b64 s[8:9], s[30:31]
	s_cbranch_execnz .LBB139_139
	s_branch .LBB139_140
.LBB139_138:                            ;   in Loop: Header=BB139_4 Depth=1
	s_andn2_saveexec_b64 s[8:9], s[30:31]
.LBB139_139:                            ;   in Loop: Header=BB139_4 Depth=1
	v_cvt_i32_f32_e32 v2, v35
	v_fma_f32 v34, v35, s55, |v15|
	v_fmac_f32_e32 v34, 0xb3a22168, v35
	v_fmac_f32_e32 v34, 0xa7c234c4, v35
.LBB139_140:                            ;   in Loop: Header=BB139_4 Depth=1
	s_or_b64 exec, exec, s[8:9]
	v_mul_f32_e32 v19, v18, v18
	v_mov_b32_e32 v33, 0x3c0881c4
	v_fmac_f32_e32 v33, 0xb94c1982, v19
	v_fma_f32 v33, v19, v33, v25
	v_mul_f32_e32 v33, v19, v33
	v_fmac_f32_e32 v18, v18, v33
	v_mov_b32_e32 v33, 0xbab64f3b
	v_fmac_f32_e32 v33, 0x37d75334, v19
	v_fma_f32 v33, v19, v33, v26
	v_fma_f32 v33, v19, v33, v27
	v_fma_f32 v19, v19, v33, 1.0
	v_and_b32_e32 v33, 1, v14
	v_cmp_eq_u32_e64 s[8:9], 0, v33
	v_lshlrev_b32_e32 v14, 30, v14
	v_cndmask_b32_e64 v18, -v18, v19, s[8:9]
	v_and_b32_e32 v14, 0x80000000, v14
	v_xor_b32_e32 v14, v14, v18
	v_cmp_class_f32_e64 s[8:9], v15, s60
	v_cndmask_b32_e64 v18, v31, v14, s[8:9]
	v_mul_f32_e32 v14, v34, v34
	v_mov_b32_e32 v19, 0x3c0881c4
	v_fmac_f32_e32 v19, 0xb94c1982, v14
	v_fma_f32 v19, v14, v19, v25
	v_mul_f32_e32 v19, v14, v19
	v_fmac_f32_e32 v34, v34, v19
	v_mov_b32_e32 v19, 0xbab64f3b
	v_fmac_f32_e32 v19, 0x37d75334, v14
	v_fma_f32 v19, v14, v19, v26
	v_fma_f32 v19, v14, v19, v27
	v_fma_f32 v14, v14, v19, 1.0
	v_and_b32_e32 v19, 1, v2
	v_cmp_eq_u32_e64 s[10:11], 0, v19
	v_lshlrev_b32_e32 v2, 30, v2
	v_cndmask_b32_e64 v14, v14, v34, s[10:11]
	v_and_or_b32 v2, v2, s59, v32
	v_xor_b32_e32 v2, v2, v14
	v_xor_b32_e32 v2, v2, v15
	v_cndmask_b32_e64 v19, v31, v2, s[8:9]
.LBB139_141:                            ;   in Loop: Header=BB139_4 Depth=1
	s_or_b64 exec, exec, s[28:29]
                                        ; implicit-def: $vgpr14
.LBB139_142:                            ;   in Loop: Header=BB139_4 Depth=1
	s_andn2_saveexec_b64 s[10:11], s[26:27]
	s_cbranch_execz .LBB139_144
; %bb.143:                              ;   in Loop: Header=BB139_4 Depth=1
	v_mul_f32_e32 v2, 0x3fb8aa3b, v14
	v_rndne_f32_e32 v18, v2
	v_sub_f32_e32 v19, v2, v18
	v_fma_f32 v2, v14, s56, -v2
	v_fmac_f32_e32 v2, 0x32a5705f, v14
	v_add_f32_e32 v2, v19, v2
	v_cvt_i32_f32_e32 v18, v18
	v_exp_f32_e32 v2, v2
	v_cmp_ngt_f32_e64 s[8:9], s57, v14
	v_mov_b32_e32 v19, v15
	v_ldexp_f32 v2, v2, v18
	v_cndmask_b32_e64 v2, 0, v2, s[8:9]
	v_cmp_nlt_f32_e64 s[8:9], s58, v14
	v_cndmask_b32_e64 v18, v30, v2, s[8:9]
.LBB139_144:                            ;   in Loop: Header=BB139_4 Depth=1
	s_or_b64 exec, exec, s[10:11]
	v_and_b32_e32 v32, 0x7fffffff, v11
	v_cmp_ne_u32_e64 s[8:9], 0, v32
                                        ; implicit-def: $vgpr15
	s_and_saveexec_b64 s[10:11], s[8:9]
	s_xor_b64 s[26:27], exec, s[10:11]
	s_cbranch_execz .LBB139_150
; %bb.145:                              ;   in Loop: Header=BB139_4 Depth=1
	v_and_b32_e32 v2, 0x7fffffff, v10
	v_cmp_ne_u32_e64 s[8:9], 0, v2
                                        ; implicit-def: $vgpr15
	s_and_saveexec_b64 s[10:11], s[8:9]
	s_xor_b64 s[28:29], exec, s[10:11]
	s_cbranch_execz .LBB139_180
; %bb.146:                              ;   in Loop: Header=BB139_4 Depth=1
	v_cmp_gt_u32_e64 s[8:9], s43, v32
                                        ; implicit-def: $vgpr15
	s_and_saveexec_b64 s[10:11], s[8:9]
	s_xor_b64 s[30:31], exec, s[10:11]
	s_cbranch_execz .LBB139_173
; %bb.147:                              ;   in Loop: Header=BB139_4 Depth=1
	v_add_u32_e32 v2, 0xbd4e8de8, v10
	v_cmp_lt_u32_e64 s[8:9], s44, v2
                                        ; implicit-def: $vgpr15
	s_and_saveexec_b64 s[10:11], s[8:9]
	s_xor_b64 s[34:35], exec, s[10:11]
	s_cbranch_execz .LBB139_162
; %bb.148:                              ;   in Loop: Header=BB139_4 Depth=1
	v_cmp_nlt_f32_e64 s[36:37], |v11|, s45
                                        ; implicit-def: $vgpr14
                                        ; implicit-def: $vgpr15
	s_and_saveexec_b64 s[8:9], s[36:37]
	s_xor_b64 s[38:39], exec, s[8:9]
	s_cbranch_execz .LBB139_155
; %bb.149:                              ;   in Loop: Header=BB139_4 Depth=1
	v_lshrrev_b32_e32 v2, 23, v32
	v_add_u32_e32 v2, 0xffffff88, v2
	v_cmp_lt_u32_e64 s[8:9], 63, v2
	v_cndmask_b32_e64 v14, 0, v28, s[8:9]
	v_add_u32_e32 v2, v14, v2
	v_cmp_lt_u32_e64 s[10:11], 31, v2
	v_cndmask_b32_e64 v14, 0, v29, s[10:11]
	;; [unrolled: 3-line block ×3, first 2 shown]
	v_add_u32_e32 v33, v14, v2
	v_and_b32_e32 v2, 0x7fffff, v32
	v_or_b32_e32 v44, 0x800000, v2
	v_mad_u64_u32 v[14:15], s[14:15], v44, s46, 0
	v_mov_b32_e32 v2, v15
	v_mad_u64_u32 v[34:35], s[14:15], v44, s47, v[2:3]
	v_mov_b32_e32 v2, v35
	v_mad_u64_u32 v[36:37], s[14:15], v44, s48, v[2:3]
	v_mov_b32_e32 v2, v37
	v_mad_u64_u32 v[38:39], s[14:15], v44, s49, v[2:3]
	v_mov_b32_e32 v2, v39
	v_mad_u64_u32 v[40:41], s[14:15], v44, s50, v[2:3]
	v_mov_b32_e32 v2, v41
	v_mad_u64_u32 v[42:43], s[14:15], v44, s51, v[2:3]
	v_mov_b32_e32 v2, v43
	v_mad_u64_u32 v[44:45], s[14:15], v44, s52, v[2:3]
	v_cndmask_b32_e64 v15, v42, v38, s[8:9]
	v_cndmask_b32_e64 v2, v44, v40, s[8:9]
	;; [unrolled: 1-line block ×7, first 2 shown]
	v_sub_u32_e32 v39, 32, v33
	v_cmp_eq_u32_e64 s[14:15], 0, v33
	v_cndmask_b32_e64 v33, v38, v34, s[8:9]
	v_cndmask_b32_e64 v2, v2, v35, s[12:13]
	;; [unrolled: 1-line block ×4, first 2 shown]
	v_alignbit_b32 v40, v2, v35, v39
	v_cndmask_b32_e64 v15, v15, v34, s[12:13]
	v_cndmask_b32_e64 v2, v40, v2, s[14:15]
	v_alignbit_b32 v37, v35, v15, v39
	v_cndmask_b32_e64 v35, v37, v35, s[14:15]
	v_bfe_u32 v40, v2, 29, 1
	v_cndmask_b32_e64 v14, v36, v14, s[8:9]
	v_alignbit_b32 v37, v2, v35, 30
	v_sub_u32_e32 v41, 0, v40
	v_cndmask_b32_e64 v14, v33, v14, s[10:11]
	v_xor_b32_e32 v42, v37, v41
	v_cndmask_b32_e64 v14, v34, v14, s[12:13]
	v_alignbit_b32 v33, v15, v14, v39
	v_ffbh_u32_e32 v34, v42
	v_cndmask_b32_e64 v15, v33, v15, s[14:15]
	v_add_u32_e32 v34, 1, v34
	v_cmp_ne_u32_e64 s[8:9], v37, v41
	v_alignbit_b32 v33, v35, v15, 30
	v_cndmask_b32_e64 v34, 33, v34, s[8:9]
	v_alignbit_b32 v14, v15, v14, 30
	v_xor_b32_e32 v33, v33, v41
	v_sub_u32_e32 v35, 32, v34
	v_xor_b32_e32 v14, v14, v41
	v_alignbit_b32 v36, v42, v33, v35
	v_alignbit_b32 v14, v33, v14, v35
	v_alignbit_b32 v15, v36, v14, 9
	v_ffbh_u32_e32 v33, v15
	v_min_u32_e32 v33, 32, v33
	v_lshrrev_b32_e32 v38, 29, v2
	v_sub_u32_e32 v35, 31, v33
	v_alignbit_b32 v14, v15, v14, v35
	v_lshlrev_b32_e32 v15, 31, v38
	v_or_b32_e32 v35, 0x33800000, v15
	v_add_lshl_u32 v33, v33, v34, 23
	v_lshrrev_b32_e32 v14, 9, v14
	v_sub_u32_e32 v33, v35, v33
	v_or_b32_e32 v14, v33, v14
	v_alignbit_b32 v33, v34, v36, 9
	v_or_b32_e32 v15, v33, v15
	v_xor_b32_e32 v15, 1.0, v15
	v_mul_f32_e32 v33, 0x3fc90fda, v15
	v_fma_f32 v34, v15, s53, -v33
	v_fmac_f32_e32 v34, 0x33a22168, v15
	v_fmac_f32_e32 v34, 0x3fc90fda, v14
	v_lshrrev_b32_e32 v2, 30, v2
	v_add_f32_e32 v15, v33, v34
	v_add_u32_e32 v14, v40, v2
	s_andn2_saveexec_b64 s[8:9], s[38:39]
	s_branch .LBB139_156
.LBB139_150:                            ;   in Loop: Header=BB139_4 Depth=1
	s_andn2_saveexec_b64 s[10:11], s[26:27]
	s_cbranch_execz .LBB139_191
.LBB139_151:                            ;   in Loop: Header=BB139_4 Depth=1
	v_mul_f32_e32 v2, 0x3fb8aa3b, v10
	v_rndne_f32_e32 v14, v2
	v_sub_f32_e32 v15, v2, v14
	v_fma_f32 v2, v10, s56, -v2
	v_fmac_f32_e32 v2, 0x32a5705f, v10
	v_add_f32_e32 v2, v15, v2
	v_cvt_i32_f32_e32 v14, v14
	v_exp_f32_e32 v2, v2
	v_cmp_ngt_f32_e64 s[8:9], s57, v10
	v_mov_b32_e32 v15, v11
	v_ldexp_f32 v2, v2, v14
	v_cndmask_b32_e64 v2, 0, v2, s[8:9]
	v_cmp_nlt_f32_e64 s[8:9], s58, v10
	v_cndmask_b32_e64 v14, v30, v2, s[8:9]
	s_or_b64 exec, exec, s[10:11]
	s_and_saveexec_b64 s[8:9], vcc
	s_xor_b64 s[8:9], exec, s[8:9]
	s_cbranch_execnz .LBB139_192
.LBB139_152:                            ;   in Loop: Header=BB139_4 Depth=1
	s_or_b64 exec, exec, s[8:9]
	s_and_saveexec_b64 s[8:9], s[0:1]
	s_cbranch_execz .LBB139_193
.LBB139_153:                            ;   in Loop: Header=BB139_4 Depth=1
	v_mov_b32_e32 v2, s40
	v_add_co_u32_e32 v10, vcc, s33, v8
	v_addc_co_u32_e32 v11, vcc, 0, v2, vcc
	global_store_dwordx2 v[10:11], v[16:17], off
	s_or_b64 exec, exec, s[8:9]
	s_and_saveexec_b64 s[0:1], s[2:3]
	s_cbranch_execnz .LBB139_194
.LBB139_154:                            ;   in Loop: Header=BB139_4 Depth=1
	s_or_b64 exec, exec, s[0:1]
	s_and_saveexec_b64 s[0:1], s[6:7]
	s_cbranch_execz .LBB139_3
	s_branch .LBB139_195
.LBB139_155:                            ;   in Loop: Header=BB139_4 Depth=1
	s_andn2_saveexec_b64 s[8:9], s[38:39]
.LBB139_156:                            ;   in Loop: Header=BB139_4 Depth=1
	v_mul_f32_e64 v2, |v11|, s54
	v_rndne_f32_e32 v2, v2
	v_cvt_i32_f32_e32 v14, v2
	v_fma_f32 v15, v2, s55, |v11|
	v_fmac_f32_e32 v15, 0xb3a22168, v2
	v_fmac_f32_e32 v15, 0xa7c234c4, v2
; %bb.157:                              ;   in Loop: Header=BB139_4 Depth=1
	s_or_b64 exec, exec, s[8:9]
                                        ; implicit-def: $vgpr2
                                        ; implicit-def: $vgpr33
	s_and_saveexec_b64 s[8:9], s[36:37]
	s_xor_b64 s[36:37], exec, s[8:9]
	s_cbranch_execz .LBB139_159
; %bb.158:                              ;   in Loop: Header=BB139_4 Depth=1
	v_lshrrev_b32_e32 v2, 23, v32
	v_add_u32_e32 v2, 0xffffff88, v2
	v_cmp_lt_u32_e64 s[8:9], 63, v2
	v_cndmask_b32_e64 v33, 0, v28, s[8:9]
	v_add_u32_e32 v2, v33, v2
	v_cmp_lt_u32_e64 s[10:11], 31, v2
	v_cndmask_b32_e64 v33, 0, v29, s[10:11]
	;; [unrolled: 3-line block ×3, first 2 shown]
	v_add_u32_e32 v33, v33, v2
	v_and_b32_e32 v2, 0x7fffff, v32
	v_or_b32_e32 v46, 0x800000, v2
	v_mad_u64_u32 v[34:35], s[14:15], v46, s46, 0
	v_mov_b32_e32 v2, v35
	v_mad_u64_u32 v[36:37], s[14:15], v46, s47, v[2:3]
	v_mov_b32_e32 v2, v37
	;; [unrolled: 2-line block ×6, first 2 shown]
	v_mad_u64_u32 v[46:47], s[14:15], v46, s52, v[2:3]
	v_cndmask_b32_e64 v35, v44, v40, s[8:9]
	v_cndmask_b32_e64 v2, v46, v42, s[8:9]
	v_cndmask_b32_e64 v39, v47, v44, s[8:9]
	v_cndmask_b32_e64 v37, v2, v35, s[10:11]
	v_cndmask_b32_e64 v2, v39, v2, s[10:11]
	v_cndmask_b32_e64 v39, v42, v38, s[8:9]
	v_cndmask_b32_e64 v35, v35, v39, s[10:11]
	v_sub_u32_e32 v41, 32, v33
	v_cmp_eq_u32_e64 s[14:15], 0, v33
	v_cndmask_b32_e64 v33, v40, v36, s[8:9]
	v_cndmask_b32_e64 v2, v2, v37, s[12:13]
	;; [unrolled: 1-line block ×4, first 2 shown]
	v_alignbit_b32 v42, v2, v37, v41
	v_cndmask_b32_e64 v35, v35, v36, s[12:13]
	v_cndmask_b32_e64 v2, v42, v2, s[14:15]
	v_alignbit_b32 v39, v37, v35, v41
	v_cndmask_b32_e64 v37, v39, v37, s[14:15]
	v_bfe_u32 v42, v2, 29, 1
	v_cndmask_b32_e64 v34, v38, v34, s[8:9]
	v_alignbit_b32 v39, v2, v37, 30
	v_sub_u32_e32 v43, 0, v42
	v_cndmask_b32_e64 v33, v33, v34, s[10:11]
	v_xor_b32_e32 v44, v39, v43
	v_cndmask_b32_e64 v33, v36, v33, s[12:13]
	v_alignbit_b32 v34, v35, v33, v41
	v_ffbh_u32_e32 v36, v44
	v_cndmask_b32_e64 v34, v34, v35, s[14:15]
	v_add_u32_e32 v36, 1, v36
	v_cmp_ne_u32_e64 s[8:9], v39, v43
	v_alignbit_b32 v35, v37, v34, 30
	v_cndmask_b32_e64 v36, 33, v36, s[8:9]
	v_alignbit_b32 v33, v34, v33, 30
	v_xor_b32_e32 v35, v35, v43
	v_sub_u32_e32 v37, 32, v36
	v_xor_b32_e32 v33, v33, v43
	v_alignbit_b32 v38, v44, v35, v37
	v_alignbit_b32 v33, v35, v33, v37
	;; [unrolled: 1-line block ×3, first 2 shown]
	v_ffbh_u32_e32 v35, v34
	v_min_u32_e32 v35, 32, v35
	v_lshrrev_b32_e32 v40, 29, v2
	v_sub_u32_e32 v37, 31, v35
	v_alignbit_b32 v33, v34, v33, v37
	v_lshlrev_b32_e32 v34, 31, v40
	v_or_b32_e32 v37, 0x33800000, v34
	v_add_lshl_u32 v35, v35, v36, 23
	v_lshrrev_b32_e32 v33, 9, v33
	v_sub_u32_e32 v35, v37, v35
	v_or_b32_e32 v33, v35, v33
	v_alignbit_b32 v35, v36, v38, 9
	v_or_b32_e32 v34, v35, v34
	v_xor_b32_e32 v34, 1.0, v34
	v_mul_f32_e32 v35, 0x3fc90fda, v34
	v_fma_f32 v36, v34, s53, -v35
	v_fmac_f32_e32 v36, 0x33a22168, v34
	v_fmac_f32_e32 v36, 0x3fc90fda, v33
	v_lshrrev_b32_e32 v2, 30, v2
	v_add_f32_e32 v33, v35, v36
	v_add_u32_e32 v2, v42, v2
	s_andn2_saveexec_b64 s[8:9], s[36:37]
	s_cbranch_execnz .LBB139_160
	s_branch .LBB139_161
.LBB139_159:                            ;   in Loop: Header=BB139_4 Depth=1
	s_andn2_saveexec_b64 s[8:9], s[36:37]
.LBB139_160:                            ;   in Loop: Header=BB139_4 Depth=1
	v_mul_f32_e64 v2, |v11|, s54
	v_rndne_f32_e32 v34, v2
	v_cvt_i32_f32_e32 v2, v34
	v_fma_f32 v33, v34, s55, |v11|
	v_fmac_f32_e32 v33, 0xb3a22168, v34
	v_fmac_f32_e32 v33, 0xa7c234c4, v34
.LBB139_161:                            ;   in Loop: Header=BB139_4 Depth=1
	s_or_b64 exec, exec, s[8:9]
	v_mul_f32_e32 v34, 0x3fb8aa3b, v10
	v_rndne_f32_e32 v35, v34
	v_sub_f32_e32 v36, v34, v35
	v_fma_f32 v34, v10, s56, -v34
	v_fmac_f32_e32 v34, 0x32a5705f, v10
	v_add_f32_e32 v34, v36, v34
	v_cvt_i32_f32_e32 v35, v35
	v_exp_f32_e32 v34, v34
	v_cmp_ngt_f32_e64 s[8:9], s57, v10
	v_ldexp_f32 v34, v34, v35
	v_cndmask_b32_e64 v34, 0, v34, s[8:9]
	v_cmp_nlt_f32_e64 s[8:9], s58, v10
	v_cndmask_b32_e64 v10, v30, v34, s[8:9]
	v_mul_f32_e32 v34, v15, v15
	v_mov_b32_e32 v35, 0x3c0881c4
	v_fmac_f32_e32 v35, 0xb94c1982, v34
	v_fma_f32 v35, v34, v35, v25
	v_mul_f32_e32 v35, v34, v35
	v_fmac_f32_e32 v15, v15, v35
	v_mov_b32_e32 v35, 0xbab64f3b
	v_fmac_f32_e32 v35, 0x37d75334, v34
	v_fma_f32 v35, v34, v35, v26
	v_fma_f32 v35, v34, v35, v27
	v_fma_f32 v34, v34, v35, 1.0
	v_and_b32_e32 v35, 1, v14
	v_cmp_eq_u32_e64 s[8:9], 0, v35
	v_lshlrev_b32_e32 v14, 30, v14
	v_cndmask_b32_e64 v15, -v15, v34, s[8:9]
	v_and_b32_e32 v14, 0x80000000, v14
	v_xor_b32_e32 v14, v14, v15
	v_mul_f32_e32 v15, v33, v33
	v_mov_b32_e32 v34, 0x3c0881c4
	v_fmac_f32_e32 v34, 0xb94c1982, v15
	v_fma_f32 v34, v15, v34, v25
	v_mul_f32_e32 v34, v15, v34
	v_fmac_f32_e32 v33, v33, v34
	v_mov_b32_e32 v34, 0xbab64f3b
	v_fmac_f32_e32 v34, 0x37d75334, v15
	v_fma_f32 v34, v15, v34, v26
	v_fma_f32 v34, v15, v34, v27
	v_fma_f32 v15, v15, v34, 1.0
	v_and_b32_e32 v34, 1, v2
	v_cmp_eq_u32_e64 s[10:11], 0, v34
	v_lshlrev_b32_e32 v2, 30, v2
	v_cndmask_b32_e64 v15, v15, v33, s[10:11]
	v_and_or_b32 v2, v2, s59, v32
	v_xor_b32_e32 v2, v2, v15
	v_cmp_class_f32_e64 s[8:9], v11, s60
	v_xor_b32_e32 v2, v2, v11
	v_cndmask_b32_e64 v14, v31, v14, s[8:9]
	v_cndmask_b32_e64 v2, v31, v2, s[8:9]
	v_mul_f32_e32 v14, v10, v14
	v_mul_f32_e32 v15, v10, v2
                                        ; implicit-def: $vgpr11
                                        ; implicit-def: $vgpr32
.LBB139_162:                            ;   in Loop: Header=BB139_4 Depth=1
	s_andn2_saveexec_b64 s[34:35], s[34:35]
	s_cbranch_execz .LBB139_172
; %bb.163:                              ;   in Loop: Header=BB139_4 Depth=1
	v_cmp_nlt_f32_e64 s[36:37], |v11|, s45
                                        ; implicit-def: $vgpr15
                                        ; implicit-def: $vgpr14
	s_and_saveexec_b64 s[8:9], s[36:37]
	s_xor_b64 s[38:39], exec, s[8:9]
	s_cbranch_execz .LBB139_165
; %bb.164:                              ;   in Loop: Header=BB139_4 Depth=1
	v_lshrrev_b32_e32 v2, 23, v32
	v_add_u32_e32 v2, 0xffffff88, v2
	v_cmp_lt_u32_e64 s[8:9], 63, v2
	v_cndmask_b32_e64 v14, 0, v28, s[8:9]
	v_add_u32_e32 v2, v14, v2
	v_cmp_lt_u32_e64 s[10:11], 31, v2
	v_cndmask_b32_e64 v14, 0, v29, s[10:11]
	;; [unrolled: 3-line block ×3, first 2 shown]
	v_add_u32_e32 v33, v14, v2
	v_and_b32_e32 v2, 0x7fffff, v32
	v_or_b32_e32 v44, 0x800000, v2
	v_mad_u64_u32 v[14:15], s[14:15], v44, s46, 0
	v_mov_b32_e32 v2, v15
	v_mad_u64_u32 v[34:35], s[14:15], v44, s47, v[2:3]
	v_mov_b32_e32 v2, v35
	;; [unrolled: 2-line block ×6, first 2 shown]
	v_mad_u64_u32 v[44:45], s[14:15], v44, s52, v[2:3]
	v_cndmask_b32_e64 v15, v42, v38, s[8:9]
	v_cndmask_b32_e64 v2, v44, v40, s[8:9]
	;; [unrolled: 1-line block ×7, first 2 shown]
	v_sub_u32_e32 v39, 32, v33
	v_cmp_eq_u32_e64 s[14:15], 0, v33
	v_cndmask_b32_e64 v33, v38, v34, s[8:9]
	v_cndmask_b32_e64 v2, v2, v35, s[12:13]
	;; [unrolled: 1-line block ×4, first 2 shown]
	v_alignbit_b32 v40, v2, v35, v39
	v_cndmask_b32_e64 v15, v15, v34, s[12:13]
	v_cndmask_b32_e64 v2, v40, v2, s[14:15]
	v_alignbit_b32 v37, v35, v15, v39
	v_cndmask_b32_e64 v35, v37, v35, s[14:15]
	v_bfe_u32 v40, v2, 29, 1
	v_cndmask_b32_e64 v14, v36, v14, s[8:9]
	v_alignbit_b32 v37, v2, v35, 30
	v_sub_u32_e32 v41, 0, v40
	v_cndmask_b32_e64 v14, v33, v14, s[10:11]
	v_xor_b32_e32 v42, v37, v41
	v_cndmask_b32_e64 v14, v34, v14, s[12:13]
	v_alignbit_b32 v33, v15, v14, v39
	v_ffbh_u32_e32 v34, v42
	v_cndmask_b32_e64 v15, v33, v15, s[14:15]
	v_add_u32_e32 v34, 1, v34
	v_cmp_ne_u32_e64 s[8:9], v37, v41
	v_alignbit_b32 v33, v35, v15, 30
	v_cndmask_b32_e64 v34, 33, v34, s[8:9]
	v_alignbit_b32 v14, v15, v14, 30
	v_xor_b32_e32 v33, v33, v41
	v_sub_u32_e32 v35, 32, v34
	v_xor_b32_e32 v14, v14, v41
	v_alignbit_b32 v36, v42, v33, v35
	v_alignbit_b32 v14, v33, v14, v35
	;; [unrolled: 1-line block ×3, first 2 shown]
	v_ffbh_u32_e32 v33, v15
	v_min_u32_e32 v33, 32, v33
	v_lshrrev_b32_e32 v38, 29, v2
	v_sub_u32_e32 v35, 31, v33
	v_alignbit_b32 v14, v15, v14, v35
	v_lshlrev_b32_e32 v15, 31, v38
	v_or_b32_e32 v35, 0x33800000, v15
	v_add_lshl_u32 v33, v33, v34, 23
	v_lshrrev_b32_e32 v14, 9, v14
	v_sub_u32_e32 v33, v35, v33
	v_or_b32_e32 v14, v33, v14
	v_alignbit_b32 v33, v34, v36, 9
	v_or_b32_e32 v15, v33, v15
	v_xor_b32_e32 v15, 1.0, v15
	v_mul_f32_e32 v33, 0x3fc90fda, v15
	v_fma_f32 v34, v15, s53, -v33
	v_fmac_f32_e32 v34, 0x33a22168, v15
	v_fmac_f32_e32 v34, 0x3fc90fda, v14
	v_lshrrev_b32_e32 v2, 30, v2
	v_add_f32_e32 v14, v33, v34
	v_add_u32_e32 v15, v40, v2
	s_andn2_saveexec_b64 s[8:9], s[38:39]
	s_branch .LBB139_166
.LBB139_165:                            ;   in Loop: Header=BB139_4 Depth=1
	s_andn2_saveexec_b64 s[8:9], s[38:39]
.LBB139_166:                            ;   in Loop: Header=BB139_4 Depth=1
	v_mul_f32_e64 v2, |v11|, s54
	v_rndne_f32_e32 v2, v2
	v_cvt_i32_f32_e32 v15, v2
	v_fma_f32 v14, v2, s55, |v11|
	v_fmac_f32_e32 v14, 0xb3a22168, v2
	v_fmac_f32_e32 v14, 0xa7c234c4, v2
; %bb.167:                              ;   in Loop: Header=BB139_4 Depth=1
	s_or_b64 exec, exec, s[8:9]
                                        ; implicit-def: $vgpr2
                                        ; implicit-def: $vgpr33
	s_and_saveexec_b64 s[8:9], s[36:37]
	s_xor_b64 s[36:37], exec, s[8:9]
	s_cbranch_execz .LBB139_169
; %bb.168:                              ;   in Loop: Header=BB139_4 Depth=1
	v_lshrrev_b32_e32 v2, 23, v32
	v_add_u32_e32 v2, 0xffffff88, v2
	v_cmp_lt_u32_e64 s[8:9], 63, v2
	v_cndmask_b32_e64 v33, 0, v28, s[8:9]
	v_add_u32_e32 v2, v33, v2
	v_cmp_lt_u32_e64 s[10:11], 31, v2
	v_cndmask_b32_e64 v33, 0, v29, s[10:11]
	;; [unrolled: 3-line block ×3, first 2 shown]
	v_add_u32_e32 v33, v33, v2
	v_and_b32_e32 v2, 0x7fffff, v32
	v_or_b32_e32 v46, 0x800000, v2
	v_mad_u64_u32 v[34:35], s[14:15], v46, s46, 0
	v_mov_b32_e32 v2, v35
	v_mad_u64_u32 v[36:37], s[14:15], v46, s47, v[2:3]
	v_mov_b32_e32 v2, v37
	;; [unrolled: 2-line block ×6, first 2 shown]
	v_mad_u64_u32 v[46:47], s[14:15], v46, s52, v[2:3]
	v_cndmask_b32_e64 v35, v44, v40, s[8:9]
	v_cndmask_b32_e64 v2, v46, v42, s[8:9]
	;; [unrolled: 1-line block ×7, first 2 shown]
	v_sub_u32_e32 v41, 32, v33
	v_cmp_eq_u32_e64 s[14:15], 0, v33
	v_cndmask_b32_e64 v33, v40, v36, s[8:9]
	v_cndmask_b32_e64 v2, v2, v37, s[12:13]
	;; [unrolled: 1-line block ×4, first 2 shown]
	v_alignbit_b32 v42, v2, v37, v41
	v_cndmask_b32_e64 v35, v35, v36, s[12:13]
	v_cndmask_b32_e64 v2, v42, v2, s[14:15]
	v_alignbit_b32 v39, v37, v35, v41
	v_cndmask_b32_e64 v37, v39, v37, s[14:15]
	v_bfe_u32 v42, v2, 29, 1
	v_cndmask_b32_e64 v34, v38, v34, s[8:9]
	v_alignbit_b32 v39, v2, v37, 30
	v_sub_u32_e32 v43, 0, v42
	v_cndmask_b32_e64 v33, v33, v34, s[10:11]
	v_xor_b32_e32 v44, v39, v43
	v_cndmask_b32_e64 v33, v36, v33, s[12:13]
	v_alignbit_b32 v34, v35, v33, v41
	v_ffbh_u32_e32 v36, v44
	v_cndmask_b32_e64 v34, v34, v35, s[14:15]
	v_add_u32_e32 v36, 1, v36
	v_cmp_ne_u32_e64 s[8:9], v39, v43
	v_alignbit_b32 v35, v37, v34, 30
	v_cndmask_b32_e64 v36, 33, v36, s[8:9]
	v_alignbit_b32 v33, v34, v33, 30
	v_xor_b32_e32 v35, v35, v43
	v_sub_u32_e32 v37, 32, v36
	v_xor_b32_e32 v33, v33, v43
	v_alignbit_b32 v38, v44, v35, v37
	v_alignbit_b32 v33, v35, v33, v37
	;; [unrolled: 1-line block ×3, first 2 shown]
	v_ffbh_u32_e32 v35, v34
	v_min_u32_e32 v35, 32, v35
	v_lshrrev_b32_e32 v40, 29, v2
	v_sub_u32_e32 v37, 31, v35
	v_alignbit_b32 v33, v34, v33, v37
	v_lshlrev_b32_e32 v34, 31, v40
	v_or_b32_e32 v37, 0x33800000, v34
	v_add_lshl_u32 v35, v35, v36, 23
	v_lshrrev_b32_e32 v33, 9, v33
	v_sub_u32_e32 v35, v37, v35
	v_or_b32_e32 v33, v35, v33
	v_alignbit_b32 v35, v36, v38, 9
	v_or_b32_e32 v34, v35, v34
	v_xor_b32_e32 v34, 1.0, v34
	v_mul_f32_e32 v35, 0x3fc90fda, v34
	v_fma_f32 v36, v34, s53, -v35
	v_fmac_f32_e32 v36, 0x33a22168, v34
	v_fmac_f32_e32 v36, 0x3fc90fda, v33
	v_lshrrev_b32_e32 v2, 30, v2
	v_add_f32_e32 v33, v35, v36
	v_add_u32_e32 v2, v42, v2
	s_andn2_saveexec_b64 s[8:9], s[36:37]
	s_cbranch_execnz .LBB139_170
	s_branch .LBB139_171
.LBB139_169:                            ;   in Loop: Header=BB139_4 Depth=1
	s_andn2_saveexec_b64 s[8:9], s[36:37]
.LBB139_170:                            ;   in Loop: Header=BB139_4 Depth=1
	v_mul_f32_e64 v2, |v11|, s54
	v_rndne_f32_e32 v34, v2
	v_cvt_i32_f32_e32 v2, v34
	v_fma_f32 v33, v34, s55, |v11|
	v_fmac_f32_e32 v33, 0xb3a22168, v34
	v_fmac_f32_e32 v33, 0xa7c234c4, v34
.LBB139_171:                            ;   in Loop: Header=BB139_4 Depth=1
	s_or_b64 exec, exec, s[8:9]
	v_mul_f32_e32 v35, v14, v14
	v_mov_b32_e32 v36, 0xbab64f3b
	v_fmac_f32_e32 v36, 0x37d75334, v35
	v_mov_b32_e32 v37, 0x3c0881c4
	v_fma_f32 v36, v35, v36, v26
	v_fmac_f32_e32 v37, 0xb94c1982, v35
	v_fma_f32 v36, v35, v36, v27
	v_fma_f32 v37, v35, v37, v25
	v_lshlrev_b32_e32 v34, 30, v15
	v_and_b32_e32 v15, 1, v15
	v_fma_f32 v36, v35, v36, 1.0
	v_mul_f32_e32 v35, v35, v37
	v_add_f32_e32 v10, 0xc322e3bc, v10
	v_fmac_f32_e32 v14, v14, v35
	v_cmp_eq_u32_e64 s[8:9], 0, v15
	v_mul_f32_e32 v15, 0x3fb8aa3b, v10
	v_cndmask_b32_e64 v14, -v14, v36, s[8:9]
	v_fma_f32 v35, v10, s56, -v15
	v_rndne_f32_e32 v36, v15
	v_fmac_f32_e32 v35, 0x32a5705f, v10
	v_sub_f32_e32 v15, v15, v36
	v_add_f32_e32 v15, v15, v35
	v_exp_f32_e32 v15, v15
	v_cvt_i32_f32_e32 v35, v36
	v_cmp_ngt_f32_e64 s[10:11], s57, v10
	v_and_b32_e32 v34, 0x80000000, v34
	v_xor_b32_e32 v14, v34, v14
	v_ldexp_f32 v15, v15, v35
	v_cndmask_b32_e64 v15, 0, v15, s[10:11]
	v_cmp_nlt_f32_e64 s[10:11], s58, v10
	v_cndmask_b32_e64 v10, v30, v15, s[10:11]
	v_and_b32_e32 v15, 0x7fffff, v10
	v_lshrrev_b32_e32 v10, 23, v10
	v_subrev_u32_e32 v10, 19, v10
	v_lshrrev_b16_e32 v34, 15, v10
	v_add_u16_e32 v34, v10, v34
	v_ashrrev_i16_e32 v34, 1, v34
	v_bfe_i32 v34, v34, 0, 16
	v_lshl_add_u32 v35, v34, 23, 1.0
	v_sub_u32_e32 v10, v10, v34
	v_mul_f32_e32 v34, v33, v33
	v_mov_b32_e32 v36, 0x3c0881c4
	v_fmac_f32_e32 v36, 0xb94c1982, v34
	v_fma_f32 v36, v34, v36, v25
	v_mul_f32_e32 v36, v34, v36
	v_fmac_f32_e32 v33, v33, v36
	v_mov_b32_e32 v36, 0xbab64f3b
	v_fmac_f32_e32 v36, 0x37d75334, v34
	v_fma_f32 v36, v34, v36, v26
	v_fma_f32 v36, v34, v36, v27
	v_fma_f32 v34, v34, v36, 1.0
	v_and_b32_e32 v36, 1, v2
	v_cmp_eq_u32_e64 s[10:11], 0, v36
	v_lshlrev_b32_e32 v2, 30, v2
	v_cndmask_b32_e64 v33, v34, v33, s[10:11]
	v_and_or_b32 v2, v2, s59, v32
	v_xor_b32_e32 v2, v2, v33
	v_cmp_class_f32_e64 s[8:9], v11, s60
	v_xor_b32_e32 v2, v2, v11
	v_cndmask_b32_e64 v14, v31, v14, s[8:9]
	v_or_b32_e32 v15, 0x7f000000, v15
	v_cndmask_b32_e64 v2, v31, v2, s[8:9]
	v_mul_f32_e32 v14, v14, v15
	v_mul_f32_e32 v2, v2, v15
	;; [unrolled: 1-line block ×3, first 2 shown]
	v_lshl_add_u32 v10, v10, 23, 1.0
	v_mul_f32_e32 v2, v2, v35
	v_mul_f32_e32 v14, v14, v10
	;; [unrolled: 1-line block ×3, first 2 shown]
.LBB139_172:                            ;   in Loop: Header=BB139_4 Depth=1
	s_or_b64 exec, exec, s[34:35]
                                        ; implicit-def: $vgpr10
                                        ; implicit-def: $vgpr2
.LBB139_173:                            ;   in Loop: Header=BB139_4 Depth=1
	s_andn2_saveexec_b64 s[10:11], s[30:31]
	s_cbranch_execz .LBB139_179
; %bb.174:                              ;   in Loop: Header=BB139_4 Depth=1
	v_cmp_ne_u32_e64 s[8:9], s43, v2
	v_sub_f32_e32 v15, v11, v11
	s_and_saveexec_b64 s[12:13], s[8:9]
	s_xor_b64 s[8:9], exec, s[12:13]
; %bb.175:                              ;   in Loop: Header=BB139_4 Depth=1
                                        ; implicit-def: $vgpr10
; %bb.176:                              ;   in Loop: Header=BB139_4 Depth=1
	s_or_saveexec_b64 s[12:13], s[8:9]
	v_mov_b32_e32 v14, v15
	s_xor_b64 exec, exec, s[12:13]
; %bb.177:                              ;   in Loop: Header=BB139_4 Depth=1
	v_cmp_lt_i32_e64 s[8:9], -1, v10
	v_cndmask_b32_e64 v14, 0, v10, s[8:9]
	v_cndmask_b32_e64 v15, 0, v15, s[8:9]
; %bb.178:                              ;   in Loop: Header=BB139_4 Depth=1
	s_or_b64 exec, exec, s[12:13]
.LBB139_179:                            ;   in Loop: Header=BB139_4 Depth=1
	s_or_b64 exec, exec, s[10:11]
                                        ; implicit-def: $vgpr11
                                        ; implicit-def: $vgpr32
.LBB139_180:                            ;   in Loop: Header=BB139_4 Depth=1
	s_andn2_saveexec_b64 s[28:29], s[28:29]
	s_cbranch_execz .LBB139_190
; %bb.181:                              ;   in Loop: Header=BB139_4 Depth=1
	v_lshrrev_b32_e32 v2, 23, v32
	v_and_b32_e32 v10, 0x7fffff, v32
	v_cmp_nlt_f32_e64 s[30:31], |v11|, s45
	v_add_u32_e32 v33, 0xffffff88, v2
	v_or_b32_e32 v15, 0x800000, v10
                                        ; implicit-def: $vgpr10
                                        ; implicit-def: $vgpr14
	s_and_saveexec_b64 s[8:9], s[30:31]
	s_xor_b64 s[34:35], exec, s[8:9]
	s_cbranch_execz .LBB139_183
; %bb.182:                              ;   in Loop: Header=BB139_4 Depth=1
	v_cmp_lt_u32_e64 s[8:9], 63, v33
	v_cndmask_b32_e64 v2, 0, v28, s[8:9]
	v_add_u32_e32 v2, v2, v33
	v_cmp_lt_u32_e64 s[10:11], 31, v2
	v_cndmask_b32_e64 v10, 0, v29, s[10:11]
	v_add_u32_e32 v2, v10, v2
	v_cmp_lt_u32_e64 s[12:13], 31, v2
	v_cndmask_b32_e64 v10, 0, v29, s[12:13]
	v_mad_u64_u32 v[34:35], s[14:15], v15, s46, 0
	v_add_u32_e32 v10, v10, v2
	v_mov_b32_e32 v2, v35
	v_mad_u64_u32 v[36:37], s[14:15], v15, s47, v[2:3]
	v_mov_b32_e32 v2, v37
	v_mad_u64_u32 v[38:39], s[14:15], v15, s48, v[2:3]
	v_mov_b32_e32 v2, v39
	v_mad_u64_u32 v[40:41], s[14:15], v15, s49, v[2:3]
	v_mov_b32_e32 v2, v41
	v_mad_u64_u32 v[42:43], s[14:15], v15, s50, v[2:3]
	v_mov_b32_e32 v2, v43
	v_mad_u64_u32 v[44:45], s[14:15], v15, s51, v[2:3]
	v_mov_b32_e32 v2, v45
	v_mad_u64_u32 v[46:47], s[14:15], v15, s52, v[2:3]
	v_cndmask_b32_e64 v14, v44, v40, s[8:9]
	v_cndmask_b32_e64 v2, v46, v42, s[8:9]
	;; [unrolled: 1-line block ×7, first 2 shown]
	v_sub_u32_e32 v39, 32, v10
	v_cmp_eq_u32_e64 s[14:15], 0, v10
	v_cndmask_b32_e64 v10, v40, v36, s[8:9]
	v_cndmask_b32_e64 v2, v2, v35, s[12:13]
	v_cndmask_b32_e64 v35, v35, v14, s[12:13]
	v_cndmask_b32_e64 v36, v37, v10, s[10:11]
	v_alignbit_b32 v41, v2, v35, v39
	v_cndmask_b32_e64 v14, v14, v36, s[12:13]
	v_cndmask_b32_e64 v34, v38, v34, s[8:9]
	;; [unrolled: 1-line block ×3, first 2 shown]
	v_alignbit_b32 v37, v35, v14, v39
	v_cndmask_b32_e64 v10, v10, v34, s[10:11]
	v_cndmask_b32_e64 v35, v37, v35, s[14:15]
	v_bfe_u32 v41, v2, 29, 1
	v_cndmask_b32_e64 v10, v36, v10, s[12:13]
	v_alignbit_b32 v37, v2, v35, 30
	v_sub_u32_e32 v42, 0, v41
	v_alignbit_b32 v34, v14, v10, v39
	v_xor_b32_e32 v43, v37, v42
	v_cndmask_b32_e64 v14, v34, v14, s[14:15]
	v_alignbit_b32 v34, v35, v14, 30
	v_ffbh_u32_e32 v35, v43
	v_add_u32_e32 v35, 1, v35
	v_cmp_ne_u32_e64 s[8:9], v37, v42
	v_cndmask_b32_e64 v35, 33, v35, s[8:9]
	v_alignbit_b32 v10, v14, v10, 30
	v_xor_b32_e32 v34, v34, v42
	v_sub_u32_e32 v36, 32, v35
	v_xor_b32_e32 v10, v10, v42
	v_alignbit_b32 v37, v43, v34, v36
	v_alignbit_b32 v10, v34, v10, v36
	;; [unrolled: 1-line block ×3, first 2 shown]
	v_ffbh_u32_e32 v34, v14
	v_min_u32_e32 v34, 32, v34
	v_lshrrev_b32_e32 v40, 29, v2
	v_sub_u32_e32 v36, 31, v34
	v_alignbit_b32 v10, v14, v10, v36
	v_lshlrev_b32_e32 v14, 31, v40
	v_or_b32_e32 v36, 0x33800000, v14
	v_add_lshl_u32 v34, v34, v35, 23
	v_lshrrev_b32_e32 v10, 9, v10
	v_sub_u32_e32 v34, v36, v34
	v_or_b32_e32 v10, v34, v10
	v_alignbit_b32 v34, v35, v37, 9
	v_or_b32_e32 v14, v34, v14
	v_xor_b32_e32 v14, 1.0, v14
	v_mul_f32_e32 v34, 0x3fc90fda, v14
	v_fma_f32 v35, v14, s53, -v34
	v_fmac_f32_e32 v35, 0x33a22168, v14
	v_fmac_f32_e32 v35, 0x3fc90fda, v10
	v_lshrrev_b32_e32 v2, 30, v2
	v_add_f32_e32 v14, v34, v35
	v_add_u32_e32 v10, v41, v2
.LBB139_183:                            ;   in Loop: Header=BB139_4 Depth=1
	s_or_saveexec_b64 s[8:9], s[34:35]
	v_mul_f32_e64 v2, |v11|, s54
	v_rndne_f32_e32 v35, v2
	s_xor_b64 exec, exec, s[8:9]
; %bb.184:                              ;   in Loop: Header=BB139_4 Depth=1
	v_cvt_i32_f32_e32 v10, v35
	v_fma_f32 v14, v35, s55, |v11|
	v_fmac_f32_e32 v14, 0xb3a22168, v35
	v_fmac_f32_e32 v14, 0xa7c234c4, v35
; %bb.185:                              ;   in Loop: Header=BB139_4 Depth=1
	s_or_b64 exec, exec, s[8:9]
                                        ; implicit-def: $vgpr2
                                        ; implicit-def: $vgpr34
	s_and_saveexec_b64 s[8:9], s[30:31]
	s_xor_b64 s[30:31], exec, s[8:9]
	s_cbranch_execz .LBB139_187
; %bb.186:                              ;   in Loop: Header=BB139_4 Depth=1
	v_cmp_lt_u32_e64 s[8:9], 63, v33
	v_cndmask_b32_e64 v2, 0, v28, s[8:9]
	v_add_u32_e32 v2, v2, v33
	v_cmp_lt_u32_e64 s[10:11], 31, v2
	v_cndmask_b32_e64 v33, 0, v29, s[10:11]
	v_add_u32_e32 v2, v33, v2
	v_cmp_lt_u32_e64 s[12:13], 31, v2
	v_cndmask_b32_e64 v33, 0, v29, s[12:13]
	v_mad_u64_u32 v[34:35], s[14:15], v15, s46, 0
	v_add_u32_e32 v33, v33, v2
	v_mov_b32_e32 v2, v35
	v_mad_u64_u32 v[36:37], s[14:15], v15, s47, v[2:3]
	v_mov_b32_e32 v2, v37
	v_mad_u64_u32 v[38:39], s[14:15], v15, s48, v[2:3]
	;; [unrolled: 2-line block ×6, first 2 shown]
	v_cndmask_b32_e64 v35, v44, v40, s[8:9]
	v_cndmask_b32_e64 v2, v46, v42, s[8:9]
	;; [unrolled: 1-line block ×7, first 2 shown]
	v_sub_u32_e32 v39, 32, v33
	v_cmp_eq_u32_e64 s[14:15], 0, v33
	v_cndmask_b32_e64 v33, v40, v36, s[8:9]
	v_cndmask_b32_e64 v2, v2, v15, s[12:13]
	v_cndmask_b32_e64 v15, v15, v35, s[12:13]
	v_cndmask_b32_e64 v36, v37, v33, s[10:11]
	v_alignbit_b32 v41, v2, v15, v39
	v_cndmask_b32_e64 v35, v35, v36, s[12:13]
	v_cndmask_b32_e64 v2, v41, v2, s[14:15]
	v_alignbit_b32 v37, v15, v35, v39
	v_cndmask_b32_e64 v34, v38, v34, s[8:9]
	v_cndmask_b32_e64 v15, v37, v15, s[14:15]
	v_bfe_u32 v41, v2, 29, 1
	v_cndmask_b32_e64 v33, v33, v34, s[10:11]
	v_alignbit_b32 v37, v2, v15, 30
	v_sub_u32_e32 v42, 0, v41
	v_cndmask_b32_e64 v33, v36, v33, s[12:13]
	v_xor_b32_e32 v43, v37, v42
	v_alignbit_b32 v34, v35, v33, v39
	v_cndmask_b32_e64 v34, v34, v35, s[14:15]
	v_ffbh_u32_e32 v35, v43
	v_add_u32_e32 v35, 1, v35
	v_cmp_ne_u32_e64 s[8:9], v37, v42
	v_alignbit_b32 v15, v15, v34, 30
	v_cndmask_b32_e64 v35, 33, v35, s[8:9]
	v_alignbit_b32 v33, v34, v33, 30
	v_xor_b32_e32 v15, v15, v42
	v_sub_u32_e32 v36, 32, v35
	v_xor_b32_e32 v33, v33, v42
	v_alignbit_b32 v37, v43, v15, v36
	v_alignbit_b32 v15, v15, v33, v36
	;; [unrolled: 1-line block ×3, first 2 shown]
	v_ffbh_u32_e32 v34, v33
	v_min_u32_e32 v34, 32, v34
	v_lshrrev_b32_e32 v40, 29, v2
	v_sub_u32_e32 v36, 31, v34
	v_alignbit_b32 v15, v33, v15, v36
	v_lshlrev_b32_e32 v33, 31, v40
	v_or_b32_e32 v36, 0x33800000, v33
	v_add_lshl_u32 v34, v34, v35, 23
	v_lshrrev_b32_e32 v15, 9, v15
	v_sub_u32_e32 v34, v36, v34
	v_or_b32_e32 v15, v34, v15
	v_alignbit_b32 v34, v35, v37, 9
	v_or_b32_e32 v33, v34, v33
	v_xor_b32_e32 v33, 1.0, v33
	v_mul_f32_e32 v34, 0x3fc90fda, v33
	v_fma_f32 v35, v33, s53, -v34
	v_fmac_f32_e32 v35, 0x33a22168, v33
	v_fmac_f32_e32 v35, 0x3fc90fda, v15
	v_lshrrev_b32_e32 v2, 30, v2
	v_add_f32_e32 v34, v34, v35
	v_add_u32_e32 v2, v41, v2
                                        ; implicit-def: $vgpr35
	s_andn2_saveexec_b64 s[8:9], s[30:31]
	s_cbranch_execnz .LBB139_188
	s_branch .LBB139_189
.LBB139_187:                            ;   in Loop: Header=BB139_4 Depth=1
	s_andn2_saveexec_b64 s[8:9], s[30:31]
.LBB139_188:                            ;   in Loop: Header=BB139_4 Depth=1
	v_cvt_i32_f32_e32 v2, v35
	v_fma_f32 v34, v35, s55, |v11|
	v_fmac_f32_e32 v34, 0xb3a22168, v35
	v_fmac_f32_e32 v34, 0xa7c234c4, v35
.LBB139_189:                            ;   in Loop: Header=BB139_4 Depth=1
	s_or_b64 exec, exec, s[8:9]
	v_mul_f32_e32 v15, v14, v14
	v_mov_b32_e32 v33, 0x3c0881c4
	v_fmac_f32_e32 v33, 0xb94c1982, v15
	v_fma_f32 v33, v15, v33, v25
	v_mul_f32_e32 v33, v15, v33
	v_fmac_f32_e32 v14, v14, v33
	v_mov_b32_e32 v33, 0xbab64f3b
	v_fmac_f32_e32 v33, 0x37d75334, v15
	v_fma_f32 v33, v15, v33, v26
	v_fma_f32 v33, v15, v33, v27
	v_fma_f32 v15, v15, v33, 1.0
	v_and_b32_e32 v33, 1, v10
	v_cmp_eq_u32_e64 s[8:9], 0, v33
	v_lshlrev_b32_e32 v10, 30, v10
	v_cndmask_b32_e64 v14, -v14, v15, s[8:9]
	v_and_b32_e32 v10, 0x80000000, v10
	v_xor_b32_e32 v10, v10, v14
	v_cmp_class_f32_e64 s[8:9], v11, s60
	v_cndmask_b32_e64 v14, v31, v10, s[8:9]
	v_mul_f32_e32 v10, v34, v34
	v_mov_b32_e32 v15, 0x3c0881c4
	v_fmac_f32_e32 v15, 0xb94c1982, v10
	v_fma_f32 v15, v10, v15, v25
	v_mul_f32_e32 v15, v10, v15
	v_fmac_f32_e32 v34, v34, v15
	v_mov_b32_e32 v15, 0xbab64f3b
	v_fmac_f32_e32 v15, 0x37d75334, v10
	v_fma_f32 v15, v10, v15, v26
	v_fma_f32 v15, v10, v15, v27
	v_fma_f32 v10, v10, v15, 1.0
	v_and_b32_e32 v15, 1, v2
	v_cmp_eq_u32_e64 s[10:11], 0, v15
	v_lshlrev_b32_e32 v2, 30, v2
	v_cndmask_b32_e64 v10, v10, v34, s[10:11]
	v_and_or_b32 v2, v2, s59, v32
	v_xor_b32_e32 v2, v2, v10
	v_xor_b32_e32 v2, v2, v11
	v_cndmask_b32_e64 v15, v31, v2, s[8:9]
.LBB139_190:                            ;   in Loop: Header=BB139_4 Depth=1
	s_or_b64 exec, exec, s[28:29]
                                        ; implicit-def: $vgpr10
	s_andn2_saveexec_b64 s[10:11], s[26:27]
	s_cbranch_execnz .LBB139_151
.LBB139_191:                            ;   in Loop: Header=BB139_4 Depth=1
	s_or_b64 exec, exec, s[10:11]
	s_and_saveexec_b64 s[8:9], vcc
	s_xor_b64 s[8:9], exec, s[8:9]
	s_cbranch_execz .LBB139_152
.LBB139_192:                            ;   in Loop: Header=BB139_4 Depth=1
	v_mov_b32_e32 v2, s40
	v_add_co_u32_e32 v10, vcc, s33, v4
	v_addc_co_u32_e32 v11, vcc, 0, v2, vcc
	global_store_dwordx2 v[10:11], v[12:13], off
	s_or_b64 exec, exec, s[8:9]
	s_and_saveexec_b64 s[8:9], s[0:1]
	s_cbranch_execnz .LBB139_153
.LBB139_193:                            ;   in Loop: Header=BB139_4 Depth=1
	s_or_b64 exec, exec, s[8:9]
	s_and_saveexec_b64 s[0:1], s[2:3]
	s_cbranch_execz .LBB139_154
.LBB139_194:                            ;   in Loop: Header=BB139_4 Depth=1
	v_mov_b32_e32 v2, s40
	v_add_co_u32_e32 v10, vcc, s33, v9
	v_addc_co_u32_e32 v11, vcc, v2, v20, vcc
	global_store_dwordx2 v[10:11], v[18:19], off
	s_or_b64 exec, exec, s[0:1]
	s_and_saveexec_b64 s[0:1], s[6:7]
	s_cbranch_execz .LBB139_3
.LBB139_195:                            ;   in Loop: Header=BB139_4 Depth=1
	v_mov_b32_e32 v2, s40
	v_add_co_u32_e32 v10, vcc, s33, v6
	v_addc_co_u32_e32 v11, vcc, v2, v7, vcc
	global_store_dwordx2 v[10:11], v[14:15], off
	s_branch .LBB139_3
.LBB139_196:
	s_cbranch_execz .LBB139_198
	s_branch .LBB139_373
.LBB139_197:
.LBB139_198:
	v_mov_b32_e32 v13, 0
	v_lshlrev_b32_e32 v12, 2, v0
	s_mov_b32 s24, 0
	v_cmp_gt_i64_e32 vcc, s[16:17], v[12:13]
	s_and_saveexec_b64 s[0:1], vcc
	s_cbranch_execz .LBB139_373
; %bb.199:
	s_load_dword s0, s[4:5], 0xd3c
	v_lshlrev_b32_e32 v1, 5, v0
	s_mov_b32 s27, s24
	s_mov_b64 s[6:7], 0
	s_mov_b32 s28, 0x7f800000
	s_waitcnt lgkmcnt(0)
	s_and_b32 s0, s0, 0xffff
	s_lshl_b32 s25, s0, 2
	s_add_u32 s1, s18, s20
	s_addc_u32 s2, s19, s21
	v_add_lshl_u32 v12, v0, s0, 2
	v_mov_b32_e32 v0, s2
	v_add_co_u32_e32 v14, vcc, s1, v1
	v_addc_co_u32_e32 v15, vcc, 0, v0, vcc
	s_lshl_b32 s26, s0, 5
	s_mov_b32 s29, 0x8e8e5c
	s_brev_b32 s30, 18
	s_mov_b32 s31, 0xfe5163ab
	s_mov_b32 s33, 0x3c439041
	s_mov_b32 s34, 0xdb629599
	s_mov_b32 s35, 0xf534ddc0
	s_mov_b32 s36, 0xfc2757d1
	s_mov_b32 s37, 0x4e441529
	s_mov_b32 s38, 0xa2f9836e
	s_mov_b32 s39, 0x3fc90fda
	s_mov_b32 s40, 0x3f22f983
	s_mov_b32 s41, 0xbfc90fda
	s_mov_b32 s42, 0x3fb8aa3b
	s_mov_b32 s43, 0xc2ce8ed0
	s_mov_b32 s44, 0x42b17218
	v_mov_b32_e32 v18, 0xbe2aaa9d
	v_mov_b32_e32 v19, 0x3d2aabf7
	v_mov_b32_e32 v20, 0xbf000004
	s_brev_b32 s45, 1
	s_movk_i32 s46, 0x1f8
	s_mov_b64 s[8:9], 0xffff
	v_not_b32_e32 v21, 63
	v_not_b32_e32 v22, 31
	v_mov_b32_e32 v23, 0x7f800000
	v_mov_b32_e32 v24, 0x7fc00000
	v_pk_mov_b32 v[16:17], v[12:13], v[12:13] op_sel:[0,1]
	s_branch .LBB139_201
.LBB139_200:                            ;   in Loop: Header=BB139_201 Depth=1
	s_or_b64 exec, exec, s[0:1]
	v_cmp_le_i64_e32 vcc, s[16:17], v[16:17]
	v_cmp_lt_u64_e64 s[0:1], s[8:9], v[16:17]
	s_or_b64 s[0:1], vcc, s[0:1]
	v_mov_b32_e32 v0, s24
	v_add_co_u32_e32 v16, vcc, s25, v16
	v_addc_co_u32_e32 v17, vcc, v17, v0, vcc
	global_store_dwordx4 v[14:15], v[4:7], off
	global_store_dwordx4 v[14:15], v[8:11], off offset:16
	v_mov_b32_e32 v0, s27
	s_and_b64 s[0:1], exec, s[0:1]
	v_add_co_u32_e32 v14, vcc, s26, v14
	s_or_b64 s[6:7], s[0:1], s[6:7]
	v_addc_co_u32_e32 v15, vcc, v15, v0, vcc
	s_andn2_b64 exec, exec, s[6:7]
	s_cbranch_execz .LBB139_373
.LBB139_201:                            ; =>This Inner Loop Header: Depth=1
	global_load_dwordx4 v[8:11], v[14:15], off
	global_load_dwordx4 v[0:3], v[14:15], off offset:16
                                        ; implicit-def: $vgpr5
	s_waitcnt vmcnt(1)
	v_and_b32_e32 v6, 0x7fffffff, v9
	v_cmp_ne_u32_e32 vcc, 0, v6
	s_and_saveexec_b64 s[0:1], vcc
	s_xor_b64 s[10:11], exec, s[0:1]
	s_cbranch_execz .LBB139_241
; %bb.202:                              ;   in Loop: Header=BB139_201 Depth=1
	v_and_b32_e32 v7, 0x7fffffff, v8
	v_cmp_ne_u32_e32 vcc, 0, v7
                                        ; implicit-def: $vgpr5
	s_and_saveexec_b64 s[0:1], vcc
	s_xor_b64 s[12:13], exec, s[0:1]
	s_cbranch_execz .LBB139_230
; %bb.203:                              ;   in Loop: Header=BB139_201 Depth=1
	v_cmp_gt_u32_e32 vcc, s28, v6
                                        ; implicit-def: $vgpr5
	s_and_saveexec_b64 s[0:1], vcc
	s_xor_b64 s[14:15], exec, s[0:1]
	s_cbranch_execz .LBB139_225
; %bb.204:                              ;   in Loop: Header=BB139_201 Depth=1
	v_add_u32_e32 v4, 0xbd4e8de8, v8
	v_cmp_lt_u32_e32 vcc, s29, v4
                                        ; implicit-def: $vgpr5
	s_and_saveexec_b64 s[0:1], vcc
	s_xor_b64 s[18:19], exec, s[0:1]
	s_cbranch_execz .LBB139_214
; %bb.205:                              ;   in Loop: Header=BB139_201 Depth=1
	v_cmp_nlt_f32_e64 s[20:21], |v9|, s30
                                        ; implicit-def: $vgpr4
                                        ; implicit-def: $vgpr5
	s_and_saveexec_b64 s[0:1], s[20:21]
	s_xor_b64 s[22:23], exec, s[0:1]
	s_cbranch_execz .LBB139_207
; %bb.206:                              ;   in Loop: Header=BB139_201 Depth=1
	v_lshrrev_b32_e32 v4, 23, v6
	v_add_u32_e32 v4, 0xffffff88, v4
	v_cmp_lt_u32_e32 vcc, 63, v4
	v_cndmask_b32_e32 v5, 0, v21, vcc
	v_add_u32_e32 v4, v5, v4
	v_cmp_lt_u32_e64 s[0:1], 31, v4
	v_cndmask_b32_e64 v5, 0, v22, s[0:1]
	v_add_u32_e32 v4, v5, v4
	v_cmp_lt_u32_e64 s[2:3], 31, v4
	v_cndmask_b32_e64 v5, 0, v22, s[2:3]
	v_add_u32_e32 v7, v5, v4
	v_and_b32_e32 v4, 0x7fffff, v6
	v_or_b32_e32 v25, 0x800000, v4
	v_mad_u64_u32 v[4:5], s[4:5], v25, s31, 0
	v_mov_b32_e32 v12, v5
	v_mad_u64_u32 v[26:27], s[4:5], v25, s33, v[12:13]
	v_mov_b32_e32 v12, v27
	;; [unrolled: 2-line block ×6, first 2 shown]
	v_mad_u64_u32 v[36:37], s[4:5], v25, s38, v[12:13]
	v_cndmask_b32_e32 v5, v34, v30, vcc
	v_cndmask_b32_e32 v12, v36, v32, vcc
	;; [unrolled: 1-line block ×3, first 2 shown]
	v_cndmask_b32_e64 v25, v12, v5, s[0:1]
	v_cndmask_b32_e64 v12, v27, v12, s[0:1]
	v_cndmask_b32_e32 v27, v32, v28, vcc
	v_cndmask_b32_e64 v5, v5, v27, s[0:1]
	v_cndmask_b32_e64 v12, v12, v25, s[2:3]
	;; [unrolled: 1-line block ×3, first 2 shown]
	v_sub_u32_e32 v29, 32, v7
	v_alignbit_b32 v31, v12, v25, v29
	v_cmp_eq_u32_e64 s[4:5], 0, v7
	v_cndmask_b32_e64 v7, v31, v12, s[4:5]
	v_cndmask_b32_e32 v12, v30, v26, vcc
	v_cndmask_b32_e64 v26, v27, v12, s[0:1]
	v_cndmask_b32_e64 v5, v5, v26, s[2:3]
	v_cndmask_b32_e32 v4, v28, v4, vcc
	v_alignbit_b32 v27, v25, v5, v29
	v_cndmask_b32_e64 v4, v12, v4, s[0:1]
	v_cndmask_b32_e64 v25, v27, v25, s[4:5]
	v_bfe_u32 v31, v7, 29, 1
	v_cndmask_b32_e64 v4, v26, v4, s[2:3]
	v_alignbit_b32 v27, v7, v25, 30
	v_sub_u32_e32 v32, 0, v31
	v_alignbit_b32 v12, v5, v4, v29
	v_xor_b32_e32 v33, v27, v32
	v_cndmask_b32_e64 v5, v12, v5, s[4:5]
	v_alignbit_b32 v12, v25, v5, 30
	v_ffbh_u32_e32 v25, v33
	v_add_u32_e32 v25, 1, v25
	v_cmp_ne_u32_e32 vcc, v27, v32
	v_cndmask_b32_e32 v25, 33, v25, vcc
	v_alignbit_b32 v4, v5, v4, 30
	v_xor_b32_e32 v12, v12, v32
	v_sub_u32_e32 v26, 32, v25
	v_xor_b32_e32 v4, v4, v32
	v_alignbit_b32 v27, v33, v12, v26
	v_alignbit_b32 v4, v12, v4, v26
	;; [unrolled: 1-line block ×3, first 2 shown]
	v_ffbh_u32_e32 v12, v5
	v_min_u32_e32 v12, 32, v12
	v_lshrrev_b32_e32 v30, 29, v7
	v_sub_u32_e32 v26, 31, v12
	v_alignbit_b32 v4, v5, v4, v26
	v_lshlrev_b32_e32 v5, 31, v30
	v_or_b32_e32 v26, 0x33800000, v5
	v_add_lshl_u32 v12, v12, v25, 23
	v_lshrrev_b32_e32 v4, 9, v4
	v_sub_u32_e32 v12, v26, v12
	v_or_b32_e32 v4, v12, v4
	v_alignbit_b32 v12, v25, v27, 9
	v_or_b32_e32 v5, v12, v5
	v_xor_b32_e32 v5, 1.0, v5
	v_mul_f32_e32 v12, 0x3fc90fda, v5
	v_fma_f32 v25, v5, s39, -v12
	v_fmac_f32_e32 v25, 0x33a22168, v5
	v_fmac_f32_e32 v25, 0x3fc90fda, v4
	v_lshrrev_b32_e32 v4, 30, v7
	v_add_f32_e32 v5, v12, v25
	v_add_u32_e32 v4, v31, v4
	s_andn2_saveexec_b64 s[0:1], s[22:23]
	s_branch .LBB139_208
.LBB139_207:                            ;   in Loop: Header=BB139_201 Depth=1
	s_andn2_saveexec_b64 s[0:1], s[22:23]
.LBB139_208:                            ;   in Loop: Header=BB139_201 Depth=1
	v_mul_f32_e64 v4, |v9|, s40
	v_rndne_f32_e32 v7, v4
	v_cvt_i32_f32_e32 v4, v7
	v_fma_f32 v5, v7, s41, |v9|
	v_fmac_f32_e32 v5, 0xb3a22168, v7
	v_fmac_f32_e32 v5, 0xa7c234c4, v7
; %bb.209:                              ;   in Loop: Header=BB139_201 Depth=1
	s_or_b64 exec, exec, s[0:1]
                                        ; implicit-def: $vgpr7
                                        ; implicit-def: $vgpr12
	s_and_saveexec_b64 s[0:1], s[20:21]
	s_xor_b64 s[20:21], exec, s[0:1]
	s_cbranch_execz .LBB139_211
; %bb.210:                              ;   in Loop: Header=BB139_201 Depth=1
	v_lshrrev_b32_e32 v7, 23, v6
	v_add_u32_e32 v7, 0xffffff88, v7
	v_cmp_lt_u32_e32 vcc, 63, v7
	v_cndmask_b32_e32 v12, 0, v21, vcc
	v_add_u32_e32 v7, v12, v7
	v_cmp_lt_u32_e64 s[0:1], 31, v7
	v_cndmask_b32_e64 v12, 0, v22, s[0:1]
	v_add_u32_e32 v7, v12, v7
	v_cmp_lt_u32_e64 s[2:3], 31, v7
	v_cndmask_b32_e64 v12, 0, v22, s[2:3]
	v_add_u32_e32 v7, v12, v7
	v_and_b32_e32 v12, 0x7fffff, v6
	v_or_b32_e32 v25, 0x800000, v12
	v_mad_u64_u32 v[26:27], s[4:5], v25, s31, 0
	v_mov_b32_e32 v12, v27
	v_mad_u64_u32 v[28:29], s[4:5], v25, s33, v[12:13]
	v_mov_b32_e32 v12, v29
	;; [unrolled: 2-line block ×6, first 2 shown]
	v_mad_u64_u32 v[38:39], s[4:5], v25, s38, v[12:13]
	v_cndmask_b32_e32 v27, v36, v32, vcc
	v_cndmask_b32_e32 v12, v38, v34, vcc
	;; [unrolled: 1-line block ×3, first 2 shown]
	v_cndmask_b32_e64 v25, v12, v27, s[0:1]
	v_cndmask_b32_e64 v12, v29, v12, s[0:1]
	v_cndmask_b32_e32 v29, v34, v30, vcc
	v_cndmask_b32_e64 v27, v27, v29, s[0:1]
	v_cndmask_b32_e64 v12, v12, v25, s[2:3]
	v_cndmask_b32_e64 v25, v25, v27, s[2:3]
	v_sub_u32_e32 v31, 32, v7
	v_alignbit_b32 v33, v12, v25, v31
	v_cmp_eq_u32_e64 s[4:5], 0, v7
	v_cndmask_b32_e64 v7, v33, v12, s[4:5]
	v_cndmask_b32_e32 v12, v32, v28, vcc
	v_cndmask_b32_e64 v28, v29, v12, s[0:1]
	v_cndmask_b32_e64 v27, v27, v28, s[2:3]
	v_alignbit_b32 v29, v25, v27, v31
	v_cndmask_b32_e32 v26, v30, v26, vcc
	v_cndmask_b32_e64 v25, v29, v25, s[4:5]
	v_bfe_u32 v33, v7, 29, 1
	v_cndmask_b32_e64 v12, v12, v26, s[0:1]
	v_alignbit_b32 v29, v7, v25, 30
	v_sub_u32_e32 v34, 0, v33
	v_cndmask_b32_e64 v12, v28, v12, s[2:3]
	v_xor_b32_e32 v35, v29, v34
	v_alignbit_b32 v26, v27, v12, v31
	v_cndmask_b32_e64 v26, v26, v27, s[4:5]
	v_ffbh_u32_e32 v27, v35
	v_add_u32_e32 v27, 1, v27
	v_cmp_ne_u32_e32 vcc, v29, v34
	v_alignbit_b32 v25, v25, v26, 30
	v_cndmask_b32_e32 v27, 33, v27, vcc
	v_alignbit_b32 v12, v26, v12, 30
	v_xor_b32_e32 v25, v25, v34
	v_sub_u32_e32 v28, 32, v27
	v_xor_b32_e32 v12, v12, v34
	v_alignbit_b32 v29, v35, v25, v28
	v_alignbit_b32 v12, v25, v12, v28
	;; [unrolled: 1-line block ×3, first 2 shown]
	v_ffbh_u32_e32 v26, v25
	v_min_u32_e32 v26, 32, v26
	v_lshrrev_b32_e32 v32, 29, v7
	v_sub_u32_e32 v28, 31, v26
	v_alignbit_b32 v12, v25, v12, v28
	v_lshlrev_b32_e32 v25, 31, v32
	v_or_b32_e32 v28, 0x33800000, v25
	v_add_lshl_u32 v26, v26, v27, 23
	v_lshrrev_b32_e32 v12, 9, v12
	v_sub_u32_e32 v26, v28, v26
	v_or_b32_e32 v12, v26, v12
	v_alignbit_b32 v26, v27, v29, 9
	v_or_b32_e32 v25, v26, v25
	v_xor_b32_e32 v25, 1.0, v25
	v_mul_f32_e32 v26, 0x3fc90fda, v25
	v_fma_f32 v27, v25, s39, -v26
	v_fmac_f32_e32 v27, 0x33a22168, v25
	v_fmac_f32_e32 v27, 0x3fc90fda, v12
	v_lshrrev_b32_e32 v7, 30, v7
	v_add_f32_e32 v12, v26, v27
	v_add_u32_e32 v7, v33, v7
	s_andn2_saveexec_b64 s[0:1], s[20:21]
	s_cbranch_execnz .LBB139_212
	s_branch .LBB139_213
.LBB139_211:                            ;   in Loop: Header=BB139_201 Depth=1
	s_andn2_saveexec_b64 s[0:1], s[20:21]
.LBB139_212:                            ;   in Loop: Header=BB139_201 Depth=1
	v_mul_f32_e64 v7, |v9|, s40
	v_rndne_f32_e32 v25, v7
	v_cvt_i32_f32_e32 v7, v25
	v_fma_f32 v12, v25, s41, |v9|
	v_fmac_f32_e32 v12, 0xb3a22168, v25
	v_fmac_f32_e32 v12, 0xa7c234c4, v25
.LBB139_213:                            ;   in Loop: Header=BB139_201 Depth=1
	s_or_b64 exec, exec, s[0:1]
	v_mul_f32_e32 v25, 0x3fb8aa3b, v8
	v_rndne_f32_e32 v26, v25
	v_sub_f32_e32 v27, v25, v26
	v_fma_f32 v25, v8, s42, -v25
	v_fmac_f32_e32 v25, 0x32a5705f, v8
	v_add_f32_e32 v25, v27, v25
	v_cvt_i32_f32_e32 v26, v26
	v_exp_f32_e32 v25, v25
	v_mov_b32_e32 v27, 0x3c0881c4
	v_cmp_ngt_f32_e32 vcc, s43, v8
	v_ldexp_f32 v25, v25, v26
	v_mul_f32_e32 v26, v5, v5
	v_fmac_f32_e32 v27, 0xb94c1982, v26
	v_fma_f32 v27, v26, v27, v18
	v_mul_f32_e32 v27, v26, v27
	v_fmac_f32_e32 v5, v5, v27
	v_mov_b32_e32 v27, 0xbab64f3b
	v_fmac_f32_e32 v27, 0x37d75334, v26
	v_fma_f32 v27, v26, v27, v19
	v_fma_f32 v27, v26, v27, v20
	v_cndmask_b32_e32 v25, 0, v25, vcc
	v_cmp_nlt_f32_e32 vcc, s44, v8
	v_fma_f32 v26, v26, v27, 1.0
	v_and_b32_e32 v27, 1, v4
	v_cndmask_b32_e32 v25, v23, v25, vcc
	v_cmp_eq_u32_e32 vcc, 0, v27
	v_lshlrev_b32_e32 v4, 30, v4
	v_cndmask_b32_e64 v5, -v5, v26, vcc
	v_and_b32_e32 v4, 0x80000000, v4
	v_xor_b32_e32 v4, v4, v5
	v_mul_f32_e32 v5, v12, v12
	v_mov_b32_e32 v26, 0x3c0881c4
	v_fmac_f32_e32 v26, 0xb94c1982, v5
	v_fma_f32 v26, v5, v26, v18
	v_mul_f32_e32 v26, v5, v26
	v_fmac_f32_e32 v12, v12, v26
	v_mov_b32_e32 v26, 0xbab64f3b
	v_fmac_f32_e32 v26, 0x37d75334, v5
	v_fma_f32 v26, v5, v26, v19
	v_fma_f32 v26, v5, v26, v20
	v_fma_f32 v5, v5, v26, 1.0
	v_and_b32_e32 v26, 1, v7
	v_cmp_eq_u32_e64 s[0:1], 0, v26
	v_lshlrev_b32_e32 v7, 30, v7
	v_cndmask_b32_e64 v5, v5, v12, s[0:1]
	v_and_or_b32 v6, v7, s45, v6
	v_xor_b32_e32 v5, v6, v5
	v_cmp_class_f32_e64 vcc, v9, s46
	v_xor_b32_e32 v5, v5, v9
	v_cndmask_b32_e32 v4, v24, v4, vcc
	v_cndmask_b32_e32 v5, v24, v5, vcc
	v_mul_f32_e32 v4, v25, v4
	v_mul_f32_e32 v5, v25, v5
                                        ; implicit-def: $vgpr6
.LBB139_214:                            ;   in Loop: Header=BB139_201 Depth=1
	s_andn2_saveexec_b64 s[18:19], s[18:19]
	s_cbranch_execz .LBB139_217
; %bb.215:                              ;   in Loop: Header=BB139_201 Depth=1
	v_cmp_nlt_f32_e64 s[20:21], |v9|, s30
                                        ; implicit-def: $vgpr5
                                        ; implicit-def: $vgpr4
	s_and_saveexec_b64 s[0:1], s[20:21]
	s_xor_b64 s[22:23], exec, s[0:1]
	s_cbranch_execz .LBB139_218
; %bb.216:                              ;   in Loop: Header=BB139_201 Depth=1
	v_lshrrev_b32_e32 v4, 23, v6
	v_add_u32_e32 v4, 0xffffff88, v4
	v_cmp_lt_u32_e32 vcc, 63, v4
	v_cndmask_b32_e32 v5, 0, v21, vcc
	v_add_u32_e32 v4, v5, v4
	v_cmp_lt_u32_e64 s[0:1], 31, v4
	v_cndmask_b32_e64 v5, 0, v22, s[0:1]
	v_add_u32_e32 v4, v5, v4
	v_cmp_lt_u32_e64 s[2:3], 31, v4
	v_cndmask_b32_e64 v5, 0, v22, s[2:3]
	v_add_u32_e32 v7, v5, v4
	v_and_b32_e32 v4, 0x7fffff, v6
	v_or_b32_e32 v25, 0x800000, v4
	v_mad_u64_u32 v[4:5], s[4:5], v25, s31, 0
	v_mov_b32_e32 v12, v5
	v_mad_u64_u32 v[26:27], s[4:5], v25, s33, v[12:13]
	v_mov_b32_e32 v12, v27
	;; [unrolled: 2-line block ×6, first 2 shown]
	v_mad_u64_u32 v[36:37], s[4:5], v25, s38, v[12:13]
	v_cndmask_b32_e32 v5, v34, v30, vcc
	v_cndmask_b32_e32 v12, v36, v32, vcc
	;; [unrolled: 1-line block ×3, first 2 shown]
	v_cndmask_b32_e64 v25, v12, v5, s[0:1]
	v_cndmask_b32_e64 v12, v27, v12, s[0:1]
	v_cndmask_b32_e32 v27, v32, v28, vcc
	v_cndmask_b32_e64 v5, v5, v27, s[0:1]
	v_cndmask_b32_e64 v12, v12, v25, s[2:3]
	;; [unrolled: 1-line block ×3, first 2 shown]
	v_sub_u32_e32 v29, 32, v7
	v_alignbit_b32 v31, v12, v25, v29
	v_cmp_eq_u32_e64 s[4:5], 0, v7
	v_cndmask_b32_e64 v7, v31, v12, s[4:5]
	v_cndmask_b32_e32 v12, v30, v26, vcc
	v_cndmask_b32_e64 v26, v27, v12, s[0:1]
	v_cndmask_b32_e64 v5, v5, v26, s[2:3]
	v_cndmask_b32_e32 v4, v28, v4, vcc
	v_alignbit_b32 v27, v25, v5, v29
	v_cndmask_b32_e64 v4, v12, v4, s[0:1]
	v_cndmask_b32_e64 v25, v27, v25, s[4:5]
	v_bfe_u32 v31, v7, 29, 1
	v_cndmask_b32_e64 v4, v26, v4, s[2:3]
	v_alignbit_b32 v27, v7, v25, 30
	v_sub_u32_e32 v32, 0, v31
	v_alignbit_b32 v12, v5, v4, v29
	v_xor_b32_e32 v33, v27, v32
	v_cndmask_b32_e64 v5, v12, v5, s[4:5]
	v_alignbit_b32 v12, v25, v5, 30
	v_ffbh_u32_e32 v25, v33
	v_add_u32_e32 v25, 1, v25
	v_cmp_ne_u32_e32 vcc, v27, v32
	v_cndmask_b32_e32 v25, 33, v25, vcc
	v_alignbit_b32 v4, v5, v4, 30
	v_xor_b32_e32 v12, v12, v32
	v_sub_u32_e32 v26, 32, v25
	v_xor_b32_e32 v4, v4, v32
	v_alignbit_b32 v27, v33, v12, v26
	v_alignbit_b32 v4, v12, v4, v26
	;; [unrolled: 1-line block ×3, first 2 shown]
	v_ffbh_u32_e32 v12, v5
	v_min_u32_e32 v12, 32, v12
	v_lshrrev_b32_e32 v30, 29, v7
	v_sub_u32_e32 v26, 31, v12
	v_alignbit_b32 v4, v5, v4, v26
	v_lshlrev_b32_e32 v5, 31, v30
	v_or_b32_e32 v26, 0x33800000, v5
	v_add_lshl_u32 v12, v12, v25, 23
	v_lshrrev_b32_e32 v4, 9, v4
	v_sub_u32_e32 v12, v26, v12
	v_or_b32_e32 v4, v12, v4
	v_alignbit_b32 v12, v25, v27, 9
	v_or_b32_e32 v5, v12, v5
	v_xor_b32_e32 v5, 1.0, v5
	v_mul_f32_e32 v12, 0x3fc90fda, v5
	v_fma_f32 v25, v5, s39, -v12
	v_fmac_f32_e32 v25, 0x33a22168, v5
	v_fmac_f32_e32 v25, 0x3fc90fda, v4
	v_lshrrev_b32_e32 v5, 30, v7
	v_add_f32_e32 v4, v12, v25
	v_add_u32_e32 v5, v31, v5
	s_andn2_saveexec_b64 s[0:1], s[22:23]
	s_branch .LBB139_219
.LBB139_217:                            ;   in Loop: Header=BB139_201 Depth=1
	s_or_b64 exec, exec, s[18:19]
                                        ; implicit-def: $vgpr7
	s_andn2_saveexec_b64 s[0:1], s[14:15]
	s_cbranch_execnz .LBB139_226
	s_branch .LBB139_229
.LBB139_218:                            ;   in Loop: Header=BB139_201 Depth=1
	s_andn2_saveexec_b64 s[0:1], s[22:23]
.LBB139_219:                            ;   in Loop: Header=BB139_201 Depth=1
	v_mul_f32_e64 v4, |v9|, s40
	v_rndne_f32_e32 v7, v4
	v_cvt_i32_f32_e32 v5, v7
	v_fma_f32 v4, v7, s41, |v9|
	v_fmac_f32_e32 v4, 0xb3a22168, v7
	v_fmac_f32_e32 v4, 0xa7c234c4, v7
; %bb.220:                              ;   in Loop: Header=BB139_201 Depth=1
	s_or_b64 exec, exec, s[0:1]
                                        ; implicit-def: $vgpr7
                                        ; implicit-def: $vgpr12
	s_and_saveexec_b64 s[0:1], s[20:21]
	s_xor_b64 s[20:21], exec, s[0:1]
	s_cbranch_execz .LBB139_222
; %bb.221:                              ;   in Loop: Header=BB139_201 Depth=1
	v_lshrrev_b32_e32 v7, 23, v6
	v_add_u32_e32 v7, 0xffffff88, v7
	v_cmp_lt_u32_e32 vcc, 63, v7
	v_cndmask_b32_e32 v12, 0, v21, vcc
	v_add_u32_e32 v7, v12, v7
	v_cmp_lt_u32_e64 s[0:1], 31, v7
	v_cndmask_b32_e64 v12, 0, v22, s[0:1]
	v_add_u32_e32 v7, v12, v7
	v_cmp_lt_u32_e64 s[2:3], 31, v7
	v_cndmask_b32_e64 v12, 0, v22, s[2:3]
	v_add_u32_e32 v7, v12, v7
	v_and_b32_e32 v12, 0x7fffff, v6
	v_or_b32_e32 v25, 0x800000, v12
	v_mad_u64_u32 v[26:27], s[4:5], v25, s31, 0
	v_mov_b32_e32 v12, v27
	v_mad_u64_u32 v[28:29], s[4:5], v25, s33, v[12:13]
	v_mov_b32_e32 v12, v29
	;; [unrolled: 2-line block ×6, first 2 shown]
	v_mad_u64_u32 v[38:39], s[4:5], v25, s38, v[12:13]
	v_cndmask_b32_e32 v27, v36, v32, vcc
	v_cndmask_b32_e32 v12, v38, v34, vcc
	;; [unrolled: 1-line block ×3, first 2 shown]
	v_cndmask_b32_e64 v25, v12, v27, s[0:1]
	v_cndmask_b32_e64 v12, v29, v12, s[0:1]
	v_cndmask_b32_e32 v29, v34, v30, vcc
	v_cndmask_b32_e64 v27, v27, v29, s[0:1]
	v_cndmask_b32_e64 v12, v12, v25, s[2:3]
	;; [unrolled: 1-line block ×3, first 2 shown]
	v_sub_u32_e32 v31, 32, v7
	v_alignbit_b32 v33, v12, v25, v31
	v_cmp_eq_u32_e64 s[4:5], 0, v7
	v_cndmask_b32_e64 v7, v33, v12, s[4:5]
	v_cndmask_b32_e32 v12, v32, v28, vcc
	v_cndmask_b32_e64 v28, v29, v12, s[0:1]
	v_cndmask_b32_e64 v27, v27, v28, s[2:3]
	v_alignbit_b32 v29, v25, v27, v31
	v_cndmask_b32_e32 v26, v30, v26, vcc
	v_cndmask_b32_e64 v25, v29, v25, s[4:5]
	v_bfe_u32 v33, v7, 29, 1
	v_cndmask_b32_e64 v12, v12, v26, s[0:1]
	v_alignbit_b32 v29, v7, v25, 30
	v_sub_u32_e32 v34, 0, v33
	v_cndmask_b32_e64 v12, v28, v12, s[2:3]
	v_xor_b32_e32 v35, v29, v34
	v_alignbit_b32 v26, v27, v12, v31
	v_cndmask_b32_e64 v26, v26, v27, s[4:5]
	v_ffbh_u32_e32 v27, v35
	v_add_u32_e32 v27, 1, v27
	v_cmp_ne_u32_e32 vcc, v29, v34
	v_alignbit_b32 v25, v25, v26, 30
	v_cndmask_b32_e32 v27, 33, v27, vcc
	v_alignbit_b32 v12, v26, v12, 30
	v_xor_b32_e32 v25, v25, v34
	v_sub_u32_e32 v28, 32, v27
	v_xor_b32_e32 v12, v12, v34
	v_alignbit_b32 v29, v35, v25, v28
	v_alignbit_b32 v12, v25, v12, v28
	;; [unrolled: 1-line block ×3, first 2 shown]
	v_ffbh_u32_e32 v26, v25
	v_min_u32_e32 v26, 32, v26
	v_lshrrev_b32_e32 v32, 29, v7
	v_sub_u32_e32 v28, 31, v26
	v_alignbit_b32 v12, v25, v12, v28
	v_lshlrev_b32_e32 v25, 31, v32
	v_or_b32_e32 v28, 0x33800000, v25
	v_add_lshl_u32 v26, v26, v27, 23
	v_lshrrev_b32_e32 v12, 9, v12
	v_sub_u32_e32 v26, v28, v26
	v_or_b32_e32 v12, v26, v12
	v_alignbit_b32 v26, v27, v29, 9
	v_or_b32_e32 v25, v26, v25
	v_xor_b32_e32 v25, 1.0, v25
	v_mul_f32_e32 v26, 0x3fc90fda, v25
	v_fma_f32 v27, v25, s39, -v26
	v_fmac_f32_e32 v27, 0x33a22168, v25
	v_fmac_f32_e32 v27, 0x3fc90fda, v12
	v_lshrrev_b32_e32 v7, 30, v7
	v_add_f32_e32 v12, v26, v27
	v_add_u32_e32 v7, v33, v7
	s_andn2_saveexec_b64 s[0:1], s[20:21]
	s_cbranch_execnz .LBB139_223
	s_branch .LBB139_224
.LBB139_222:                            ;   in Loop: Header=BB139_201 Depth=1
	s_andn2_saveexec_b64 s[0:1], s[20:21]
.LBB139_223:                            ;   in Loop: Header=BB139_201 Depth=1
	v_mul_f32_e64 v7, |v9|, s40
	v_rndne_f32_e32 v25, v7
	v_cvt_i32_f32_e32 v7, v25
	v_fma_f32 v12, v25, s41, |v9|
	v_fmac_f32_e32 v12, 0xb3a22168, v25
	v_fmac_f32_e32 v12, 0xa7c234c4, v25
.LBB139_224:                            ;   in Loop: Header=BB139_201 Depth=1
	s_or_b64 exec, exec, s[0:1]
	v_mul_f32_e32 v26, v4, v4
	v_mov_b32_e32 v27, 0xbab64f3b
	v_fmac_f32_e32 v27, 0x37d75334, v26
	v_mov_b32_e32 v28, 0x3c0881c4
	v_fma_f32 v27, v26, v27, v19
	v_fmac_f32_e32 v28, 0xb94c1982, v26
	v_lshlrev_b32_e32 v25, 30, v5
	v_and_b32_e32 v5, 1, v5
	v_fma_f32 v27, v26, v27, v20
	v_fma_f32 v28, v26, v28, v18
	v_fma_f32 v27, v26, v27, 1.0
	v_mul_f32_e32 v26, v26, v28
	v_cmp_eq_u32_e32 vcc, 0, v5
	v_add_f32_e32 v5, 0xc322e3bc, v8
	v_fmac_f32_e32 v4, v4, v26
	v_mul_f32_e32 v26, 0x3fb8aa3b, v5
	v_cndmask_b32_e64 v4, -v4, v27, vcc
	v_fma_f32 v27, v5, s42, -v26
	v_rndne_f32_e32 v28, v26
	v_fmac_f32_e32 v27, 0x32a5705f, v5
	v_sub_f32_e32 v26, v26, v28
	v_add_f32_e32 v26, v26, v27
	v_exp_f32_e32 v26, v26
	v_cvt_i32_f32_e32 v27, v28
	v_and_b32_e32 v25, 0x80000000, v25
	v_xor_b32_e32 v4, v25, v4
	v_cmp_ngt_f32_e64 s[0:1], s43, v5
	v_ldexp_f32 v25, v26, v27
	v_cndmask_b32_e64 v25, 0, v25, s[0:1]
	v_cmp_nlt_f32_e64 s[0:1], s44, v5
	v_cndmask_b32_e64 v5, v23, v25, s[0:1]
	v_and_b32_e32 v25, 0x7fffff, v5
	v_lshrrev_b32_e32 v5, 23, v5
	v_subrev_u32_e32 v5, 19, v5
	v_lshrrev_b16_e32 v26, 15, v5
	v_add_u16_e32 v26, v5, v26
	v_ashrrev_i16_e32 v26, 1, v26
	v_bfe_i32 v26, v26, 0, 16
	v_lshl_add_u32 v27, v26, 23, 1.0
	v_sub_u32_e32 v5, v5, v26
	v_mul_f32_e32 v26, v12, v12
	v_mov_b32_e32 v28, 0x3c0881c4
	v_fmac_f32_e32 v28, 0xb94c1982, v26
	v_fma_f32 v28, v26, v28, v18
	v_mul_f32_e32 v28, v26, v28
	v_fmac_f32_e32 v12, v12, v28
	v_mov_b32_e32 v28, 0xbab64f3b
	v_fmac_f32_e32 v28, 0x37d75334, v26
	v_fma_f32 v28, v26, v28, v19
	v_fma_f32 v28, v26, v28, v20
	v_fma_f32 v26, v26, v28, 1.0
	v_and_b32_e32 v28, 1, v7
	v_cmp_eq_u32_e64 s[0:1], 0, v28
	v_lshlrev_b32_e32 v7, 30, v7
	v_cndmask_b32_e64 v12, v26, v12, s[0:1]
	v_and_or_b32 v6, v7, s45, v6
	v_xor_b32_e32 v6, v6, v12
	v_cmp_class_f32_e64 vcc, v9, s46
	v_xor_b32_e32 v6, v6, v9
	v_cndmask_b32_e32 v4, v24, v4, vcc
	v_or_b32_e32 v25, 0x7f000000, v25
	v_cndmask_b32_e32 v6, v24, v6, vcc
	v_mul_f32_e32 v4, v4, v25
	v_mul_f32_e32 v6, v6, v25
	;; [unrolled: 1-line block ×3, first 2 shown]
	v_lshl_add_u32 v5, v5, 23, 1.0
	v_mul_f32_e32 v6, v6, v27
	v_mul_f32_e32 v4, v4, v5
	;; [unrolled: 1-line block ×3, first 2 shown]
	s_or_b64 exec, exec, s[18:19]
                                        ; implicit-def: $vgpr7
.LBB139_225:                            ;   in Loop: Header=BB139_201 Depth=1
	s_andn2_saveexec_b64 s[0:1], s[14:15]
	s_cbranch_execz .LBB139_229
.LBB139_226:                            ;   in Loop: Header=BB139_201 Depth=1
	v_cmp_ne_u32_e32 vcc, s28, v7
	v_sub_f32_e32 v5, v9, v9
	s_and_saveexec_b64 s[2:3], vcc
	s_xor_b64 s[2:3], exec, s[2:3]
	s_or_saveexec_b64 s[2:3], s[2:3]
	v_mov_b32_e32 v4, v5
	s_xor_b64 exec, exec, s[2:3]
; %bb.227:                              ;   in Loop: Header=BB139_201 Depth=1
	v_cmp_lt_i32_e32 vcc, -1, v8
	v_cndmask_b32_e32 v4, 0, v8, vcc
	v_cndmask_b32_e32 v5, 0, v5, vcc
; %bb.228:                              ;   in Loop: Header=BB139_201 Depth=1
	s_or_b64 exec, exec, s[2:3]
.LBB139_229:                            ;   in Loop: Header=BB139_201 Depth=1
	s_or_b64 exec, exec, s[0:1]
                                        ; implicit-def: $vgpr6
.LBB139_230:                            ;   in Loop: Header=BB139_201 Depth=1
	s_andn2_saveexec_b64 s[12:13], s[12:13]
	s_cbranch_execz .LBB139_240
; %bb.231:                              ;   in Loop: Header=BB139_201 Depth=1
	v_cmp_nlt_f32_e64 s[14:15], |v9|, s30
                                        ; implicit-def: $vgpr4
                                        ; implicit-def: $vgpr5
	s_and_saveexec_b64 s[0:1], s[14:15]
	s_xor_b64 s[18:19], exec, s[0:1]
	s_cbranch_execz .LBB139_233
; %bb.232:                              ;   in Loop: Header=BB139_201 Depth=1
	v_lshrrev_b32_e32 v4, 23, v6
	v_add_u32_e32 v4, 0xffffff88, v4
	v_cmp_lt_u32_e32 vcc, 63, v4
	v_cndmask_b32_e32 v5, 0, v21, vcc
	v_add_u32_e32 v4, v5, v4
	v_cmp_lt_u32_e64 s[0:1], 31, v4
	v_cndmask_b32_e64 v5, 0, v22, s[0:1]
	v_add_u32_e32 v4, v5, v4
	v_cmp_lt_u32_e64 s[2:3], 31, v4
	v_cndmask_b32_e64 v5, 0, v22, s[2:3]
	v_add_u32_e32 v7, v5, v4
	v_and_b32_e32 v4, 0x7fffff, v6
	v_or_b32_e32 v25, 0x800000, v4
	v_mad_u64_u32 v[4:5], s[4:5], v25, s31, 0
	v_mov_b32_e32 v12, v5
	v_mad_u64_u32 v[26:27], s[4:5], v25, s33, v[12:13]
	v_mov_b32_e32 v12, v27
	;; [unrolled: 2-line block ×6, first 2 shown]
	v_mad_u64_u32 v[36:37], s[4:5], v25, s38, v[12:13]
	v_cndmask_b32_e32 v5, v34, v30, vcc
	v_cndmask_b32_e32 v12, v36, v32, vcc
	;; [unrolled: 1-line block ×3, first 2 shown]
	v_cndmask_b32_e64 v25, v12, v5, s[0:1]
	v_cndmask_b32_e64 v12, v27, v12, s[0:1]
	v_cndmask_b32_e32 v27, v32, v28, vcc
	v_cndmask_b32_e64 v5, v5, v27, s[0:1]
	v_cndmask_b32_e64 v12, v12, v25, s[2:3]
	;; [unrolled: 1-line block ×3, first 2 shown]
	v_sub_u32_e32 v29, 32, v7
	v_alignbit_b32 v31, v12, v25, v29
	v_cmp_eq_u32_e64 s[4:5], 0, v7
	v_cndmask_b32_e64 v7, v31, v12, s[4:5]
	v_cndmask_b32_e32 v12, v30, v26, vcc
	v_cndmask_b32_e64 v26, v27, v12, s[0:1]
	v_cndmask_b32_e64 v5, v5, v26, s[2:3]
	v_cndmask_b32_e32 v4, v28, v4, vcc
	v_alignbit_b32 v27, v25, v5, v29
	v_cndmask_b32_e64 v4, v12, v4, s[0:1]
	v_cndmask_b32_e64 v25, v27, v25, s[4:5]
	v_bfe_u32 v31, v7, 29, 1
	v_cndmask_b32_e64 v4, v26, v4, s[2:3]
	v_alignbit_b32 v27, v7, v25, 30
	v_sub_u32_e32 v32, 0, v31
	v_alignbit_b32 v12, v5, v4, v29
	v_xor_b32_e32 v33, v27, v32
	v_cndmask_b32_e64 v5, v12, v5, s[4:5]
	v_alignbit_b32 v12, v25, v5, 30
	v_ffbh_u32_e32 v25, v33
	v_add_u32_e32 v25, 1, v25
	v_cmp_ne_u32_e32 vcc, v27, v32
	v_cndmask_b32_e32 v25, 33, v25, vcc
	v_alignbit_b32 v4, v5, v4, 30
	v_xor_b32_e32 v12, v12, v32
	v_sub_u32_e32 v26, 32, v25
	v_xor_b32_e32 v4, v4, v32
	v_alignbit_b32 v27, v33, v12, v26
	v_alignbit_b32 v4, v12, v4, v26
	;; [unrolled: 1-line block ×3, first 2 shown]
	v_ffbh_u32_e32 v12, v5
	v_min_u32_e32 v12, 32, v12
	v_lshrrev_b32_e32 v30, 29, v7
	v_sub_u32_e32 v26, 31, v12
	v_alignbit_b32 v4, v5, v4, v26
	v_lshlrev_b32_e32 v5, 31, v30
	v_or_b32_e32 v26, 0x33800000, v5
	v_add_lshl_u32 v12, v12, v25, 23
	v_lshrrev_b32_e32 v4, 9, v4
	v_sub_u32_e32 v12, v26, v12
	v_or_b32_e32 v4, v12, v4
	v_alignbit_b32 v12, v25, v27, 9
	v_or_b32_e32 v5, v12, v5
	v_xor_b32_e32 v5, 1.0, v5
	v_mul_f32_e32 v12, 0x3fc90fda, v5
	v_fma_f32 v25, v5, s39, -v12
	v_fmac_f32_e32 v25, 0x33a22168, v5
	v_fmac_f32_e32 v25, 0x3fc90fda, v4
	v_lshrrev_b32_e32 v4, 30, v7
	v_add_f32_e32 v5, v12, v25
	v_add_u32_e32 v4, v31, v4
	s_andn2_saveexec_b64 s[0:1], s[18:19]
	s_branch .LBB139_234
.LBB139_233:                            ;   in Loop: Header=BB139_201 Depth=1
	s_andn2_saveexec_b64 s[0:1], s[18:19]
.LBB139_234:                            ;   in Loop: Header=BB139_201 Depth=1
	v_mul_f32_e64 v4, |v9|, s40
	v_rndne_f32_e32 v7, v4
	v_cvt_i32_f32_e32 v4, v7
	v_fma_f32 v5, v7, s41, |v9|
	v_fmac_f32_e32 v5, 0xb3a22168, v7
	v_fmac_f32_e32 v5, 0xa7c234c4, v7
; %bb.235:                              ;   in Loop: Header=BB139_201 Depth=1
	s_or_b64 exec, exec, s[0:1]
                                        ; implicit-def: $vgpr7
                                        ; implicit-def: $vgpr12
	s_and_saveexec_b64 s[0:1], s[14:15]
	s_xor_b64 s[14:15], exec, s[0:1]
	s_cbranch_execz .LBB139_237
; %bb.236:                              ;   in Loop: Header=BB139_201 Depth=1
	v_lshrrev_b32_e32 v7, 23, v6
	v_add_u32_e32 v7, 0xffffff88, v7
	v_cmp_lt_u32_e32 vcc, 63, v7
	v_cndmask_b32_e32 v12, 0, v21, vcc
	v_add_u32_e32 v7, v12, v7
	v_cmp_lt_u32_e64 s[0:1], 31, v7
	v_cndmask_b32_e64 v12, 0, v22, s[0:1]
	v_add_u32_e32 v7, v12, v7
	v_cmp_lt_u32_e64 s[2:3], 31, v7
	v_cndmask_b32_e64 v12, 0, v22, s[2:3]
	v_add_u32_e32 v7, v12, v7
	v_and_b32_e32 v12, 0x7fffff, v6
	v_or_b32_e32 v25, 0x800000, v12
	v_mad_u64_u32 v[26:27], s[4:5], v25, s31, 0
	v_mov_b32_e32 v12, v27
	v_mad_u64_u32 v[28:29], s[4:5], v25, s33, v[12:13]
	v_mov_b32_e32 v12, v29
	;; [unrolled: 2-line block ×6, first 2 shown]
	v_mad_u64_u32 v[38:39], s[4:5], v25, s38, v[12:13]
	v_cndmask_b32_e32 v27, v36, v32, vcc
	v_cndmask_b32_e32 v12, v38, v34, vcc
	;; [unrolled: 1-line block ×3, first 2 shown]
	v_cndmask_b32_e64 v25, v12, v27, s[0:1]
	v_cndmask_b32_e64 v12, v29, v12, s[0:1]
	v_cndmask_b32_e32 v29, v34, v30, vcc
	v_cndmask_b32_e64 v27, v27, v29, s[0:1]
	v_cndmask_b32_e64 v12, v12, v25, s[2:3]
	;; [unrolled: 1-line block ×3, first 2 shown]
	v_sub_u32_e32 v31, 32, v7
	v_alignbit_b32 v33, v12, v25, v31
	v_cmp_eq_u32_e64 s[4:5], 0, v7
	v_cndmask_b32_e64 v7, v33, v12, s[4:5]
	v_cndmask_b32_e32 v12, v32, v28, vcc
	v_cndmask_b32_e64 v28, v29, v12, s[0:1]
	v_cndmask_b32_e64 v27, v27, v28, s[2:3]
	v_alignbit_b32 v29, v25, v27, v31
	v_cndmask_b32_e32 v26, v30, v26, vcc
	v_cndmask_b32_e64 v25, v29, v25, s[4:5]
	v_bfe_u32 v33, v7, 29, 1
	v_cndmask_b32_e64 v12, v12, v26, s[0:1]
	v_alignbit_b32 v29, v7, v25, 30
	v_sub_u32_e32 v34, 0, v33
	v_cndmask_b32_e64 v12, v28, v12, s[2:3]
	v_xor_b32_e32 v35, v29, v34
	v_alignbit_b32 v26, v27, v12, v31
	v_cndmask_b32_e64 v26, v26, v27, s[4:5]
	v_ffbh_u32_e32 v27, v35
	v_add_u32_e32 v27, 1, v27
	v_cmp_ne_u32_e32 vcc, v29, v34
	v_alignbit_b32 v25, v25, v26, 30
	v_cndmask_b32_e32 v27, 33, v27, vcc
	v_alignbit_b32 v12, v26, v12, 30
	v_xor_b32_e32 v25, v25, v34
	v_sub_u32_e32 v28, 32, v27
	v_xor_b32_e32 v12, v12, v34
	v_alignbit_b32 v29, v35, v25, v28
	v_alignbit_b32 v12, v25, v12, v28
	;; [unrolled: 1-line block ×3, first 2 shown]
	v_ffbh_u32_e32 v26, v25
	v_min_u32_e32 v26, 32, v26
	v_lshrrev_b32_e32 v32, 29, v7
	v_sub_u32_e32 v28, 31, v26
	v_alignbit_b32 v12, v25, v12, v28
	v_lshlrev_b32_e32 v25, 31, v32
	v_or_b32_e32 v28, 0x33800000, v25
	v_add_lshl_u32 v26, v26, v27, 23
	v_lshrrev_b32_e32 v12, 9, v12
	v_sub_u32_e32 v26, v28, v26
	v_or_b32_e32 v12, v26, v12
	v_alignbit_b32 v26, v27, v29, 9
	v_or_b32_e32 v25, v26, v25
	v_xor_b32_e32 v25, 1.0, v25
	v_mul_f32_e32 v26, 0x3fc90fda, v25
	v_fma_f32 v27, v25, s39, -v26
	v_fmac_f32_e32 v27, 0x33a22168, v25
	v_fmac_f32_e32 v27, 0x3fc90fda, v12
	v_lshrrev_b32_e32 v7, 30, v7
	v_add_f32_e32 v12, v26, v27
	v_add_u32_e32 v7, v33, v7
	s_andn2_saveexec_b64 s[0:1], s[14:15]
	s_cbranch_execnz .LBB139_238
	s_branch .LBB139_239
.LBB139_237:                            ;   in Loop: Header=BB139_201 Depth=1
	s_andn2_saveexec_b64 s[0:1], s[14:15]
.LBB139_238:                            ;   in Loop: Header=BB139_201 Depth=1
	v_mul_f32_e64 v7, |v9|, s40
	v_rndne_f32_e32 v25, v7
	v_cvt_i32_f32_e32 v7, v25
	v_fma_f32 v12, v25, s41, |v9|
	v_fmac_f32_e32 v12, 0xb3a22168, v25
	v_fmac_f32_e32 v12, 0xa7c234c4, v25
.LBB139_239:                            ;   in Loop: Header=BB139_201 Depth=1
	s_or_b64 exec, exec, s[0:1]
	v_mul_f32_e32 v25, v5, v5
	v_mov_b32_e32 v26, 0x3c0881c4
	v_fmac_f32_e32 v26, 0xb94c1982, v25
	v_fma_f32 v26, v25, v26, v18
	v_mul_f32_e32 v26, v25, v26
	v_fmac_f32_e32 v5, v5, v26
	v_mov_b32_e32 v26, 0xbab64f3b
	v_fmac_f32_e32 v26, 0x37d75334, v25
	v_fma_f32 v26, v25, v26, v19
	v_fma_f32 v26, v25, v26, v20
	v_fma_f32 v25, v25, v26, 1.0
	v_and_b32_e32 v26, 1, v4
	v_cmp_eq_u32_e32 vcc, 0, v26
	v_lshlrev_b32_e32 v4, 30, v4
	v_cndmask_b32_e64 v5, -v5, v25, vcc
	v_and_b32_e32 v4, 0x80000000, v4
	v_xor_b32_e32 v4, v4, v5
	v_mul_f32_e32 v5, v12, v12
	v_mov_b32_e32 v25, 0x3c0881c4
	v_fmac_f32_e32 v25, 0xb94c1982, v5
	v_fma_f32 v25, v5, v25, v18
	v_mul_f32_e32 v25, v5, v25
	v_fmac_f32_e32 v12, v12, v25
	v_mov_b32_e32 v25, 0xbab64f3b
	v_fmac_f32_e32 v25, 0x37d75334, v5
	v_fma_f32 v25, v5, v25, v19
	v_fma_f32 v25, v5, v25, v20
	v_fma_f32 v5, v5, v25, 1.0
	v_and_b32_e32 v25, 1, v7
	v_cmp_eq_u32_e64 s[0:1], 0, v25
	v_lshlrev_b32_e32 v7, 30, v7
	v_cndmask_b32_e64 v5, v5, v12, s[0:1]
	v_and_or_b32 v6, v7, s45, v6
	v_xor_b32_e32 v5, v6, v5
	v_cmp_class_f32_e64 vcc, v9, s46
	v_xor_b32_e32 v5, v5, v9
	v_cndmask_b32_e32 v4, v24, v4, vcc
	v_cndmask_b32_e32 v5, v24, v5, vcc
.LBB139_240:                            ;   in Loop: Header=BB139_201 Depth=1
	s_or_b64 exec, exec, s[12:13]
.LBB139_241:                            ;   in Loop: Header=BB139_201 Depth=1
	s_andn2_saveexec_b64 s[0:1], s[10:11]
	s_cbranch_execz .LBB139_243
; %bb.242:                              ;   in Loop: Header=BB139_201 Depth=1
	v_mul_f32_e32 v4, 0x3fb8aa3b, v8
	v_rndne_f32_e32 v5, v4
	v_sub_f32_e32 v6, v4, v5
	v_fma_f32 v4, v8, s42, -v4
	v_fmac_f32_e32 v4, 0x32a5705f, v8
	v_add_f32_e32 v4, v6, v4
	v_cvt_i32_f32_e32 v5, v5
	v_exp_f32_e32 v4, v4
	v_cmp_ngt_f32_e32 vcc, s43, v8
	v_ldexp_f32 v4, v4, v5
	v_cndmask_b32_e32 v4, 0, v4, vcc
	v_cmp_nlt_f32_e32 vcc, s44, v8
	v_cndmask_b32_e32 v4, v23, v4, vcc
	v_mov_b32_e32 v5, v9
.LBB139_243:                            ;   in Loop: Header=BB139_201 Depth=1
	s_or_b64 exec, exec, s[0:1]
	v_and_b32_e32 v8, 0x7fffffff, v11
	v_cmp_ne_u32_e32 vcc, 0, v8
	s_and_saveexec_b64 s[0:1], vcc
	s_xor_b64 s[10:11], exec, s[0:1]
	s_cbranch_execz .LBB139_285
; %bb.244:                              ;   in Loop: Header=BB139_201 Depth=1
	v_and_b32_e32 v9, 0x7fffffff, v10
	v_cmp_ne_u32_e32 vcc, 0, v9
	s_and_saveexec_b64 s[0:1], vcc
	s_xor_b64 s[12:13], exec, s[0:1]
	s_cbranch_execz .LBB139_274
; %bb.245:                              ;   in Loop: Header=BB139_201 Depth=1
	v_cmp_gt_u32_e32 vcc, s28, v8
	s_and_saveexec_b64 s[0:1], vcc
	s_xor_b64 s[14:15], exec, s[0:1]
	s_cbranch_execz .LBB139_267
; %bb.246:                              ;   in Loop: Header=BB139_201 Depth=1
	v_add_u32_e32 v6, 0xbd4e8de8, v10
	v_cmp_lt_u32_e32 vcc, s29, v6
	s_and_saveexec_b64 s[0:1], vcc
	s_xor_b64 s[18:19], exec, s[0:1]
	s_cbranch_execz .LBB139_256
; %bb.247:                              ;   in Loop: Header=BB139_201 Depth=1
	v_cmp_nlt_f32_e64 s[20:21], |v11|, s30
                                        ; implicit-def: $vgpr6
                                        ; implicit-def: $vgpr7
	s_and_saveexec_b64 s[0:1], s[20:21]
	s_xor_b64 s[22:23], exec, s[0:1]
	s_cbranch_execz .LBB139_249
; %bb.248:                              ;   in Loop: Header=BB139_201 Depth=1
	v_lshrrev_b32_e32 v6, 23, v8
	v_add_u32_e32 v6, 0xffffff88, v6
	v_cmp_lt_u32_e32 vcc, 63, v6
	v_cndmask_b32_e32 v7, 0, v21, vcc
	v_add_u32_e32 v6, v7, v6
	v_cmp_lt_u32_e64 s[0:1], 31, v6
	v_cndmask_b32_e64 v7, 0, v22, s[0:1]
	v_add_u32_e32 v6, v7, v6
	v_cmp_lt_u32_e64 s[2:3], 31, v6
	v_cndmask_b32_e64 v7, 0, v22, s[2:3]
	v_add_u32_e32 v9, v7, v6
	v_and_b32_e32 v6, 0x7fffff, v8
	v_or_b32_e32 v25, 0x800000, v6
	v_mad_u64_u32 v[6:7], s[4:5], v25, s31, 0
	v_mov_b32_e32 v12, v7
	v_mad_u64_u32 v[26:27], s[4:5], v25, s33, v[12:13]
	v_mov_b32_e32 v12, v27
	v_mad_u64_u32 v[28:29], s[4:5], v25, s34, v[12:13]
	v_mov_b32_e32 v12, v29
	v_mad_u64_u32 v[30:31], s[4:5], v25, s35, v[12:13]
	v_mov_b32_e32 v12, v31
	v_mad_u64_u32 v[32:33], s[4:5], v25, s36, v[12:13]
	v_mov_b32_e32 v12, v33
	v_mad_u64_u32 v[34:35], s[4:5], v25, s37, v[12:13]
	v_mov_b32_e32 v12, v35
	v_mad_u64_u32 v[36:37], s[4:5], v25, s38, v[12:13]
	v_cndmask_b32_e32 v7, v34, v30, vcc
	v_cndmask_b32_e32 v12, v36, v32, vcc
	;; [unrolled: 1-line block ×3, first 2 shown]
	v_cndmask_b32_e64 v25, v12, v7, s[0:1]
	v_cndmask_b32_e64 v12, v27, v12, s[0:1]
	v_cndmask_b32_e32 v27, v32, v28, vcc
	v_cndmask_b32_e64 v7, v7, v27, s[0:1]
	v_cndmask_b32_e64 v12, v12, v25, s[2:3]
	v_cndmask_b32_e64 v25, v25, v7, s[2:3]
	v_sub_u32_e32 v29, 32, v9
	v_alignbit_b32 v31, v12, v25, v29
	v_cmp_eq_u32_e64 s[4:5], 0, v9
	v_cndmask_b32_e64 v9, v31, v12, s[4:5]
	v_cndmask_b32_e32 v12, v30, v26, vcc
	v_cndmask_b32_e64 v26, v27, v12, s[0:1]
	v_cndmask_b32_e64 v7, v7, v26, s[2:3]
	v_cndmask_b32_e32 v6, v28, v6, vcc
	v_alignbit_b32 v27, v25, v7, v29
	v_cndmask_b32_e64 v6, v12, v6, s[0:1]
	v_cndmask_b32_e64 v25, v27, v25, s[4:5]
	v_bfe_u32 v31, v9, 29, 1
	v_cndmask_b32_e64 v6, v26, v6, s[2:3]
	v_alignbit_b32 v27, v9, v25, 30
	v_sub_u32_e32 v32, 0, v31
	v_alignbit_b32 v12, v7, v6, v29
	v_xor_b32_e32 v33, v27, v32
	v_cndmask_b32_e64 v7, v12, v7, s[4:5]
	v_alignbit_b32 v12, v25, v7, 30
	v_ffbh_u32_e32 v25, v33
	v_add_u32_e32 v25, 1, v25
	v_cmp_ne_u32_e32 vcc, v27, v32
	v_cndmask_b32_e32 v25, 33, v25, vcc
	v_alignbit_b32 v6, v7, v6, 30
	v_xor_b32_e32 v12, v12, v32
	v_sub_u32_e32 v26, 32, v25
	v_xor_b32_e32 v6, v6, v32
	v_alignbit_b32 v27, v33, v12, v26
	v_alignbit_b32 v6, v12, v6, v26
	;; [unrolled: 1-line block ×3, first 2 shown]
	v_ffbh_u32_e32 v12, v7
	v_min_u32_e32 v12, 32, v12
	v_lshrrev_b32_e32 v30, 29, v9
	v_sub_u32_e32 v26, 31, v12
	v_alignbit_b32 v6, v7, v6, v26
	v_lshlrev_b32_e32 v7, 31, v30
	v_or_b32_e32 v26, 0x33800000, v7
	v_add_lshl_u32 v12, v12, v25, 23
	v_lshrrev_b32_e32 v6, 9, v6
	v_sub_u32_e32 v12, v26, v12
	v_or_b32_e32 v6, v12, v6
	v_alignbit_b32 v12, v25, v27, 9
	v_or_b32_e32 v7, v12, v7
	v_xor_b32_e32 v7, 1.0, v7
	v_mul_f32_e32 v12, 0x3fc90fda, v7
	v_fma_f32 v25, v7, s39, -v12
	v_fmac_f32_e32 v25, 0x33a22168, v7
	v_fmac_f32_e32 v25, 0x3fc90fda, v6
	v_lshrrev_b32_e32 v6, 30, v9
	v_add_f32_e32 v7, v12, v25
	v_add_u32_e32 v6, v31, v6
	s_andn2_saveexec_b64 s[0:1], s[22:23]
	s_branch .LBB139_250
.LBB139_249:                            ;   in Loop: Header=BB139_201 Depth=1
	s_andn2_saveexec_b64 s[0:1], s[22:23]
.LBB139_250:                            ;   in Loop: Header=BB139_201 Depth=1
	v_mul_f32_e64 v6, |v11|, s40
	v_rndne_f32_e32 v9, v6
	v_cvt_i32_f32_e32 v6, v9
	v_fma_f32 v7, v9, s41, |v11|
	v_fmac_f32_e32 v7, 0xb3a22168, v9
	v_fmac_f32_e32 v7, 0xa7c234c4, v9
; %bb.251:                              ;   in Loop: Header=BB139_201 Depth=1
	s_or_b64 exec, exec, s[0:1]
                                        ; implicit-def: $vgpr9
                                        ; implicit-def: $vgpr12
	s_and_saveexec_b64 s[0:1], s[20:21]
	s_xor_b64 s[20:21], exec, s[0:1]
	s_cbranch_execz .LBB139_253
; %bb.252:                              ;   in Loop: Header=BB139_201 Depth=1
	v_lshrrev_b32_e32 v9, 23, v8
	v_add_u32_e32 v9, 0xffffff88, v9
	v_cmp_lt_u32_e32 vcc, 63, v9
	v_cndmask_b32_e32 v12, 0, v21, vcc
	v_add_u32_e32 v9, v12, v9
	v_cmp_lt_u32_e64 s[0:1], 31, v9
	v_cndmask_b32_e64 v12, 0, v22, s[0:1]
	v_add_u32_e32 v9, v12, v9
	v_cmp_lt_u32_e64 s[2:3], 31, v9
	v_cndmask_b32_e64 v12, 0, v22, s[2:3]
	v_add_u32_e32 v9, v12, v9
	v_and_b32_e32 v12, 0x7fffff, v8
	v_or_b32_e32 v25, 0x800000, v12
	v_mad_u64_u32 v[26:27], s[4:5], v25, s31, 0
	v_mov_b32_e32 v12, v27
	v_mad_u64_u32 v[28:29], s[4:5], v25, s33, v[12:13]
	v_mov_b32_e32 v12, v29
	;; [unrolled: 2-line block ×6, first 2 shown]
	v_mad_u64_u32 v[38:39], s[4:5], v25, s38, v[12:13]
	v_cndmask_b32_e32 v27, v36, v32, vcc
	v_cndmask_b32_e32 v12, v38, v34, vcc
	;; [unrolled: 1-line block ×3, first 2 shown]
	v_cndmask_b32_e64 v25, v12, v27, s[0:1]
	v_cndmask_b32_e64 v12, v29, v12, s[0:1]
	v_cndmask_b32_e32 v29, v34, v30, vcc
	v_cndmask_b32_e64 v27, v27, v29, s[0:1]
	v_cndmask_b32_e64 v12, v12, v25, s[2:3]
	;; [unrolled: 1-line block ×3, first 2 shown]
	v_sub_u32_e32 v31, 32, v9
	v_alignbit_b32 v33, v12, v25, v31
	v_cmp_eq_u32_e64 s[4:5], 0, v9
	v_cndmask_b32_e64 v9, v33, v12, s[4:5]
	v_cndmask_b32_e32 v12, v32, v28, vcc
	v_cndmask_b32_e64 v28, v29, v12, s[0:1]
	v_cndmask_b32_e64 v27, v27, v28, s[2:3]
	v_alignbit_b32 v29, v25, v27, v31
	v_cndmask_b32_e32 v26, v30, v26, vcc
	v_cndmask_b32_e64 v25, v29, v25, s[4:5]
	v_bfe_u32 v33, v9, 29, 1
	v_cndmask_b32_e64 v12, v12, v26, s[0:1]
	v_alignbit_b32 v29, v9, v25, 30
	v_sub_u32_e32 v34, 0, v33
	v_cndmask_b32_e64 v12, v28, v12, s[2:3]
	v_xor_b32_e32 v35, v29, v34
	v_alignbit_b32 v26, v27, v12, v31
	v_cndmask_b32_e64 v26, v26, v27, s[4:5]
	v_ffbh_u32_e32 v27, v35
	v_add_u32_e32 v27, 1, v27
	v_cmp_ne_u32_e32 vcc, v29, v34
	v_alignbit_b32 v25, v25, v26, 30
	v_cndmask_b32_e32 v27, 33, v27, vcc
	v_alignbit_b32 v12, v26, v12, 30
	v_xor_b32_e32 v25, v25, v34
	v_sub_u32_e32 v28, 32, v27
	v_xor_b32_e32 v12, v12, v34
	v_alignbit_b32 v29, v35, v25, v28
	v_alignbit_b32 v12, v25, v12, v28
	;; [unrolled: 1-line block ×3, first 2 shown]
	v_ffbh_u32_e32 v26, v25
	v_min_u32_e32 v26, 32, v26
	v_lshrrev_b32_e32 v32, 29, v9
	v_sub_u32_e32 v28, 31, v26
	v_alignbit_b32 v12, v25, v12, v28
	v_lshlrev_b32_e32 v25, 31, v32
	v_or_b32_e32 v28, 0x33800000, v25
	v_add_lshl_u32 v26, v26, v27, 23
	v_lshrrev_b32_e32 v12, 9, v12
	v_sub_u32_e32 v26, v28, v26
	v_or_b32_e32 v12, v26, v12
	v_alignbit_b32 v26, v27, v29, 9
	v_or_b32_e32 v25, v26, v25
	v_xor_b32_e32 v25, 1.0, v25
	v_mul_f32_e32 v26, 0x3fc90fda, v25
	v_fma_f32 v27, v25, s39, -v26
	v_fmac_f32_e32 v27, 0x33a22168, v25
	v_fmac_f32_e32 v27, 0x3fc90fda, v12
	v_lshrrev_b32_e32 v9, 30, v9
	v_add_f32_e32 v12, v26, v27
	v_add_u32_e32 v9, v33, v9
	s_andn2_saveexec_b64 s[0:1], s[20:21]
	s_cbranch_execnz .LBB139_254
	s_branch .LBB139_255
.LBB139_253:                            ;   in Loop: Header=BB139_201 Depth=1
	s_andn2_saveexec_b64 s[0:1], s[20:21]
.LBB139_254:                            ;   in Loop: Header=BB139_201 Depth=1
	v_mul_f32_e64 v9, |v11|, s40
	v_rndne_f32_e32 v25, v9
	v_cvt_i32_f32_e32 v9, v25
	v_fma_f32 v12, v25, s41, |v11|
	v_fmac_f32_e32 v12, 0xb3a22168, v25
	v_fmac_f32_e32 v12, 0xa7c234c4, v25
.LBB139_255:                            ;   in Loop: Header=BB139_201 Depth=1
	s_or_b64 exec, exec, s[0:1]
	v_mul_f32_e32 v25, 0x3fb8aa3b, v10
	v_rndne_f32_e32 v26, v25
	v_sub_f32_e32 v27, v25, v26
	v_fma_f32 v25, v10, s42, -v25
	v_fmac_f32_e32 v25, 0x32a5705f, v10
	v_add_f32_e32 v25, v27, v25
	v_cvt_i32_f32_e32 v26, v26
	v_exp_f32_e32 v25, v25
	v_cmp_ngt_f32_e32 vcc, s43, v10
	v_ldexp_f32 v25, v25, v26
	v_cndmask_b32_e32 v25, 0, v25, vcc
	v_cmp_nlt_f32_e32 vcc, s44, v10
	v_cndmask_b32_e32 v10, v23, v25, vcc
	v_mul_f32_e32 v25, v7, v7
	v_mov_b32_e32 v26, 0x3c0881c4
	v_fmac_f32_e32 v26, 0xb94c1982, v25
	v_fma_f32 v26, v25, v26, v18
	v_mul_f32_e32 v26, v25, v26
	v_fmac_f32_e32 v7, v7, v26
	v_mov_b32_e32 v26, 0xbab64f3b
	v_fmac_f32_e32 v26, 0x37d75334, v25
	v_fma_f32 v26, v25, v26, v19
	v_fma_f32 v26, v25, v26, v20
	v_fma_f32 v25, v25, v26, 1.0
	v_and_b32_e32 v26, 1, v6
	v_cmp_eq_u32_e32 vcc, 0, v26
	v_lshlrev_b32_e32 v6, 30, v6
	v_cndmask_b32_e64 v7, -v7, v25, vcc
	v_and_b32_e32 v6, 0x80000000, v6
	v_xor_b32_e32 v6, v6, v7
	v_mul_f32_e32 v7, v12, v12
	v_mov_b32_e32 v25, 0x3c0881c4
	v_fmac_f32_e32 v25, 0xb94c1982, v7
	v_fma_f32 v25, v7, v25, v18
	v_mul_f32_e32 v25, v7, v25
	v_fmac_f32_e32 v12, v12, v25
	v_mov_b32_e32 v25, 0xbab64f3b
	v_fmac_f32_e32 v25, 0x37d75334, v7
	v_fma_f32 v25, v7, v25, v19
	v_fma_f32 v25, v7, v25, v20
	v_fma_f32 v7, v7, v25, 1.0
	v_and_b32_e32 v25, 1, v9
	v_cmp_eq_u32_e64 s[0:1], 0, v25
	v_lshlrev_b32_e32 v9, 30, v9
	v_cndmask_b32_e64 v7, v7, v12, s[0:1]
	v_and_or_b32 v8, v9, s45, v8
	v_xor_b32_e32 v7, v8, v7
	v_cmp_class_f32_e64 vcc, v11, s46
	v_xor_b32_e32 v7, v7, v11
	v_cndmask_b32_e32 v6, v24, v6, vcc
	v_cndmask_b32_e32 v7, v24, v7, vcc
	v_mul_f32_e32 v6, v10, v6
	v_mul_f32_e32 v7, v10, v7
                                        ; implicit-def: $vgpr8_vgpr9_vgpr10_vgpr11
                                        ; implicit-def: $vgpr8
.LBB139_256:                            ;   in Loop: Header=BB139_201 Depth=1
	s_andn2_saveexec_b64 s[18:19], s[18:19]
	s_cbranch_execz .LBB139_266
; %bb.257:                              ;   in Loop: Header=BB139_201 Depth=1
	v_cmp_nlt_f32_e64 s[20:21], |v11|, s30
                                        ; implicit-def: $vgpr7
                                        ; implicit-def: $vgpr6
	s_and_saveexec_b64 s[0:1], s[20:21]
	s_xor_b64 s[22:23], exec, s[0:1]
	s_cbranch_execz .LBB139_259
; %bb.258:                              ;   in Loop: Header=BB139_201 Depth=1
	v_lshrrev_b32_e32 v6, 23, v8
	v_add_u32_e32 v6, 0xffffff88, v6
	v_cmp_lt_u32_e32 vcc, 63, v6
	v_cndmask_b32_e32 v7, 0, v21, vcc
	v_add_u32_e32 v6, v7, v6
	v_cmp_lt_u32_e64 s[0:1], 31, v6
	v_cndmask_b32_e64 v7, 0, v22, s[0:1]
	v_add_u32_e32 v6, v7, v6
	v_cmp_lt_u32_e64 s[2:3], 31, v6
	v_cndmask_b32_e64 v7, 0, v22, s[2:3]
	v_add_u32_e32 v9, v7, v6
	v_and_b32_e32 v6, 0x7fffff, v8
	v_or_b32_e32 v25, 0x800000, v6
	v_mad_u64_u32 v[6:7], s[4:5], v25, s31, 0
	v_mov_b32_e32 v12, v7
	v_mad_u64_u32 v[26:27], s[4:5], v25, s33, v[12:13]
	v_mov_b32_e32 v12, v27
	;; [unrolled: 2-line block ×6, first 2 shown]
	v_mad_u64_u32 v[36:37], s[4:5], v25, s38, v[12:13]
	v_cndmask_b32_e32 v7, v34, v30, vcc
	v_cndmask_b32_e32 v12, v36, v32, vcc
	;; [unrolled: 1-line block ×3, first 2 shown]
	v_cndmask_b32_e64 v25, v12, v7, s[0:1]
	v_cndmask_b32_e64 v12, v27, v12, s[0:1]
	v_cndmask_b32_e32 v27, v32, v28, vcc
	v_cndmask_b32_e64 v7, v7, v27, s[0:1]
	v_cndmask_b32_e64 v12, v12, v25, s[2:3]
	;; [unrolled: 1-line block ×3, first 2 shown]
	v_sub_u32_e32 v29, 32, v9
	v_alignbit_b32 v31, v12, v25, v29
	v_cmp_eq_u32_e64 s[4:5], 0, v9
	v_cndmask_b32_e64 v9, v31, v12, s[4:5]
	v_cndmask_b32_e32 v12, v30, v26, vcc
	v_cndmask_b32_e64 v26, v27, v12, s[0:1]
	v_cndmask_b32_e64 v7, v7, v26, s[2:3]
	v_cndmask_b32_e32 v6, v28, v6, vcc
	v_alignbit_b32 v27, v25, v7, v29
	v_cndmask_b32_e64 v6, v12, v6, s[0:1]
	v_cndmask_b32_e64 v25, v27, v25, s[4:5]
	v_bfe_u32 v31, v9, 29, 1
	v_cndmask_b32_e64 v6, v26, v6, s[2:3]
	v_alignbit_b32 v27, v9, v25, 30
	v_sub_u32_e32 v32, 0, v31
	v_alignbit_b32 v12, v7, v6, v29
	v_xor_b32_e32 v33, v27, v32
	v_cndmask_b32_e64 v7, v12, v7, s[4:5]
	v_alignbit_b32 v12, v25, v7, 30
	v_ffbh_u32_e32 v25, v33
	v_add_u32_e32 v25, 1, v25
	v_cmp_ne_u32_e32 vcc, v27, v32
	v_cndmask_b32_e32 v25, 33, v25, vcc
	v_alignbit_b32 v6, v7, v6, 30
	v_xor_b32_e32 v12, v12, v32
	v_sub_u32_e32 v26, 32, v25
	v_xor_b32_e32 v6, v6, v32
	v_alignbit_b32 v27, v33, v12, v26
	v_alignbit_b32 v6, v12, v6, v26
	;; [unrolled: 1-line block ×3, first 2 shown]
	v_ffbh_u32_e32 v12, v7
	v_min_u32_e32 v12, 32, v12
	v_lshrrev_b32_e32 v30, 29, v9
	v_sub_u32_e32 v26, 31, v12
	v_alignbit_b32 v6, v7, v6, v26
	v_lshlrev_b32_e32 v7, 31, v30
	v_or_b32_e32 v26, 0x33800000, v7
	v_add_lshl_u32 v12, v12, v25, 23
	v_lshrrev_b32_e32 v6, 9, v6
	v_sub_u32_e32 v12, v26, v12
	v_or_b32_e32 v6, v12, v6
	v_alignbit_b32 v12, v25, v27, 9
	v_or_b32_e32 v7, v12, v7
	v_xor_b32_e32 v7, 1.0, v7
	v_mul_f32_e32 v12, 0x3fc90fda, v7
	v_fma_f32 v25, v7, s39, -v12
	v_fmac_f32_e32 v25, 0x33a22168, v7
	v_fmac_f32_e32 v25, 0x3fc90fda, v6
	v_lshrrev_b32_e32 v7, 30, v9
	v_add_f32_e32 v6, v12, v25
	v_add_u32_e32 v7, v31, v7
	s_andn2_saveexec_b64 s[0:1], s[22:23]
	s_branch .LBB139_260
.LBB139_259:                            ;   in Loop: Header=BB139_201 Depth=1
	s_andn2_saveexec_b64 s[0:1], s[22:23]
.LBB139_260:                            ;   in Loop: Header=BB139_201 Depth=1
	v_mul_f32_e64 v6, |v11|, s40
	v_rndne_f32_e32 v9, v6
	v_cvt_i32_f32_e32 v7, v9
	v_fma_f32 v6, v9, s41, |v11|
	v_fmac_f32_e32 v6, 0xb3a22168, v9
	v_fmac_f32_e32 v6, 0xa7c234c4, v9
; %bb.261:                              ;   in Loop: Header=BB139_201 Depth=1
	s_or_b64 exec, exec, s[0:1]
                                        ; implicit-def: $vgpr9
                                        ; implicit-def: $vgpr12
	s_and_saveexec_b64 s[0:1], s[20:21]
	s_xor_b64 s[20:21], exec, s[0:1]
	s_cbranch_execz .LBB139_263
; %bb.262:                              ;   in Loop: Header=BB139_201 Depth=1
	v_lshrrev_b32_e32 v9, 23, v8
	v_add_u32_e32 v9, 0xffffff88, v9
	v_cmp_lt_u32_e32 vcc, 63, v9
	v_cndmask_b32_e32 v12, 0, v21, vcc
	v_add_u32_e32 v9, v12, v9
	v_cmp_lt_u32_e64 s[0:1], 31, v9
	v_cndmask_b32_e64 v12, 0, v22, s[0:1]
	v_add_u32_e32 v9, v12, v9
	v_cmp_lt_u32_e64 s[2:3], 31, v9
	v_cndmask_b32_e64 v12, 0, v22, s[2:3]
	v_add_u32_e32 v9, v12, v9
	v_and_b32_e32 v12, 0x7fffff, v8
	v_or_b32_e32 v25, 0x800000, v12
	v_mad_u64_u32 v[26:27], s[4:5], v25, s31, 0
	v_mov_b32_e32 v12, v27
	v_mad_u64_u32 v[28:29], s[4:5], v25, s33, v[12:13]
	v_mov_b32_e32 v12, v29
	;; [unrolled: 2-line block ×6, first 2 shown]
	v_mad_u64_u32 v[38:39], s[4:5], v25, s38, v[12:13]
	v_cndmask_b32_e32 v27, v36, v32, vcc
	v_cndmask_b32_e32 v12, v38, v34, vcc
	;; [unrolled: 1-line block ×3, first 2 shown]
	v_cndmask_b32_e64 v25, v12, v27, s[0:1]
	v_cndmask_b32_e64 v12, v29, v12, s[0:1]
	v_cndmask_b32_e32 v29, v34, v30, vcc
	v_cndmask_b32_e64 v27, v27, v29, s[0:1]
	v_cndmask_b32_e64 v12, v12, v25, s[2:3]
	;; [unrolled: 1-line block ×3, first 2 shown]
	v_sub_u32_e32 v31, 32, v9
	v_alignbit_b32 v33, v12, v25, v31
	v_cmp_eq_u32_e64 s[4:5], 0, v9
	v_cndmask_b32_e64 v9, v33, v12, s[4:5]
	v_cndmask_b32_e32 v12, v32, v28, vcc
	v_cndmask_b32_e64 v28, v29, v12, s[0:1]
	v_cndmask_b32_e64 v27, v27, v28, s[2:3]
	v_alignbit_b32 v29, v25, v27, v31
	v_cndmask_b32_e32 v26, v30, v26, vcc
	v_cndmask_b32_e64 v25, v29, v25, s[4:5]
	v_bfe_u32 v33, v9, 29, 1
	v_cndmask_b32_e64 v12, v12, v26, s[0:1]
	v_alignbit_b32 v29, v9, v25, 30
	v_sub_u32_e32 v34, 0, v33
	v_cndmask_b32_e64 v12, v28, v12, s[2:3]
	v_xor_b32_e32 v35, v29, v34
	v_alignbit_b32 v26, v27, v12, v31
	v_cndmask_b32_e64 v26, v26, v27, s[4:5]
	v_ffbh_u32_e32 v27, v35
	v_add_u32_e32 v27, 1, v27
	v_cmp_ne_u32_e32 vcc, v29, v34
	v_alignbit_b32 v25, v25, v26, 30
	v_cndmask_b32_e32 v27, 33, v27, vcc
	v_alignbit_b32 v12, v26, v12, 30
	v_xor_b32_e32 v25, v25, v34
	v_sub_u32_e32 v28, 32, v27
	v_xor_b32_e32 v12, v12, v34
	v_alignbit_b32 v29, v35, v25, v28
	v_alignbit_b32 v12, v25, v12, v28
	;; [unrolled: 1-line block ×3, first 2 shown]
	v_ffbh_u32_e32 v26, v25
	v_min_u32_e32 v26, 32, v26
	v_lshrrev_b32_e32 v32, 29, v9
	v_sub_u32_e32 v28, 31, v26
	v_alignbit_b32 v12, v25, v12, v28
	v_lshlrev_b32_e32 v25, 31, v32
	v_or_b32_e32 v28, 0x33800000, v25
	v_add_lshl_u32 v26, v26, v27, 23
	v_lshrrev_b32_e32 v12, 9, v12
	v_sub_u32_e32 v26, v28, v26
	v_or_b32_e32 v12, v26, v12
	v_alignbit_b32 v26, v27, v29, 9
	v_or_b32_e32 v25, v26, v25
	v_xor_b32_e32 v25, 1.0, v25
	v_mul_f32_e32 v26, 0x3fc90fda, v25
	v_fma_f32 v27, v25, s39, -v26
	v_fmac_f32_e32 v27, 0x33a22168, v25
	v_fmac_f32_e32 v27, 0x3fc90fda, v12
	v_lshrrev_b32_e32 v9, 30, v9
	v_add_f32_e32 v12, v26, v27
	v_add_u32_e32 v9, v33, v9
	s_andn2_saveexec_b64 s[0:1], s[20:21]
	s_cbranch_execnz .LBB139_264
	s_branch .LBB139_265
.LBB139_263:                            ;   in Loop: Header=BB139_201 Depth=1
	s_andn2_saveexec_b64 s[0:1], s[20:21]
.LBB139_264:                            ;   in Loop: Header=BB139_201 Depth=1
	v_mul_f32_e64 v9, |v11|, s40
	v_rndne_f32_e32 v25, v9
	v_cvt_i32_f32_e32 v9, v25
	v_fma_f32 v12, v25, s41, |v11|
	v_fmac_f32_e32 v12, 0xb3a22168, v25
	v_fmac_f32_e32 v12, 0xa7c234c4, v25
.LBB139_265:                            ;   in Loop: Header=BB139_201 Depth=1
	s_or_b64 exec, exec, s[0:1]
	v_mul_f32_e32 v26, v6, v6
	v_mov_b32_e32 v27, 0xbab64f3b
	v_fmac_f32_e32 v27, 0x37d75334, v26
	v_mov_b32_e32 v28, 0x3c0881c4
	v_fma_f32 v27, v26, v27, v19
	v_fmac_f32_e32 v28, 0xb94c1982, v26
	v_lshlrev_b32_e32 v25, 30, v7
	v_and_b32_e32 v7, 1, v7
	v_fma_f32 v27, v26, v27, v20
	v_fma_f32 v28, v26, v28, v18
	v_fma_f32 v27, v26, v27, 1.0
	v_mul_f32_e32 v26, v26, v28
	v_cmp_eq_u32_e32 vcc, 0, v7
	v_add_f32_e32 v7, 0xc322e3bc, v10
	v_fmac_f32_e32 v6, v6, v26
	v_mul_f32_e32 v10, 0x3fb8aa3b, v7
	v_cndmask_b32_e64 v6, -v6, v27, vcc
	v_fma_f32 v26, v7, s42, -v10
	v_rndne_f32_e32 v27, v10
	v_fmac_f32_e32 v26, 0x32a5705f, v7
	v_sub_f32_e32 v10, v10, v27
	v_add_f32_e32 v10, v10, v26
	v_exp_f32_e32 v10, v10
	v_cvt_i32_f32_e32 v26, v27
	v_cmp_ngt_f32_e64 s[0:1], s43, v7
	v_and_b32_e32 v25, 0x80000000, v25
	v_xor_b32_e32 v6, v25, v6
	v_ldexp_f32 v10, v10, v26
	v_cndmask_b32_e64 v10, 0, v10, s[0:1]
	v_cmp_nlt_f32_e64 s[0:1], s44, v7
	v_cndmask_b32_e64 v7, v23, v10, s[0:1]
	v_and_b32_e32 v10, 0x7fffff, v7
	v_lshrrev_b32_e32 v7, 23, v7
	v_subrev_u32_e32 v7, 19, v7
	v_lshrrev_b16_e32 v25, 15, v7
	v_add_u16_e32 v25, v7, v25
	v_ashrrev_i16_e32 v25, 1, v25
	v_bfe_i32 v25, v25, 0, 16
	v_lshl_add_u32 v26, v25, 23, 1.0
	v_sub_u32_e32 v7, v7, v25
	v_mul_f32_e32 v25, v12, v12
	v_mov_b32_e32 v27, 0x3c0881c4
	v_fmac_f32_e32 v27, 0xb94c1982, v25
	v_fma_f32 v27, v25, v27, v18
	v_mul_f32_e32 v27, v25, v27
	v_fmac_f32_e32 v12, v12, v27
	v_mov_b32_e32 v27, 0xbab64f3b
	v_fmac_f32_e32 v27, 0x37d75334, v25
	v_fma_f32 v27, v25, v27, v19
	v_fma_f32 v27, v25, v27, v20
	v_fma_f32 v25, v25, v27, 1.0
	v_and_b32_e32 v27, 1, v9
	v_cmp_eq_u32_e64 s[0:1], 0, v27
	v_lshlrev_b32_e32 v9, 30, v9
	v_cndmask_b32_e64 v12, v25, v12, s[0:1]
	v_and_or_b32 v8, v9, s45, v8
	v_xor_b32_e32 v8, v8, v12
	v_cmp_class_f32_e64 vcc, v11, s46
	v_xor_b32_e32 v8, v8, v11
	v_cndmask_b32_e32 v6, v24, v6, vcc
	v_or_b32_e32 v10, 0x7f000000, v10
	v_cndmask_b32_e32 v8, v24, v8, vcc
	v_mul_f32_e32 v6, v6, v10
	v_mul_f32_e32 v8, v8, v10
	;; [unrolled: 1-line block ×3, first 2 shown]
	v_lshl_add_u32 v7, v7, 23, 1.0
	v_mul_f32_e32 v8, v8, v26
	v_mul_f32_e32 v6, v6, v7
	;; [unrolled: 1-line block ×3, first 2 shown]
.LBB139_266:                            ;   in Loop: Header=BB139_201 Depth=1
	s_or_b64 exec, exec, s[18:19]
                                        ; implicit-def: $vgpr8_vgpr9_vgpr10_vgpr11
                                        ; implicit-def: $vgpr9
.LBB139_267:                            ;   in Loop: Header=BB139_201 Depth=1
	s_andn2_saveexec_b64 s[0:1], s[14:15]
	s_cbranch_execz .LBB139_273
; %bb.268:                              ;   in Loop: Header=BB139_201 Depth=1
	v_cmp_ne_u32_e32 vcc, s28, v9
	v_sub_f32_e32 v7, v11, v11
	s_and_saveexec_b64 s[2:3], vcc
	s_xor_b64 s[2:3], exec, s[2:3]
; %bb.269:                              ;   in Loop: Header=BB139_201 Depth=1
                                        ; implicit-def: $vgpr8_vgpr9_vgpr10_vgpr11
; %bb.270:                              ;   in Loop: Header=BB139_201 Depth=1
	s_or_saveexec_b64 s[2:3], s[2:3]
	v_mov_b32_e32 v6, v7
	s_xor_b64 exec, exec, s[2:3]
; %bb.271:                              ;   in Loop: Header=BB139_201 Depth=1
	v_cmp_lt_i32_e32 vcc, -1, v10
	v_cndmask_b32_e32 v6, 0, v10, vcc
	v_cndmask_b32_e32 v7, 0, v7, vcc
; %bb.272:                              ;   in Loop: Header=BB139_201 Depth=1
	s_or_b64 exec, exec, s[2:3]
.LBB139_273:                            ;   in Loop: Header=BB139_201 Depth=1
	s_or_b64 exec, exec, s[0:1]
                                        ; implicit-def: $vgpr8_vgpr9_vgpr10_vgpr11
                                        ; implicit-def: $vgpr8
.LBB139_274:                            ;   in Loop: Header=BB139_201 Depth=1
	s_andn2_saveexec_b64 s[12:13], s[12:13]
	s_cbranch_execz .LBB139_284
; %bb.275:                              ;   in Loop: Header=BB139_201 Depth=1
	v_cmp_nlt_f32_e64 s[14:15], |v11|, s30
                                        ; implicit-def: $vgpr6
                                        ; implicit-def: $vgpr7
	s_and_saveexec_b64 s[0:1], s[14:15]
	s_xor_b64 s[18:19], exec, s[0:1]
	s_cbranch_execz .LBB139_277
; %bb.276:                              ;   in Loop: Header=BB139_201 Depth=1
	v_lshrrev_b32_e32 v6, 23, v8
	v_add_u32_e32 v6, 0xffffff88, v6
	v_cmp_lt_u32_e32 vcc, 63, v6
	v_cndmask_b32_e32 v7, 0, v21, vcc
	v_add_u32_e32 v6, v7, v6
	v_cmp_lt_u32_e64 s[0:1], 31, v6
	v_cndmask_b32_e64 v7, 0, v22, s[0:1]
	v_add_u32_e32 v6, v7, v6
	v_cmp_lt_u32_e64 s[2:3], 31, v6
	v_cndmask_b32_e64 v7, 0, v22, s[2:3]
	v_add_u32_e32 v9, v7, v6
	v_and_b32_e32 v6, 0x7fffff, v8
	v_or_b32_e32 v10, 0x800000, v6
	v_mad_u64_u32 v[6:7], s[4:5], v10, s31, 0
	v_mov_b32_e32 v12, v7
	v_mad_u64_u32 v[26:27], s[4:5], v10, s33, v[12:13]
	v_mov_b32_e32 v12, v27
	;; [unrolled: 2-line block ×6, first 2 shown]
	v_mad_u64_u32 v[36:37], s[4:5], v10, s38, v[12:13]
	v_cndmask_b32_e32 v7, v34, v30, vcc
	v_cndmask_b32_e32 v10, v36, v32, vcc
	;; [unrolled: 1-line block ×3, first 2 shown]
	v_cndmask_b32_e64 v12, v10, v7, s[0:1]
	v_cndmask_b32_e64 v10, v25, v10, s[0:1]
	v_cndmask_b32_e32 v25, v32, v28, vcc
	v_cndmask_b32_e64 v7, v7, v25, s[0:1]
	v_cndmask_b32_e64 v10, v10, v12, s[2:3]
	;; [unrolled: 1-line block ×3, first 2 shown]
	v_sub_u32_e32 v27, 32, v9
	v_alignbit_b32 v29, v10, v12, v27
	v_cmp_eq_u32_e64 s[4:5], 0, v9
	v_cndmask_b32_e64 v9, v29, v10, s[4:5]
	v_cndmask_b32_e32 v10, v30, v26, vcc
	v_cndmask_b32_e64 v25, v25, v10, s[0:1]
	v_cndmask_b32_e64 v7, v7, v25, s[2:3]
	v_cndmask_b32_e32 v6, v28, v6, vcc
	v_alignbit_b32 v26, v12, v7, v27
	v_cndmask_b32_e64 v6, v10, v6, s[0:1]
	v_cndmask_b32_e64 v12, v26, v12, s[4:5]
	v_bfe_u32 v30, v9, 29, 1
	v_cndmask_b32_e64 v6, v25, v6, s[2:3]
	v_alignbit_b32 v26, v9, v12, 30
	v_sub_u32_e32 v31, 0, v30
	v_alignbit_b32 v10, v7, v6, v27
	v_xor_b32_e32 v32, v26, v31
	v_cndmask_b32_e64 v7, v10, v7, s[4:5]
	v_alignbit_b32 v10, v12, v7, 30
	v_ffbh_u32_e32 v12, v32
	v_add_u32_e32 v12, 1, v12
	v_cmp_ne_u32_e32 vcc, v26, v31
	v_cndmask_b32_e32 v12, 33, v12, vcc
	v_alignbit_b32 v6, v7, v6, 30
	v_xor_b32_e32 v10, v10, v31
	v_sub_u32_e32 v25, 32, v12
	v_xor_b32_e32 v6, v6, v31
	v_alignbit_b32 v26, v32, v10, v25
	v_alignbit_b32 v6, v10, v6, v25
	;; [unrolled: 1-line block ×3, first 2 shown]
	v_ffbh_u32_e32 v10, v7
	v_min_u32_e32 v10, 32, v10
	v_lshrrev_b32_e32 v29, 29, v9
	v_sub_u32_e32 v25, 31, v10
	v_alignbit_b32 v6, v7, v6, v25
	v_lshlrev_b32_e32 v7, 31, v29
	v_or_b32_e32 v25, 0x33800000, v7
	v_add_lshl_u32 v10, v10, v12, 23
	v_lshrrev_b32_e32 v6, 9, v6
	v_sub_u32_e32 v10, v25, v10
	v_or_b32_e32 v6, v10, v6
	v_alignbit_b32 v10, v12, v26, 9
	v_or_b32_e32 v7, v10, v7
	v_xor_b32_e32 v7, 1.0, v7
	v_mul_f32_e32 v10, 0x3fc90fda, v7
	v_fma_f32 v12, v7, s39, -v10
	v_fmac_f32_e32 v12, 0x33a22168, v7
	v_fmac_f32_e32 v12, 0x3fc90fda, v6
	v_lshrrev_b32_e32 v6, 30, v9
	v_add_f32_e32 v7, v10, v12
	v_add_u32_e32 v6, v30, v6
	s_andn2_saveexec_b64 s[0:1], s[18:19]
	s_branch .LBB139_278
.LBB139_277:                            ;   in Loop: Header=BB139_201 Depth=1
	s_andn2_saveexec_b64 s[0:1], s[18:19]
.LBB139_278:                            ;   in Loop: Header=BB139_201 Depth=1
	v_mul_f32_e64 v6, |v11|, s40
	v_rndne_f32_e32 v9, v6
	v_cvt_i32_f32_e32 v6, v9
	v_fma_f32 v7, v9, s41, |v11|
	v_fmac_f32_e32 v7, 0xb3a22168, v9
	v_fmac_f32_e32 v7, 0xa7c234c4, v9
; %bb.279:                              ;   in Loop: Header=BB139_201 Depth=1
	s_or_b64 exec, exec, s[0:1]
                                        ; implicit-def: $vgpr9
                                        ; implicit-def: $vgpr10
	s_and_saveexec_b64 s[0:1], s[14:15]
	s_xor_b64 s[14:15], exec, s[0:1]
	s_cbranch_execz .LBB139_281
; %bb.280:                              ;   in Loop: Header=BB139_201 Depth=1
	v_lshrrev_b32_e32 v9, 23, v8
	v_add_u32_e32 v9, 0xffffff88, v9
	v_cmp_lt_u32_e32 vcc, 63, v9
	v_cndmask_b32_e32 v10, 0, v21, vcc
	v_add_u32_e32 v9, v10, v9
	v_cmp_lt_u32_e64 s[0:1], 31, v9
	v_cndmask_b32_e64 v10, 0, v22, s[0:1]
	v_add_u32_e32 v9, v10, v9
	v_cmp_lt_u32_e64 s[2:3], 31, v9
	v_cndmask_b32_e64 v10, 0, v22, s[2:3]
	v_add_u32_e32 v9, v10, v9
	v_and_b32_e32 v10, 0x7fffff, v8
	v_or_b32_e32 v10, 0x800000, v10
	v_mad_u64_u32 v[26:27], s[4:5], v10, s31, 0
	v_mov_b32_e32 v12, v27
	v_mad_u64_u32 v[28:29], s[4:5], v10, s33, v[12:13]
	v_mov_b32_e32 v12, v29
	;; [unrolled: 2-line block ×6, first 2 shown]
	v_mad_u64_u32 v[38:39], s[4:5], v10, s38, v[12:13]
	v_cndmask_b32_e32 v25, v36, v32, vcc
	v_cndmask_b32_e32 v10, v38, v34, vcc
	;; [unrolled: 1-line block ×3, first 2 shown]
	v_cndmask_b32_e64 v12, v10, v25, s[0:1]
	v_cndmask_b32_e64 v10, v27, v10, s[0:1]
	v_cndmask_b32_e32 v27, v34, v30, vcc
	v_cndmask_b32_e64 v25, v25, v27, s[0:1]
	v_cndmask_b32_e64 v10, v10, v12, s[2:3]
	;; [unrolled: 1-line block ×3, first 2 shown]
	v_sub_u32_e32 v29, 32, v9
	v_alignbit_b32 v31, v10, v12, v29
	v_cmp_eq_u32_e64 s[4:5], 0, v9
	v_cndmask_b32_e64 v9, v31, v10, s[4:5]
	v_cndmask_b32_e32 v10, v32, v28, vcc
	v_cndmask_b32_e64 v27, v27, v10, s[0:1]
	v_cndmask_b32_e64 v25, v25, v27, s[2:3]
	v_alignbit_b32 v28, v12, v25, v29
	v_cndmask_b32_e32 v26, v30, v26, vcc
	v_cndmask_b32_e64 v12, v28, v12, s[4:5]
	v_bfe_u32 v32, v9, 29, 1
	v_cndmask_b32_e64 v10, v10, v26, s[0:1]
	v_alignbit_b32 v28, v9, v12, 30
	v_sub_u32_e32 v33, 0, v32
	v_cndmask_b32_e64 v10, v27, v10, s[2:3]
	v_xor_b32_e32 v34, v28, v33
	v_alignbit_b32 v26, v25, v10, v29
	v_cndmask_b32_e64 v25, v26, v25, s[4:5]
	v_ffbh_u32_e32 v26, v34
	v_add_u32_e32 v26, 1, v26
	v_cmp_ne_u32_e32 vcc, v28, v33
	v_alignbit_b32 v12, v12, v25, 30
	v_cndmask_b32_e32 v26, 33, v26, vcc
	v_alignbit_b32 v10, v25, v10, 30
	v_xor_b32_e32 v12, v12, v33
	v_sub_u32_e32 v27, 32, v26
	v_xor_b32_e32 v10, v10, v33
	v_alignbit_b32 v28, v34, v12, v27
	v_alignbit_b32 v10, v12, v10, v27
	;; [unrolled: 1-line block ×3, first 2 shown]
	v_ffbh_u32_e32 v25, v12
	v_min_u32_e32 v25, 32, v25
	v_lshrrev_b32_e32 v31, 29, v9
	v_sub_u32_e32 v27, 31, v25
	v_alignbit_b32 v10, v12, v10, v27
	v_lshlrev_b32_e32 v12, 31, v31
	v_or_b32_e32 v27, 0x33800000, v12
	v_add_lshl_u32 v25, v25, v26, 23
	v_lshrrev_b32_e32 v10, 9, v10
	v_sub_u32_e32 v25, v27, v25
	v_or_b32_e32 v10, v25, v10
	v_alignbit_b32 v25, v26, v28, 9
	v_or_b32_e32 v12, v25, v12
	v_xor_b32_e32 v12, 1.0, v12
	v_mul_f32_e32 v25, 0x3fc90fda, v12
	v_fma_f32 v26, v12, s39, -v25
	v_fmac_f32_e32 v26, 0x33a22168, v12
	v_fmac_f32_e32 v26, 0x3fc90fda, v10
	v_lshrrev_b32_e32 v9, 30, v9
	v_add_f32_e32 v10, v25, v26
	v_add_u32_e32 v9, v32, v9
	s_andn2_saveexec_b64 s[0:1], s[14:15]
	s_cbranch_execnz .LBB139_282
	s_branch .LBB139_283
.LBB139_281:                            ;   in Loop: Header=BB139_201 Depth=1
	s_andn2_saveexec_b64 s[0:1], s[14:15]
.LBB139_282:                            ;   in Loop: Header=BB139_201 Depth=1
	v_mul_f32_e64 v9, |v11|, s40
	v_rndne_f32_e32 v12, v9
	v_cvt_i32_f32_e32 v9, v12
	v_fma_f32 v10, v12, s41, |v11|
	v_fmac_f32_e32 v10, 0xb3a22168, v12
	v_fmac_f32_e32 v10, 0xa7c234c4, v12
.LBB139_283:                            ;   in Loop: Header=BB139_201 Depth=1
	s_or_b64 exec, exec, s[0:1]
	v_mul_f32_e32 v12, v7, v7
	v_mov_b32_e32 v25, 0x3c0881c4
	v_fmac_f32_e32 v25, 0xb94c1982, v12
	v_fma_f32 v25, v12, v25, v18
	v_mul_f32_e32 v25, v12, v25
	v_fmac_f32_e32 v7, v7, v25
	v_mov_b32_e32 v25, 0xbab64f3b
	v_fmac_f32_e32 v25, 0x37d75334, v12
	v_fma_f32 v25, v12, v25, v19
	v_fma_f32 v25, v12, v25, v20
	v_fma_f32 v12, v12, v25, 1.0
	v_and_b32_e32 v25, 1, v6
	v_cmp_eq_u32_e32 vcc, 0, v25
	v_lshlrev_b32_e32 v6, 30, v6
	v_cndmask_b32_e64 v7, -v7, v12, vcc
	v_and_b32_e32 v6, 0x80000000, v6
	v_xor_b32_e32 v6, v6, v7
	v_mul_f32_e32 v7, v10, v10
	v_mov_b32_e32 v12, 0x3c0881c4
	v_fmac_f32_e32 v12, 0xb94c1982, v7
	v_fma_f32 v12, v7, v12, v18
	v_mul_f32_e32 v12, v7, v12
	v_fmac_f32_e32 v10, v10, v12
	v_mov_b32_e32 v12, 0xbab64f3b
	v_fmac_f32_e32 v12, 0x37d75334, v7
	v_fma_f32 v12, v7, v12, v19
	v_fma_f32 v12, v7, v12, v20
	v_fma_f32 v7, v7, v12, 1.0
	v_and_b32_e32 v12, 1, v9
	v_cmp_eq_u32_e64 s[0:1], 0, v12
	v_lshlrev_b32_e32 v9, 30, v9
	v_cndmask_b32_e64 v7, v7, v10, s[0:1]
	v_and_or_b32 v8, v9, s45, v8
	v_xor_b32_e32 v7, v8, v7
	v_cmp_class_f32_e64 vcc, v11, s46
	v_xor_b32_e32 v7, v7, v11
	v_cndmask_b32_e32 v6, v24, v6, vcc
	v_cndmask_b32_e32 v7, v24, v7, vcc
.LBB139_284:                            ;   in Loop: Header=BB139_201 Depth=1
	s_or_b64 exec, exec, s[12:13]
                                        ; implicit-def: $vgpr8_vgpr9_vgpr10_vgpr11
.LBB139_285:                            ;   in Loop: Header=BB139_201 Depth=1
	s_andn2_saveexec_b64 s[0:1], s[10:11]
	s_cbranch_execz .LBB139_287
; %bb.286:                              ;   in Loop: Header=BB139_201 Depth=1
	v_mul_f32_e32 v6, 0x3fb8aa3b, v10
	v_rndne_f32_e32 v7, v6
	v_sub_f32_e32 v8, v6, v7
	v_fma_f32 v6, v10, s42, -v6
	v_fmac_f32_e32 v6, 0x32a5705f, v10
	v_add_f32_e32 v6, v8, v6
	v_cvt_i32_f32_e32 v7, v7
	v_exp_f32_e32 v6, v6
	v_cmp_ngt_f32_e32 vcc, s43, v10
	v_ldexp_f32 v6, v6, v7
	v_cndmask_b32_e32 v6, 0, v6, vcc
	v_cmp_nlt_f32_e32 vcc, s44, v10
	v_cndmask_b32_e32 v6, v23, v6, vcc
	v_mov_b32_e32 v7, v11
.LBB139_287:                            ;   in Loop: Header=BB139_201 Depth=1
	s_or_b64 exec, exec, s[0:1]
	s_waitcnt vmcnt(0)
	v_and_b32_e32 v10, 0x7fffffff, v1
	v_cmp_ne_u32_e32 vcc, 0, v10
                                        ; implicit-def: $vgpr9
	s_and_saveexec_b64 s[0:1], vcc
	s_xor_b64 s[10:11], exec, s[0:1]
	s_cbranch_execz .LBB139_327
; %bb.288:                              ;   in Loop: Header=BB139_201 Depth=1
	v_and_b32_e32 v11, 0x7fffffff, v0
	v_cmp_ne_u32_e32 vcc, 0, v11
                                        ; implicit-def: $vgpr9
	s_and_saveexec_b64 s[0:1], vcc
	s_xor_b64 s[12:13], exec, s[0:1]
	s_cbranch_execz .LBB139_316
; %bb.289:                              ;   in Loop: Header=BB139_201 Depth=1
	v_cmp_gt_u32_e32 vcc, s28, v10
                                        ; implicit-def: $vgpr9
	s_and_saveexec_b64 s[0:1], vcc
	s_xor_b64 s[14:15], exec, s[0:1]
	s_cbranch_execz .LBB139_311
; %bb.290:                              ;   in Loop: Header=BB139_201 Depth=1
	v_add_u32_e32 v8, 0xbd4e8de8, v0
	v_cmp_lt_u32_e32 vcc, s29, v8
                                        ; implicit-def: $vgpr9
	s_and_saveexec_b64 s[0:1], vcc
	s_xor_b64 s[18:19], exec, s[0:1]
	s_cbranch_execz .LBB139_300
; %bb.291:                              ;   in Loop: Header=BB139_201 Depth=1
	v_cmp_nlt_f32_e64 s[20:21], |v1|, s30
                                        ; implicit-def: $vgpr8
                                        ; implicit-def: $vgpr9
	s_and_saveexec_b64 s[0:1], s[20:21]
	s_xor_b64 s[22:23], exec, s[0:1]
	s_cbranch_execz .LBB139_293
; %bb.292:                              ;   in Loop: Header=BB139_201 Depth=1
	v_lshrrev_b32_e32 v8, 23, v10
	v_add_u32_e32 v8, 0xffffff88, v8
	v_cmp_lt_u32_e32 vcc, 63, v8
	v_cndmask_b32_e32 v9, 0, v21, vcc
	v_add_u32_e32 v8, v9, v8
	v_cmp_lt_u32_e64 s[0:1], 31, v8
	v_cndmask_b32_e64 v9, 0, v22, s[0:1]
	v_add_u32_e32 v8, v9, v8
	v_cmp_lt_u32_e64 s[2:3], 31, v8
	v_cndmask_b32_e64 v9, 0, v22, s[2:3]
	v_add_u32_e32 v11, v9, v8
	v_and_b32_e32 v8, 0x7fffff, v10
	v_or_b32_e32 v25, 0x800000, v8
	v_mad_u64_u32 v[8:9], s[4:5], v25, s31, 0
	v_mov_b32_e32 v12, v9
	v_mad_u64_u32 v[26:27], s[4:5], v25, s33, v[12:13]
	v_mov_b32_e32 v12, v27
	;; [unrolled: 2-line block ×6, first 2 shown]
	v_mad_u64_u32 v[36:37], s[4:5], v25, s38, v[12:13]
	v_cndmask_b32_e32 v9, v34, v30, vcc
	v_cndmask_b32_e32 v12, v36, v32, vcc
	;; [unrolled: 1-line block ×3, first 2 shown]
	v_cndmask_b32_e64 v25, v12, v9, s[0:1]
	v_cndmask_b32_e64 v12, v27, v12, s[0:1]
	v_cndmask_b32_e32 v27, v32, v28, vcc
	v_cndmask_b32_e64 v9, v9, v27, s[0:1]
	v_cndmask_b32_e64 v12, v12, v25, s[2:3]
	;; [unrolled: 1-line block ×3, first 2 shown]
	v_sub_u32_e32 v29, 32, v11
	v_alignbit_b32 v31, v12, v25, v29
	v_cmp_eq_u32_e64 s[4:5], 0, v11
	v_cndmask_b32_e64 v11, v31, v12, s[4:5]
	v_cndmask_b32_e32 v12, v30, v26, vcc
	v_cndmask_b32_e64 v26, v27, v12, s[0:1]
	v_cndmask_b32_e64 v9, v9, v26, s[2:3]
	v_cndmask_b32_e32 v8, v28, v8, vcc
	v_alignbit_b32 v27, v25, v9, v29
	v_cndmask_b32_e64 v8, v12, v8, s[0:1]
	v_cndmask_b32_e64 v25, v27, v25, s[4:5]
	v_bfe_u32 v31, v11, 29, 1
	v_cndmask_b32_e64 v8, v26, v8, s[2:3]
	v_alignbit_b32 v27, v11, v25, 30
	v_sub_u32_e32 v32, 0, v31
	v_alignbit_b32 v12, v9, v8, v29
	v_xor_b32_e32 v33, v27, v32
	v_cndmask_b32_e64 v9, v12, v9, s[4:5]
	v_alignbit_b32 v12, v25, v9, 30
	v_ffbh_u32_e32 v25, v33
	v_add_u32_e32 v25, 1, v25
	v_cmp_ne_u32_e32 vcc, v27, v32
	v_cndmask_b32_e32 v25, 33, v25, vcc
	v_alignbit_b32 v8, v9, v8, 30
	v_xor_b32_e32 v12, v12, v32
	v_sub_u32_e32 v26, 32, v25
	v_xor_b32_e32 v8, v8, v32
	v_alignbit_b32 v27, v33, v12, v26
	v_alignbit_b32 v8, v12, v8, v26
	;; [unrolled: 1-line block ×3, first 2 shown]
	v_ffbh_u32_e32 v12, v9
	v_min_u32_e32 v12, 32, v12
	v_lshrrev_b32_e32 v30, 29, v11
	v_sub_u32_e32 v26, 31, v12
	v_alignbit_b32 v8, v9, v8, v26
	v_lshlrev_b32_e32 v9, 31, v30
	v_or_b32_e32 v26, 0x33800000, v9
	v_add_lshl_u32 v12, v12, v25, 23
	v_lshrrev_b32_e32 v8, 9, v8
	v_sub_u32_e32 v12, v26, v12
	v_or_b32_e32 v8, v12, v8
	v_alignbit_b32 v12, v25, v27, 9
	v_or_b32_e32 v9, v12, v9
	v_xor_b32_e32 v9, 1.0, v9
	v_mul_f32_e32 v12, 0x3fc90fda, v9
	v_fma_f32 v25, v9, s39, -v12
	v_fmac_f32_e32 v25, 0x33a22168, v9
	v_fmac_f32_e32 v25, 0x3fc90fda, v8
	v_lshrrev_b32_e32 v8, 30, v11
	v_add_f32_e32 v9, v12, v25
	v_add_u32_e32 v8, v31, v8
	s_andn2_saveexec_b64 s[0:1], s[22:23]
	s_branch .LBB139_294
.LBB139_293:                            ;   in Loop: Header=BB139_201 Depth=1
	s_andn2_saveexec_b64 s[0:1], s[22:23]
.LBB139_294:                            ;   in Loop: Header=BB139_201 Depth=1
	v_mul_f32_e64 v8, |v1|, s40
	v_rndne_f32_e32 v11, v8
	v_cvt_i32_f32_e32 v8, v11
	v_fma_f32 v9, v11, s41, |v1|
	v_fmac_f32_e32 v9, 0xb3a22168, v11
	v_fmac_f32_e32 v9, 0xa7c234c4, v11
; %bb.295:                              ;   in Loop: Header=BB139_201 Depth=1
	s_or_b64 exec, exec, s[0:1]
                                        ; implicit-def: $vgpr11
                                        ; implicit-def: $vgpr12
	s_and_saveexec_b64 s[0:1], s[20:21]
	s_xor_b64 s[20:21], exec, s[0:1]
	s_cbranch_execz .LBB139_297
; %bb.296:                              ;   in Loop: Header=BB139_201 Depth=1
	v_lshrrev_b32_e32 v11, 23, v10
	v_add_u32_e32 v11, 0xffffff88, v11
	v_cmp_lt_u32_e32 vcc, 63, v11
	v_cndmask_b32_e32 v12, 0, v21, vcc
	v_add_u32_e32 v11, v12, v11
	v_cmp_lt_u32_e64 s[0:1], 31, v11
	v_cndmask_b32_e64 v12, 0, v22, s[0:1]
	v_add_u32_e32 v11, v12, v11
	v_cmp_lt_u32_e64 s[2:3], 31, v11
	v_cndmask_b32_e64 v12, 0, v22, s[2:3]
	v_add_u32_e32 v11, v12, v11
	v_and_b32_e32 v12, 0x7fffff, v10
	v_or_b32_e32 v25, 0x800000, v12
	v_mad_u64_u32 v[26:27], s[4:5], v25, s31, 0
	v_mov_b32_e32 v12, v27
	v_mad_u64_u32 v[28:29], s[4:5], v25, s33, v[12:13]
	v_mov_b32_e32 v12, v29
	;; [unrolled: 2-line block ×6, first 2 shown]
	v_mad_u64_u32 v[38:39], s[4:5], v25, s38, v[12:13]
	v_cndmask_b32_e32 v27, v36, v32, vcc
	v_cndmask_b32_e32 v12, v38, v34, vcc
	;; [unrolled: 1-line block ×3, first 2 shown]
	v_cndmask_b32_e64 v25, v12, v27, s[0:1]
	v_cndmask_b32_e64 v12, v29, v12, s[0:1]
	v_cndmask_b32_e32 v29, v34, v30, vcc
	v_cndmask_b32_e64 v27, v27, v29, s[0:1]
	v_cndmask_b32_e64 v12, v12, v25, s[2:3]
	;; [unrolled: 1-line block ×3, first 2 shown]
	v_sub_u32_e32 v31, 32, v11
	v_alignbit_b32 v33, v12, v25, v31
	v_cmp_eq_u32_e64 s[4:5], 0, v11
	v_cndmask_b32_e64 v11, v33, v12, s[4:5]
	v_cndmask_b32_e32 v12, v32, v28, vcc
	v_cndmask_b32_e64 v28, v29, v12, s[0:1]
	v_cndmask_b32_e64 v27, v27, v28, s[2:3]
	v_alignbit_b32 v29, v25, v27, v31
	v_cndmask_b32_e32 v26, v30, v26, vcc
	v_cndmask_b32_e64 v25, v29, v25, s[4:5]
	v_bfe_u32 v33, v11, 29, 1
	v_cndmask_b32_e64 v12, v12, v26, s[0:1]
	v_alignbit_b32 v29, v11, v25, 30
	v_sub_u32_e32 v34, 0, v33
	v_cndmask_b32_e64 v12, v28, v12, s[2:3]
	v_xor_b32_e32 v35, v29, v34
	v_alignbit_b32 v26, v27, v12, v31
	v_cndmask_b32_e64 v26, v26, v27, s[4:5]
	v_ffbh_u32_e32 v27, v35
	v_add_u32_e32 v27, 1, v27
	v_cmp_ne_u32_e32 vcc, v29, v34
	v_alignbit_b32 v25, v25, v26, 30
	v_cndmask_b32_e32 v27, 33, v27, vcc
	v_alignbit_b32 v12, v26, v12, 30
	v_xor_b32_e32 v25, v25, v34
	v_sub_u32_e32 v28, 32, v27
	v_xor_b32_e32 v12, v12, v34
	v_alignbit_b32 v29, v35, v25, v28
	v_alignbit_b32 v12, v25, v12, v28
	;; [unrolled: 1-line block ×3, first 2 shown]
	v_ffbh_u32_e32 v26, v25
	v_min_u32_e32 v26, 32, v26
	v_lshrrev_b32_e32 v32, 29, v11
	v_sub_u32_e32 v28, 31, v26
	v_alignbit_b32 v12, v25, v12, v28
	v_lshlrev_b32_e32 v25, 31, v32
	v_or_b32_e32 v28, 0x33800000, v25
	v_add_lshl_u32 v26, v26, v27, 23
	v_lshrrev_b32_e32 v12, 9, v12
	v_sub_u32_e32 v26, v28, v26
	v_or_b32_e32 v12, v26, v12
	v_alignbit_b32 v26, v27, v29, 9
	v_or_b32_e32 v25, v26, v25
	v_xor_b32_e32 v25, 1.0, v25
	v_mul_f32_e32 v26, 0x3fc90fda, v25
	v_fma_f32 v27, v25, s39, -v26
	v_fmac_f32_e32 v27, 0x33a22168, v25
	v_fmac_f32_e32 v27, 0x3fc90fda, v12
	v_lshrrev_b32_e32 v11, 30, v11
	v_add_f32_e32 v12, v26, v27
	v_add_u32_e32 v11, v33, v11
	s_andn2_saveexec_b64 s[0:1], s[20:21]
	s_cbranch_execnz .LBB139_298
	s_branch .LBB139_299
.LBB139_297:                            ;   in Loop: Header=BB139_201 Depth=1
	s_andn2_saveexec_b64 s[0:1], s[20:21]
.LBB139_298:                            ;   in Loop: Header=BB139_201 Depth=1
	v_mul_f32_e64 v11, |v1|, s40
	v_rndne_f32_e32 v25, v11
	v_cvt_i32_f32_e32 v11, v25
	v_fma_f32 v12, v25, s41, |v1|
	v_fmac_f32_e32 v12, 0xb3a22168, v25
	v_fmac_f32_e32 v12, 0xa7c234c4, v25
.LBB139_299:                            ;   in Loop: Header=BB139_201 Depth=1
	s_or_b64 exec, exec, s[0:1]
	v_mul_f32_e32 v25, 0x3fb8aa3b, v0
	v_rndne_f32_e32 v26, v25
	v_sub_f32_e32 v27, v25, v26
	v_fma_f32 v25, v0, s42, -v25
	v_fmac_f32_e32 v25, 0x32a5705f, v0
	v_add_f32_e32 v25, v27, v25
	v_cvt_i32_f32_e32 v26, v26
	v_exp_f32_e32 v25, v25
	v_mov_b32_e32 v27, 0x3c0881c4
	v_cmp_ngt_f32_e32 vcc, s43, v0
	v_ldexp_f32 v25, v25, v26
	v_mul_f32_e32 v26, v9, v9
	v_fmac_f32_e32 v27, 0xb94c1982, v26
	v_fma_f32 v27, v26, v27, v18
	v_mul_f32_e32 v27, v26, v27
	v_fmac_f32_e32 v9, v9, v27
	v_mov_b32_e32 v27, 0xbab64f3b
	v_fmac_f32_e32 v27, 0x37d75334, v26
	v_fma_f32 v27, v26, v27, v19
	v_fma_f32 v27, v26, v27, v20
	v_cndmask_b32_e32 v25, 0, v25, vcc
	v_cmp_nlt_f32_e32 vcc, s44, v0
	v_fma_f32 v26, v26, v27, 1.0
	v_and_b32_e32 v27, 1, v8
	v_cndmask_b32_e32 v25, v23, v25, vcc
	v_cmp_eq_u32_e32 vcc, 0, v27
	v_lshlrev_b32_e32 v8, 30, v8
	v_cndmask_b32_e64 v9, -v9, v26, vcc
	v_and_b32_e32 v8, 0x80000000, v8
	v_xor_b32_e32 v8, v8, v9
	v_mul_f32_e32 v9, v12, v12
	v_mov_b32_e32 v26, 0x3c0881c4
	v_fmac_f32_e32 v26, 0xb94c1982, v9
	v_fma_f32 v26, v9, v26, v18
	v_mul_f32_e32 v26, v9, v26
	v_fmac_f32_e32 v12, v12, v26
	v_mov_b32_e32 v26, 0xbab64f3b
	v_fmac_f32_e32 v26, 0x37d75334, v9
	v_fma_f32 v26, v9, v26, v19
	v_fma_f32 v26, v9, v26, v20
	v_fma_f32 v9, v9, v26, 1.0
	v_and_b32_e32 v26, 1, v11
	v_cmp_eq_u32_e64 s[0:1], 0, v26
	v_lshlrev_b32_e32 v11, 30, v11
	v_cndmask_b32_e64 v9, v9, v12, s[0:1]
	v_and_or_b32 v10, v11, s45, v10
	v_xor_b32_e32 v9, v10, v9
	v_cmp_class_f32_e64 vcc, v1, s46
	v_xor_b32_e32 v9, v9, v1
	v_cndmask_b32_e32 v8, v24, v8, vcc
	v_cndmask_b32_e32 v9, v24, v9, vcc
	v_mul_f32_e32 v8, v25, v8
	v_mul_f32_e32 v9, v25, v9
                                        ; implicit-def: $vgpr10
.LBB139_300:                            ;   in Loop: Header=BB139_201 Depth=1
	s_andn2_saveexec_b64 s[18:19], s[18:19]
	s_cbranch_execz .LBB139_310
; %bb.301:                              ;   in Loop: Header=BB139_201 Depth=1
	v_cmp_nlt_f32_e64 s[20:21], |v1|, s30
                                        ; implicit-def: $vgpr9
                                        ; implicit-def: $vgpr8
	s_and_saveexec_b64 s[0:1], s[20:21]
	s_xor_b64 s[22:23], exec, s[0:1]
	s_cbranch_execz .LBB139_303
; %bb.302:                              ;   in Loop: Header=BB139_201 Depth=1
	v_lshrrev_b32_e32 v8, 23, v10
	v_add_u32_e32 v8, 0xffffff88, v8
	v_cmp_lt_u32_e32 vcc, 63, v8
	v_cndmask_b32_e32 v9, 0, v21, vcc
	v_add_u32_e32 v8, v9, v8
	v_cmp_lt_u32_e64 s[0:1], 31, v8
	v_cndmask_b32_e64 v9, 0, v22, s[0:1]
	v_add_u32_e32 v8, v9, v8
	v_cmp_lt_u32_e64 s[2:3], 31, v8
	v_cndmask_b32_e64 v9, 0, v22, s[2:3]
	v_add_u32_e32 v11, v9, v8
	v_and_b32_e32 v8, 0x7fffff, v10
	v_or_b32_e32 v25, 0x800000, v8
	v_mad_u64_u32 v[8:9], s[4:5], v25, s31, 0
	v_mov_b32_e32 v12, v9
	v_mad_u64_u32 v[26:27], s[4:5], v25, s33, v[12:13]
	v_mov_b32_e32 v12, v27
	;; [unrolled: 2-line block ×6, first 2 shown]
	v_mad_u64_u32 v[36:37], s[4:5], v25, s38, v[12:13]
	v_cndmask_b32_e32 v9, v34, v30, vcc
	v_cndmask_b32_e32 v12, v36, v32, vcc
	;; [unrolled: 1-line block ×3, first 2 shown]
	v_cndmask_b32_e64 v25, v12, v9, s[0:1]
	v_cndmask_b32_e64 v12, v27, v12, s[0:1]
	v_cndmask_b32_e32 v27, v32, v28, vcc
	v_cndmask_b32_e64 v9, v9, v27, s[0:1]
	v_cndmask_b32_e64 v12, v12, v25, s[2:3]
	;; [unrolled: 1-line block ×3, first 2 shown]
	v_sub_u32_e32 v29, 32, v11
	v_alignbit_b32 v31, v12, v25, v29
	v_cmp_eq_u32_e64 s[4:5], 0, v11
	v_cndmask_b32_e64 v11, v31, v12, s[4:5]
	v_cndmask_b32_e32 v12, v30, v26, vcc
	v_cndmask_b32_e64 v26, v27, v12, s[0:1]
	v_cndmask_b32_e64 v9, v9, v26, s[2:3]
	v_cndmask_b32_e32 v8, v28, v8, vcc
	v_alignbit_b32 v27, v25, v9, v29
	v_cndmask_b32_e64 v8, v12, v8, s[0:1]
	v_cndmask_b32_e64 v25, v27, v25, s[4:5]
	v_bfe_u32 v31, v11, 29, 1
	v_cndmask_b32_e64 v8, v26, v8, s[2:3]
	v_alignbit_b32 v27, v11, v25, 30
	v_sub_u32_e32 v32, 0, v31
	v_alignbit_b32 v12, v9, v8, v29
	v_xor_b32_e32 v33, v27, v32
	v_cndmask_b32_e64 v9, v12, v9, s[4:5]
	v_alignbit_b32 v12, v25, v9, 30
	v_ffbh_u32_e32 v25, v33
	v_add_u32_e32 v25, 1, v25
	v_cmp_ne_u32_e32 vcc, v27, v32
	v_cndmask_b32_e32 v25, 33, v25, vcc
	v_alignbit_b32 v8, v9, v8, 30
	v_xor_b32_e32 v12, v12, v32
	v_sub_u32_e32 v26, 32, v25
	v_xor_b32_e32 v8, v8, v32
	v_alignbit_b32 v27, v33, v12, v26
	v_alignbit_b32 v8, v12, v8, v26
	;; [unrolled: 1-line block ×3, first 2 shown]
	v_ffbh_u32_e32 v12, v9
	v_min_u32_e32 v12, 32, v12
	v_lshrrev_b32_e32 v30, 29, v11
	v_sub_u32_e32 v26, 31, v12
	v_alignbit_b32 v8, v9, v8, v26
	v_lshlrev_b32_e32 v9, 31, v30
	v_or_b32_e32 v26, 0x33800000, v9
	v_add_lshl_u32 v12, v12, v25, 23
	v_lshrrev_b32_e32 v8, 9, v8
	v_sub_u32_e32 v12, v26, v12
	v_or_b32_e32 v8, v12, v8
	v_alignbit_b32 v12, v25, v27, 9
	v_or_b32_e32 v9, v12, v9
	v_xor_b32_e32 v9, 1.0, v9
	v_mul_f32_e32 v12, 0x3fc90fda, v9
	v_fma_f32 v25, v9, s39, -v12
	v_fmac_f32_e32 v25, 0x33a22168, v9
	v_fmac_f32_e32 v25, 0x3fc90fda, v8
	v_lshrrev_b32_e32 v9, 30, v11
	v_add_f32_e32 v8, v12, v25
	v_add_u32_e32 v9, v31, v9
	s_andn2_saveexec_b64 s[0:1], s[22:23]
	s_branch .LBB139_304
.LBB139_303:                            ;   in Loop: Header=BB139_201 Depth=1
	s_andn2_saveexec_b64 s[0:1], s[22:23]
.LBB139_304:                            ;   in Loop: Header=BB139_201 Depth=1
	v_mul_f32_e64 v8, |v1|, s40
	v_rndne_f32_e32 v11, v8
	v_cvt_i32_f32_e32 v9, v11
	v_fma_f32 v8, v11, s41, |v1|
	v_fmac_f32_e32 v8, 0xb3a22168, v11
	v_fmac_f32_e32 v8, 0xa7c234c4, v11
; %bb.305:                              ;   in Loop: Header=BB139_201 Depth=1
	s_or_b64 exec, exec, s[0:1]
                                        ; implicit-def: $vgpr11
                                        ; implicit-def: $vgpr12
	s_and_saveexec_b64 s[0:1], s[20:21]
	s_xor_b64 s[20:21], exec, s[0:1]
	s_cbranch_execz .LBB139_307
; %bb.306:                              ;   in Loop: Header=BB139_201 Depth=1
	v_lshrrev_b32_e32 v11, 23, v10
	v_add_u32_e32 v11, 0xffffff88, v11
	v_cmp_lt_u32_e32 vcc, 63, v11
	v_cndmask_b32_e32 v12, 0, v21, vcc
	v_add_u32_e32 v11, v12, v11
	v_cmp_lt_u32_e64 s[0:1], 31, v11
	v_cndmask_b32_e64 v12, 0, v22, s[0:1]
	v_add_u32_e32 v11, v12, v11
	v_cmp_lt_u32_e64 s[2:3], 31, v11
	v_cndmask_b32_e64 v12, 0, v22, s[2:3]
	v_add_u32_e32 v11, v12, v11
	v_and_b32_e32 v12, 0x7fffff, v10
	v_or_b32_e32 v25, 0x800000, v12
	v_mad_u64_u32 v[26:27], s[4:5], v25, s31, 0
	v_mov_b32_e32 v12, v27
	v_mad_u64_u32 v[28:29], s[4:5], v25, s33, v[12:13]
	v_mov_b32_e32 v12, v29
	v_mad_u64_u32 v[30:31], s[4:5], v25, s34, v[12:13]
	v_mov_b32_e32 v12, v31
	v_mad_u64_u32 v[32:33], s[4:5], v25, s35, v[12:13]
	v_mov_b32_e32 v12, v33
	v_mad_u64_u32 v[34:35], s[4:5], v25, s36, v[12:13]
	v_mov_b32_e32 v12, v35
	v_mad_u64_u32 v[36:37], s[4:5], v25, s37, v[12:13]
	v_mov_b32_e32 v12, v37
	v_mad_u64_u32 v[38:39], s[4:5], v25, s38, v[12:13]
	v_cndmask_b32_e32 v27, v36, v32, vcc
	v_cndmask_b32_e32 v12, v38, v34, vcc
	;; [unrolled: 1-line block ×3, first 2 shown]
	v_cndmask_b32_e64 v25, v12, v27, s[0:1]
	v_cndmask_b32_e64 v12, v29, v12, s[0:1]
	v_cndmask_b32_e32 v29, v34, v30, vcc
	v_cndmask_b32_e64 v27, v27, v29, s[0:1]
	v_cndmask_b32_e64 v12, v12, v25, s[2:3]
	v_cndmask_b32_e64 v25, v25, v27, s[2:3]
	v_sub_u32_e32 v31, 32, v11
	v_alignbit_b32 v33, v12, v25, v31
	v_cmp_eq_u32_e64 s[4:5], 0, v11
	v_cndmask_b32_e64 v11, v33, v12, s[4:5]
	v_cndmask_b32_e32 v12, v32, v28, vcc
	v_cndmask_b32_e64 v28, v29, v12, s[0:1]
	v_cndmask_b32_e64 v27, v27, v28, s[2:3]
	v_alignbit_b32 v29, v25, v27, v31
	v_cndmask_b32_e32 v26, v30, v26, vcc
	v_cndmask_b32_e64 v25, v29, v25, s[4:5]
	v_bfe_u32 v33, v11, 29, 1
	v_cndmask_b32_e64 v12, v12, v26, s[0:1]
	v_alignbit_b32 v29, v11, v25, 30
	v_sub_u32_e32 v34, 0, v33
	v_cndmask_b32_e64 v12, v28, v12, s[2:3]
	v_xor_b32_e32 v35, v29, v34
	v_alignbit_b32 v26, v27, v12, v31
	v_cndmask_b32_e64 v26, v26, v27, s[4:5]
	v_ffbh_u32_e32 v27, v35
	v_add_u32_e32 v27, 1, v27
	v_cmp_ne_u32_e32 vcc, v29, v34
	v_alignbit_b32 v25, v25, v26, 30
	v_cndmask_b32_e32 v27, 33, v27, vcc
	v_alignbit_b32 v12, v26, v12, 30
	v_xor_b32_e32 v25, v25, v34
	v_sub_u32_e32 v28, 32, v27
	v_xor_b32_e32 v12, v12, v34
	v_alignbit_b32 v29, v35, v25, v28
	v_alignbit_b32 v12, v25, v12, v28
	;; [unrolled: 1-line block ×3, first 2 shown]
	v_ffbh_u32_e32 v26, v25
	v_min_u32_e32 v26, 32, v26
	v_lshrrev_b32_e32 v32, 29, v11
	v_sub_u32_e32 v28, 31, v26
	v_alignbit_b32 v12, v25, v12, v28
	v_lshlrev_b32_e32 v25, 31, v32
	v_or_b32_e32 v28, 0x33800000, v25
	v_add_lshl_u32 v26, v26, v27, 23
	v_lshrrev_b32_e32 v12, 9, v12
	v_sub_u32_e32 v26, v28, v26
	v_or_b32_e32 v12, v26, v12
	v_alignbit_b32 v26, v27, v29, 9
	v_or_b32_e32 v25, v26, v25
	v_xor_b32_e32 v25, 1.0, v25
	v_mul_f32_e32 v26, 0x3fc90fda, v25
	v_fma_f32 v27, v25, s39, -v26
	v_fmac_f32_e32 v27, 0x33a22168, v25
	v_fmac_f32_e32 v27, 0x3fc90fda, v12
	v_lshrrev_b32_e32 v11, 30, v11
	v_add_f32_e32 v12, v26, v27
	v_add_u32_e32 v11, v33, v11
	s_andn2_saveexec_b64 s[0:1], s[20:21]
	s_cbranch_execnz .LBB139_308
	s_branch .LBB139_309
.LBB139_307:                            ;   in Loop: Header=BB139_201 Depth=1
	s_andn2_saveexec_b64 s[0:1], s[20:21]
.LBB139_308:                            ;   in Loop: Header=BB139_201 Depth=1
	v_mul_f32_e64 v11, |v1|, s40
	v_rndne_f32_e32 v25, v11
	v_cvt_i32_f32_e32 v11, v25
	v_fma_f32 v12, v25, s41, |v1|
	v_fmac_f32_e32 v12, 0xb3a22168, v25
	v_fmac_f32_e32 v12, 0xa7c234c4, v25
.LBB139_309:                            ;   in Loop: Header=BB139_201 Depth=1
	s_or_b64 exec, exec, s[0:1]
	v_mul_f32_e32 v26, v8, v8
	v_mov_b32_e32 v27, 0xbab64f3b
	v_fmac_f32_e32 v27, 0x37d75334, v26
	v_mov_b32_e32 v28, 0x3c0881c4
	v_fma_f32 v27, v26, v27, v19
	v_fmac_f32_e32 v28, 0xb94c1982, v26
	v_lshlrev_b32_e32 v25, 30, v9
	v_and_b32_e32 v9, 1, v9
	v_fma_f32 v27, v26, v27, v20
	v_fma_f32 v28, v26, v28, v18
	v_fma_f32 v27, v26, v27, 1.0
	v_mul_f32_e32 v26, v26, v28
	v_cmp_eq_u32_e32 vcc, 0, v9
	v_add_f32_e32 v9, 0xc322e3bc, v0
	v_fmac_f32_e32 v8, v8, v26
	v_mul_f32_e32 v26, 0x3fb8aa3b, v9
	v_cndmask_b32_e64 v8, -v8, v27, vcc
	v_fma_f32 v27, v9, s42, -v26
	v_rndne_f32_e32 v28, v26
	v_fmac_f32_e32 v27, 0x32a5705f, v9
	v_sub_f32_e32 v26, v26, v28
	v_add_f32_e32 v26, v26, v27
	v_exp_f32_e32 v26, v26
	v_cvt_i32_f32_e32 v27, v28
	v_and_b32_e32 v25, 0x80000000, v25
	v_xor_b32_e32 v8, v25, v8
	v_cmp_ngt_f32_e64 s[0:1], s43, v9
	v_ldexp_f32 v25, v26, v27
	v_cndmask_b32_e64 v25, 0, v25, s[0:1]
	v_cmp_nlt_f32_e64 s[0:1], s44, v9
	v_cndmask_b32_e64 v9, v23, v25, s[0:1]
	v_and_b32_e32 v25, 0x7fffff, v9
	v_lshrrev_b32_e32 v9, 23, v9
	v_subrev_u32_e32 v9, 19, v9
	v_lshrrev_b16_e32 v26, 15, v9
	v_add_u16_e32 v26, v9, v26
	v_ashrrev_i16_e32 v26, 1, v26
	v_bfe_i32 v26, v26, 0, 16
	v_lshl_add_u32 v27, v26, 23, 1.0
	v_sub_u32_e32 v9, v9, v26
	v_mul_f32_e32 v26, v12, v12
	v_mov_b32_e32 v28, 0x3c0881c4
	v_fmac_f32_e32 v28, 0xb94c1982, v26
	v_fma_f32 v28, v26, v28, v18
	v_mul_f32_e32 v28, v26, v28
	v_fmac_f32_e32 v12, v12, v28
	v_mov_b32_e32 v28, 0xbab64f3b
	v_fmac_f32_e32 v28, 0x37d75334, v26
	v_fma_f32 v28, v26, v28, v19
	v_fma_f32 v28, v26, v28, v20
	v_fma_f32 v26, v26, v28, 1.0
	v_and_b32_e32 v28, 1, v11
	v_cmp_eq_u32_e64 s[0:1], 0, v28
	v_lshlrev_b32_e32 v11, 30, v11
	v_cndmask_b32_e64 v12, v26, v12, s[0:1]
	v_and_or_b32 v10, v11, s45, v10
	v_xor_b32_e32 v10, v10, v12
	v_cmp_class_f32_e64 vcc, v1, s46
	v_xor_b32_e32 v10, v10, v1
	v_cndmask_b32_e32 v8, v24, v8, vcc
	v_or_b32_e32 v25, 0x7f000000, v25
	v_cndmask_b32_e32 v10, v24, v10, vcc
	v_mul_f32_e32 v8, v8, v25
	v_mul_f32_e32 v10, v10, v25
	;; [unrolled: 1-line block ×3, first 2 shown]
	v_lshl_add_u32 v9, v9, 23, 1.0
	v_mul_f32_e32 v10, v10, v27
	v_mul_f32_e32 v8, v8, v9
	;; [unrolled: 1-line block ×3, first 2 shown]
.LBB139_310:                            ;   in Loop: Header=BB139_201 Depth=1
	s_or_b64 exec, exec, s[18:19]
                                        ; implicit-def: $vgpr11
.LBB139_311:                            ;   in Loop: Header=BB139_201 Depth=1
	s_andn2_saveexec_b64 s[0:1], s[14:15]
	s_cbranch_execz .LBB139_315
; %bb.312:                              ;   in Loop: Header=BB139_201 Depth=1
	v_cmp_ne_u32_e32 vcc, s28, v11
	v_sub_f32_e32 v9, v1, v1
	s_and_saveexec_b64 s[2:3], vcc
	s_xor_b64 s[2:3], exec, s[2:3]
	s_or_saveexec_b64 s[2:3], s[2:3]
	v_mov_b32_e32 v8, v9
	s_xor_b64 exec, exec, s[2:3]
; %bb.313:                              ;   in Loop: Header=BB139_201 Depth=1
	v_cmp_lt_i32_e32 vcc, -1, v0
	v_cndmask_b32_e32 v8, 0, v0, vcc
	v_cndmask_b32_e32 v9, 0, v9, vcc
; %bb.314:                              ;   in Loop: Header=BB139_201 Depth=1
	s_or_b64 exec, exec, s[2:3]
.LBB139_315:                            ;   in Loop: Header=BB139_201 Depth=1
	s_or_b64 exec, exec, s[0:1]
                                        ; implicit-def: $vgpr10
.LBB139_316:                            ;   in Loop: Header=BB139_201 Depth=1
	s_andn2_saveexec_b64 s[12:13], s[12:13]
	s_cbranch_execz .LBB139_326
; %bb.317:                              ;   in Loop: Header=BB139_201 Depth=1
	v_cmp_nlt_f32_e64 s[14:15], |v1|, s30
                                        ; implicit-def: $vgpr8
                                        ; implicit-def: $vgpr9
	s_and_saveexec_b64 s[0:1], s[14:15]
	s_xor_b64 s[18:19], exec, s[0:1]
	s_cbranch_execz .LBB139_319
; %bb.318:                              ;   in Loop: Header=BB139_201 Depth=1
	v_lshrrev_b32_e32 v8, 23, v10
	v_add_u32_e32 v8, 0xffffff88, v8
	v_cmp_lt_u32_e32 vcc, 63, v8
	v_cndmask_b32_e32 v9, 0, v21, vcc
	v_add_u32_e32 v8, v9, v8
	v_cmp_lt_u32_e64 s[0:1], 31, v8
	v_cndmask_b32_e64 v9, 0, v22, s[0:1]
	v_add_u32_e32 v8, v9, v8
	v_cmp_lt_u32_e64 s[2:3], 31, v8
	v_cndmask_b32_e64 v9, 0, v22, s[2:3]
	v_add_u32_e32 v11, v9, v8
	v_and_b32_e32 v8, 0x7fffff, v10
	v_or_b32_e32 v25, 0x800000, v8
	v_mad_u64_u32 v[8:9], s[4:5], v25, s31, 0
	v_mov_b32_e32 v12, v9
	v_mad_u64_u32 v[26:27], s[4:5], v25, s33, v[12:13]
	v_mov_b32_e32 v12, v27
	;; [unrolled: 2-line block ×6, first 2 shown]
	v_mad_u64_u32 v[36:37], s[4:5], v25, s38, v[12:13]
	v_cndmask_b32_e32 v9, v34, v30, vcc
	v_cndmask_b32_e32 v12, v36, v32, vcc
	;; [unrolled: 1-line block ×3, first 2 shown]
	v_cndmask_b32_e64 v25, v12, v9, s[0:1]
	v_cndmask_b32_e64 v12, v27, v12, s[0:1]
	v_cndmask_b32_e32 v27, v32, v28, vcc
	v_cndmask_b32_e64 v9, v9, v27, s[0:1]
	v_cndmask_b32_e64 v12, v12, v25, s[2:3]
	;; [unrolled: 1-line block ×3, first 2 shown]
	v_sub_u32_e32 v29, 32, v11
	v_alignbit_b32 v31, v12, v25, v29
	v_cmp_eq_u32_e64 s[4:5], 0, v11
	v_cndmask_b32_e64 v11, v31, v12, s[4:5]
	v_cndmask_b32_e32 v12, v30, v26, vcc
	v_cndmask_b32_e64 v26, v27, v12, s[0:1]
	v_cndmask_b32_e64 v9, v9, v26, s[2:3]
	v_cndmask_b32_e32 v8, v28, v8, vcc
	v_alignbit_b32 v27, v25, v9, v29
	v_cndmask_b32_e64 v8, v12, v8, s[0:1]
	v_cndmask_b32_e64 v25, v27, v25, s[4:5]
	v_bfe_u32 v31, v11, 29, 1
	v_cndmask_b32_e64 v8, v26, v8, s[2:3]
	v_alignbit_b32 v27, v11, v25, 30
	v_sub_u32_e32 v32, 0, v31
	v_alignbit_b32 v12, v9, v8, v29
	v_xor_b32_e32 v33, v27, v32
	v_cndmask_b32_e64 v9, v12, v9, s[4:5]
	v_alignbit_b32 v12, v25, v9, 30
	v_ffbh_u32_e32 v25, v33
	v_add_u32_e32 v25, 1, v25
	v_cmp_ne_u32_e32 vcc, v27, v32
	v_cndmask_b32_e32 v25, 33, v25, vcc
	v_alignbit_b32 v8, v9, v8, 30
	v_xor_b32_e32 v12, v12, v32
	v_sub_u32_e32 v26, 32, v25
	v_xor_b32_e32 v8, v8, v32
	v_alignbit_b32 v27, v33, v12, v26
	v_alignbit_b32 v8, v12, v8, v26
	;; [unrolled: 1-line block ×3, first 2 shown]
	v_ffbh_u32_e32 v12, v9
	v_min_u32_e32 v12, 32, v12
	v_lshrrev_b32_e32 v30, 29, v11
	v_sub_u32_e32 v26, 31, v12
	v_alignbit_b32 v8, v9, v8, v26
	v_lshlrev_b32_e32 v9, 31, v30
	v_or_b32_e32 v26, 0x33800000, v9
	v_add_lshl_u32 v12, v12, v25, 23
	v_lshrrev_b32_e32 v8, 9, v8
	v_sub_u32_e32 v12, v26, v12
	v_or_b32_e32 v8, v12, v8
	v_alignbit_b32 v12, v25, v27, 9
	v_or_b32_e32 v9, v12, v9
	v_xor_b32_e32 v9, 1.0, v9
	v_mul_f32_e32 v12, 0x3fc90fda, v9
	v_fma_f32 v25, v9, s39, -v12
	v_fmac_f32_e32 v25, 0x33a22168, v9
	v_fmac_f32_e32 v25, 0x3fc90fda, v8
	v_lshrrev_b32_e32 v8, 30, v11
	v_add_f32_e32 v9, v12, v25
	v_add_u32_e32 v8, v31, v8
	s_andn2_saveexec_b64 s[0:1], s[18:19]
	s_branch .LBB139_320
.LBB139_319:                            ;   in Loop: Header=BB139_201 Depth=1
	s_andn2_saveexec_b64 s[0:1], s[18:19]
.LBB139_320:                            ;   in Loop: Header=BB139_201 Depth=1
	v_mul_f32_e64 v8, |v1|, s40
	v_rndne_f32_e32 v11, v8
	v_cvt_i32_f32_e32 v8, v11
	v_fma_f32 v9, v11, s41, |v1|
	v_fmac_f32_e32 v9, 0xb3a22168, v11
	v_fmac_f32_e32 v9, 0xa7c234c4, v11
; %bb.321:                              ;   in Loop: Header=BB139_201 Depth=1
	s_or_b64 exec, exec, s[0:1]
                                        ; implicit-def: $vgpr11
                                        ; implicit-def: $vgpr12
	s_and_saveexec_b64 s[0:1], s[14:15]
	s_xor_b64 s[14:15], exec, s[0:1]
	s_cbranch_execz .LBB139_323
; %bb.322:                              ;   in Loop: Header=BB139_201 Depth=1
	v_lshrrev_b32_e32 v11, 23, v10
	v_add_u32_e32 v11, 0xffffff88, v11
	v_cmp_lt_u32_e32 vcc, 63, v11
	v_cndmask_b32_e32 v12, 0, v21, vcc
	v_add_u32_e32 v11, v12, v11
	v_cmp_lt_u32_e64 s[0:1], 31, v11
	v_cndmask_b32_e64 v12, 0, v22, s[0:1]
	v_add_u32_e32 v11, v12, v11
	v_cmp_lt_u32_e64 s[2:3], 31, v11
	v_cndmask_b32_e64 v12, 0, v22, s[2:3]
	v_add_u32_e32 v11, v12, v11
	v_and_b32_e32 v12, 0x7fffff, v10
	v_or_b32_e32 v25, 0x800000, v12
	v_mad_u64_u32 v[26:27], s[4:5], v25, s31, 0
	v_mov_b32_e32 v12, v27
	v_mad_u64_u32 v[28:29], s[4:5], v25, s33, v[12:13]
	v_mov_b32_e32 v12, v29
	;; [unrolled: 2-line block ×6, first 2 shown]
	v_mad_u64_u32 v[38:39], s[4:5], v25, s38, v[12:13]
	v_cndmask_b32_e32 v27, v36, v32, vcc
	v_cndmask_b32_e32 v12, v38, v34, vcc
	;; [unrolled: 1-line block ×3, first 2 shown]
	v_cndmask_b32_e64 v25, v12, v27, s[0:1]
	v_cndmask_b32_e64 v12, v29, v12, s[0:1]
	v_cndmask_b32_e32 v29, v34, v30, vcc
	v_cndmask_b32_e64 v27, v27, v29, s[0:1]
	v_cndmask_b32_e64 v12, v12, v25, s[2:3]
	;; [unrolled: 1-line block ×3, first 2 shown]
	v_sub_u32_e32 v31, 32, v11
	v_alignbit_b32 v33, v12, v25, v31
	v_cmp_eq_u32_e64 s[4:5], 0, v11
	v_cndmask_b32_e64 v11, v33, v12, s[4:5]
	v_cndmask_b32_e32 v12, v32, v28, vcc
	v_cndmask_b32_e64 v28, v29, v12, s[0:1]
	v_cndmask_b32_e64 v27, v27, v28, s[2:3]
	v_alignbit_b32 v29, v25, v27, v31
	v_cndmask_b32_e32 v26, v30, v26, vcc
	v_cndmask_b32_e64 v25, v29, v25, s[4:5]
	v_bfe_u32 v33, v11, 29, 1
	v_cndmask_b32_e64 v12, v12, v26, s[0:1]
	v_alignbit_b32 v29, v11, v25, 30
	v_sub_u32_e32 v34, 0, v33
	v_cndmask_b32_e64 v12, v28, v12, s[2:3]
	v_xor_b32_e32 v35, v29, v34
	v_alignbit_b32 v26, v27, v12, v31
	v_cndmask_b32_e64 v26, v26, v27, s[4:5]
	v_ffbh_u32_e32 v27, v35
	v_add_u32_e32 v27, 1, v27
	v_cmp_ne_u32_e32 vcc, v29, v34
	v_alignbit_b32 v25, v25, v26, 30
	v_cndmask_b32_e32 v27, 33, v27, vcc
	v_alignbit_b32 v12, v26, v12, 30
	v_xor_b32_e32 v25, v25, v34
	v_sub_u32_e32 v28, 32, v27
	v_xor_b32_e32 v12, v12, v34
	v_alignbit_b32 v29, v35, v25, v28
	v_alignbit_b32 v12, v25, v12, v28
	;; [unrolled: 1-line block ×3, first 2 shown]
	v_ffbh_u32_e32 v26, v25
	v_min_u32_e32 v26, 32, v26
	v_lshrrev_b32_e32 v32, 29, v11
	v_sub_u32_e32 v28, 31, v26
	v_alignbit_b32 v12, v25, v12, v28
	v_lshlrev_b32_e32 v25, 31, v32
	v_or_b32_e32 v28, 0x33800000, v25
	v_add_lshl_u32 v26, v26, v27, 23
	v_lshrrev_b32_e32 v12, 9, v12
	v_sub_u32_e32 v26, v28, v26
	v_or_b32_e32 v12, v26, v12
	v_alignbit_b32 v26, v27, v29, 9
	v_or_b32_e32 v25, v26, v25
	v_xor_b32_e32 v25, 1.0, v25
	v_mul_f32_e32 v26, 0x3fc90fda, v25
	v_fma_f32 v27, v25, s39, -v26
	v_fmac_f32_e32 v27, 0x33a22168, v25
	v_fmac_f32_e32 v27, 0x3fc90fda, v12
	v_lshrrev_b32_e32 v11, 30, v11
	v_add_f32_e32 v12, v26, v27
	v_add_u32_e32 v11, v33, v11
	s_andn2_saveexec_b64 s[0:1], s[14:15]
	s_cbranch_execnz .LBB139_324
	s_branch .LBB139_325
.LBB139_323:                            ;   in Loop: Header=BB139_201 Depth=1
	s_andn2_saveexec_b64 s[0:1], s[14:15]
.LBB139_324:                            ;   in Loop: Header=BB139_201 Depth=1
	v_mul_f32_e64 v11, |v1|, s40
	v_rndne_f32_e32 v25, v11
	v_cvt_i32_f32_e32 v11, v25
	v_fma_f32 v12, v25, s41, |v1|
	v_fmac_f32_e32 v12, 0xb3a22168, v25
	v_fmac_f32_e32 v12, 0xa7c234c4, v25
.LBB139_325:                            ;   in Loop: Header=BB139_201 Depth=1
	s_or_b64 exec, exec, s[0:1]
	v_mul_f32_e32 v25, v9, v9
	v_mov_b32_e32 v26, 0x3c0881c4
	v_fmac_f32_e32 v26, 0xb94c1982, v25
	v_fma_f32 v26, v25, v26, v18
	v_mul_f32_e32 v26, v25, v26
	v_fmac_f32_e32 v9, v9, v26
	v_mov_b32_e32 v26, 0xbab64f3b
	v_fmac_f32_e32 v26, 0x37d75334, v25
	v_fma_f32 v26, v25, v26, v19
	v_fma_f32 v26, v25, v26, v20
	v_fma_f32 v25, v25, v26, 1.0
	v_and_b32_e32 v26, 1, v8
	v_cmp_eq_u32_e32 vcc, 0, v26
	v_lshlrev_b32_e32 v8, 30, v8
	v_cndmask_b32_e64 v9, -v9, v25, vcc
	v_and_b32_e32 v8, 0x80000000, v8
	v_xor_b32_e32 v8, v8, v9
	v_mul_f32_e32 v9, v12, v12
	v_mov_b32_e32 v25, 0x3c0881c4
	v_fmac_f32_e32 v25, 0xb94c1982, v9
	v_fma_f32 v25, v9, v25, v18
	v_mul_f32_e32 v25, v9, v25
	v_fmac_f32_e32 v12, v12, v25
	v_mov_b32_e32 v25, 0xbab64f3b
	v_fmac_f32_e32 v25, 0x37d75334, v9
	v_fma_f32 v25, v9, v25, v19
	v_fma_f32 v25, v9, v25, v20
	v_fma_f32 v9, v9, v25, 1.0
	v_and_b32_e32 v25, 1, v11
	v_cmp_eq_u32_e64 s[0:1], 0, v25
	v_lshlrev_b32_e32 v11, 30, v11
	v_cndmask_b32_e64 v9, v9, v12, s[0:1]
	v_and_or_b32 v10, v11, s45, v10
	v_xor_b32_e32 v9, v10, v9
	v_cmp_class_f32_e64 vcc, v1, s46
	v_xor_b32_e32 v1, v9, v1
	v_cndmask_b32_e32 v8, v24, v8, vcc
	v_cndmask_b32_e32 v9, v24, v1, vcc
.LBB139_326:                            ;   in Loop: Header=BB139_201 Depth=1
	s_or_b64 exec, exec, s[12:13]
.LBB139_327:                            ;   in Loop: Header=BB139_201 Depth=1
	s_andn2_saveexec_b64 s[0:1], s[10:11]
	s_cbranch_execz .LBB139_329
; %bb.328:                              ;   in Loop: Header=BB139_201 Depth=1
	v_mul_f32_e32 v8, 0x3fb8aa3b, v0
	v_rndne_f32_e32 v9, v8
	v_sub_f32_e32 v10, v8, v9
	v_fma_f32 v8, v0, s42, -v8
	v_fmac_f32_e32 v8, 0x32a5705f, v0
	v_add_f32_e32 v8, v10, v8
	v_cvt_i32_f32_e32 v9, v9
	v_exp_f32_e32 v8, v8
	v_cmp_ngt_f32_e32 vcc, s43, v0
	v_ldexp_f32 v8, v8, v9
	v_cndmask_b32_e32 v8, 0, v8, vcc
	v_cmp_nlt_f32_e32 vcc, s44, v0
	v_cndmask_b32_e32 v8, v23, v8, vcc
	v_mov_b32_e32 v9, v1
.LBB139_329:                            ;   in Loop: Header=BB139_201 Depth=1
	s_or_b64 exec, exec, s[0:1]
	v_and_b32_e32 v0, 0x7fffffff, v3
	v_cmp_ne_u32_e32 vcc, 0, v0
	s_and_saveexec_b64 s[0:1], vcc
	s_xor_b64 s[10:11], exec, s[0:1]
	s_cbranch_execz .LBB139_371
; %bb.330:                              ;   in Loop: Header=BB139_201 Depth=1
	v_and_b32_e32 v1, 0x7fffffff, v2
	v_cmp_ne_u32_e32 vcc, 0, v1
	s_and_saveexec_b64 s[0:1], vcc
	s_xor_b64 s[12:13], exec, s[0:1]
	s_cbranch_execz .LBB139_360
; %bb.331:                              ;   in Loop: Header=BB139_201 Depth=1
	v_cmp_gt_u32_e32 vcc, s28, v0
	s_and_saveexec_b64 s[0:1], vcc
	s_xor_b64 s[14:15], exec, s[0:1]
	s_cbranch_execz .LBB139_353
; %bb.332:                              ;   in Loop: Header=BB139_201 Depth=1
	v_add_u32_e32 v1, 0xbd4e8de8, v2
	v_cmp_lt_u32_e32 vcc, s29, v1
	s_and_saveexec_b64 s[0:1], vcc
	s_xor_b64 s[18:19], exec, s[0:1]
	s_cbranch_execz .LBB139_342
; %bb.333:                              ;   in Loop: Header=BB139_201 Depth=1
	v_cmp_nlt_f32_e64 s[20:21], |v3|, s30
                                        ; implicit-def: $vgpr1
                                        ; implicit-def: $vgpr10
	s_and_saveexec_b64 s[0:1], s[20:21]
	s_xor_b64 s[22:23], exec, s[0:1]
	s_cbranch_execz .LBB139_335
; %bb.334:                              ;   in Loop: Header=BB139_201 Depth=1
	v_lshrrev_b32_e32 v1, 23, v0
	v_add_u32_e32 v1, 0xffffff88, v1
	v_cmp_lt_u32_e32 vcc, 63, v1
	v_cndmask_b32_e32 v10, 0, v21, vcc
	v_add_u32_e32 v1, v10, v1
	v_cmp_lt_u32_e64 s[0:1], 31, v1
	v_cndmask_b32_e64 v10, 0, v22, s[0:1]
	v_add_u32_e32 v1, v10, v1
	v_cmp_lt_u32_e64 s[2:3], 31, v1
	v_cndmask_b32_e64 v10, 0, v22, s[2:3]
	v_add_u32_e32 v1, v10, v1
	v_and_b32_e32 v10, 0x7fffff, v0
	v_or_b32_e32 v25, 0x800000, v10
	v_mad_u64_u32 v[10:11], s[4:5], v25, s31, 0
	v_mov_b32_e32 v12, v11
	v_mad_u64_u32 v[26:27], s[4:5], v25, s33, v[12:13]
	v_mov_b32_e32 v12, v27
	;; [unrolled: 2-line block ×6, first 2 shown]
	v_mad_u64_u32 v[36:37], s[4:5], v25, s38, v[12:13]
	v_cndmask_b32_e32 v11, v34, v30, vcc
	v_cndmask_b32_e32 v12, v36, v32, vcc
	;; [unrolled: 1-line block ×3, first 2 shown]
	v_cndmask_b32_e64 v25, v12, v11, s[0:1]
	v_cndmask_b32_e64 v12, v27, v12, s[0:1]
	v_cndmask_b32_e32 v27, v32, v28, vcc
	v_cndmask_b32_e64 v11, v11, v27, s[0:1]
	v_cndmask_b32_e64 v12, v12, v25, s[2:3]
	;; [unrolled: 1-line block ×3, first 2 shown]
	v_sub_u32_e32 v29, 32, v1
	v_alignbit_b32 v31, v12, v25, v29
	v_cmp_eq_u32_e64 s[4:5], 0, v1
	v_cndmask_b32_e64 v1, v31, v12, s[4:5]
	v_cndmask_b32_e32 v12, v30, v26, vcc
	v_cndmask_b32_e64 v26, v27, v12, s[0:1]
	v_cndmask_b32_e64 v11, v11, v26, s[2:3]
	v_cndmask_b32_e32 v10, v28, v10, vcc
	v_alignbit_b32 v27, v25, v11, v29
	v_cndmask_b32_e64 v10, v12, v10, s[0:1]
	v_cndmask_b32_e64 v25, v27, v25, s[4:5]
	v_bfe_u32 v31, v1, 29, 1
	v_cndmask_b32_e64 v10, v26, v10, s[2:3]
	v_alignbit_b32 v27, v1, v25, 30
	v_sub_u32_e32 v32, 0, v31
	v_alignbit_b32 v12, v11, v10, v29
	v_xor_b32_e32 v33, v27, v32
	v_cndmask_b32_e64 v11, v12, v11, s[4:5]
	v_alignbit_b32 v12, v25, v11, 30
	v_ffbh_u32_e32 v25, v33
	v_add_u32_e32 v25, 1, v25
	v_cmp_ne_u32_e32 vcc, v27, v32
	v_cndmask_b32_e32 v25, 33, v25, vcc
	v_alignbit_b32 v10, v11, v10, 30
	v_xor_b32_e32 v12, v12, v32
	v_sub_u32_e32 v26, 32, v25
	v_xor_b32_e32 v10, v10, v32
	v_alignbit_b32 v27, v33, v12, v26
	v_alignbit_b32 v10, v12, v10, v26
	v_alignbit_b32 v11, v27, v10, 9
	v_ffbh_u32_e32 v12, v11
	v_min_u32_e32 v12, 32, v12
	v_lshrrev_b32_e32 v30, 29, v1
	v_sub_u32_e32 v26, 31, v12
	v_alignbit_b32 v10, v11, v10, v26
	v_lshlrev_b32_e32 v11, 31, v30
	v_or_b32_e32 v26, 0x33800000, v11
	v_add_lshl_u32 v12, v12, v25, 23
	v_lshrrev_b32_e32 v10, 9, v10
	v_sub_u32_e32 v12, v26, v12
	v_or_b32_e32 v10, v12, v10
	v_alignbit_b32 v12, v25, v27, 9
	v_or_b32_e32 v11, v12, v11
	v_xor_b32_e32 v11, 1.0, v11
	v_mul_f32_e32 v12, 0x3fc90fda, v11
	v_fma_f32 v25, v11, s39, -v12
	v_fmac_f32_e32 v25, 0x33a22168, v11
	v_fmac_f32_e32 v25, 0x3fc90fda, v10
	v_lshrrev_b32_e32 v1, 30, v1
	v_add_f32_e32 v10, v12, v25
	v_add_u32_e32 v1, v31, v1
	s_andn2_saveexec_b64 s[0:1], s[22:23]
	s_branch .LBB139_336
.LBB139_335:                            ;   in Loop: Header=BB139_201 Depth=1
	s_andn2_saveexec_b64 s[0:1], s[22:23]
.LBB139_336:                            ;   in Loop: Header=BB139_201 Depth=1
	v_mul_f32_e64 v1, |v3|, s40
	v_rndne_f32_e32 v11, v1
	v_cvt_i32_f32_e32 v1, v11
	v_fma_f32 v10, v11, s41, |v3|
	v_fmac_f32_e32 v10, 0xb3a22168, v11
	v_fmac_f32_e32 v10, 0xa7c234c4, v11
; %bb.337:                              ;   in Loop: Header=BB139_201 Depth=1
	s_or_b64 exec, exec, s[0:1]
                                        ; implicit-def: $vgpr11
                                        ; implicit-def: $vgpr12
	s_and_saveexec_b64 s[0:1], s[20:21]
	s_xor_b64 s[20:21], exec, s[0:1]
	s_cbranch_execz .LBB139_339
; %bb.338:                              ;   in Loop: Header=BB139_201 Depth=1
	v_lshrrev_b32_e32 v11, 23, v0
	v_add_u32_e32 v11, 0xffffff88, v11
	v_cmp_lt_u32_e32 vcc, 63, v11
	v_cndmask_b32_e32 v12, 0, v21, vcc
	v_add_u32_e32 v11, v12, v11
	v_cmp_lt_u32_e64 s[0:1], 31, v11
	v_cndmask_b32_e64 v12, 0, v22, s[0:1]
	v_add_u32_e32 v11, v12, v11
	v_cmp_lt_u32_e64 s[2:3], 31, v11
	v_cndmask_b32_e64 v12, 0, v22, s[2:3]
	v_add_u32_e32 v11, v12, v11
	v_and_b32_e32 v12, 0x7fffff, v0
	v_or_b32_e32 v25, 0x800000, v12
	v_mad_u64_u32 v[26:27], s[4:5], v25, s31, 0
	v_mov_b32_e32 v12, v27
	v_mad_u64_u32 v[28:29], s[4:5], v25, s33, v[12:13]
	v_mov_b32_e32 v12, v29
	;; [unrolled: 2-line block ×6, first 2 shown]
	v_mad_u64_u32 v[38:39], s[4:5], v25, s38, v[12:13]
	v_cndmask_b32_e32 v27, v36, v32, vcc
	v_cndmask_b32_e32 v12, v38, v34, vcc
	;; [unrolled: 1-line block ×3, first 2 shown]
	v_cndmask_b32_e64 v25, v12, v27, s[0:1]
	v_cndmask_b32_e64 v12, v29, v12, s[0:1]
	v_cndmask_b32_e32 v29, v34, v30, vcc
	v_cndmask_b32_e64 v27, v27, v29, s[0:1]
	v_cndmask_b32_e64 v12, v12, v25, s[2:3]
	;; [unrolled: 1-line block ×3, first 2 shown]
	v_sub_u32_e32 v31, 32, v11
	v_alignbit_b32 v33, v12, v25, v31
	v_cmp_eq_u32_e64 s[4:5], 0, v11
	v_cndmask_b32_e64 v11, v33, v12, s[4:5]
	v_cndmask_b32_e32 v12, v32, v28, vcc
	v_cndmask_b32_e64 v28, v29, v12, s[0:1]
	v_cndmask_b32_e64 v27, v27, v28, s[2:3]
	v_alignbit_b32 v29, v25, v27, v31
	v_cndmask_b32_e32 v26, v30, v26, vcc
	v_cndmask_b32_e64 v25, v29, v25, s[4:5]
	v_bfe_u32 v33, v11, 29, 1
	v_cndmask_b32_e64 v12, v12, v26, s[0:1]
	v_alignbit_b32 v29, v11, v25, 30
	v_sub_u32_e32 v34, 0, v33
	v_cndmask_b32_e64 v12, v28, v12, s[2:3]
	v_xor_b32_e32 v35, v29, v34
	v_alignbit_b32 v26, v27, v12, v31
	v_cndmask_b32_e64 v26, v26, v27, s[4:5]
	v_ffbh_u32_e32 v27, v35
	v_add_u32_e32 v27, 1, v27
	v_cmp_ne_u32_e32 vcc, v29, v34
	v_alignbit_b32 v25, v25, v26, 30
	v_cndmask_b32_e32 v27, 33, v27, vcc
	v_alignbit_b32 v12, v26, v12, 30
	v_xor_b32_e32 v25, v25, v34
	v_sub_u32_e32 v28, 32, v27
	v_xor_b32_e32 v12, v12, v34
	v_alignbit_b32 v29, v35, v25, v28
	v_alignbit_b32 v12, v25, v12, v28
	;; [unrolled: 1-line block ×3, first 2 shown]
	v_ffbh_u32_e32 v26, v25
	v_min_u32_e32 v26, 32, v26
	v_lshrrev_b32_e32 v32, 29, v11
	v_sub_u32_e32 v28, 31, v26
	v_alignbit_b32 v12, v25, v12, v28
	v_lshlrev_b32_e32 v25, 31, v32
	v_or_b32_e32 v28, 0x33800000, v25
	v_add_lshl_u32 v26, v26, v27, 23
	v_lshrrev_b32_e32 v12, 9, v12
	v_sub_u32_e32 v26, v28, v26
	v_or_b32_e32 v12, v26, v12
	v_alignbit_b32 v26, v27, v29, 9
	v_or_b32_e32 v25, v26, v25
	v_xor_b32_e32 v25, 1.0, v25
	v_mul_f32_e32 v26, 0x3fc90fda, v25
	v_fma_f32 v27, v25, s39, -v26
	v_fmac_f32_e32 v27, 0x33a22168, v25
	v_fmac_f32_e32 v27, 0x3fc90fda, v12
	v_lshrrev_b32_e32 v11, 30, v11
	v_add_f32_e32 v12, v26, v27
	v_add_u32_e32 v11, v33, v11
	s_andn2_saveexec_b64 s[0:1], s[20:21]
	s_cbranch_execnz .LBB139_340
	s_branch .LBB139_341
.LBB139_339:                            ;   in Loop: Header=BB139_201 Depth=1
	s_andn2_saveexec_b64 s[0:1], s[20:21]
.LBB139_340:                            ;   in Loop: Header=BB139_201 Depth=1
	v_mul_f32_e64 v11, |v3|, s40
	v_rndne_f32_e32 v25, v11
	v_cvt_i32_f32_e32 v11, v25
	v_fma_f32 v12, v25, s41, |v3|
	v_fmac_f32_e32 v12, 0xb3a22168, v25
	v_fmac_f32_e32 v12, 0xa7c234c4, v25
.LBB139_341:                            ;   in Loop: Header=BB139_201 Depth=1
	s_or_b64 exec, exec, s[0:1]
	v_mul_f32_e32 v25, 0x3fb8aa3b, v2
	v_rndne_f32_e32 v26, v25
	v_sub_f32_e32 v27, v25, v26
	v_fma_f32 v25, v2, s42, -v25
	v_fmac_f32_e32 v25, 0x32a5705f, v2
	v_add_f32_e32 v25, v27, v25
	v_cvt_i32_f32_e32 v26, v26
	v_exp_f32_e32 v25, v25
	v_cmp_ngt_f32_e32 vcc, s43, v2
	v_ldexp_f32 v25, v25, v26
	v_cndmask_b32_e32 v25, 0, v25, vcc
	v_cmp_nlt_f32_e32 vcc, s44, v2
	v_cndmask_b32_e32 v2, v23, v25, vcc
	v_mul_f32_e32 v25, v10, v10
	v_mov_b32_e32 v26, 0x3c0881c4
	v_fmac_f32_e32 v26, 0xb94c1982, v25
	v_fma_f32 v26, v25, v26, v18
	v_mul_f32_e32 v26, v25, v26
	v_fmac_f32_e32 v10, v10, v26
	v_mov_b32_e32 v26, 0xbab64f3b
	v_fmac_f32_e32 v26, 0x37d75334, v25
	v_fma_f32 v26, v25, v26, v19
	v_fma_f32 v26, v25, v26, v20
	v_fma_f32 v25, v25, v26, 1.0
	v_and_b32_e32 v26, 1, v1
	v_cmp_eq_u32_e32 vcc, 0, v26
	v_lshlrev_b32_e32 v1, 30, v1
	v_cndmask_b32_e64 v10, -v10, v25, vcc
	v_and_b32_e32 v1, 0x80000000, v1
	v_xor_b32_e32 v1, v1, v10
	v_cmp_class_f32_e64 vcc, v3, s46
	v_cndmask_b32_e32 v1, v24, v1, vcc
	v_mul_f32_e32 v10, v2, v1
	v_mul_f32_e32 v1, v12, v12
	v_mov_b32_e32 v25, 0x3c0881c4
	v_fmac_f32_e32 v25, 0xb94c1982, v1
	v_fma_f32 v25, v1, v25, v18
	v_mul_f32_e32 v25, v1, v25
	v_fmac_f32_e32 v12, v12, v25
	v_mov_b32_e32 v25, 0xbab64f3b
	v_fmac_f32_e32 v25, 0x37d75334, v1
	v_fma_f32 v25, v1, v25, v19
	v_fma_f32 v25, v1, v25, v20
	v_fma_f32 v1, v1, v25, 1.0
	v_and_b32_e32 v25, 1, v11
	v_cmp_eq_u32_e64 s[0:1], 0, v25
	v_lshlrev_b32_e32 v11, 30, v11
	v_cndmask_b32_e64 v1, v1, v12, s[0:1]
	v_and_or_b32 v0, v11, s45, v0
	v_xor_b32_e32 v0, v0, v1
	v_xor_b32_e32 v0, v0, v3
	v_cndmask_b32_e32 v0, v24, v0, vcc
	v_mul_f32_e32 v11, v2, v0
                                        ; implicit-def: $vgpr0_vgpr1_vgpr2_vgpr3
                                        ; implicit-def: $vgpr0
.LBB139_342:                            ;   in Loop: Header=BB139_201 Depth=1
	s_andn2_saveexec_b64 s[18:19], s[18:19]
	s_cbranch_execz .LBB139_352
; %bb.343:                              ;   in Loop: Header=BB139_201 Depth=1
	v_cmp_nlt_f32_e64 s[20:21], |v3|, s30
                                        ; implicit-def: $vgpr10
                                        ; implicit-def: $vgpr1
	s_and_saveexec_b64 s[0:1], s[20:21]
	s_xor_b64 s[22:23], exec, s[0:1]
	s_cbranch_execz .LBB139_345
; %bb.344:                              ;   in Loop: Header=BB139_201 Depth=1
	v_lshrrev_b32_e32 v1, 23, v0
	v_add_u32_e32 v1, 0xffffff88, v1
	v_cmp_lt_u32_e32 vcc, 63, v1
	v_cndmask_b32_e32 v10, 0, v21, vcc
	v_add_u32_e32 v1, v10, v1
	v_cmp_lt_u32_e64 s[0:1], 31, v1
	v_cndmask_b32_e64 v10, 0, v22, s[0:1]
	v_add_u32_e32 v1, v10, v1
	v_cmp_lt_u32_e64 s[2:3], 31, v1
	v_cndmask_b32_e64 v10, 0, v22, s[2:3]
	v_add_u32_e32 v1, v10, v1
	v_and_b32_e32 v10, 0x7fffff, v0
	v_or_b32_e32 v25, 0x800000, v10
	v_mad_u64_u32 v[10:11], s[4:5], v25, s31, 0
	v_mov_b32_e32 v12, v11
	v_mad_u64_u32 v[26:27], s[4:5], v25, s33, v[12:13]
	v_mov_b32_e32 v12, v27
	;; [unrolled: 2-line block ×6, first 2 shown]
	v_mad_u64_u32 v[36:37], s[4:5], v25, s38, v[12:13]
	v_cndmask_b32_e32 v11, v34, v30, vcc
	v_cndmask_b32_e32 v12, v36, v32, vcc
	;; [unrolled: 1-line block ×3, first 2 shown]
	v_cndmask_b32_e64 v25, v12, v11, s[0:1]
	v_cndmask_b32_e64 v12, v27, v12, s[0:1]
	v_cndmask_b32_e32 v27, v32, v28, vcc
	v_cndmask_b32_e64 v11, v11, v27, s[0:1]
	v_sub_u32_e32 v29, 32, v1
	v_cmp_eq_u32_e64 s[4:5], 0, v1
	v_cndmask_b32_e32 v1, v30, v26, vcc
	v_cndmask_b32_e64 v12, v12, v25, s[2:3]
	v_cndmask_b32_e64 v25, v25, v11, s[2:3]
	;; [unrolled: 1-line block ×3, first 2 shown]
	v_alignbit_b32 v31, v12, v25, v29
	v_cndmask_b32_e64 v11, v11, v26, s[2:3]
	v_cndmask_b32_e32 v10, v28, v10, vcc
	v_cndmask_b32_e64 v12, v31, v12, s[4:5]
	v_alignbit_b32 v27, v25, v11, v29
	v_cndmask_b32_e64 v1, v1, v10, s[0:1]
	v_cndmask_b32_e64 v25, v27, v25, s[4:5]
	v_bfe_u32 v31, v12, 29, 1
	v_cndmask_b32_e64 v1, v26, v1, s[2:3]
	v_alignbit_b32 v27, v12, v25, 30
	v_sub_u32_e32 v32, 0, v31
	v_alignbit_b32 v10, v11, v1, v29
	v_xor_b32_e32 v33, v27, v32
	v_cndmask_b32_e64 v10, v10, v11, s[4:5]
	v_alignbit_b32 v11, v25, v10, 30
	v_ffbh_u32_e32 v25, v33
	v_add_u32_e32 v25, 1, v25
	v_cmp_ne_u32_e32 vcc, v27, v32
	v_cndmask_b32_e32 v25, 33, v25, vcc
	v_alignbit_b32 v1, v10, v1, 30
	v_xor_b32_e32 v11, v11, v32
	v_sub_u32_e32 v26, 32, v25
	v_xor_b32_e32 v1, v1, v32
	v_alignbit_b32 v27, v33, v11, v26
	v_alignbit_b32 v1, v11, v1, v26
	;; [unrolled: 1-line block ×3, first 2 shown]
	v_ffbh_u32_e32 v11, v10
	v_min_u32_e32 v11, 32, v11
	v_lshrrev_b32_e32 v30, 29, v12
	v_sub_u32_e32 v26, 31, v11
	v_alignbit_b32 v1, v10, v1, v26
	v_lshlrev_b32_e32 v10, 31, v30
	v_or_b32_e32 v26, 0x33800000, v10
	v_add_lshl_u32 v11, v11, v25, 23
	v_lshrrev_b32_e32 v1, 9, v1
	v_sub_u32_e32 v11, v26, v11
	v_or_b32_e32 v1, v11, v1
	v_alignbit_b32 v11, v25, v27, 9
	v_or_b32_e32 v10, v11, v10
	v_xor_b32_e32 v10, 1.0, v10
	v_mul_f32_e32 v11, 0x3fc90fda, v10
	v_fma_f32 v25, v10, s39, -v11
	v_fmac_f32_e32 v25, 0x33a22168, v10
	v_fmac_f32_e32 v25, 0x3fc90fda, v1
	v_lshrrev_b32_e32 v10, 30, v12
	v_add_f32_e32 v1, v11, v25
	v_add_u32_e32 v10, v31, v10
	s_andn2_saveexec_b64 s[0:1], s[22:23]
	s_branch .LBB139_346
.LBB139_345:                            ;   in Loop: Header=BB139_201 Depth=1
	s_andn2_saveexec_b64 s[0:1], s[22:23]
.LBB139_346:                            ;   in Loop: Header=BB139_201 Depth=1
	v_mul_f32_e64 v1, |v3|, s40
	v_rndne_f32_e32 v11, v1
	v_cvt_i32_f32_e32 v10, v11
	v_fma_f32 v1, v11, s41, |v3|
	v_fmac_f32_e32 v1, 0xb3a22168, v11
	v_fmac_f32_e32 v1, 0xa7c234c4, v11
; %bb.347:                              ;   in Loop: Header=BB139_201 Depth=1
	s_or_b64 exec, exec, s[0:1]
                                        ; implicit-def: $vgpr11
                                        ; implicit-def: $vgpr12
	s_and_saveexec_b64 s[0:1], s[20:21]
	s_xor_b64 s[20:21], exec, s[0:1]
	s_cbranch_execz .LBB139_349
; %bb.348:                              ;   in Loop: Header=BB139_201 Depth=1
	v_lshrrev_b32_e32 v11, 23, v0
	v_add_u32_e32 v11, 0xffffff88, v11
	v_cmp_lt_u32_e32 vcc, 63, v11
	v_cndmask_b32_e32 v12, 0, v21, vcc
	v_add_u32_e32 v11, v12, v11
	v_cmp_lt_u32_e64 s[0:1], 31, v11
	v_cndmask_b32_e64 v12, 0, v22, s[0:1]
	v_add_u32_e32 v11, v12, v11
	v_cmp_lt_u32_e64 s[2:3], 31, v11
	v_cndmask_b32_e64 v12, 0, v22, s[2:3]
	v_add_u32_e32 v11, v12, v11
	v_and_b32_e32 v12, 0x7fffff, v0
	v_or_b32_e32 v25, 0x800000, v12
	v_mad_u64_u32 v[26:27], s[4:5], v25, s31, 0
	v_mov_b32_e32 v12, v27
	v_mad_u64_u32 v[28:29], s[4:5], v25, s33, v[12:13]
	v_mov_b32_e32 v12, v29
	;; [unrolled: 2-line block ×6, first 2 shown]
	v_mad_u64_u32 v[38:39], s[4:5], v25, s38, v[12:13]
	v_cndmask_b32_e32 v27, v36, v32, vcc
	v_cndmask_b32_e32 v12, v38, v34, vcc
	;; [unrolled: 1-line block ×3, first 2 shown]
	v_cndmask_b32_e64 v25, v12, v27, s[0:1]
	v_cndmask_b32_e64 v12, v29, v12, s[0:1]
	v_cndmask_b32_e32 v29, v34, v30, vcc
	v_cndmask_b32_e64 v27, v27, v29, s[0:1]
	v_cndmask_b32_e64 v12, v12, v25, s[2:3]
	;; [unrolled: 1-line block ×3, first 2 shown]
	v_sub_u32_e32 v31, 32, v11
	v_alignbit_b32 v33, v12, v25, v31
	v_cmp_eq_u32_e64 s[4:5], 0, v11
	v_cndmask_b32_e64 v11, v33, v12, s[4:5]
	v_cndmask_b32_e32 v12, v32, v28, vcc
	v_cndmask_b32_e64 v28, v29, v12, s[0:1]
	v_cndmask_b32_e64 v27, v27, v28, s[2:3]
	v_alignbit_b32 v29, v25, v27, v31
	v_cndmask_b32_e32 v26, v30, v26, vcc
	v_cndmask_b32_e64 v25, v29, v25, s[4:5]
	v_bfe_u32 v33, v11, 29, 1
	v_cndmask_b32_e64 v12, v12, v26, s[0:1]
	v_alignbit_b32 v29, v11, v25, 30
	v_sub_u32_e32 v34, 0, v33
	v_cndmask_b32_e64 v12, v28, v12, s[2:3]
	v_xor_b32_e32 v35, v29, v34
	v_alignbit_b32 v26, v27, v12, v31
	v_cndmask_b32_e64 v26, v26, v27, s[4:5]
	v_ffbh_u32_e32 v27, v35
	v_add_u32_e32 v27, 1, v27
	v_cmp_ne_u32_e32 vcc, v29, v34
	v_alignbit_b32 v25, v25, v26, 30
	v_cndmask_b32_e32 v27, 33, v27, vcc
	v_alignbit_b32 v12, v26, v12, 30
	v_xor_b32_e32 v25, v25, v34
	v_sub_u32_e32 v28, 32, v27
	v_xor_b32_e32 v12, v12, v34
	v_alignbit_b32 v29, v35, v25, v28
	v_alignbit_b32 v12, v25, v12, v28
	;; [unrolled: 1-line block ×3, first 2 shown]
	v_ffbh_u32_e32 v26, v25
	v_min_u32_e32 v26, 32, v26
	v_lshrrev_b32_e32 v32, 29, v11
	v_sub_u32_e32 v28, 31, v26
	v_alignbit_b32 v12, v25, v12, v28
	v_lshlrev_b32_e32 v25, 31, v32
	v_or_b32_e32 v28, 0x33800000, v25
	v_add_lshl_u32 v26, v26, v27, 23
	v_lshrrev_b32_e32 v12, 9, v12
	v_sub_u32_e32 v26, v28, v26
	v_or_b32_e32 v12, v26, v12
	v_alignbit_b32 v26, v27, v29, 9
	v_or_b32_e32 v25, v26, v25
	v_xor_b32_e32 v25, 1.0, v25
	v_mul_f32_e32 v26, 0x3fc90fda, v25
	v_fma_f32 v27, v25, s39, -v26
	v_fmac_f32_e32 v27, 0x33a22168, v25
	v_fmac_f32_e32 v27, 0x3fc90fda, v12
	v_lshrrev_b32_e32 v11, 30, v11
	v_add_f32_e32 v12, v26, v27
	v_add_u32_e32 v11, v33, v11
	s_andn2_saveexec_b64 s[0:1], s[20:21]
	s_cbranch_execnz .LBB139_350
	s_branch .LBB139_351
.LBB139_349:                            ;   in Loop: Header=BB139_201 Depth=1
	s_andn2_saveexec_b64 s[0:1], s[20:21]
.LBB139_350:                            ;   in Loop: Header=BB139_201 Depth=1
	v_mul_f32_e64 v11, |v3|, s40
	v_rndne_f32_e32 v25, v11
	v_cvt_i32_f32_e32 v11, v25
	v_fma_f32 v12, v25, s41, |v3|
	v_fmac_f32_e32 v12, 0xb3a22168, v25
	v_fmac_f32_e32 v12, 0xa7c234c4, v25
.LBB139_351:                            ;   in Loop: Header=BB139_201 Depth=1
	s_or_b64 exec, exec, s[0:1]
	v_mul_f32_e32 v26, v1, v1
	v_mov_b32_e32 v27, 0xbab64f3b
	v_fmac_f32_e32 v27, 0x37d75334, v26
	v_mov_b32_e32 v28, 0x3c0881c4
	v_fma_f32 v27, v26, v27, v19
	v_fmac_f32_e32 v28, 0xb94c1982, v26
	v_fma_f32 v27, v26, v27, v20
	v_fma_f32 v28, v26, v28, v18
	v_lshlrev_b32_e32 v25, 30, v10
	v_and_b32_e32 v10, 1, v10
	v_fma_f32 v27, v26, v27, 1.0
	v_mul_f32_e32 v26, v26, v28
	v_add_f32_e32 v2, 0xc322e3bc, v2
	v_fmac_f32_e32 v1, v1, v26
	v_cmp_eq_u32_e32 vcc, 0, v10
	v_mul_f32_e32 v10, 0x3fb8aa3b, v2
	v_cndmask_b32_e64 v1, -v1, v27, vcc
	v_fma_f32 v26, v2, s42, -v10
	v_rndne_f32_e32 v27, v10
	v_fmac_f32_e32 v26, 0x32a5705f, v2
	v_sub_f32_e32 v10, v10, v27
	v_add_f32_e32 v10, v10, v26
	v_exp_f32_e32 v10, v10
	v_cvt_i32_f32_e32 v26, v27
	v_cmp_ngt_f32_e64 s[0:1], s43, v2
	v_and_b32_e32 v25, 0x80000000, v25
	v_xor_b32_e32 v1, v25, v1
	v_ldexp_f32 v10, v10, v26
	v_cndmask_b32_e64 v10, 0, v10, s[0:1]
	v_cmp_nlt_f32_e64 s[0:1], s44, v2
	v_cndmask_b32_e64 v2, v23, v10, s[0:1]
	v_and_b32_e32 v10, 0x7fffff, v2
	v_lshrrev_b32_e32 v2, 23, v2
	v_subrev_u32_e32 v2, 19, v2
	v_or_b32_e32 v25, 0x7f000000, v10
	v_lshrrev_b16_e32 v10, 15, v2
	v_add_u16_e32 v10, v2, v10
	v_cmp_class_f32_e64 vcc, v3, s46
	v_ashrrev_i16_e32 v10, 1, v10
	v_cndmask_b32_e32 v1, v24, v1, vcc
	v_bfe_i32 v10, v10, 0, 16
	v_mul_f32_e32 v1, v1, v25
	v_lshl_add_u32 v26, v10, 23, 1.0
	v_sub_u32_e32 v2, v2, v10
	v_mul_f32_e32 v1, v1, v26
	v_lshl_add_u32 v2, v2, 23, 1.0
	v_mul_f32_e32 v10, v1, v2
	v_mul_f32_e32 v1, v12, v12
	v_mov_b32_e32 v27, 0x3c0881c4
	v_fmac_f32_e32 v27, 0xb94c1982, v1
	v_fma_f32 v27, v1, v27, v18
	v_mul_f32_e32 v27, v1, v27
	v_fmac_f32_e32 v12, v12, v27
	v_mov_b32_e32 v27, 0xbab64f3b
	v_fmac_f32_e32 v27, 0x37d75334, v1
	v_fma_f32 v27, v1, v27, v19
	v_fma_f32 v27, v1, v27, v20
	v_fma_f32 v1, v1, v27, 1.0
	v_and_b32_e32 v27, 1, v11
	v_cmp_eq_u32_e64 s[0:1], 0, v27
	v_lshlrev_b32_e32 v11, 30, v11
	v_cndmask_b32_e64 v1, v1, v12, s[0:1]
	v_and_or_b32 v0, v11, s45, v0
	v_xor_b32_e32 v0, v0, v1
	v_xor_b32_e32 v0, v0, v3
	v_cndmask_b32_e32 v0, v24, v0, vcc
	v_mul_f32_e32 v0, v0, v25
	v_mul_f32_e32 v0, v0, v26
	;; [unrolled: 1-line block ×3, first 2 shown]
.LBB139_352:                            ;   in Loop: Header=BB139_201 Depth=1
	s_or_b64 exec, exec, s[18:19]
                                        ; implicit-def: $vgpr0_vgpr1_vgpr2_vgpr3
                                        ; implicit-def: $vgpr1
.LBB139_353:                            ;   in Loop: Header=BB139_201 Depth=1
	s_andn2_saveexec_b64 s[0:1], s[14:15]
	s_cbranch_execz .LBB139_359
; %bb.354:                              ;   in Loop: Header=BB139_201 Depth=1
	v_cmp_ne_u32_e32 vcc, s28, v1
	v_sub_f32_e32 v11, v3, v3
	s_and_saveexec_b64 s[2:3], vcc
	s_xor_b64 s[2:3], exec, s[2:3]
; %bb.355:                              ;   in Loop: Header=BB139_201 Depth=1
                                        ; implicit-def: $vgpr0_vgpr1_vgpr2_vgpr3
; %bb.356:                              ;   in Loop: Header=BB139_201 Depth=1
	s_or_saveexec_b64 s[2:3], s[2:3]
	v_mov_b32_e32 v10, v11
	s_xor_b64 exec, exec, s[2:3]
; %bb.357:                              ;   in Loop: Header=BB139_201 Depth=1
	v_cmp_lt_i32_e32 vcc, -1, v2
	v_cndmask_b32_e32 v10, 0, v2, vcc
	v_cndmask_b32_e32 v11, 0, v11, vcc
; %bb.358:                              ;   in Loop: Header=BB139_201 Depth=1
	s_or_b64 exec, exec, s[2:3]
.LBB139_359:                            ;   in Loop: Header=BB139_201 Depth=1
	s_or_b64 exec, exec, s[0:1]
                                        ; implicit-def: $vgpr0_vgpr1_vgpr2_vgpr3
                                        ; implicit-def: $vgpr0
.LBB139_360:                            ;   in Loop: Header=BB139_201 Depth=1
	s_andn2_saveexec_b64 s[12:13], s[12:13]
	s_cbranch_execz .LBB139_370
; %bb.361:                              ;   in Loop: Header=BB139_201 Depth=1
	v_cmp_nlt_f32_e64 s[14:15], |v3|, s30
                                        ; implicit-def: $vgpr1
                                        ; implicit-def: $vgpr2
	s_and_saveexec_b64 s[0:1], s[14:15]
	s_xor_b64 s[18:19], exec, s[0:1]
	s_cbranch_execz .LBB139_363
; %bb.362:                              ;   in Loop: Header=BB139_201 Depth=1
	v_lshrrev_b32_e32 v1, 23, v0
	v_add_u32_e32 v1, 0xffffff88, v1
	v_cmp_lt_u32_e32 vcc, 63, v1
	v_cndmask_b32_e32 v2, 0, v21, vcc
	v_add_u32_e32 v1, v2, v1
	v_cmp_lt_u32_e64 s[0:1], 31, v1
	v_cndmask_b32_e64 v2, 0, v22, s[0:1]
	v_add_u32_e32 v1, v2, v1
	v_cmp_lt_u32_e64 s[2:3], 31, v1
	v_cndmask_b32_e64 v2, 0, v22, s[2:3]
	v_add_u32_e32 v1, v2, v1
	v_and_b32_e32 v2, 0x7fffff, v0
	v_or_b32_e32 v2, 0x800000, v2
	v_mad_u64_u32 v[10:11], s[4:5], v2, s31, 0
	v_mov_b32_e32 v12, v11
	v_mad_u64_u32 v[26:27], s[4:5], v2, s33, v[12:13]
	v_mov_b32_e32 v12, v27
	;; [unrolled: 2-line block ×6, first 2 shown]
	v_mad_u64_u32 v[36:37], s[4:5], v2, s38, v[12:13]
	v_cndmask_b32_e32 v11, v34, v30, vcc
	v_cndmask_b32_e32 v2, v36, v32, vcc
	;; [unrolled: 1-line block ×3, first 2 shown]
	v_cndmask_b32_e64 v12, v2, v11, s[0:1]
	v_cndmask_b32_e64 v2, v25, v2, s[0:1]
	v_cndmask_b32_e32 v25, v32, v28, vcc
	v_cndmask_b32_e64 v11, v11, v25, s[0:1]
	v_cndmask_b32_e64 v2, v2, v12, s[2:3]
	;; [unrolled: 1-line block ×3, first 2 shown]
	v_sub_u32_e32 v27, 32, v1
	v_alignbit_b32 v29, v2, v12, v27
	v_cmp_eq_u32_e64 s[4:5], 0, v1
	v_cndmask_b32_e64 v1, v29, v2, s[4:5]
	v_cndmask_b32_e32 v2, v30, v26, vcc
	v_cndmask_b32_e64 v25, v25, v2, s[0:1]
	v_cndmask_b32_e64 v11, v11, v25, s[2:3]
	v_cndmask_b32_e32 v10, v28, v10, vcc
	v_alignbit_b32 v26, v12, v11, v27
	v_cndmask_b32_e64 v2, v2, v10, s[0:1]
	v_cndmask_b32_e64 v12, v26, v12, s[4:5]
	v_bfe_u32 v30, v1, 29, 1
	v_cndmask_b32_e64 v2, v25, v2, s[2:3]
	v_alignbit_b32 v26, v1, v12, 30
	v_sub_u32_e32 v31, 0, v30
	v_alignbit_b32 v10, v11, v2, v27
	v_xor_b32_e32 v32, v26, v31
	v_cndmask_b32_e64 v10, v10, v11, s[4:5]
	v_alignbit_b32 v11, v12, v10, 30
	v_ffbh_u32_e32 v12, v32
	v_add_u32_e32 v12, 1, v12
	v_cmp_ne_u32_e32 vcc, v26, v31
	v_cndmask_b32_e32 v12, 33, v12, vcc
	v_alignbit_b32 v2, v10, v2, 30
	v_xor_b32_e32 v11, v11, v31
	v_sub_u32_e32 v25, 32, v12
	v_xor_b32_e32 v2, v2, v31
	v_alignbit_b32 v26, v32, v11, v25
	v_alignbit_b32 v2, v11, v2, v25
	;; [unrolled: 1-line block ×3, first 2 shown]
	v_ffbh_u32_e32 v11, v10
	v_min_u32_e32 v11, 32, v11
	v_lshrrev_b32_e32 v29, 29, v1
	v_sub_u32_e32 v25, 31, v11
	v_alignbit_b32 v2, v10, v2, v25
	v_lshlrev_b32_e32 v10, 31, v29
	v_or_b32_e32 v25, 0x33800000, v10
	v_add_lshl_u32 v11, v11, v12, 23
	v_lshrrev_b32_e32 v2, 9, v2
	v_sub_u32_e32 v11, v25, v11
	v_or_b32_e32 v2, v11, v2
	v_alignbit_b32 v11, v12, v26, 9
	v_or_b32_e32 v10, v11, v10
	v_xor_b32_e32 v10, 1.0, v10
	v_mul_f32_e32 v11, 0x3fc90fda, v10
	v_fma_f32 v12, v10, s39, -v11
	v_fmac_f32_e32 v12, 0x33a22168, v10
	v_fmac_f32_e32 v12, 0x3fc90fda, v2
	v_lshrrev_b32_e32 v1, 30, v1
	v_add_f32_e32 v2, v11, v12
	v_add_u32_e32 v1, v30, v1
	s_andn2_saveexec_b64 s[0:1], s[18:19]
	s_branch .LBB139_364
.LBB139_363:                            ;   in Loop: Header=BB139_201 Depth=1
	s_andn2_saveexec_b64 s[0:1], s[18:19]
.LBB139_364:                            ;   in Loop: Header=BB139_201 Depth=1
	v_mul_f32_e64 v1, |v3|, s40
	v_rndne_f32_e32 v10, v1
	v_cvt_i32_f32_e32 v1, v10
	v_fma_f32 v2, v10, s41, |v3|
	v_fmac_f32_e32 v2, 0xb3a22168, v10
	v_fmac_f32_e32 v2, 0xa7c234c4, v10
; %bb.365:                              ;   in Loop: Header=BB139_201 Depth=1
	s_or_b64 exec, exec, s[0:1]
                                        ; implicit-def: $vgpr11
                                        ; implicit-def: $vgpr12
	s_and_saveexec_b64 s[0:1], s[14:15]
	s_xor_b64 s[14:15], exec, s[0:1]
	s_cbranch_execz .LBB139_367
; %bb.366:                              ;   in Loop: Header=BB139_201 Depth=1
	v_lshrrev_b32_e32 v10, 23, v0
	v_add_u32_e32 v10, 0xffffff88, v10
	v_cmp_lt_u32_e32 vcc, 63, v10
	v_cndmask_b32_e32 v11, 0, v21, vcc
	v_add_u32_e32 v10, v11, v10
	v_cmp_lt_u32_e64 s[0:1], 31, v10
	v_cndmask_b32_e64 v11, 0, v22, s[0:1]
	v_add_u32_e32 v10, v11, v10
	v_cmp_lt_u32_e64 s[2:3], 31, v10
	v_cndmask_b32_e64 v11, 0, v22, s[2:3]
	v_add_u32_e32 v25, v11, v10
	v_and_b32_e32 v10, 0x7fffff, v0
	v_or_b32_e32 v36, 0x800000, v10
	v_mad_u64_u32 v[10:11], s[4:5], v36, s31, 0
	v_mov_b32_e32 v12, v11
	v_mad_u64_u32 v[26:27], s[4:5], v36, s33, v[12:13]
	v_mov_b32_e32 v12, v27
	v_mad_u64_u32 v[28:29], s[4:5], v36, s34, v[12:13]
	v_mov_b32_e32 v12, v29
	v_mad_u64_u32 v[30:31], s[4:5], v36, s35, v[12:13]
	v_mov_b32_e32 v12, v31
	v_mad_u64_u32 v[32:33], s[4:5], v36, s36, v[12:13]
	v_mov_b32_e32 v12, v33
	v_mad_u64_u32 v[34:35], s[4:5], v36, s37, v[12:13]
	v_mov_b32_e32 v12, v35
	v_mad_u64_u32 v[36:37], s[4:5], v36, s38, v[12:13]
	v_cndmask_b32_e32 v11, v34, v30, vcc
	v_cndmask_b32_e32 v12, v36, v32, vcc
	;; [unrolled: 1-line block ×3, first 2 shown]
	v_cndmask_b32_e64 v27, v12, v11, s[0:1]
	v_cndmask_b32_e64 v12, v29, v12, s[0:1]
	v_cndmask_b32_e32 v29, v32, v28, vcc
	v_cndmask_b32_e64 v11, v11, v29, s[0:1]
	v_cndmask_b32_e64 v12, v12, v27, s[2:3]
	;; [unrolled: 1-line block ×3, first 2 shown]
	v_sub_u32_e32 v31, 32, v25
	v_alignbit_b32 v32, v12, v27, v31
	v_cmp_eq_u32_e64 s[4:5], 0, v25
	v_cndmask_b32_e64 v25, v32, v12, s[4:5]
	v_cndmask_b32_e32 v12, v30, v26, vcc
	v_cndmask_b32_e64 v26, v29, v12, s[0:1]
	v_cndmask_b32_e64 v11, v11, v26, s[2:3]
	v_alignbit_b32 v29, v27, v11, v31
	v_cndmask_b32_e64 v27, v29, v27, s[4:5]
	v_bfe_u32 v32, v25, 29, 1
	v_cndmask_b32_e32 v10, v28, v10, vcc
	v_alignbit_b32 v29, v25, v27, 30
	v_sub_u32_e32 v33, 0, v32
	v_cndmask_b32_e64 v10, v12, v10, s[0:1]
	v_xor_b32_e32 v34, v29, v33
	v_cndmask_b32_e64 v10, v26, v10, s[2:3]
	v_alignbit_b32 v12, v11, v10, v31
	v_ffbh_u32_e32 v26, v34
	v_cndmask_b32_e64 v11, v12, v11, s[4:5]
	v_add_u32_e32 v26, 1, v26
	v_cmp_ne_u32_e32 vcc, v29, v33
	v_alignbit_b32 v12, v27, v11, 30
	v_cndmask_b32_e32 v26, 33, v26, vcc
	v_alignbit_b32 v10, v11, v10, 30
	v_xor_b32_e32 v12, v12, v33
	v_sub_u32_e32 v27, 32, v26
	v_xor_b32_e32 v10, v10, v33
	v_alignbit_b32 v28, v34, v12, v27
	v_alignbit_b32 v10, v12, v10, v27
	;; [unrolled: 1-line block ×3, first 2 shown]
	v_ffbh_u32_e32 v12, v11
	v_min_u32_e32 v12, 32, v12
	v_lshrrev_b32_e32 v30, 29, v25
	v_sub_u32_e32 v27, 31, v12
	v_alignbit_b32 v10, v11, v10, v27
	v_lshlrev_b32_e32 v11, 31, v30
	v_or_b32_e32 v27, 0x33800000, v11
	v_add_lshl_u32 v12, v12, v26, 23
	v_lshrrev_b32_e32 v10, 9, v10
	v_sub_u32_e32 v12, v27, v12
	v_or_b32_e32 v10, v12, v10
	v_alignbit_b32 v12, v26, v28, 9
	v_or_b32_e32 v11, v12, v11
	v_xor_b32_e32 v11, 1.0, v11
	v_mul_f32_e32 v12, 0x3fc90fda, v11
	v_fma_f32 v26, v11, s39, -v12
	v_fmac_f32_e32 v26, 0x33a22168, v11
	v_fmac_f32_e32 v26, 0x3fc90fda, v10
	v_lshrrev_b32_e32 v10, 30, v25
	v_add_f32_e32 v12, v12, v26
	v_add_u32_e32 v11, v32, v10
	s_andn2_saveexec_b64 s[0:1], s[14:15]
	s_cbranch_execnz .LBB139_368
	s_branch .LBB139_369
.LBB139_367:                            ;   in Loop: Header=BB139_201 Depth=1
	s_andn2_saveexec_b64 s[0:1], s[14:15]
.LBB139_368:                            ;   in Loop: Header=BB139_201 Depth=1
	v_mul_f32_e64 v10, |v3|, s40
	v_rndne_f32_e32 v10, v10
	v_cvt_i32_f32_e32 v11, v10
	v_fma_f32 v12, v10, s41, |v3|
	v_fmac_f32_e32 v12, 0xb3a22168, v10
	v_fmac_f32_e32 v12, 0xa7c234c4, v10
.LBB139_369:                            ;   in Loop: Header=BB139_201 Depth=1
	s_or_b64 exec, exec, s[0:1]
	v_mul_f32_e32 v10, v2, v2
	v_mov_b32_e32 v25, 0x3c0881c4
	v_fmac_f32_e32 v25, 0xb94c1982, v10
	v_fma_f32 v25, v10, v25, v18
	v_mul_f32_e32 v25, v10, v25
	v_fmac_f32_e32 v2, v2, v25
	v_mov_b32_e32 v25, 0xbab64f3b
	v_fmac_f32_e32 v25, 0x37d75334, v10
	v_fma_f32 v25, v10, v25, v19
	v_fma_f32 v25, v10, v25, v20
	v_fma_f32 v10, v10, v25, 1.0
	v_and_b32_e32 v25, 1, v1
	v_cmp_eq_u32_e32 vcc, 0, v25
	v_lshlrev_b32_e32 v1, 30, v1
	v_cndmask_b32_e64 v2, -v2, v10, vcc
	v_and_b32_e32 v1, 0x80000000, v1
	v_xor_b32_e32 v1, v1, v2
	v_cmp_class_f32_e64 vcc, v3, s46
	v_cndmask_b32_e32 v10, v24, v1, vcc
	v_mul_f32_e32 v1, v12, v12
	v_mov_b32_e32 v2, 0x3c0881c4
	v_fmac_f32_e32 v2, 0xb94c1982, v1
	v_fma_f32 v2, v1, v2, v18
	v_mul_f32_e32 v2, v1, v2
	v_fmac_f32_e32 v12, v12, v2
	v_mov_b32_e32 v2, 0xbab64f3b
	v_fmac_f32_e32 v2, 0x37d75334, v1
	v_fma_f32 v2, v1, v2, v19
	v_fma_f32 v2, v1, v2, v20
	v_fma_f32 v1, v1, v2, 1.0
	v_and_b32_e32 v2, 1, v11
	v_cmp_eq_u32_e64 s[0:1], 0, v2
	v_lshlrev_b32_e32 v2, 30, v11
	v_cndmask_b32_e64 v1, v1, v12, s[0:1]
	v_and_or_b32 v0, v2, s45, v0
	v_xor_b32_e32 v0, v0, v1
	v_xor_b32_e32 v0, v0, v3
	v_cndmask_b32_e32 v11, v24, v0, vcc
.LBB139_370:                            ;   in Loop: Header=BB139_201 Depth=1
	s_or_b64 exec, exec, s[12:13]
                                        ; implicit-def: $vgpr0_vgpr1_vgpr2_vgpr3
.LBB139_371:                            ;   in Loop: Header=BB139_201 Depth=1
	s_andn2_saveexec_b64 s[0:1], s[10:11]
	s_cbranch_execz .LBB139_200
; %bb.372:                              ;   in Loop: Header=BB139_201 Depth=1
	v_mul_f32_e32 v0, 0x3fb8aa3b, v2
	v_rndne_f32_e32 v1, v0
	v_sub_f32_e32 v10, v0, v1
	v_fma_f32 v0, v2, s42, -v0
	v_fmac_f32_e32 v0, 0x32a5705f, v2
	v_add_f32_e32 v0, v10, v0
	v_cvt_i32_f32_e32 v1, v1
	v_exp_f32_e32 v0, v0
	v_cmp_ngt_f32_e32 vcc, s43, v2
	v_mov_b32_e32 v11, v3
	v_ldexp_f32 v0, v0, v1
	v_cndmask_b32_e32 v0, 0, v0, vcc
	v_cmp_nlt_f32_e32 vcc, s44, v2
	v_cndmask_b32_e32 v10, v23, v0, vcc
	s_branch .LBB139_200
.LBB139_373:
	s_endpgm
	.section	.rodata,"a",@progbits
	.p2align	6, 0x0
	.amdhsa_kernel _ZN2at6native12_GLOBAL__N_125multi_tensor_apply_kernelINS1_18TensorListMetadataILi1EEENS1_14UnaryOpFunctorIN3c107complexIfEELi1ELi1ELi0EEEJNS0_3ExpIS8_EEEEEvT_T0_DpT1_
		.amdhsa_group_segment_fixed_size 0
		.amdhsa_private_segment_fixed_size 0
		.amdhsa_kernarg_size 3632
		.amdhsa_user_sgpr_count 6
		.amdhsa_user_sgpr_private_segment_buffer 1
		.amdhsa_user_sgpr_dispatch_ptr 0
		.amdhsa_user_sgpr_queue_ptr 0
		.amdhsa_user_sgpr_kernarg_segment_ptr 1
		.amdhsa_user_sgpr_dispatch_id 0
		.amdhsa_user_sgpr_flat_scratch_init 0
		.amdhsa_user_sgpr_kernarg_preload_length 0
		.amdhsa_user_sgpr_kernarg_preload_offset 0
		.amdhsa_user_sgpr_private_segment_size 0
		.amdhsa_uses_dynamic_stack 0
		.amdhsa_system_sgpr_private_segment_wavefront_offset 0
		.amdhsa_system_sgpr_workgroup_id_x 1
		.amdhsa_system_sgpr_workgroup_id_y 0
		.amdhsa_system_sgpr_workgroup_id_z 0
		.amdhsa_system_sgpr_workgroup_info 0
		.amdhsa_system_vgpr_workitem_id 0
		.amdhsa_next_free_vgpr 48
		.amdhsa_next_free_sgpr 61
		.amdhsa_accum_offset 48
		.amdhsa_reserve_vcc 1
		.amdhsa_reserve_flat_scratch 0
		.amdhsa_float_round_mode_32 0
		.amdhsa_float_round_mode_16_64 0
		.amdhsa_float_denorm_mode_32 3
		.amdhsa_float_denorm_mode_16_64 3
		.amdhsa_dx10_clamp 1
		.amdhsa_ieee_mode 1
		.amdhsa_fp16_overflow 0
		.amdhsa_tg_split 0
		.amdhsa_exception_fp_ieee_invalid_op 0
		.amdhsa_exception_fp_denorm_src 0
		.amdhsa_exception_fp_ieee_div_zero 0
		.amdhsa_exception_fp_ieee_overflow 0
		.amdhsa_exception_fp_ieee_underflow 0
		.amdhsa_exception_fp_ieee_inexact 0
		.amdhsa_exception_int_div_zero 0
	.end_amdhsa_kernel
	.section	.text._ZN2at6native12_GLOBAL__N_125multi_tensor_apply_kernelINS1_18TensorListMetadataILi1EEENS1_14UnaryOpFunctorIN3c107complexIfEELi1ELi1ELi0EEEJNS0_3ExpIS8_EEEEEvT_T0_DpT1_,"axG",@progbits,_ZN2at6native12_GLOBAL__N_125multi_tensor_apply_kernelINS1_18TensorListMetadataILi1EEENS1_14UnaryOpFunctorIN3c107complexIfEELi1ELi1ELi0EEEJNS0_3ExpIS8_EEEEEvT_T0_DpT1_,comdat
.Lfunc_end139:
	.size	_ZN2at6native12_GLOBAL__N_125multi_tensor_apply_kernelINS1_18TensorListMetadataILi1EEENS1_14UnaryOpFunctorIN3c107complexIfEELi1ELi1ELi0EEEJNS0_3ExpIS8_EEEEEvT_T0_DpT1_, .Lfunc_end139-_ZN2at6native12_GLOBAL__N_125multi_tensor_apply_kernelINS1_18TensorListMetadataILi1EEENS1_14UnaryOpFunctorIN3c107complexIfEELi1ELi1ELi0EEEJNS0_3ExpIS8_EEEEEvT_T0_DpT1_
                                        ; -- End function
	.section	.AMDGPU.csdata,"",@progbits
; Kernel info:
; codeLenInByte = 41184
; NumSgprs: 65
; NumVgprs: 48
; NumAgprs: 0
; TotalNumVgprs: 48
; ScratchSize: 0
; MemoryBound: 1
; FloatMode: 240
; IeeeMode: 1
; LDSByteSize: 0 bytes/workgroup (compile time only)
; SGPRBlocks: 8
; VGPRBlocks: 5
; NumSGPRsForWavesPerEU: 65
; NumVGPRsForWavesPerEU: 48
; AccumOffset: 48
; Occupancy: 8
; WaveLimiterHint : 0
; COMPUTE_PGM_RSRC2:SCRATCH_EN: 0
; COMPUTE_PGM_RSRC2:USER_SGPR: 6
; COMPUTE_PGM_RSRC2:TRAP_HANDLER: 0
; COMPUTE_PGM_RSRC2:TGID_X_EN: 1
; COMPUTE_PGM_RSRC2:TGID_Y_EN: 0
; COMPUTE_PGM_RSRC2:TGID_Z_EN: 0
; COMPUTE_PGM_RSRC2:TIDIG_COMP_CNT: 0
; COMPUTE_PGM_RSRC3_GFX90A:ACCUM_OFFSET: 11
; COMPUTE_PGM_RSRC3_GFX90A:TG_SPLIT: 0
	.section	.text._ZN2at6native12_GLOBAL__N_125multi_tensor_apply_kernelINS1_18TensorListMetadataILi1EEENS1_14UnaryOpFunctorIN3c104HalfELi1ELi1ELi0EEEJNS0_3ExpIfEEEEEvT_T0_DpT1_,"axG",@progbits,_ZN2at6native12_GLOBAL__N_125multi_tensor_apply_kernelINS1_18TensorListMetadataILi1EEENS1_14UnaryOpFunctorIN3c104HalfELi1ELi1ELi0EEEJNS0_3ExpIfEEEEEvT_T0_DpT1_,comdat
	.globl	_ZN2at6native12_GLOBAL__N_125multi_tensor_apply_kernelINS1_18TensorListMetadataILi1EEENS1_14UnaryOpFunctorIN3c104HalfELi1ELi1ELi0EEEJNS0_3ExpIfEEEEEvT_T0_DpT1_ ; -- Begin function _ZN2at6native12_GLOBAL__N_125multi_tensor_apply_kernelINS1_18TensorListMetadataILi1EEENS1_14UnaryOpFunctorIN3c104HalfELi1ELi1ELi0EEEJNS0_3ExpIfEEEEEvT_T0_DpT1_
	.p2align	8
	.type	_ZN2at6native12_GLOBAL__N_125multi_tensor_apply_kernelINS1_18TensorListMetadataILi1EEENS1_14UnaryOpFunctorIN3c104HalfELi1ELi1ELi0EEEJNS0_3ExpIfEEEEEvT_T0_DpT1_,@function
_ZN2at6native12_GLOBAL__N_125multi_tensor_apply_kernelINS1_18TensorListMetadataILi1EEENS1_14UnaryOpFunctorIN3c104HalfELi1ELi1ELi0EEEJNS0_3ExpIfEEEEEvT_T0_DpT1_: ; @_ZN2at6native12_GLOBAL__N_125multi_tensor_apply_kernelINS1_18TensorListMetadataILi1EEENS1_14UnaryOpFunctorIN3c104HalfELi1ELi1ELi0EEEJNS0_3ExpIfEEEEEvT_T0_DpT1_
; %bb.0:
	v_mov_b32_e32 v1, s6
	global_load_ubyte v1, v1, s[4:5] offset:1760
	s_add_u32 s0, s4, s6
	s_mul_hi_u32 s1, s6, 3
	s_mul_i32 s6, s6, 3
	s_addc_u32 s2, s5, 0
	s_add_u32 s0, s0, s6
	s_addc_u32 s1, s2, s1
	s_load_dword s0, s[0:1], 0x820
	s_mov_b32 s7, 0
	s_waitcnt vmcnt(0)
	v_readfirstlane_b32 s2, v1
	s_lshl_b32 s1, s2, 3
	s_load_dwordx2 s[2:3], s[4:5], s1 offset:0x370
	s_load_dwordx2 s[12:13], s[4:5], s1 offset:0x0
	s_waitcnt lgkmcnt(0)
	s_ashr_i32 s1, s0, 31
	s_lshl_b64 s[14:15], s[0:1], 17
	s_lshl_b64 s[0:1], s[0:1], 16
	s_and_b32 s6, s12, 7
	s_sub_u32 s10, s2, s0
	s_subb_u32 s11, s3, s1
	s_and_b32 s0, s2, 3
	s_mov_b32 s1, s7
	s_or_b64 s[0:1], s[6:7], s[0:1]
	s_cmp_eq_u64 s[0:1], 0
	s_cbranch_scc1 .LBB140_21
; %bb.1:
	v_cmp_lt_i64_e64 s[0:1], s[10:11], 1
	s_and_b64 vcc, exec, s[0:1]
	s_cbranch_vccnz .LBB140_20
; %bb.2:
	s_load_dword s0, s[4:5], 0xd3c
	v_mov_b32_e32 v2, 0x10000
	v_mov_b32_e32 v3, 0
	v_cmp_lt_u64_e32 vcc, s[10:11], v[2:3]
	v_lshlrev_b32_e32 v1, 1, v0
	s_waitcnt lgkmcnt(0)
	s_and_b32 s2, s0, 0xffff
	s_and_b64 s[0:1], vcc, exec
	s_cselect_b32 s17, s11, 0
	s_cselect_b32 s16, s10, 0x10000
	s_lshl_b32 s3, s2, 1
	s_lshl_b32 s23, s2, 2
	s_add_u32 s6, s12, s14
	s_addc_u32 s7, s13, s15
	v_mov_b32_e32 v3, s7
	v_add_co_u32_e32 v2, vcc, s6, v1
	s_mul_i32 s0, s2, 3
	v_addc_co_u32_e32 v3, vcc, 0, v3, vcc
	v_add_co_u32_e32 v1, vcc, s0, v0
	v_addc_co_u32_e64 v8, s[0:1], 0, 0, vcc
	v_add_co_u32_e32 v9, vcc, s3, v0
	v_addc_co_u32_e64 v10, s[0:1], 0, 0, vcc
	v_add_co_u32_e32 v11, vcc, s2, v0
	v_lshlrev_b32_e32 v4, 1, v11
	s_mov_b32 s22, 0
	v_addc_co_u32_e64 v12, s[0:1], 0, 0, vcc
	v_mov_b32_e32 v5, s7
	v_add_co_u32_e32 v4, vcc, s6, v4
	s_lshl_b32 s24, s2, 3
	s_mul_i32 s25, s2, 6
	s_mov_b32 s26, s22
	v_addc_co_u32_e32 v5, vcc, 0, v5, vcc
	s_mov_b64 s[18:19], 0
	s_mov_b32 s27, 0x3fb8aa3b
	s_mov_b32 s28, 0x32a5705f
	;; [unrolled: 1-line block ×4, first 2 shown]
	v_mov_b32_e32 v13, 0x7f800000
	v_pk_mov_b32 v[6:7], s[10:11], s[10:11] op_sel:[0,1]
	v_mov_b32_e32 v14, s22
	s_branch .LBB140_4
.LBB140_3:                              ;   in Loop: Header=BB140_4 Depth=1
	s_or_b64 exec, exec, s[0:1]
	s_add_u32 s18, s18, s23
	s_waitcnt vmcnt(0)
	v_mov_b32_e32 v16, 0x10000
	s_addc_u32 s19, s19, 0
	v_mov_b32_e32 v17, 0
	v_cmp_lt_i64_e32 vcc, s[18:19], v[6:7]
	v_cmp_lt_u64_e64 s[0:1], s[18:19], v[16:17]
	s_and_b64 s[0:1], vcc, s[0:1]
	v_add_co_u32_e32 v2, vcc, s24, v2
	v_addc_co_u32_e32 v3, vcc, v3, v14, vcc
	v_add_co_u32_e32 v4, vcc, s24, v4
	v_addc_co_u32_e32 v5, vcc, v5, v14, vcc
	s_and_b64 vcc, exec, s[0:1]
	s_cbranch_vccz .LBB140_20
.LBB140_4:                              ; =>This Inner Loop Header: Depth=1
	v_mov_b32_e32 v15, s19
	v_add_co_u32_e32 v16, vcc, s18, v0
	v_addc_co_u32_e32 v17, vcc, 0, v15, vcc
	v_cmp_gt_u64_e64 s[6:7], s[16:17], v[16:17]
	v_mov_b32_e32 v18, 0
	s_and_saveexec_b64 s[0:1], s[6:7]
	s_cbranch_execz .LBB140_6
; %bb.5:                                ;   in Loop: Header=BB140_4 Depth=1
	global_load_ushort v18, v[2:3], off
.LBB140_6:                              ;   in Loop: Header=BB140_4 Depth=1
	s_or_b64 exec, exec, s[0:1]
	v_mov_b32_e32 v15, s19
	v_add_co_u32_e32 v16, vcc, s18, v11
	v_addc_co_u32_e32 v17, vcc, v12, v15, vcc
	v_cmp_gt_u64_e64 s[2:3], s[16:17], v[16:17]
	v_mov_b32_e32 v17, 0
	s_and_saveexec_b64 s[0:1], s[2:3]
	s_cbranch_execz .LBB140_8
; %bb.7:                                ;   in Loop: Header=BB140_4 Depth=1
	global_load_ushort v17, v[4:5], off
.LBB140_8:                              ;   in Loop: Header=BB140_4 Depth=1
	s_or_b64 exec, exec, s[0:1]
	v_mov_b32_e32 v15, s19
	v_add_co_u32_e32 v20, vcc, s18, v9
	v_addc_co_u32_e32 v21, vcc, v10, v15, vcc
	v_cmp_gt_u64_e64 s[0:1], s[16:17], v[20:21]
	v_mov_b32_e32 v15, 0
	v_mov_b32_e32 v16, 0
	s_and_saveexec_b64 s[8:9], s[0:1]
	s_cbranch_execz .LBB140_10
; %bb.9:                                ;   in Loop: Header=BB140_4 Depth=1
	v_mov_b32_e32 v16, s22
	v_add_co_u32_e32 v20, vcc, s23, v2
	v_addc_co_u32_e32 v21, vcc, v3, v16, vcc
	global_load_ushort v16, v[20:21], off
.LBB140_10:                             ;   in Loop: Header=BB140_4 Depth=1
	s_or_b64 exec, exec, s[8:9]
	v_mov_b32_e32 v19, s19
	v_add_co_u32_e32 v20, vcc, s18, v1
	v_addc_co_u32_e32 v21, vcc, v8, v19, vcc
	v_cmp_gt_u64_e32 vcc, s[16:17], v[20:21]
	s_and_saveexec_b64 s[20:21], vcc
	s_cbranch_execnz .LBB140_15
; %bb.11:                               ;   in Loop: Header=BB140_4 Depth=1
	s_or_b64 exec, exec, s[20:21]
	s_and_saveexec_b64 s[8:9], s[6:7]
	s_cbranch_execnz .LBB140_16
.LBB140_12:                             ;   in Loop: Header=BB140_4 Depth=1
	s_or_b64 exec, exec, s[8:9]
	s_and_saveexec_b64 s[6:7], s[2:3]
	s_cbranch_execnz .LBB140_17
.LBB140_13:                             ;   in Loop: Header=BB140_4 Depth=1
	s_or_b64 exec, exec, s[6:7]
	s_and_saveexec_b64 s[2:3], s[0:1]
	s_cbranch_execnz .LBB140_18
.LBB140_14:                             ;   in Loop: Header=BB140_4 Depth=1
	s_or_b64 exec, exec, s[2:3]
	s_and_saveexec_b64 s[0:1], vcc
	s_cbranch_execz .LBB140_3
	s_branch .LBB140_19
.LBB140_15:                             ;   in Loop: Header=BB140_4 Depth=1
	v_mov_b32_e32 v15, s26
	v_add_co_u32_e64 v20, s[8:9], s25, v2
	v_addc_co_u32_e64 v21, s[8:9], v3, v15, s[8:9]
	global_load_ushort v15, v[20:21], off
	s_or_b64 exec, exec, s[20:21]
	s_and_saveexec_b64 s[8:9], s[6:7]
	s_cbranch_execz .LBB140_12
.LBB140_16:                             ;   in Loop: Header=BB140_4 Depth=1
	s_waitcnt vmcnt(0)
	v_cvt_f32_f16_e32 v19, v18
	v_mul_f32_e32 v20, 0x3fb8aa3b, v19
	v_rndne_f32_e32 v21, v20
	v_fma_mix_f32 v22, v18, s27, -v20 op_sel_hi:[1,0,0]
	v_sub_f32_e32 v20, v20, v21
	v_fma_mix_f32 v18, v18, s28, v22 op_sel_hi:[1,0,0]
	v_add_f32_e32 v18, v20, v18
	v_cvt_i32_f32_e32 v21, v21
	v_exp_f32_e32 v18, v18
	v_cmp_ngt_f32_e64 s[6:7], s29, v19
	v_ldexp_f32 v18, v18, v21
	v_cndmask_b32_e64 v18, 0, v18, s[6:7]
	v_cmp_nlt_f32_e64 s[6:7], s30, v19
	v_cndmask_b32_e64 v18, v13, v18, s[6:7]
	v_cvt_f16_f32_e32 v18, v18
	global_store_short v[2:3], v18, off
	s_or_b64 exec, exec, s[8:9]
	s_and_saveexec_b64 s[6:7], s[2:3]
	s_cbranch_execz .LBB140_13
.LBB140_17:                             ;   in Loop: Header=BB140_4 Depth=1
	s_waitcnt vmcnt(0)
	v_cvt_f32_f16_e32 v18, v17
	v_mul_f32_e32 v19, 0x3fb8aa3b, v18
	v_rndne_f32_e32 v20, v19
	v_fma_mix_f32 v21, v17, s27, -v19 op_sel_hi:[1,0,0]
	v_sub_f32_e32 v19, v19, v20
	v_fma_mix_f32 v17, v17, s28, v21 op_sel_hi:[1,0,0]
	v_add_f32_e32 v17, v19, v17
	v_cvt_i32_f32_e32 v20, v20
	v_exp_f32_e32 v17, v17
	v_cmp_ngt_f32_e64 s[2:3], s29, v18
	v_ldexp_f32 v17, v17, v20
	v_cndmask_b32_e64 v17, 0, v17, s[2:3]
	v_cmp_nlt_f32_e64 s[2:3], s30, v18
	v_cndmask_b32_e64 v17, v13, v17, s[2:3]
	v_cvt_f16_f32_e32 v17, v17
	global_store_short v[4:5], v17, off
	s_or_b64 exec, exec, s[6:7]
	s_and_saveexec_b64 s[2:3], s[0:1]
	s_cbranch_execz .LBB140_14
.LBB140_18:                             ;   in Loop: Header=BB140_4 Depth=1
	s_waitcnt vmcnt(0)
	v_cvt_f32_f16_e32 v17, v16
	v_mul_f32_e32 v18, 0x3fb8aa3b, v17
	v_rndne_f32_e32 v19, v18
	v_fma_mix_f32 v20, v16, s27, -v18 op_sel_hi:[1,0,0]
	v_sub_f32_e32 v18, v18, v19
	v_fma_mix_f32 v16, v16, s28, v20 op_sel_hi:[1,0,0]
	v_add_f32_e32 v16, v18, v16
	v_cvt_i32_f32_e32 v19, v19
	v_exp_f32_e32 v16, v16
	v_cmp_ngt_f32_e64 s[0:1], s29, v17
	v_mov_b32_e32 v18, s22
	v_ldexp_f32 v16, v16, v19
	v_cndmask_b32_e64 v16, 0, v16, s[0:1]
	v_cmp_nlt_f32_e64 s[0:1], s30, v17
	v_cndmask_b32_e64 v16, v13, v16, s[0:1]
	v_cvt_f16_f32_e32 v19, v16
	v_add_co_u32_e64 v16, s[0:1], s23, v2
	v_addc_co_u32_e64 v17, s[0:1], v3, v18, s[0:1]
	global_store_short v[16:17], v19, off
	s_or_b64 exec, exec, s[2:3]
	s_and_saveexec_b64 s[0:1], vcc
	s_cbranch_execz .LBB140_3
.LBB140_19:                             ;   in Loop: Header=BB140_4 Depth=1
	s_waitcnt vmcnt(0)
	v_cvt_f32_f16_e32 v16, v15
	v_mul_f32_e32 v17, 0x3fb8aa3b, v16
	v_rndne_f32_e32 v18, v17
	v_fma_mix_f32 v19, v15, s27, -v17 op_sel_hi:[1,0,0]
	v_sub_f32_e32 v17, v17, v18
	v_fma_mix_f32 v15, v15, s28, v19 op_sel_hi:[1,0,0]
	v_add_f32_e32 v15, v17, v15
	v_cvt_i32_f32_e32 v18, v18
	v_exp_f32_e32 v15, v15
	v_cmp_ngt_f32_e32 vcc, s29, v16
	v_mov_b32_e32 v17, s26
	v_ldexp_f32 v15, v15, v18
	v_cndmask_b32_e32 v15, 0, v15, vcc
	v_cmp_nlt_f32_e32 vcc, s30, v16
	v_cndmask_b32_e32 v15, v13, v15, vcc
	v_cvt_f16_f32_e32 v15, v15
	v_add_co_u32_e32 v16, vcc, s25, v2
	v_addc_co_u32_e32 v17, vcc, v3, v17, vcc
	global_store_short v[16:17], v15, off
	s_branch .LBB140_3
.LBB140_20:
	s_cbranch_execz .LBB140_22
	s_branch .LBB140_25
.LBB140_21:
.LBB140_22:
	v_mov_b32_e32 v3, 0
	v_lshlrev_b32_e32 v2, 2, v0
	s_mov_b32 s0, 0
	v_cmp_gt_i64_e32 vcc, s[10:11], v[2:3]
	s_and_saveexec_b64 s[2:3], vcc
	s_cbranch_execz .LBB140_25
; %bb.23:
	s_load_dword s1, s[4:5], 0xd3c
	v_lshlrev_b32_e32 v1, 3, v0
	s_mov_b64 s[4:5], 0
	s_mov_b64 s[6:7], 0xffff
	v_mov_b32_e32 v5, s0
	s_waitcnt lgkmcnt(0)
	s_and_b32 s1, s1, 0xffff
	s_lshl_b32 s8, s1, 2
	s_add_u32 s2, s12, s14
	s_addc_u32 s3, s13, s15
	v_add_lshl_u32 v2, v0, s1, 2
	v_mov_b32_e32 v0, s3
	v_add_co_u32_e32 v1, vcc, s2, v1
	v_addc_co_u32_e32 v4, vcc, 0, v0, vcc
	v_add_co_u32_e32 v0, vcc, 4, v1
	v_addc_co_u32_e32 v1, vcc, 0, v4, vcc
	s_lshl_b32 s9, s1, 3
	s_mov_b32 s12, 0x3fb8aa3b
	s_mov_b32 s13, 0x32a5705f
	;; [unrolled: 1-line block ×4, first 2 shown]
	v_mov_b32_e32 v4, 0x7f800000
	v_mov_b32_e32 v6, s0
.LBB140_24:                             ; =>This Inner Loop Header: Depth=1
	global_load_dwordx2 v[8:9], v[0:1], off offset:-4
	v_cmp_le_i64_e32 vcc, s[10:11], v[2:3]
	v_cmp_lt_u64_e64 s[0:1], s[6:7], v[2:3]
	s_or_b64 s[0:1], vcc, s[0:1]
	v_add_co_u32_e64 v2, s[2:3], s8, v2
	s_and_b64 s[0:1], exec, s[0:1]
	v_addc_co_u32_e64 v3, s[2:3], v3, v5, s[2:3]
	s_or_b64 s[4:5], s[0:1], s[4:5]
	s_waitcnt vmcnt(0)
	v_cvt_f32_f16_e32 v7, v8
	v_cvt_f32_f16_sdwa v10, v8 dst_sel:DWORD dst_unused:UNUSED_PAD src0_sel:WORD_1
	v_cvt_f32_f16_e32 v11, v9
	v_cvt_f32_f16_sdwa v12, v9 dst_sel:DWORD dst_unused:UNUSED_PAD src0_sel:WORD_1
	v_mul_f32_e32 v13, 0x3fb8aa3b, v7
	v_mul_f32_e32 v14, 0x3fb8aa3b, v10
	v_rndne_f32_e32 v17, v13
	v_fma_mix_f32 v18, v8, s12, -v13 op_sel_hi:[1,0,0]
	v_mul_f32_e32 v15, 0x3fb8aa3b, v11
	v_rndne_f32_e32 v19, v14
	v_fma_mix_f32 v20, v8, s12, -v14 op_sel:[1,0,0] op_sel_hi:[1,0,0]
	v_sub_f32_e32 v13, v13, v17
	v_fma_mix_f32 v18, v8, s13, v18 op_sel_hi:[1,0,0]
	v_mul_f32_e32 v16, 0x3fb8aa3b, v12
	v_rndne_f32_e32 v21, v15
	v_fma_mix_f32 v22, v9, s12, -v15 op_sel_hi:[1,0,0]
	v_sub_f32_e32 v14, v14, v19
	v_fma_mix_f32 v8, v8, s13, v20 op_sel:[1,0,0] op_sel_hi:[1,0,0]
	v_add_f32_e32 v13, v13, v18
	v_rndne_f32_e32 v23, v16
	v_fma_mix_f32 v24, v9, s12, -v16 op_sel:[1,0,0] op_sel_hi:[1,0,0]
	v_cvt_i32_f32_e32 v17, v17
	v_sub_f32_e32 v15, v15, v21
	v_fma_mix_f32 v20, v9, s13, v22 op_sel_hi:[1,0,0]
	v_add_f32_e32 v8, v14, v8
	v_exp_f32_e32 v13, v13
	v_cvt_i32_f32_e32 v19, v19
	v_sub_f32_e32 v16, v16, v23
	v_fma_mix_f32 v9, v9, s13, v24 op_sel:[1,0,0] op_sel_hi:[1,0,0]
	v_add_f32_e32 v14, v15, v20
	v_exp_f32_e32 v8, v8
	v_cvt_i32_f32_e32 v21, v21
	v_add_f32_e32 v9, v16, v9
	v_exp_f32_e32 v14, v14
	v_cvt_i32_f32_e32 v22, v23
	v_exp_f32_e32 v9, v9
	v_ldexp_f32 v13, v13, v17
	v_cmp_ngt_f32_e32 vcc, s14, v7
	v_ldexp_f32 v8, v8, v19
	v_cndmask_b32_e32 v13, 0, v13, vcc
	v_cmp_ngt_f32_e32 vcc, s14, v10
	v_ldexp_f32 v14, v14, v21
	v_cndmask_b32_e32 v8, 0, v8, vcc
	;; [unrolled: 3-line block ×3, first 2 shown]
	v_cmp_ngt_f32_e32 vcc, s14, v12
	v_cndmask_b32_e32 v9, 0, v9, vcc
	v_cmp_nlt_f32_e32 vcc, s15, v7
	v_cndmask_b32_e32 v7, v4, v13, vcc
	v_cmp_nlt_f32_e32 vcc, s15, v10
	;; [unrolled: 2-line block ×4, first 2 shown]
	v_cndmask_b32_e32 v9, v4, v9, vcc
	v_cvt_f16_f32_e32 v7, v7
	v_cvt_f16_f32_e32 v10, v10
	;; [unrolled: 1-line block ×4, first 2 shown]
	v_pack_b32_f16 v9, v10, v9
	v_pack_b32_f16 v8, v7, v8
	global_store_dwordx2 v[0:1], v[8:9], off offset:-4
	v_add_co_u32_e32 v0, vcc, s9, v0
	v_addc_co_u32_e32 v1, vcc, v1, v6, vcc
	s_andn2_b64 exec, exec, s[4:5]
	s_cbranch_execnz .LBB140_24
.LBB140_25:
	s_endpgm
	.section	.rodata,"a",@progbits
	.p2align	6, 0x0
	.amdhsa_kernel _ZN2at6native12_GLOBAL__N_125multi_tensor_apply_kernelINS1_18TensorListMetadataILi1EEENS1_14UnaryOpFunctorIN3c104HalfELi1ELi1ELi0EEEJNS0_3ExpIfEEEEEvT_T0_DpT1_
		.amdhsa_group_segment_fixed_size 0
		.amdhsa_private_segment_fixed_size 0
		.amdhsa_kernarg_size 3632
		.amdhsa_user_sgpr_count 6
		.amdhsa_user_sgpr_private_segment_buffer 1
		.amdhsa_user_sgpr_dispatch_ptr 0
		.amdhsa_user_sgpr_queue_ptr 0
		.amdhsa_user_sgpr_kernarg_segment_ptr 1
		.amdhsa_user_sgpr_dispatch_id 0
		.amdhsa_user_sgpr_flat_scratch_init 0
		.amdhsa_user_sgpr_kernarg_preload_length 0
		.amdhsa_user_sgpr_kernarg_preload_offset 0
		.amdhsa_user_sgpr_private_segment_size 0
		.amdhsa_uses_dynamic_stack 0
		.amdhsa_system_sgpr_private_segment_wavefront_offset 0
		.amdhsa_system_sgpr_workgroup_id_x 1
		.amdhsa_system_sgpr_workgroup_id_y 0
		.amdhsa_system_sgpr_workgroup_id_z 0
		.amdhsa_system_sgpr_workgroup_info 0
		.amdhsa_system_vgpr_workitem_id 0
		.amdhsa_next_free_vgpr 25
		.amdhsa_next_free_sgpr 31
		.amdhsa_accum_offset 28
		.amdhsa_reserve_vcc 1
		.amdhsa_reserve_flat_scratch 0
		.amdhsa_float_round_mode_32 0
		.amdhsa_float_round_mode_16_64 0
		.amdhsa_float_denorm_mode_32 3
		.amdhsa_float_denorm_mode_16_64 3
		.amdhsa_dx10_clamp 1
		.amdhsa_ieee_mode 1
		.amdhsa_fp16_overflow 0
		.amdhsa_tg_split 0
		.amdhsa_exception_fp_ieee_invalid_op 0
		.amdhsa_exception_fp_denorm_src 0
		.amdhsa_exception_fp_ieee_div_zero 0
		.amdhsa_exception_fp_ieee_overflow 0
		.amdhsa_exception_fp_ieee_underflow 0
		.amdhsa_exception_fp_ieee_inexact 0
		.amdhsa_exception_int_div_zero 0
	.end_amdhsa_kernel
	.section	.text._ZN2at6native12_GLOBAL__N_125multi_tensor_apply_kernelINS1_18TensorListMetadataILi1EEENS1_14UnaryOpFunctorIN3c104HalfELi1ELi1ELi0EEEJNS0_3ExpIfEEEEEvT_T0_DpT1_,"axG",@progbits,_ZN2at6native12_GLOBAL__N_125multi_tensor_apply_kernelINS1_18TensorListMetadataILi1EEENS1_14UnaryOpFunctorIN3c104HalfELi1ELi1ELi0EEEJNS0_3ExpIfEEEEEvT_T0_DpT1_,comdat
.Lfunc_end140:
	.size	_ZN2at6native12_GLOBAL__N_125multi_tensor_apply_kernelINS1_18TensorListMetadataILi1EEENS1_14UnaryOpFunctorIN3c104HalfELi1ELi1ELi0EEEJNS0_3ExpIfEEEEEvT_T0_DpT1_, .Lfunc_end140-_ZN2at6native12_GLOBAL__N_125multi_tensor_apply_kernelINS1_18TensorListMetadataILi1EEENS1_14UnaryOpFunctorIN3c104HalfELi1ELi1ELi0EEEJNS0_3ExpIfEEEEEvT_T0_DpT1_
                                        ; -- End function
	.section	.AMDGPU.csdata,"",@progbits
; Kernel info:
; codeLenInByte = 1728
; NumSgprs: 35
; NumVgprs: 25
; NumAgprs: 0
; TotalNumVgprs: 25
; ScratchSize: 0
; MemoryBound: 0
; FloatMode: 240
; IeeeMode: 1
; LDSByteSize: 0 bytes/workgroup (compile time only)
; SGPRBlocks: 4
; VGPRBlocks: 3
; NumSGPRsForWavesPerEU: 35
; NumVGPRsForWavesPerEU: 25
; AccumOffset: 28
; Occupancy: 8
; WaveLimiterHint : 0
; COMPUTE_PGM_RSRC2:SCRATCH_EN: 0
; COMPUTE_PGM_RSRC2:USER_SGPR: 6
; COMPUTE_PGM_RSRC2:TRAP_HANDLER: 0
; COMPUTE_PGM_RSRC2:TGID_X_EN: 1
; COMPUTE_PGM_RSRC2:TGID_Y_EN: 0
; COMPUTE_PGM_RSRC2:TGID_Z_EN: 0
; COMPUTE_PGM_RSRC2:TIDIG_COMP_CNT: 0
; COMPUTE_PGM_RSRC3_GFX90A:ACCUM_OFFSET: 6
; COMPUTE_PGM_RSRC3_GFX90A:TG_SPLIT: 0
	.section	.text._ZN2at6native12_GLOBAL__N_125multi_tensor_apply_kernelINS1_18TensorListMetadataILi1EEENS1_14UnaryOpFunctorIN3c108BFloat16ELi1ELi1ELi0EEEJNS0_3ExpIfEEEEEvT_T0_DpT1_,"axG",@progbits,_ZN2at6native12_GLOBAL__N_125multi_tensor_apply_kernelINS1_18TensorListMetadataILi1EEENS1_14UnaryOpFunctorIN3c108BFloat16ELi1ELi1ELi0EEEJNS0_3ExpIfEEEEEvT_T0_DpT1_,comdat
	.globl	_ZN2at6native12_GLOBAL__N_125multi_tensor_apply_kernelINS1_18TensorListMetadataILi1EEENS1_14UnaryOpFunctorIN3c108BFloat16ELi1ELi1ELi0EEEJNS0_3ExpIfEEEEEvT_T0_DpT1_ ; -- Begin function _ZN2at6native12_GLOBAL__N_125multi_tensor_apply_kernelINS1_18TensorListMetadataILi1EEENS1_14UnaryOpFunctorIN3c108BFloat16ELi1ELi1ELi0EEEJNS0_3ExpIfEEEEEvT_T0_DpT1_
	.p2align	8
	.type	_ZN2at6native12_GLOBAL__N_125multi_tensor_apply_kernelINS1_18TensorListMetadataILi1EEENS1_14UnaryOpFunctorIN3c108BFloat16ELi1ELi1ELi0EEEJNS0_3ExpIfEEEEEvT_T0_DpT1_,@function
_ZN2at6native12_GLOBAL__N_125multi_tensor_apply_kernelINS1_18TensorListMetadataILi1EEENS1_14UnaryOpFunctorIN3c108BFloat16ELi1ELi1ELi0EEEJNS0_3ExpIfEEEEEvT_T0_DpT1_: ; @_ZN2at6native12_GLOBAL__N_125multi_tensor_apply_kernelINS1_18TensorListMetadataILi1EEENS1_14UnaryOpFunctorIN3c108BFloat16ELi1ELi1ELi0EEEJNS0_3ExpIfEEEEEvT_T0_DpT1_
; %bb.0:
	v_mov_b32_e32 v1, s6
	global_load_ubyte v1, v1, s[4:5] offset:1760
	s_add_u32 s0, s4, s6
	s_mul_hi_u32 s1, s6, 3
	s_mul_i32 s6, s6, 3
	s_addc_u32 s2, s5, 0
	s_add_u32 s0, s0, s6
	s_addc_u32 s1, s2, s1
	s_load_dword s0, s[0:1], 0x820
	s_mov_b32 s7, 0
	s_waitcnt vmcnt(0)
	v_readfirstlane_b32 s2, v1
	s_lshl_b32 s1, s2, 3
	s_load_dwordx2 s[2:3], s[4:5], s1 offset:0x370
	s_load_dwordx2 s[12:13], s[4:5], s1 offset:0x0
	s_waitcnt lgkmcnt(0)
	s_ashr_i32 s1, s0, 31
	s_lshl_b64 s[14:15], s[0:1], 17
	s_lshl_b64 s[0:1], s[0:1], 16
	s_and_b32 s6, s12, 7
	s_sub_u32 s10, s2, s0
	s_subb_u32 s11, s3, s1
	s_and_b32 s0, s2, 3
	s_mov_b32 s1, s7
	s_or_b64 s[0:1], s[6:7], s[0:1]
	s_cmp_eq_u64 s[0:1], 0
	s_cbranch_scc1 .LBB141_21
; %bb.1:
	v_cmp_lt_i64_e64 s[0:1], s[10:11], 1
	s_and_b64 vcc, exec, s[0:1]
	s_cbranch_vccnz .LBB141_20
; %bb.2:
	s_load_dword s0, s[4:5], 0xd3c
	v_mov_b32_e32 v2, 0x10000
	v_mov_b32_e32 v3, 0
	v_cmp_lt_u64_e32 vcc, s[10:11], v[2:3]
	v_lshlrev_b32_e32 v1, 1, v0
	s_waitcnt lgkmcnt(0)
	s_and_b32 s2, s0, 0xffff
	s_and_b64 s[0:1], vcc, exec
	s_cselect_b32 s17, s11, 0
	s_cselect_b32 s16, s10, 0x10000
	s_lshl_b32 s3, s2, 1
	s_lshl_b32 s23, s2, 2
	s_add_u32 s6, s12, s14
	s_addc_u32 s7, s13, s15
	v_mov_b32_e32 v3, s7
	v_add_co_u32_e32 v2, vcc, s6, v1
	s_mul_i32 s0, s2, 3
	v_addc_co_u32_e32 v3, vcc, 0, v3, vcc
	v_add_co_u32_e32 v1, vcc, s0, v0
	v_addc_co_u32_e64 v8, s[0:1], 0, 0, vcc
	v_add_co_u32_e32 v9, vcc, s3, v0
	v_addc_co_u32_e64 v10, s[0:1], 0, 0, vcc
	v_add_co_u32_e32 v11, vcc, s2, v0
	v_lshlrev_b32_e32 v4, 1, v11
	s_mov_b32 s22, 0
	v_addc_co_u32_e64 v12, s[0:1], 0, 0, vcc
	v_mov_b32_e32 v5, s7
	v_add_co_u32_e32 v4, vcc, s6, v4
	s_lshl_b32 s24, s2, 3
	s_mul_i32 s25, s2, 6
	s_mov_b32 s26, s22
	v_addc_co_u32_e32 v5, vcc, 0, v5, vcc
	s_mov_b64 s[18:19], 0
	s_mov_b32 s27, 0x3fb8aa3b
	s_mov_b32 s28, 0xc2ce8ed0
	;; [unrolled: 1-line block ×3, first 2 shown]
	s_movk_i32 s30, 0x7fff
	v_mov_b32_e32 v13, 0x7f800000
	v_mov_b32_e32 v14, 0x7fc0
	v_pk_mov_b32 v[6:7], s[10:11], s[10:11] op_sel:[0,1]
	v_mov_b32_e32 v15, s22
	s_branch .LBB141_4
.LBB141_3:                              ;   in Loop: Header=BB141_4 Depth=1
	s_or_b64 exec, exec, s[0:1]
	s_add_u32 s18, s18, s23
	s_waitcnt vmcnt(0)
	v_mov_b32_e32 v16, 0x10000
	s_addc_u32 s19, s19, 0
	v_mov_b32_e32 v17, 0
	v_cmp_lt_i64_e32 vcc, s[18:19], v[6:7]
	v_cmp_lt_u64_e64 s[0:1], s[18:19], v[16:17]
	s_and_b64 s[0:1], vcc, s[0:1]
	v_add_co_u32_e32 v2, vcc, s24, v2
	v_addc_co_u32_e32 v3, vcc, v3, v15, vcc
	v_add_co_u32_e32 v4, vcc, s24, v4
	v_addc_co_u32_e32 v5, vcc, v5, v15, vcc
	s_and_b64 vcc, exec, s[0:1]
	s_cbranch_vccz .LBB141_20
.LBB141_4:                              ; =>This Inner Loop Header: Depth=1
	v_mov_b32_e32 v17, s19
	v_add_co_u32_e32 v16, vcc, s18, v0
	v_addc_co_u32_e32 v17, vcc, 0, v17, vcc
	v_cmp_gt_u64_e64 s[6:7], s[16:17], v[16:17]
	v_mov_b32_e32 v19, 0
	s_and_saveexec_b64 s[0:1], s[6:7]
	s_cbranch_execz .LBB141_6
; %bb.5:                                ;   in Loop: Header=BB141_4 Depth=1
	global_load_ushort v19, v[2:3], off
.LBB141_6:                              ;   in Loop: Header=BB141_4 Depth=1
	s_or_b64 exec, exec, s[0:1]
	v_mov_b32_e32 v17, s19
	v_add_co_u32_e32 v16, vcc, s18, v11
	v_addc_co_u32_e32 v17, vcc, v12, v17, vcc
	v_cmp_gt_u64_e64 s[2:3], s[16:17], v[16:17]
	v_mov_b32_e32 v18, 0
	s_and_saveexec_b64 s[0:1], s[2:3]
	s_cbranch_execz .LBB141_8
; %bb.7:                                ;   in Loop: Header=BB141_4 Depth=1
	global_load_ushort v18, v[4:5], off
.LBB141_8:                              ;   in Loop: Header=BB141_4 Depth=1
	s_or_b64 exec, exec, s[0:1]
	v_mov_b32_e32 v17, s19
	v_add_co_u32_e32 v16, vcc, s18, v9
	v_addc_co_u32_e32 v17, vcc, v10, v17, vcc
	v_cmp_gt_u64_e64 s[0:1], s[16:17], v[16:17]
	v_mov_b32_e32 v16, 0
	v_mov_b32_e32 v17, 0
	s_and_saveexec_b64 s[8:9], s[0:1]
	s_cbranch_execz .LBB141_10
; %bb.9:                                ;   in Loop: Header=BB141_4 Depth=1
	v_mov_b32_e32 v17, s22
	v_add_co_u32_e32 v20, vcc, s23, v2
	v_addc_co_u32_e32 v21, vcc, v3, v17, vcc
	global_load_ushort v17, v[20:21], off
.LBB141_10:                             ;   in Loop: Header=BB141_4 Depth=1
	s_or_b64 exec, exec, s[8:9]
	v_mov_b32_e32 v21, s19
	v_add_co_u32_e32 v20, vcc, s18, v1
	v_addc_co_u32_e32 v21, vcc, v8, v21, vcc
	v_cmp_gt_u64_e32 vcc, s[16:17], v[20:21]
	s_and_saveexec_b64 s[20:21], vcc
	s_cbranch_execnz .LBB141_15
; %bb.11:                               ;   in Loop: Header=BB141_4 Depth=1
	s_or_b64 exec, exec, s[20:21]
	s_and_saveexec_b64 s[8:9], s[6:7]
	s_cbranch_execnz .LBB141_16
.LBB141_12:                             ;   in Loop: Header=BB141_4 Depth=1
	s_or_b64 exec, exec, s[8:9]
	s_and_saveexec_b64 s[6:7], s[2:3]
	s_cbranch_execnz .LBB141_17
.LBB141_13:                             ;   in Loop: Header=BB141_4 Depth=1
	s_or_b64 exec, exec, s[6:7]
	s_and_saveexec_b64 s[2:3], s[0:1]
	s_cbranch_execnz .LBB141_18
.LBB141_14:                             ;   in Loop: Header=BB141_4 Depth=1
	s_or_b64 exec, exec, s[2:3]
	s_and_saveexec_b64 s[0:1], vcc
	s_cbranch_execz .LBB141_3
	s_branch .LBB141_19
.LBB141_15:                             ;   in Loop: Header=BB141_4 Depth=1
	v_mov_b32_e32 v16, s26
	v_add_co_u32_e64 v20, s[8:9], s25, v2
	v_addc_co_u32_e64 v21, s[8:9], v3, v16, s[8:9]
	global_load_ushort v16, v[20:21], off
	s_or_b64 exec, exec, s[20:21]
	s_and_saveexec_b64 s[8:9], s[6:7]
	s_cbranch_execz .LBB141_12
.LBB141_16:                             ;   in Loop: Header=BB141_4 Depth=1
	s_waitcnt vmcnt(0)
	v_lshlrev_b32_e32 v19, 16, v19
	v_mul_f32_e32 v20, 0x3fb8aa3b, v19
	v_rndne_f32_e32 v21, v20
	v_sub_f32_e32 v22, v20, v21
	v_fma_f32 v20, v19, s27, -v20
	v_fmac_f32_e32 v20, 0x32a5705f, v19
	v_add_f32_e32 v20, v22, v20
	v_cvt_i32_f32_e32 v21, v21
	v_exp_f32_e32 v20, v20
	v_cmp_ngt_f32_e64 s[6:7], s28, v19
	v_ldexp_f32 v20, v20, v21
	v_cndmask_b32_e64 v20, 0, v20, s[6:7]
	v_cmp_nlt_f32_e64 s[6:7], s29, v19
	v_cndmask_b32_e64 v19, v13, v20, s[6:7]
	v_bfe_u32 v20, v19, 16, 1
	v_add3_u32 v20, v19, v20, s30
	v_lshrrev_b32_e32 v20, 16, v20
	v_cmp_o_f32_e64 s[6:7], v19, v19
	v_cndmask_b32_e64 v19, v14, v20, s[6:7]
	global_store_short v[2:3], v19, off
	s_or_b64 exec, exec, s[8:9]
	s_and_saveexec_b64 s[6:7], s[2:3]
	s_cbranch_execz .LBB141_13
.LBB141_17:                             ;   in Loop: Header=BB141_4 Depth=1
	s_waitcnt vmcnt(0)
	v_lshlrev_b32_e32 v18, 16, v18
	v_mul_f32_e32 v19, 0x3fb8aa3b, v18
	v_rndne_f32_e32 v20, v19
	v_sub_f32_e32 v21, v19, v20
	v_fma_f32 v19, v18, s27, -v19
	v_fmac_f32_e32 v19, 0x32a5705f, v18
	v_add_f32_e32 v19, v21, v19
	v_cvt_i32_f32_e32 v20, v20
	v_exp_f32_e32 v19, v19
	v_cmp_ngt_f32_e64 s[2:3], s28, v18
	v_ldexp_f32 v19, v19, v20
	v_cndmask_b32_e64 v19, 0, v19, s[2:3]
	v_cmp_nlt_f32_e64 s[2:3], s29, v18
	v_cndmask_b32_e64 v18, v13, v19, s[2:3]
	v_bfe_u32 v19, v18, 16, 1
	v_add3_u32 v19, v18, v19, s30
	v_lshrrev_b32_e32 v19, 16, v19
	v_cmp_o_f32_e64 s[2:3], v18, v18
	v_cndmask_b32_e64 v18, v14, v19, s[2:3]
	global_store_short v[4:5], v18, off
	s_or_b64 exec, exec, s[6:7]
	s_and_saveexec_b64 s[2:3], s[0:1]
	s_cbranch_execz .LBB141_14
.LBB141_18:                             ;   in Loop: Header=BB141_4 Depth=1
	s_waitcnt vmcnt(0)
	v_lshlrev_b32_e32 v17, 16, v17
	v_mul_f32_e32 v18, 0x3fb8aa3b, v17
	v_rndne_f32_e32 v19, v18
	v_sub_f32_e32 v20, v18, v19
	v_fma_f32 v18, v17, s27, -v18
	v_fmac_f32_e32 v18, 0x32a5705f, v17
	v_add_f32_e32 v18, v20, v18
	v_cvt_i32_f32_e32 v19, v19
	v_exp_f32_e32 v18, v18
	v_cmp_ngt_f32_e64 s[0:1], s28, v17
	v_ldexp_f32 v18, v18, v19
	v_cndmask_b32_e64 v18, 0, v18, s[0:1]
	v_cmp_nlt_f32_e64 s[0:1], s29, v17
	v_cndmask_b32_e64 v17, v13, v18, s[0:1]
	v_bfe_u32 v18, v17, 16, 1
	v_add3_u32 v18, v17, v18, s30
	v_lshrrev_b32_e32 v18, 16, v18
	v_cmp_o_f32_e64 s[0:1], v17, v17
	v_cndmask_b32_e64 v17, v14, v18, s[0:1]
	v_mov_b32_e32 v19, s22
	v_add_co_u32_e64 v18, s[0:1], s23, v2
	v_addc_co_u32_e64 v19, s[0:1], v3, v19, s[0:1]
	global_store_short v[18:19], v17, off
	s_or_b64 exec, exec, s[2:3]
	s_and_saveexec_b64 s[0:1], vcc
	s_cbranch_execz .LBB141_3
.LBB141_19:                             ;   in Loop: Header=BB141_4 Depth=1
	s_waitcnt vmcnt(0)
	v_lshlrev_b32_e32 v16, 16, v16
	v_mul_f32_e32 v17, 0x3fb8aa3b, v16
	v_rndne_f32_e32 v18, v17
	v_sub_f32_e32 v19, v17, v18
	v_fma_f32 v17, v16, s27, -v17
	v_fmac_f32_e32 v17, 0x32a5705f, v16
	v_add_f32_e32 v17, v19, v17
	v_cvt_i32_f32_e32 v18, v18
	v_exp_f32_e32 v17, v17
	v_cmp_ngt_f32_e32 vcc, s28, v16
	v_ldexp_f32 v17, v17, v18
	v_cndmask_b32_e32 v17, 0, v17, vcc
	v_cmp_nlt_f32_e32 vcc, s29, v16
	v_cndmask_b32_e32 v16, v13, v17, vcc
	v_bfe_u32 v17, v16, 16, 1
	v_add3_u32 v17, v16, v17, s30
	v_lshrrev_b32_e32 v17, 16, v17
	v_cmp_o_f32_e32 vcc, v16, v16
	v_cndmask_b32_e32 v18, v14, v17, vcc
	v_mov_b32_e32 v17, s26
	v_add_co_u32_e32 v16, vcc, s25, v2
	v_addc_co_u32_e32 v17, vcc, v3, v17, vcc
	global_store_short v[16:17], v18, off
	s_branch .LBB141_3
.LBB141_20:
	s_cbranch_execz .LBB141_22
	s_branch .LBB141_25
.LBB141_21:
.LBB141_22:
	v_mov_b32_e32 v3, 0
	v_lshlrev_b32_e32 v2, 2, v0
	s_mov_b32 s0, 0
	v_cmp_gt_i64_e32 vcc, s[10:11], v[2:3]
	s_and_saveexec_b64 s[2:3], vcc
	s_cbranch_execz .LBB141_25
; %bb.23:
	s_load_dword s1, s[4:5], 0xd3c
	v_lshlrev_b32_e32 v1, 3, v0
	s_mov_b32 s8, 0x3fb8aa3b
	s_mov_b32 s9, 0xc2ce8ed0
	v_mov_b32_e32 v6, 0x7fc0
	s_waitcnt lgkmcnt(0)
	s_and_b32 s1, s1, 0xffff
	s_add_u32 s2, s12, s14
	s_addc_u32 s3, s13, s15
	v_mov_b32_e32 v2, s3
	v_add_co_u32_e32 v4, vcc, s2, v1
	v_addc_co_u32_e32 v5, vcc, 0, v2, vcc
	s_lshl_b32 s6, s1, 3
	v_add_lshl_u32 v2, v0, s1, 2
	s_lshl_b32 s7, s1, 2
	s_mov_b64 s[2:3], 0
	s_mov_b32 s12, 0x42b17218
	v_mov_b32_e32 v0, 0x7f800000
	s_movk_i32 s13, 0x7fff
	v_mov_b32_e32 v1, 0x7fc00000
	s_mov_b64 s[4:5], 0xffff
	v_mov_b32_e32 v7, s0
	v_mov_b32_e32 v8, s0
.LBB141_24:                             ; =>This Inner Loop Header: Depth=1
	global_load_dwordx2 v[10:11], v[4:5], off
	v_cmp_le_i64_e32 vcc, s[10:11], v[2:3]
	v_cmp_lt_u64_e64 s[0:1], s[4:5], v[2:3]
	s_or_b64 s[0:1], vcc, s[0:1]
	s_and_b64 s[0:1], exec, s[0:1]
	s_or_b64 s[2:3], s[0:1], s[2:3]
	s_waitcnt vmcnt(0)
	v_lshlrev_b32_e32 v12, 16, v10
	v_and_b32_e32 v9, 0xffff0000, v10
	v_mul_f32_e32 v13, 0x3fb8aa3b, v12
	v_alignbit_b32 v10, v11, v10, 16
	v_and_b32_e32 v11, 0xffff0000, v11
	v_mul_f32_e32 v14, 0x3fb8aa3b, v9
	v_fma_f32 v16, v12, s8, -v13
	v_rndne_f32_e32 v17, v13
	v_mul_f32_e32 v15, 0x3fb8aa3b, v11
	v_fma_f32 v18, v9, s8, -v14
	v_rndne_f32_e32 v19, v14
	v_fmac_f32_e32 v16, 0x32a5705f, v12
	v_sub_f32_e32 v13, v13, v17
	v_fma_f32 v21, v11, s8, -v15
	v_rndne_f32_e32 v22, v15
	v_fmac_f32_e32 v18, 0x32a5705f, v9
	v_sub_f32_e32 v14, v14, v19
	v_add_f32_e32 v13, v13, v16
	v_and_b32_e32 v10, 0xffff0000, v10
	v_cvt_i32_f32_e32 v17, v17
	v_fmac_f32_e32 v21, 0x32a5705f, v11
	v_sub_f32_e32 v15, v15, v22
	v_add_f32_e32 v14, v14, v18
	v_exp_f32_e32 v13, v13
	v_mul_f32_e32 v20, 0x3fb8aa3b, v10
	v_cvt_i32_f32_e32 v19, v19
	v_add_f32_e32 v15, v15, v21
	v_exp_f32_e32 v14, v14
	v_fma_f32 v23, v10, s8, -v20
	v_rndne_f32_e32 v24, v20
	v_cvt_i32_f32_e32 v22, v22
	v_exp_f32_e32 v15, v15
	v_fmac_f32_e32 v23, 0x32a5705f, v10
	v_sub_f32_e32 v16, v20, v24
	v_add_f32_e32 v16, v16, v23
	v_ldexp_f32 v13, v13, v17
	v_cmp_ngt_f32_e32 vcc, s9, v12
	v_cvt_i32_f32_e32 v18, v24
	v_exp_f32_e32 v16, v16
	v_ldexp_f32 v14, v14, v19
	v_cndmask_b32_e32 v13, 0, v13, vcc
	v_cmp_ngt_f32_e32 vcc, s9, v9
	v_ldexp_f32 v15, v15, v22
	v_cndmask_b32_e32 v14, 0, v14, vcc
	v_cmp_ngt_f32_e32 vcc, s9, v11
	v_cndmask_b32_e32 v15, 0, v15, vcc
	v_cmp_nlt_f32_e32 vcc, s12, v12
	v_cndmask_b32_e32 v12, v0, v13, vcc
	v_cmp_nlt_f32_e32 vcc, s12, v9
	v_ldexp_f32 v16, v16, v18
	v_cndmask_b32_e32 v9, v0, v14, vcc
	v_cmp_ngt_f32_e32 vcc, s9, v10
	v_cndmask_b32_e32 v13, 0, v16, vcc
	v_cmp_nlt_f32_e32 vcc, s12, v11
	v_cndmask_b32_e32 v11, v0, v15, vcc
	v_cmp_nlt_f32_e32 vcc, s12, v10
	v_cndmask_b32_e32 v10, v0, v13, vcc
	v_bfe_u32 v13, v11, 16, 1
	v_bfe_u32 v15, v9, 16, 1
	v_add3_u32 v13, v11, v13, s13
	v_bfe_u32 v14, v12, 16, 1
	v_add3_u32 v15, v9, v15, s13
	v_and_b32_e32 v13, 0xffff0000, v13
	v_cmp_o_f32_e32 vcc, v11, v11
	v_add3_u32 v14, v12, v14, s13
	v_bfe_u32 v16, v10, 16, 1
	v_and_b32_e32 v15, 0xffff0000, v15
	v_cndmask_b32_e32 v11, v1, v13, vcc
	v_cmp_o_f32_e32 vcc, v9, v9
	v_lshrrev_b32_e32 v14, 16, v14
	v_add3_u32 v16, v10, v16, s13
	v_cndmask_b32_e32 v9, v1, v15, vcc
	v_cmp_o_f32_e32 vcc, v12, v12
	v_lshrrev_b32_e32 v16, 16, v16
	v_cndmask_b32_e32 v12, v6, v14, vcc
	v_cmp_o_f32_e32 vcc, v10, v10
	v_cndmask_b32_e32 v10, v6, v16, vcc
	v_or_b32_e32 v9, v12, v9
	v_or3_b32 v11, 0, v10, v11
	v_or3_b32 v10, v9, 0, 0
	global_store_dwordx2 v[4:5], v[10:11], off
	v_add_co_u32_e32 v4, vcc, s6, v4
	v_addc_co_u32_e32 v5, vcc, v5, v7, vcc
	v_add_co_u32_e32 v2, vcc, s7, v2
	v_addc_co_u32_e32 v3, vcc, v3, v8, vcc
	s_andn2_b64 exec, exec, s[2:3]
	s_cbranch_execnz .LBB141_24
.LBB141_25:
	s_endpgm
	.section	.rodata,"a",@progbits
	.p2align	6, 0x0
	.amdhsa_kernel _ZN2at6native12_GLOBAL__N_125multi_tensor_apply_kernelINS1_18TensorListMetadataILi1EEENS1_14UnaryOpFunctorIN3c108BFloat16ELi1ELi1ELi0EEEJNS0_3ExpIfEEEEEvT_T0_DpT1_
		.amdhsa_group_segment_fixed_size 0
		.amdhsa_private_segment_fixed_size 0
		.amdhsa_kernarg_size 3632
		.amdhsa_user_sgpr_count 6
		.amdhsa_user_sgpr_private_segment_buffer 1
		.amdhsa_user_sgpr_dispatch_ptr 0
		.amdhsa_user_sgpr_queue_ptr 0
		.amdhsa_user_sgpr_kernarg_segment_ptr 1
		.amdhsa_user_sgpr_dispatch_id 0
		.amdhsa_user_sgpr_flat_scratch_init 0
		.amdhsa_user_sgpr_kernarg_preload_length 0
		.amdhsa_user_sgpr_kernarg_preload_offset 0
		.amdhsa_user_sgpr_private_segment_size 0
		.amdhsa_uses_dynamic_stack 0
		.amdhsa_system_sgpr_private_segment_wavefront_offset 0
		.amdhsa_system_sgpr_workgroup_id_x 1
		.amdhsa_system_sgpr_workgroup_id_y 0
		.amdhsa_system_sgpr_workgroup_id_z 0
		.amdhsa_system_sgpr_workgroup_info 0
		.amdhsa_system_vgpr_workitem_id 0
		.amdhsa_next_free_vgpr 25
		.amdhsa_next_free_sgpr 31
		.amdhsa_accum_offset 28
		.amdhsa_reserve_vcc 1
		.amdhsa_reserve_flat_scratch 0
		.amdhsa_float_round_mode_32 0
		.amdhsa_float_round_mode_16_64 0
		.amdhsa_float_denorm_mode_32 3
		.amdhsa_float_denorm_mode_16_64 3
		.amdhsa_dx10_clamp 1
		.amdhsa_ieee_mode 1
		.amdhsa_fp16_overflow 0
		.amdhsa_tg_split 0
		.amdhsa_exception_fp_ieee_invalid_op 0
		.amdhsa_exception_fp_denorm_src 0
		.amdhsa_exception_fp_ieee_div_zero 0
		.amdhsa_exception_fp_ieee_overflow 0
		.amdhsa_exception_fp_ieee_underflow 0
		.amdhsa_exception_fp_ieee_inexact 0
		.amdhsa_exception_int_div_zero 0
	.end_amdhsa_kernel
	.section	.text._ZN2at6native12_GLOBAL__N_125multi_tensor_apply_kernelINS1_18TensorListMetadataILi1EEENS1_14UnaryOpFunctorIN3c108BFloat16ELi1ELi1ELi0EEEJNS0_3ExpIfEEEEEvT_T0_DpT1_,"axG",@progbits,_ZN2at6native12_GLOBAL__N_125multi_tensor_apply_kernelINS1_18TensorListMetadataILi1EEENS1_14UnaryOpFunctorIN3c108BFloat16ELi1ELi1ELi0EEEJNS0_3ExpIfEEEEEvT_T0_DpT1_,comdat
.Lfunc_end141:
	.size	_ZN2at6native12_GLOBAL__N_125multi_tensor_apply_kernelINS1_18TensorListMetadataILi1EEENS1_14UnaryOpFunctorIN3c108BFloat16ELi1ELi1ELi0EEEJNS0_3ExpIfEEEEEvT_T0_DpT1_, .Lfunc_end141-_ZN2at6native12_GLOBAL__N_125multi_tensor_apply_kernelINS1_18TensorListMetadataILi1EEENS1_14UnaryOpFunctorIN3c108BFloat16ELi1ELi1ELi0EEEJNS0_3ExpIfEEEEEvT_T0_DpT1_
                                        ; -- End function
	.section	.AMDGPU.csdata,"",@progbits
; Kernel info:
; codeLenInByte = 1968
; NumSgprs: 35
; NumVgprs: 25
; NumAgprs: 0
; TotalNumVgprs: 25
; ScratchSize: 0
; MemoryBound: 0
; FloatMode: 240
; IeeeMode: 1
; LDSByteSize: 0 bytes/workgroup (compile time only)
; SGPRBlocks: 4
; VGPRBlocks: 3
; NumSGPRsForWavesPerEU: 35
; NumVGPRsForWavesPerEU: 25
; AccumOffset: 28
; Occupancy: 8
; WaveLimiterHint : 0
; COMPUTE_PGM_RSRC2:SCRATCH_EN: 0
; COMPUTE_PGM_RSRC2:USER_SGPR: 6
; COMPUTE_PGM_RSRC2:TRAP_HANDLER: 0
; COMPUTE_PGM_RSRC2:TGID_X_EN: 1
; COMPUTE_PGM_RSRC2:TGID_Y_EN: 0
; COMPUTE_PGM_RSRC2:TGID_Z_EN: 0
; COMPUTE_PGM_RSRC2:TIDIG_COMP_CNT: 0
; COMPUTE_PGM_RSRC3_GFX90A:ACCUM_OFFSET: 6
; COMPUTE_PGM_RSRC3_GFX90A:TG_SPLIT: 0
	.section	.text._ZN2at6native12_GLOBAL__N_125multi_tensor_apply_kernelINS1_18TensorListMetadataILi2EEENS1_14UnaryOpFunctorIdLi2ELi1ELi1EEEJNS0_5Expm1IdEEEEEvT_T0_DpT1_,"axG",@progbits,_ZN2at6native12_GLOBAL__N_125multi_tensor_apply_kernelINS1_18TensorListMetadataILi2EEENS1_14UnaryOpFunctorIdLi2ELi1ELi1EEEJNS0_5Expm1IdEEEEEvT_T0_DpT1_,comdat
	.globl	_ZN2at6native12_GLOBAL__N_125multi_tensor_apply_kernelINS1_18TensorListMetadataILi2EEENS1_14UnaryOpFunctorIdLi2ELi1ELi1EEEJNS0_5Expm1IdEEEEEvT_T0_DpT1_ ; -- Begin function _ZN2at6native12_GLOBAL__N_125multi_tensor_apply_kernelINS1_18TensorListMetadataILi2EEENS1_14UnaryOpFunctorIdLi2ELi1ELi1EEEJNS0_5Expm1IdEEEEEvT_T0_DpT1_
	.p2align	8
	.type	_ZN2at6native12_GLOBAL__N_125multi_tensor_apply_kernelINS1_18TensorListMetadataILi2EEENS1_14UnaryOpFunctorIdLi2ELi1ELi1EEEJNS0_5Expm1IdEEEEEvT_T0_DpT1_,@function
_ZN2at6native12_GLOBAL__N_125multi_tensor_apply_kernelINS1_18TensorListMetadataILi2EEENS1_14UnaryOpFunctorIdLi2ELi1ELi1EEEJNS0_5Expm1IdEEEEEvT_T0_DpT1_: ; @_ZN2at6native12_GLOBAL__N_125multi_tensor_apply_kernelINS1_18TensorListMetadataILi2EEENS1_14UnaryOpFunctorIdLi2ELi1ELi1EEEJNS0_5Expm1IdEEEEEvT_T0_DpT1_
; %bb.0:
	v_mov_b32_e32 v1, s6
	global_load_ubyte v1, v1, s[4:5] offset:1536
	s_add_u32 s0, s4, s6
	s_mul_hi_u32 s2, s6, 3
	s_mul_i32 s6, s6, 3
	s_addc_u32 s9, s5, 0
	s_add_u32 s8, s0, s6
	s_addc_u32 s9, s9, s2
	s_load_dword s8, s[8:9], 0x740
	s_mov_b32 s1, 0
	s_mov_b32 s7, s1
	;; [unrolled: 1-line block ×3, first 2 shown]
	s_waitcnt lgkmcnt(0)
	s_ashr_i32 s9, s8, 31
	s_lshl_b64 s[16:17], s[8:9], 19
	s_waitcnt vmcnt(0)
	v_readfirstlane_b32 s0, v1
	s_lshl_b32 s0, s0, 3
	s_load_dwordx2 s[22:23], s[4:5], s0 offset:0x0
	s_load_dwordx2 s[10:11], s[4:5], s0 offset:0x400
	;; [unrolled: 1-line block ×3, first 2 shown]
	s_waitcnt lgkmcnt(0)
	s_add_u32 s33, s22, s16
	s_addc_u32 s64, s23, s17
	s_and_b32 s0, s33, 31
	s_add_u32 s65, s20, s16
	s_addc_u32 s66, s21, s17
	s_and_b32 s6, s10, 3
	s_and_b32 s2, s65, 31
	s_or_b64 s[6:7], s[0:1], s[6:7]
	s_or_b64 s[2:3], s[2:3], s[6:7]
	s_lshl_b64 s[6:7], s[8:9], 16
	s_sub_u32 s18, s10, s6
	s_subb_u32 s19, s11, s7
	s_cmp_eq_u64 s[2:3], 0
	s_mov_b64 s[2:3], -1
	s_cbranch_scc0 .LBB142_5
; %bb.1:
	v_mov_b32_e32 v3, 0
	v_lshlrev_b32_e32 v2, 2, v0
	v_cmp_gt_i64_e32 vcc, s[18:19], v[2:3]
	s_and_saveexec_b64 s[24:25], vcc
	s_cbranch_execz .LBB142_4
; %bb.2:
	s_load_dword s0, s[4:5], 0xc5c
	s_mov_b32 s2, 0x2a1b768b
	s_mov_b32 s28, 0x652b82fe
	;; [unrolled: 1-line block ×4, first 2 shown]
	s_waitcnt lgkmcnt(0)
	s_and_b32 s0, s0, 0xffff
	s_mov_b32 s3, 0x3e5af4eb
	s_mov_b32 s36, 0xa9d67f34
	;; [unrolled: 1-line block ×12, first 2 shown]
	v_lshlrev_b32_e32 v4, 5, v0
	s_mov_b64 s[26:27], 0
	v_add_lshl_u32 v2, v0, s0, 2
	s_lshl_b32 s67, s0, 2
	s_lshl_b32 s68, s0, 5
	s_mov_b32 s29, 0x3ff71547
	s_mov_b32 s31, 0xbfe62e42
	;; [unrolled: 1-line block ×4, first 2 shown]
	v_pk_mov_b32 v[6:7], s[2:3], s[2:3] op_sel:[0,1]
	s_mov_b32 s39, 0x3e927e50
	s_mov_b32 s41, 0x3ec71de0
	;; [unrolled: 1-line block ×9, first 2 shown]
	v_mov_b32_e32 v1, 0x3ff
	s_mov_b32 s57, 0x40862e42
	s_mov_b32 s56, s30
	v_mov_b32_e32 v5, 0x7ff00000
	s_mov_b32 s59, 0xc0428000
	v_mov_b32_e32 v8, 0xbff00000
	s_mov_b64 s[60:61], 0xffff
	v_mov_b32_e32 v9, s1
.LBB142_3:                              ; =>This Inner Loop Header: Depth=1
	v_cmp_le_i64_e64 s[0:1], s[18:19], v[2:3]
	v_cmp_lt_u64_e64 s[2:3], s[60:61], v[2:3]
	v_add_co_u32_e64 v2, s[6:7], s67, v2
	v_addc_co_u32_e64 v3, s[6:7], v3, v9, s[6:7]
	v_mov_b32_e32 v10, s64
	v_add_co_u32_e64 v14, s[6:7], s33, v4
	v_mov_b32_e32 v11, s66
	v_add_co_u32_e32 v18, vcc, s65, v4
	v_addc_co_u32_e64 v15, s[6:7], 0, v10, s[6:7]
	v_addc_co_u32_e32 v19, vcc, 0, v11, vcc
	global_load_dwordx4 v[10:13], v[14:15], off
	s_nop 0
	global_load_dwordx4 v[14:17], v[14:15], off offset:16
	s_or_b64 s[62:63], s[0:1], s[2:3]
	s_waitcnt vmcnt(1)
	v_mul_f64 v[22:23], v[12:13], s[28:29]
	v_mul_f64 v[20:21], v[10:11], s[28:29]
	s_waitcnt vmcnt(0)
	v_mul_f64 v[24:25], v[14:15], s[28:29]
	v_rndne_f64_e32 v[22:23], v[22:23]
	v_mul_f64 v[26:27], v[16:17], s[28:29]
	v_rndne_f64_e32 v[20:21], v[20:21]
	v_rndne_f64_e32 v[24:25], v[24:25]
	v_fma_f64 v[30:31], s[30:31], v[22:23], v[12:13]
	v_rndne_f64_e32 v[26:27], v[26:27]
	v_fma_f64 v[28:29], s[30:31], v[20:21], v[10:11]
	v_cvt_i32_f64_e32 v36, v[20:21]
	v_cvt_i32_f64_e32 v37, v[22:23]
	v_cmp_eq_f64_e32 vcc, s[54:55], v[22:23]
	v_fma_f64 v[32:33], s[30:31], v[24:25], v[14:15]
	v_cmp_eq_f64_e64 s[6:7], s[54:55], v[20:21]
	v_fmac_f64_e32 v[30:31], s[34:35], v[22:23]
	v_cvt_i32_f64_e32 v38, v[24:25]
	v_cmp_eq_f64_e64 s[0:1], s[54:55], v[24:25]
	v_fma_f64 v[34:35], s[30:31], v[26:27], v[16:17]
	v_fmac_f64_e32 v[28:29], s[34:35], v[20:21]
	v_cndmask_b32_e64 v36, v36, v1, s[6:7]
	v_cndmask_b32_e32 v37, v37, v1, vcc
	v_fmac_f64_e32 v[32:33], s[34:35], v[24:25]
	v_fma_f64 v[24:25], s[36:37], v[30:31], v[6:7]
	v_cvt_i32_f64_e32 v39, v[26:27]
	v_cmp_eq_f64_e64 s[2:3], s[54:55], v[26:27]
	v_fmac_f64_e32 v[34:35], s[34:35], v[26:27]
	v_fma_f64 v[20:21], s[36:37], v[28:29], v[6:7]
	v_ldexp_f64 v[22:23], 1.0, v36
	v_ldexp_f64 v[26:27], 1.0, v37
	v_fma_f64 v[36:37], s[36:37], v[32:33], v[6:7]
	v_fma_f64 v[24:25], v[30:31], v[24:25], s[38:39]
	;; [unrolled: 1-line block ×33, first 2 shown]
	v_fma_f64 v[24:25], v[30:31], v[24:25], 0.5
	v_cndmask_b32_e64 v38, v38, v1, s[0:1]
	v_fma_f64 v[40:41], v[34:35], v[40:41], s[52:53]
	v_fma_f64 v[20:21], v[28:29], v[20:21], 0.5
	v_fma_f64 v[36:37], v[32:33], v[36:37], 0.5
	v_mul_f64 v[24:25], v[30:31], v[24:25]
	v_cndmask_b32_e64 v42, v39, v1, s[2:3]
	v_ldexp_f64 v[38:39], 1.0, v38
	v_add_f64 v[46:47], v[26:27], -1.0
	v_fma_f64 v[40:41], v[34:35], v[40:41], 0.5
	v_mul_f64 v[20:21], v[28:29], v[20:21]
	v_mul_f64 v[36:37], v[32:33], v[36:37]
	v_fmac_f64_e32 v[30:31], v[30:31], v[24:25]
	v_ldexp_f64 v[42:43], 1.0, v42
	v_add_f64 v[44:45], v[22:23], -1.0
	v_add_f64 v[48:49], v[38:39], -1.0
	v_mul_f64 v[40:41], v[34:35], v[40:41]
	v_fmac_f64_e32 v[28:29], v[28:29], v[20:21]
	v_fmac_f64_e32 v[32:33], v[32:33], v[36:37]
	;; [unrolled: 1-line block ×3, first 2 shown]
	v_add_f64 v[50:51], v[42:43], -1.0
	v_fmac_f64_e32 v[34:35], v[34:35], v[40:41]
	v_fmac_f64_e32 v[44:45], v[22:23], v[28:29]
	;; [unrolled: 1-line block ×3, first 2 shown]
	v_add_f64 v[22:23], v[46:47], v[46:47]
	v_fmac_f64_e32 v[50:51], v[42:43], v[34:35]
	v_add_f64 v[24:25], v[48:49], v[48:49]
	v_cndmask_b32_e32 v22, v46, v22, vcc
	v_cndmask_b32_e32 v23, v47, v23, vcc
	v_cmp_nlt_f64_e32 vcc, s[56:57], v[12:13]
	v_cmp_ngt_f64_e64 s[8:9], s[58:59], v[12:13]
	v_add_f64 v[20:21], v[44:45], v[44:45]
	v_add_f64 v[26:27], v[50:51], v[50:51]
	v_cndmask_b32_e64 v24, v48, v24, s[0:1]
	v_cndmask_b32_e64 v25, v49, v25, s[0:1]
	v_cmp_nlt_f64_e64 s[0:1], s[56:57], v[14:15]
	v_cndmask_b32_e32 v23, v5, v23, vcc
	v_cmp_ngt_f64_e64 s[10:11], s[58:59], v[14:15]
	s_and_b64 vcc, s[8:9], vcc
	v_cndmask_b32_e64 v20, v44, v20, s[6:7]
	v_cndmask_b32_e64 v21, v45, v21, s[6:7]
	;; [unrolled: 1-line block ×4, first 2 shown]
	v_cmp_nlt_f64_e64 s[2:3], s[56:57], v[16:17]
	v_cmp_nlt_f64_e64 s[6:7], s[56:57], v[10:11]
	v_cmp_ngt_f64_e64 s[12:13], s[58:59], v[16:17]
	v_cmp_ngt_f64_e64 s[14:15], s[58:59], v[10:11]
	v_cndmask_b32_e32 v12, 0, v22, vcc
	s_and_b64 vcc, s[10:11], s[0:1]
	v_cndmask_b32_e64 v21, v5, v21, s[6:7]
	s_and_b64 s[6:7], s[14:15], s[6:7]
	v_cndmask_b32_e32 v14, 0, v24, vcc
	s_and_b64 vcc, s[12:13], s[2:3]
	s_add_u32 s33, s33, s68
	s_addc_u32 s64, s64, 0
	s_add_u32 s65, s65, s68
	s_addc_u32 s66, s66, 0
	v_cndmask_b32_e64 v25, v5, v25, s[0:1]
	v_cndmask_b32_e64 v27, v5, v27, s[2:3]
	s_and_b64 s[0:1], exec, s[62:63]
	v_cndmask_b32_e64 v11, v8, v21, s[14:15]
	v_cndmask_b32_e64 v10, 0, v20, s[6:7]
	;; [unrolled: 1-line block ×5, first 2 shown]
	v_cndmask_b32_e32 v16, 0, v26, vcc
	s_or_b64 s[26:27], s[0:1], s[26:27]
	global_store_dwordx4 v[18:19], v[10:13], off
	global_store_dwordx4 v[18:19], v[14:17], off offset:16
	s_andn2_b64 exec, exec, s[26:27]
	s_cbranch_execnz .LBB142_3
.LBB142_4:
	s_or_b64 exec, exec, s[24:25]
	s_mov_b64 s[2:3], 0
.LBB142_5:
	s_andn2_b64 vcc, exec, s[2:3]
	s_cbranch_vccnz .LBB142_25
; %bb.6:
	v_cmp_lt_i64_e64 s[0:1], s[18:19], 1
	s_and_b64 vcc, exec, s[0:1]
	s_cbranch_vccnz .LBB142_25
; %bb.7:
	s_load_dword s0, s[4:5], 0xc5c
	v_mov_b32_e32 v2, 0x10000
	v_mov_b32_e32 v3, 0
	v_cmp_lt_u64_e32 vcc, s[18:19], v[2:3]
	v_lshlrev_b32_e32 v10, 3, v0
	s_waitcnt lgkmcnt(0)
	s_and_b32 s2, s0, 0xffff
	s_and_b64 s[0:1], vcc, exec
	v_mov_b32_e32 v13, s23
	v_add_co_u32_e32 v2, vcc, s22, v10
	v_addc_co_u32_e32 v1, vcc, 0, v13, vcc
	v_mov_b32_e32 v11, 0
	v_mov_b32_e32 v15, s21
	v_add_co_u32_e32 v4, vcc, s20, v10
	v_addc_co_u32_e32 v3, vcc, 0, v15, vcc
	v_mad_u64_u32 v[8:9], s[0:1], s2, 24, v[10:11]
	v_add_co_u32_e32 v6, vcc, s22, v8
	v_addc_co_u32_e32 v5, vcc, v13, v9, vcc
	v_add_co_u32_e32 v8, vcc, s20, v8
	s_mul_i32 s4, s2, 3
	v_addc_co_u32_e32 v7, vcc, v15, v9, vcc
	v_add_co_u32_e32 v17, vcc, s4, v0
	v_addc_co_u32_e64 v44, s[0:1], 0, 0, vcc
	s_cselect_b32 s9, s19, 0
	s_cselect_b32 s8, s18, 0x10000
	s_lshl_b32 s0, s2, 4
	v_add_co_u32_e32 v11, vcc, s0, v10
	v_addc_co_u32_e64 v14, s[0:1], 0, 0, vcc
	v_add_co_u32_e32 v10, vcc, s22, v11
	v_addc_co_u32_e32 v9, vcc, v13, v14, vcc
	v_add_co_u32_e32 v12, vcc, s20, v11
	s_lshl_b32 s3, s2, 1
	v_addc_co_u32_e32 v11, vcc, v15, v14, vcc
	v_add_co_u32_e32 v45, vcc, s3, v0
	v_addc_co_u32_e64 v46, s[0:1], 0, 0, vcc
	v_add_co_u32_e32 v47, vcc, s2, v0
	v_lshlrev_b32_e32 v16, 3, v47
	v_addc_co_u32_e64 v48, s[0:1], 0, 0, vcc
	v_add_co_u32_e32 v14, vcc, s22, v16
	v_addc_co_u32_e32 v13, vcc, 0, v13, vcc
	v_add_co_u32_e32 v16, vcc, s20, v16
	s_mov_b32 s12, 0x652b82fe
	s_mov_b32 s14, 0
	;; [unrolled: 1-line block ×7, first 2 shown]
	s_lshl_b32 s34, s2, 2
	s_lshl_b32 s35, s2, 5
	v_addc_co_u32_e32 v15, vcc, 0, v15, vcc
	s_mov_b64 s[10:11], 0
	s_mov_b32 s13, 0x3ff71547
	s_mov_b32 s15, 0x40900000
	;; [unrolled: 1-line block ×7, first 2 shown]
	v_mov_b32_e32 v49, 0x3ff
	v_mov_b32_e32 v18, 0x2a1b768b
	;; [unrolled: 1-line block ×21, first 2 shown]
	s_branch .LBB142_9
.LBB142_8:                              ;   in Loop: Header=BB142_9 Depth=1
	s_or_b64 exec, exec, s[2:3]
	s_add_u32 s10, s10, s34
	s_addc_u32 s11, s11, 0
	s_waitcnt vmcnt(0)
	v_pk_mov_b32 v[36:37], s[18:19], s[18:19] op_sel:[0,1]
	v_cmp_ge_i64_e32 vcc, s[10:11], v[36:37]
	v_mov_b32_e32 v36, 0xffff
	v_mov_b32_e32 v37, 0
	v_cmp_gt_u64_e64 s[0:1], s[10:11], v[36:37]
	s_or_b64 s[0:1], vcc, s[0:1]
	v_mov_b32_e32 v36, s33
	v_add_co_u32_e32 v2, vcc, s35, v2
	v_addc_co_u32_e32 v1, vcc, v1, v36, vcc
	v_add_co_u32_e32 v4, vcc, s35, v4
	v_addc_co_u32_e32 v3, vcc, v3, v36, vcc
	;; [unrolled: 2-line block ×8, first 2 shown]
	s_and_b64 vcc, exec, s[0:1]
	s_cbranch_vccnz .LBB142_25
.LBB142_9:                              ; =>This Inner Loop Header: Depth=1
	v_mov_b32_e32 v37, s11
	v_add_co_u32_e32 v36, vcc, s10, v0
	v_addc_co_u32_e32 v37, vcc, 0, v37, vcc
	v_pk_mov_b32 v[40:41], 0, 0
	v_cmp_gt_u64_e64 s[4:5], s[8:9], v[36:37]
	v_pk_mov_b32 v[42:43], v[40:41], v[40:41] op_sel:[0,1]
	s_and_saveexec_b64 s[0:1], s[4:5]
	s_cbranch_execz .LBB142_11
; %bb.10:                               ;   in Loop: Header=BB142_9 Depth=1
	v_mov_b32_e32 v37, s17
	v_add_co_u32_e32 v36, vcc, s16, v2
	v_addc_co_u32_e32 v37, vcc, v1, v37, vcc
	global_load_dwordx2 v[42:43], v[36:37], off
.LBB142_11:                             ;   in Loop: Header=BB142_9 Depth=1
	s_or_b64 exec, exec, s[0:1]
	v_mov_b32_e32 v37, s11
	v_add_co_u32_e32 v36, vcc, s10, v47
	v_addc_co_u32_e32 v37, vcc, v48, v37, vcc
	v_cmp_gt_u64_e64 s[2:3], s[8:9], v[36:37]
	s_and_saveexec_b64 s[0:1], s[2:3]
	s_cbranch_execz .LBB142_13
; %bb.12:                               ;   in Loop: Header=BB142_9 Depth=1
	v_mov_b32_e32 v37, s17
	v_add_co_u32_e32 v36, vcc, s16, v14
	v_addc_co_u32_e32 v37, vcc, v13, v37, vcc
	global_load_dwordx2 v[40:41], v[36:37], off
.LBB142_13:                             ;   in Loop: Header=BB142_9 Depth=1
	s_or_b64 exec, exec, s[0:1]
	v_mov_b32_e32 v37, s11
	v_add_co_u32_e32 v36, vcc, s10, v45
	v_addc_co_u32_e32 v37, vcc, v46, v37, vcc
	v_cmp_gt_u64_e64 s[0:1], s[8:9], v[36:37]
	v_pk_mov_b32 v[36:37], 0, 0
	v_pk_mov_b32 v[38:39], v[36:37], v[36:37] op_sel:[0,1]
	s_and_saveexec_b64 s[6:7], s[0:1]
	s_cbranch_execz .LBB142_15
; %bb.14:                               ;   in Loop: Header=BB142_9 Depth=1
	v_mov_b32_e32 v39, s17
	v_add_co_u32_e32 v38, vcc, s16, v10
	v_addc_co_u32_e32 v39, vcc, v9, v39, vcc
	global_load_dwordx2 v[38:39], v[38:39], off
.LBB142_15:                             ;   in Loop: Header=BB142_9 Depth=1
	s_or_b64 exec, exec, s[6:7]
	v_mov_b32_e32 v53, s11
	v_add_co_u32_e32 v52, vcc, s10, v17
	v_addc_co_u32_e32 v53, vcc, v44, v53, vcc
	v_cmp_gt_u64_e32 vcc, s[8:9], v[52:53]
	s_and_saveexec_b64 s[30:31], vcc
	s_cbranch_execnz .LBB142_20
; %bb.16:                               ;   in Loop: Header=BB142_9 Depth=1
	s_or_b64 exec, exec, s[30:31]
	s_and_saveexec_b64 s[30:31], s[4:5]
	s_cbranch_execnz .LBB142_21
.LBB142_17:                             ;   in Loop: Header=BB142_9 Depth=1
	s_or_b64 exec, exec, s[30:31]
	s_and_saveexec_b64 s[6:7], s[2:3]
	s_cbranch_execnz .LBB142_22
.LBB142_18:                             ;   in Loop: Header=BB142_9 Depth=1
	s_or_b64 exec, exec, s[6:7]
	s_and_saveexec_b64 s[4:5], s[0:1]
	s_cbranch_execnz .LBB142_23
.LBB142_19:                             ;   in Loop: Header=BB142_9 Depth=1
	s_or_b64 exec, exec, s[4:5]
	s_and_saveexec_b64 s[2:3], vcc
	s_cbranch_execz .LBB142_8
	s_branch .LBB142_24
.LBB142_20:                             ;   in Loop: Header=BB142_9 Depth=1
	v_mov_b32_e32 v37, s17
	v_add_co_u32_e64 v36, s[6:7], s16, v6
	v_addc_co_u32_e64 v37, s[6:7], v5, v37, s[6:7]
	global_load_dwordx2 v[36:37], v[36:37], off
	s_or_b64 exec, exec, s[30:31]
	s_and_saveexec_b64 s[30:31], s[4:5]
	s_cbranch_execz .LBB142_17
.LBB142_21:                             ;   in Loop: Header=BB142_9 Depth=1
	s_waitcnt vmcnt(0)
	v_mul_f64 v[52:53], v[42:43], s[12:13]
	v_rndne_f64_e32 v[52:53], v[52:53]
	v_fma_f64 v[56:57], s[20:21], v[52:53], v[42:43]
	v_cvt_i32_f64_e32 v54, v[52:53]
	v_cmp_eq_f64_e64 s[4:5], s[14:15], v[52:53]
	v_fmac_f64_e32 v[56:57], s[22:23], v[52:53]
	v_pk_mov_b32 v[52:53], v[18:19], v[18:19] op_sel:[0,1]
	v_fmac_f64_e32 v[52:53], s[24:25], v[56:57]
	v_pk_mov_b32 v[58:59], v[20:21], v[20:21] op_sel:[0,1]
	;; [unrolled: 2-line block ×9, first 2 shown]
	v_fmac_f64_e32 v[52:53], v[56:57], v[58:59]
	v_cndmask_b32_e64 v54, v54, v49, s[4:5]
	v_fma_f64 v[52:53], v[56:57], v[52:53], 0.5
	v_ldexp_f64 v[54:55], 1.0, v54
	v_mul_f64 v[52:53], v[56:57], v[52:53]
	v_fmac_f64_e32 v[56:57], v[56:57], v[52:53]
	v_add_f64 v[52:53], v[54:55], -1.0
	v_fmac_f64_e32 v[52:53], v[54:55], v[56:57]
	v_add_f64 v[54:55], v[52:53], v[52:53]
	s_mov_b32 s26, s20
	v_cndmask_b32_e64 v52, v52, v54, s[4:5]
	v_cndmask_b32_e64 v53, v53, v55, s[4:5]
	v_cmp_nlt_f64_e64 s[4:5], s[26:27], v[42:43]
	v_cmp_ngt_f64_e64 s[6:7], s[28:29], v[42:43]
	v_cndmask_b32_e64 v53, v50, v53, s[4:5]
	s_and_b64 s[4:5], s[6:7], s[4:5]
	v_cndmask_b32_e64 v43, v51, v53, s[6:7]
	v_cndmask_b32_e64 v42, 0, v52, s[4:5]
	v_mov_b32_e32 v53, s17
	v_add_co_u32_e64 v52, s[4:5], s16, v4
	v_addc_co_u32_e64 v53, s[4:5], v3, v53, s[4:5]
	global_store_dwordx2 v[52:53], v[42:43], off
	s_or_b64 exec, exec, s[30:31]
	s_and_saveexec_b64 s[6:7], s[2:3]
	s_cbranch_execz .LBB142_18
.LBB142_22:                             ;   in Loop: Header=BB142_9 Depth=1
	s_waitcnt vmcnt(0)
	v_mul_f64 v[42:43], v[40:41], s[12:13]
	v_rndne_f64_e32 v[42:43], v[42:43]
	v_fma_f64 v[52:53], s[20:21], v[42:43], v[40:41]
	v_fmac_f64_e32 v[52:53], s[22:23], v[42:43]
	v_pk_mov_b32 v[54:55], v[18:19], v[18:19] op_sel:[0,1]
	v_fmac_f64_e32 v[54:55], s[24:25], v[52:53]
	v_pk_mov_b32 v[56:57], v[20:21], v[20:21] op_sel:[0,1]
	;; [unrolled: 2-line block ×9, first 2 shown]
	v_fmac_f64_e32 v[54:55], v[52:53], v[56:57]
	v_fma_f64 v[54:55], v[52:53], v[54:55], 0.5
	v_mul_f64 v[54:55], v[52:53], v[54:55]
	v_fmac_f64_e32 v[52:53], v[52:53], v[54:55]
	v_cvt_i32_f64_e32 v54, v[42:43]
	v_cmp_eq_f64_e64 s[2:3], s[14:15], v[42:43]
	v_cndmask_b32_e64 v42, v54, v49, s[2:3]
	v_ldexp_f64 v[42:43], 1.0, v42
	v_add_f64 v[54:55], v[42:43], -1.0
	v_fmac_f64_e32 v[54:55], v[42:43], v[52:53]
	v_add_f64 v[42:43], v[54:55], v[54:55]
	s_mov_b32 s26, s20
	v_cndmask_b32_e64 v42, v54, v42, s[2:3]
	v_cndmask_b32_e64 v43, v55, v43, s[2:3]
	v_cmp_nlt_f64_e64 s[2:3], s[26:27], v[40:41]
	v_cmp_ngt_f64_e64 s[4:5], s[28:29], v[40:41]
	v_cndmask_b32_e64 v43, v50, v43, s[2:3]
	s_and_b64 s[2:3], s[4:5], s[2:3]
	v_cndmask_b32_e64 v41, v51, v43, s[4:5]
	v_cndmask_b32_e64 v40, 0, v42, s[2:3]
	v_mov_b32_e32 v43, s17
	v_add_co_u32_e64 v42, s[2:3], s16, v16
	v_addc_co_u32_e64 v43, s[2:3], v15, v43, s[2:3]
	global_store_dwordx2 v[42:43], v[40:41], off
	s_or_b64 exec, exec, s[6:7]
	s_and_saveexec_b64 s[4:5], s[0:1]
	s_cbranch_execz .LBB142_19
.LBB142_23:                             ;   in Loop: Header=BB142_9 Depth=1
	s_waitcnt vmcnt(0)
	v_mul_f64 v[40:41], v[38:39], s[12:13]
	v_rndne_f64_e32 v[40:41], v[40:41]
	v_fma_f64 v[42:43], s[20:21], v[40:41], v[38:39]
	v_fmac_f64_e32 v[42:43], s[22:23], v[40:41]
	v_pk_mov_b32 v[52:53], v[18:19], v[18:19] op_sel:[0,1]
	v_fmac_f64_e32 v[52:53], s[24:25], v[42:43]
	v_pk_mov_b32 v[54:55], v[20:21], v[20:21] op_sel:[0,1]
	;; [unrolled: 2-line block ×9, first 2 shown]
	v_fmac_f64_e32 v[52:53], v[42:43], v[54:55]
	v_fma_f64 v[52:53], v[42:43], v[52:53], 0.5
	v_mul_f64 v[52:53], v[42:43], v[52:53]
	v_fmac_f64_e32 v[42:43], v[42:43], v[52:53]
	v_cvt_i32_f64_e32 v52, v[40:41]
	v_cmp_eq_f64_e64 s[0:1], s[14:15], v[40:41]
	v_cndmask_b32_e64 v40, v52, v49, s[0:1]
	v_ldexp_f64 v[40:41], 1.0, v40
	v_add_f64 v[52:53], v[40:41], -1.0
	v_fmac_f64_e32 v[52:53], v[40:41], v[42:43]
	v_add_f64 v[40:41], v[52:53], v[52:53]
	s_mov_b32 s26, s20
	v_cndmask_b32_e64 v40, v52, v40, s[0:1]
	v_cndmask_b32_e64 v41, v53, v41, s[0:1]
	v_cmp_nlt_f64_e64 s[0:1], s[26:27], v[38:39]
	v_cmp_ngt_f64_e64 s[2:3], s[28:29], v[38:39]
	v_cndmask_b32_e64 v41, v50, v41, s[0:1]
	s_and_b64 s[0:1], s[2:3], s[0:1]
	v_cndmask_b32_e64 v39, v51, v41, s[2:3]
	v_cndmask_b32_e64 v38, 0, v40, s[0:1]
	v_mov_b32_e32 v41, s17
	v_add_co_u32_e64 v40, s[0:1], s16, v12
	v_addc_co_u32_e64 v41, s[0:1], v11, v41, s[0:1]
	global_store_dwordx2 v[40:41], v[38:39], off
	s_or_b64 exec, exec, s[4:5]
	s_and_saveexec_b64 s[2:3], vcc
	s_cbranch_execz .LBB142_8
.LBB142_24:                             ;   in Loop: Header=BB142_9 Depth=1
	s_waitcnt vmcnt(0)
	v_mul_f64 v[38:39], v[36:37], s[12:13]
	v_rndne_f64_e32 v[38:39], v[38:39]
	v_fma_f64 v[40:41], s[20:21], v[38:39], v[36:37]
	v_fmac_f64_e32 v[40:41], s[22:23], v[38:39]
	v_pk_mov_b32 v[42:43], v[18:19], v[18:19] op_sel:[0,1]
	v_fmac_f64_e32 v[42:43], s[24:25], v[40:41]
	v_pk_mov_b32 v[52:53], v[20:21], v[20:21] op_sel:[0,1]
	;; [unrolled: 2-line block ×9, first 2 shown]
	v_fmac_f64_e32 v[42:43], v[40:41], v[52:53]
	v_fma_f64 v[42:43], v[40:41], v[42:43], 0.5
	v_mul_f64 v[42:43], v[40:41], v[42:43]
	v_fmac_f64_e32 v[40:41], v[40:41], v[42:43]
	v_cvt_i32_f64_e32 v42, v[38:39]
	v_cmp_eq_f64_e32 vcc, s[14:15], v[38:39]
	v_cndmask_b32_e32 v38, v42, v49, vcc
	v_ldexp_f64 v[38:39], 1.0, v38
	v_add_f64 v[42:43], v[38:39], -1.0
	v_fmac_f64_e32 v[42:43], v[38:39], v[40:41]
	v_add_f64 v[38:39], v[42:43], v[42:43]
	s_mov_b32 s26, s20
	v_cndmask_b32_e32 v38, v42, v38, vcc
	v_cndmask_b32_e32 v39, v43, v39, vcc
	v_cmp_nlt_f64_e32 vcc, s[26:27], v[36:37]
	v_cmp_ngt_f64_e64 s[0:1], s[28:29], v[36:37]
	v_cndmask_b32_e32 v39, v50, v39, vcc
	s_and_b64 vcc, s[0:1], vcc
	v_cndmask_b32_e64 v37, v51, v39, s[0:1]
	v_cndmask_b32_e32 v36, 0, v38, vcc
	v_mov_b32_e32 v39, s17
	v_add_co_u32_e32 v38, vcc, s16, v8
	v_addc_co_u32_e32 v39, vcc, v7, v39, vcc
	global_store_dwordx2 v[38:39], v[36:37], off
	s_branch .LBB142_8
.LBB142_25:
	s_endpgm
	.section	.rodata,"a",@progbits
	.p2align	6, 0x0
	.amdhsa_kernel _ZN2at6native12_GLOBAL__N_125multi_tensor_apply_kernelINS1_18TensorListMetadataILi2EEENS1_14UnaryOpFunctorIdLi2ELi1ELi1EEEJNS0_5Expm1IdEEEEEvT_T0_DpT1_
		.amdhsa_group_segment_fixed_size 0
		.amdhsa_private_segment_fixed_size 0
		.amdhsa_kernarg_size 3408
		.amdhsa_user_sgpr_count 6
		.amdhsa_user_sgpr_private_segment_buffer 1
		.amdhsa_user_sgpr_dispatch_ptr 0
		.amdhsa_user_sgpr_queue_ptr 0
		.amdhsa_user_sgpr_kernarg_segment_ptr 1
		.amdhsa_user_sgpr_dispatch_id 0
		.amdhsa_user_sgpr_flat_scratch_init 0
		.amdhsa_user_sgpr_kernarg_preload_length 0
		.amdhsa_user_sgpr_kernarg_preload_offset 0
		.amdhsa_user_sgpr_private_segment_size 0
		.amdhsa_uses_dynamic_stack 0
		.amdhsa_system_sgpr_private_segment_wavefront_offset 0
		.amdhsa_system_sgpr_workgroup_id_x 1
		.amdhsa_system_sgpr_workgroup_id_y 0
		.amdhsa_system_sgpr_workgroup_id_z 0
		.amdhsa_system_sgpr_workgroup_info 0
		.amdhsa_system_vgpr_workitem_id 0
		.amdhsa_next_free_vgpr 60
		.amdhsa_next_free_sgpr 69
		.amdhsa_accum_offset 60
		.amdhsa_reserve_vcc 1
		.amdhsa_reserve_flat_scratch 0
		.amdhsa_float_round_mode_32 0
		.amdhsa_float_round_mode_16_64 0
		.amdhsa_float_denorm_mode_32 3
		.amdhsa_float_denorm_mode_16_64 3
		.amdhsa_dx10_clamp 1
		.amdhsa_ieee_mode 1
		.amdhsa_fp16_overflow 0
		.amdhsa_tg_split 0
		.amdhsa_exception_fp_ieee_invalid_op 0
		.amdhsa_exception_fp_denorm_src 0
		.amdhsa_exception_fp_ieee_div_zero 0
		.amdhsa_exception_fp_ieee_overflow 0
		.amdhsa_exception_fp_ieee_underflow 0
		.amdhsa_exception_fp_ieee_inexact 0
		.amdhsa_exception_int_div_zero 0
	.end_amdhsa_kernel
	.section	.text._ZN2at6native12_GLOBAL__N_125multi_tensor_apply_kernelINS1_18TensorListMetadataILi2EEENS1_14UnaryOpFunctorIdLi2ELi1ELi1EEEJNS0_5Expm1IdEEEEEvT_T0_DpT1_,"axG",@progbits,_ZN2at6native12_GLOBAL__N_125multi_tensor_apply_kernelINS1_18TensorListMetadataILi2EEENS1_14UnaryOpFunctorIdLi2ELi1ELi1EEEJNS0_5Expm1IdEEEEEvT_T0_DpT1_,comdat
.Lfunc_end142:
	.size	_ZN2at6native12_GLOBAL__N_125multi_tensor_apply_kernelINS1_18TensorListMetadataILi2EEENS1_14UnaryOpFunctorIdLi2ELi1ELi1EEEJNS0_5Expm1IdEEEEEvT_T0_DpT1_, .Lfunc_end142-_ZN2at6native12_GLOBAL__N_125multi_tensor_apply_kernelINS1_18TensorListMetadataILi2EEENS1_14UnaryOpFunctorIdLi2ELi1ELi1EEEJNS0_5Expm1IdEEEEEvT_T0_DpT1_
                                        ; -- End function
	.section	.AMDGPU.csdata,"",@progbits
; Kernel info:
; codeLenInByte = 3668
; NumSgprs: 73
; NumVgprs: 60
; NumAgprs: 0
; TotalNumVgprs: 60
; ScratchSize: 0
; MemoryBound: 0
; FloatMode: 240
; IeeeMode: 1
; LDSByteSize: 0 bytes/workgroup (compile time only)
; SGPRBlocks: 9
; VGPRBlocks: 7
; NumSGPRsForWavesPerEU: 73
; NumVGPRsForWavesPerEU: 60
; AccumOffset: 60
; Occupancy: 8
; WaveLimiterHint : 0
; COMPUTE_PGM_RSRC2:SCRATCH_EN: 0
; COMPUTE_PGM_RSRC2:USER_SGPR: 6
; COMPUTE_PGM_RSRC2:TRAP_HANDLER: 0
; COMPUTE_PGM_RSRC2:TGID_X_EN: 1
; COMPUTE_PGM_RSRC2:TGID_Y_EN: 0
; COMPUTE_PGM_RSRC2:TGID_Z_EN: 0
; COMPUTE_PGM_RSRC2:TIDIG_COMP_CNT: 0
; COMPUTE_PGM_RSRC3_GFX90A:ACCUM_OFFSET: 14
; COMPUTE_PGM_RSRC3_GFX90A:TG_SPLIT: 0
	.section	.text._ZN2at6native12_GLOBAL__N_125multi_tensor_apply_kernelINS1_18TensorListMetadataILi2EEENS1_14UnaryOpFunctorIfLi2ELi1ELi1EEEJNS0_5Expm1IfEEEEEvT_T0_DpT1_,"axG",@progbits,_ZN2at6native12_GLOBAL__N_125multi_tensor_apply_kernelINS1_18TensorListMetadataILi2EEENS1_14UnaryOpFunctorIfLi2ELi1ELi1EEEJNS0_5Expm1IfEEEEEvT_T0_DpT1_,comdat
	.globl	_ZN2at6native12_GLOBAL__N_125multi_tensor_apply_kernelINS1_18TensorListMetadataILi2EEENS1_14UnaryOpFunctorIfLi2ELi1ELi1EEEJNS0_5Expm1IfEEEEEvT_T0_DpT1_ ; -- Begin function _ZN2at6native12_GLOBAL__N_125multi_tensor_apply_kernelINS1_18TensorListMetadataILi2EEENS1_14UnaryOpFunctorIfLi2ELi1ELi1EEEJNS0_5Expm1IfEEEEEvT_T0_DpT1_
	.p2align	8
	.type	_ZN2at6native12_GLOBAL__N_125multi_tensor_apply_kernelINS1_18TensorListMetadataILi2EEENS1_14UnaryOpFunctorIfLi2ELi1ELi1EEEJNS0_5Expm1IfEEEEEvT_T0_DpT1_,@function
_ZN2at6native12_GLOBAL__N_125multi_tensor_apply_kernelINS1_18TensorListMetadataILi2EEENS1_14UnaryOpFunctorIfLi2ELi1ELi1EEEJNS0_5Expm1IfEEEEEvT_T0_DpT1_: ; @_ZN2at6native12_GLOBAL__N_125multi_tensor_apply_kernelINS1_18TensorListMetadataILi2EEENS1_14UnaryOpFunctorIfLi2ELi1ELi1EEEJNS0_5Expm1IfEEEEEvT_T0_DpT1_
; %bb.0:
	v_mov_b32_e32 v1, s6
	global_load_ubyte v1, v1, s[4:5] offset:1536
	s_add_u32 s0, s4, s6
	s_mul_hi_u32 s2, s6, 3
	s_mul_i32 s6, s6, 3
	s_addc_u32 s7, s5, 0
	s_add_u32 s6, s0, s6
	s_addc_u32 s7, s7, s2
	s_mov_b32 s1, 0
	s_mov_b32 s3, s1
	s_waitcnt vmcnt(0)
	v_readfirstlane_b32 s0, v1
	s_lshl_b32 s0, s0, 3
	s_load_dword s10, s[6:7], 0x740
	s_load_dwordx2 s[16:17], s[4:5], s0 offset:0x0
	s_load_dwordx2 s[12:13], s[4:5], s0 offset:0x400
	;; [unrolled: 1-line block ×3, first 2 shown]
	s_mov_b32 s7, s1
	s_waitcnt lgkmcnt(0)
	s_ashr_i32 s11, s10, 31
	s_and_b32 s0, s16, 15
	s_and_b32 s6, s12, 3
	;; [unrolled: 1-line block ×3, first 2 shown]
	s_or_b64 s[6:7], s[0:1], s[6:7]
	s_lshl_b64 s[8:9], s[10:11], 18
	s_or_b64 s[2:3], s[2:3], s[6:7]
	s_lshl_b64 s[6:7], s[10:11], 16
	s_sub_u32 s10, s12, s6
	s_subb_u32 s11, s13, s7
	s_cmp_eq_u64 s[2:3], 0
	s_mov_b64 s[2:3], -1
	s_cbranch_scc0 .LBB143_5
; %bb.1:
	v_mov_b32_e32 v3, 0
	v_lshlrev_b32_e32 v2, 2, v0
	v_cmp_gt_i64_e32 vcc, s[10:11], v[2:3]
	s_and_saveexec_b64 s[12:13], vcc
	s_cbranch_execz .LBB143_4
; %bb.2:
	s_load_dword s0, s[4:5], 0xc5c
	v_lshlrev_b32_e32 v1, 4, v0
	v_mov_b32_e32 v4, s9
	v_add_co_u32_e32 v1, vcc, s8, v1
	s_waitcnt lgkmcnt(0)
	s_and_b32 s0, s0, 0xffff
	v_addc_co_u32_e32 v5, vcc, 0, v4, vcc
	v_add_lshl_u32 v2, v0, s0, 2
	s_lshl_b32 s21, s0, 2
	v_add_co_u32_e32 v4, vcc, 8, v1
	s_lshl_b32 s23, s0, 4
	s_mov_b32 s0, 0x3ab69700
	v_addc_co_u32_e32 v1, vcc, 0, v5, vcc
	s_mov_b64 s[18:19], 0
	v_mov_b32_e32 v5, s17
	v_mov_b32_e32 v8, s15
	s_mov_b32 s20, 0x3fb8aa3b
	s_mov_b32 s22, 0x3f317218
	;; [unrolled: 1-line block ×4, first 2 shown]
	v_mov_b32_e32 v9, 0x7f
	s_mov_b32 s26, 0x395133b1
	v_pk_mov_b32 v[6:7], s[0:1], s[0:1] op_sel:[0,1]
	s_mov_b32 s28, 0x3c0887f9
	s_mov_b32 s30, 0x3d2aaa81
	;; [unrolled: 1-line block ×4, first 2 shown]
	v_mov_b32_e32 v10, 0x7f800000
	s_mov_b32 s29, 0xc1880000
	s_mov_b64 s[36:37], 0xffff
	v_mov_b32_e32 v11, s1
	v_mov_b32_e32 v12, s1
.LBB143_3:                              ; =>This Inner Loop Header: Depth=1
	v_add_co_u32_e32 v14, vcc, s16, v4
	v_addc_co_u32_e32 v15, vcc, v5, v1, vcc
	global_load_dwordx4 v[14:17], v[14:15], off offset:-8
	v_add_co_u32_e32 v18, vcc, s14, v4
	v_addc_co_u32_e32 v19, vcc, v8, v1, vcc
	v_cmp_le_i64_e32 vcc, s[10:11], v[2:3]
	v_cmp_lt_u64_e64 s[0:1], s[36:37], v[2:3]
	v_add_co_u32_e64 v2, s[2:3], s21, v2
	v_addc_co_u32_e64 v3, s[2:3], v3, v11, s[2:3]
	v_add_co_u32_e64 v4, s[2:3], s23, v4
	s_or_b64 s[0:1], vcc, s[0:1]
	v_addc_co_u32_e64 v1, s[2:3], v1, v12, s[2:3]
	s_and_b64 s[0:1], exec, s[0:1]
	s_or_b64 s[18:19], s[0:1], s[18:19]
	s_waitcnt vmcnt(0)
	v_pk_mul_f32 v[20:21], v[14:15], s[20:21] op_sel_hi:[1,0]
	v_pk_mul_f32 v[22:23], v[16:17], s[20:21] op_sel_hi:[1,0]
	v_rndne_f32_e32 v21, v21
	v_rndne_f32_e32 v20, v20
	;; [unrolled: 1-line block ×4, first 2 shown]
	v_pk_fma_f32 v[24:25], v[20:21], s[22:23], v[14:15] op_sel_hi:[1,0,1] neg_lo:[1,0,0] neg_hi:[1,0,0]
	v_pk_fma_f32 v[26:27], v[22:23], s[22:23], v[16:17] op_sel_hi:[1,0,1] neg_lo:[1,0,0] neg_hi:[1,0,0]
	v_cvt_i32_f32_e32 v13, v20
	v_cvt_i32_f32_e32 v28, v21
	v_cmp_eq_f32_e32 vcc, s25, v21
	v_cvt_i32_f32_e32 v29, v22
	v_cvt_i32_f32_e32 v30, v23
	v_cmp_eq_f32_e64 s[0:1], s25, v23
	v_cmp_eq_f32_e64 s[2:3], s25, v22
	;; [unrolled: 1-line block ×3, first 2 shown]
	v_pk_fma_f32 v[20:21], v[20:21], s[24:25], v[24:25] op_sel_hi:[1,0,1] neg_lo:[1,0,0] neg_hi:[1,0,0]
	v_pk_fma_f32 v[22:23], v[22:23], s[24:25], v[26:27] op_sel_hi:[1,0,1] neg_lo:[1,0,0] neg_hi:[1,0,0]
	v_pk_fma_f32 v[24:25], v[20:21], s[26:27], v[6:7] op_sel_hi:[1,0,0]
	v_pk_fma_f32 v[26:27], v[22:23], s[26:27], v[6:7] op_sel_hi:[1,0,0]
	;; [unrolled: 1-line block ×8, first 2 shown]
	v_cndmask_b32_e64 v13, v13, v9, s[6:7]
	v_cndmask_b32_e32 v31, v28, v9, vcc
	v_cndmask_b32_e64 v32, v29, v9, s[2:3]
	v_cndmask_b32_e64 v33, v30, v9, s[0:1]
	v_pk_fma_f32 v[24:25], v[20:21], v[24:25], 0.5 op_sel_hi:[1,1,0]
	v_pk_fma_f32 v[26:27], v[22:23], v[26:27], 0.5 op_sel_hi:[1,1,0]
	v_ldexp_f32 v28, 1.0, v13
	v_ldexp_f32 v29, 1.0, v31
	;; [unrolled: 1-line block ×4, first 2 shown]
	v_pk_mul_f32 v[24:25], v[20:21], v[24:25]
	v_pk_mul_f32 v[26:27], v[22:23], v[26:27]
	v_pk_add_f32 v[32:33], -1.0, v[28:29] op_sel_hi:[0,1]
	v_pk_add_f32 v[34:35], -1.0, v[30:31] op_sel_hi:[0,1]
	v_pk_fma_f32 v[20:21], v[20:21], v[24:25], v[20:21]
	v_pk_fma_f32 v[22:23], v[22:23], v[26:27], v[22:23]
	;; [unrolled: 1-line block ×4, first 2 shown]
	v_pk_add_f32 v[24:25], v[20:21], v[20:21]
	v_pk_add_f32 v[26:27], v[22:23], v[22:23]
	v_cndmask_b32_e32 v13, v21, v25, vcc
	v_cndmask_b32_e64 v20, v20, v24, s[6:7]
	v_cmp_nlt_f32_e32 vcc, s27, v15
	v_cndmask_b32_e64 v21, v23, v27, s[0:1]
	v_cndmask_b32_e64 v22, v22, v26, s[2:3]
	v_cmp_nlt_f32_e64 s[0:1], s27, v16
	v_cmp_nlt_f32_e64 s[2:3], s27, v17
	v_cmp_nlt_f32_e64 s[6:7], s27, v14
	v_cndmask_b32_e64 v20, v10, v20, s[6:7]
	v_cndmask_b32_e32 v13, v10, v13, vcc
	v_cmp_ngt_f32_e32 vcc, s29, v14
	v_cndmask_b32_e64 v22, v10, v22, s[0:1]
	v_cndmask_b32_e64 v21, v10, v21, s[2:3]
	v_cmp_ngt_f32_e64 s[0:1], s29, v17
	v_cmp_ngt_f32_e64 s[2:3], s29, v16
	;; [unrolled: 1-line block ×3, first 2 shown]
	v_cndmask_b32_e64 v15, -1.0, v13, s[6:7]
	v_cndmask_b32_e32 v14, -1.0, v20, vcc
	v_cndmask_b32_e64 v17, -1.0, v21, s[0:1]
	v_cndmask_b32_e64 v16, -1.0, v22, s[2:3]
	global_store_dwordx4 v[18:19], v[14:17], off offset:-8
	s_andn2_b64 exec, exec, s[18:19]
	s_cbranch_execnz .LBB143_3
.LBB143_4:
	s_or_b64 exec, exec, s[12:13]
	s_mov_b64 s[2:3], 0
.LBB143_5:
	s_andn2_b64 vcc, exec, s[2:3]
	s_cbranch_vccnz .LBB143_25
; %bb.6:
	v_cmp_lt_i64_e64 s[0:1], s[10:11], 1
	s_and_b64 vcc, exec, s[0:1]
	s_cbranch_vccnz .LBB143_25
; %bb.7:
	s_load_dword s0, s[4:5], 0xc5c
	v_mov_b32_e32 v2, 0x10000
	v_mov_b32_e32 v3, 0
	v_cmp_lt_u64_e32 vcc, s[10:11], v[2:3]
	v_lshlrev_b32_e32 v10, 2, v0
	s_waitcnt lgkmcnt(0)
	s_and_b32 s2, s0, 0xffff
	s_and_b64 s[0:1], vcc, exec
	v_mov_b32_e32 v13, s17
	v_add_co_u32_e32 v2, vcc, s16, v10
	v_addc_co_u32_e32 v1, vcc, 0, v13, vcc
	v_mov_b32_e32 v11, 0
	v_mov_b32_e32 v15, s15
	v_add_co_u32_e32 v4, vcc, s14, v10
	v_addc_co_u32_e32 v3, vcc, 0, v15, vcc
	v_mad_u64_u32 v[8:9], s[0:1], s2, 12, v[10:11]
	v_add_co_u32_e32 v6, vcc, s16, v8
	v_addc_co_u32_e32 v5, vcc, v13, v9, vcc
	v_add_co_u32_e32 v8, vcc, s14, v8
	s_mul_i32 s4, s2, 3
	v_addc_co_u32_e32 v7, vcc, v15, v9, vcc
	v_add_co_u32_e32 v17, vcc, s4, v0
	v_addc_co_u32_e64 v18, s[0:1], 0, 0, vcc
	s_cselect_b32 s13, s11, 0
	s_cselect_b32 s12, s10, 0x10000
	s_lshl_b32 s0, s2, 3
	v_add_co_u32_e32 v11, vcc, s0, v10
	v_addc_co_u32_e64 v14, s[0:1], 0, 0, vcc
	v_add_co_u32_e32 v10, vcc, s16, v11
	v_addc_co_u32_e32 v9, vcc, v13, v14, vcc
	v_add_co_u32_e32 v12, vcc, s14, v11
	s_lshl_b32 s3, s2, 1
	v_addc_co_u32_e32 v11, vcc, v15, v14, vcc
	v_add_co_u32_e32 v19, vcc, s3, v0
	v_addc_co_u32_e64 v20, s[0:1], 0, 0, vcc
	v_add_co_u32_e32 v21, vcc, s2, v0
	v_lshlrev_b32_e32 v16, 2, v21
	v_addc_co_u32_e64 v22, s[0:1], 0, 0, vcc
	v_add_co_u32_e32 v14, vcc, s16, v16
	v_addc_co_u32_e32 v13, vcc, 0, v13, vcc
	v_add_co_u32_e32 v16, vcc, s14, v16
	s_mov_b32 s18, 0
	s_lshl_b32 s19, s2, 2
	s_lshl_b32 s20, s2, 4
	v_addc_co_u32_e32 v15, vcc, 0, v15, vcc
	s_mov_b64 s[14:15], 0
	s_mov_b32 s21, 0x43000000
	v_mov_b32_e32 v23, 0x3c0887f9
	v_mov_b32_e32 v24, 0x3d2aaa81
	;; [unrolled: 1-line block ×3, first 2 shown]
	s_mov_b32 s22, 0x42b17217
	s_mov_b32 s23, 0xc1880000
	v_mov_b32_e32 v26, 0x7f
	v_mov_b32_e32 v27, 0x7f800000
	s_branch .LBB143_9
.LBB143_8:                              ;   in Loop: Header=BB143_9 Depth=1
	s_or_b64 exec, exec, s[0:1]
	s_add_u32 s14, s14, s19
	s_addc_u32 s15, s15, 0
	s_waitcnt vmcnt(0)
	v_pk_mov_b32 v[28:29], s[10:11], s[10:11] op_sel:[0,1]
	v_cmp_ge_i64_e32 vcc, s[14:15], v[28:29]
	v_mov_b32_e32 v28, 0xffff
	v_mov_b32_e32 v29, 0
	v_cmp_gt_u64_e64 s[0:1], s[14:15], v[28:29]
	s_or_b64 s[0:1], vcc, s[0:1]
	v_mov_b32_e32 v28, s18
	v_add_co_u32_e32 v2, vcc, s20, v2
	v_addc_co_u32_e32 v1, vcc, v1, v28, vcc
	v_add_co_u32_e32 v4, vcc, s20, v4
	v_addc_co_u32_e32 v3, vcc, v3, v28, vcc
	;; [unrolled: 2-line block ×8, first 2 shown]
	s_and_b64 vcc, exec, s[0:1]
	s_cbranch_vccnz .LBB143_25
.LBB143_9:                              ; =>This Inner Loop Header: Depth=1
	v_mov_b32_e32 v29, s15
	v_add_co_u32_e32 v28, vcc, s14, v0
	v_addc_co_u32_e32 v29, vcc, 0, v29, vcc
	v_cmp_gt_u64_e64 s[4:5], s[12:13], v[28:29]
	v_mov_b32_e32 v31, 0
	s_and_saveexec_b64 s[0:1], s[4:5]
	s_cbranch_execz .LBB143_11
; %bb.10:                               ;   in Loop: Header=BB143_9 Depth=1
	v_mov_b32_e32 v29, s9
	v_add_co_u32_e32 v28, vcc, s8, v2
	v_addc_co_u32_e32 v29, vcc, v1, v29, vcc
	global_load_dword v31, v[28:29], off
.LBB143_11:                             ;   in Loop: Header=BB143_9 Depth=1
	s_or_b64 exec, exec, s[0:1]
	v_mov_b32_e32 v29, s15
	v_add_co_u32_e32 v28, vcc, s14, v21
	v_addc_co_u32_e32 v29, vcc, v22, v29, vcc
	v_cmp_gt_u64_e64 s[2:3], s[12:13], v[28:29]
	v_mov_b32_e32 v30, 0
	s_and_saveexec_b64 s[0:1], s[2:3]
	s_cbranch_execz .LBB143_13
; %bb.12:                               ;   in Loop: Header=BB143_9 Depth=1
	v_mov_b32_e32 v29, s9
	v_add_co_u32_e32 v28, vcc, s8, v14
	v_addc_co_u32_e32 v29, vcc, v13, v29, vcc
	global_load_dword v30, v[28:29], off
.LBB143_13:                             ;   in Loop: Header=BB143_9 Depth=1
	s_or_b64 exec, exec, s[0:1]
	v_mov_b32_e32 v29, s15
	v_add_co_u32_e32 v28, vcc, s14, v19
	v_addc_co_u32_e32 v29, vcc, v20, v29, vcc
	v_cmp_gt_u64_e64 s[0:1], s[12:13], v[28:29]
	v_mov_b32_e32 v28, 0
	v_mov_b32_e32 v29, 0
	s_and_saveexec_b64 s[6:7], s[0:1]
	s_cbranch_execz .LBB143_15
; %bb.14:                               ;   in Loop: Header=BB143_9 Depth=1
	v_mov_b32_e32 v29, s9
	v_add_co_u32_e32 v32, vcc, s8, v10
	v_addc_co_u32_e32 v33, vcc, v9, v29, vcc
	global_load_dword v29, v[32:33], off
.LBB143_15:                             ;   in Loop: Header=BB143_9 Depth=1
	s_or_b64 exec, exec, s[6:7]
	v_mov_b32_e32 v33, s15
	v_add_co_u32_e32 v32, vcc, s14, v17
	v_addc_co_u32_e32 v33, vcc, v18, v33, vcc
	v_cmp_gt_u64_e32 vcc, s[12:13], v[32:33]
	s_and_saveexec_b64 s[16:17], vcc
	s_cbranch_execnz .LBB143_20
; %bb.16:                               ;   in Loop: Header=BB143_9 Depth=1
	s_or_b64 exec, exec, s[16:17]
	s_and_saveexec_b64 s[6:7], s[4:5]
	s_cbranch_execnz .LBB143_21
.LBB143_17:                             ;   in Loop: Header=BB143_9 Depth=1
	s_or_b64 exec, exec, s[6:7]
	s_and_saveexec_b64 s[4:5], s[2:3]
	s_cbranch_execnz .LBB143_22
.LBB143_18:                             ;   in Loop: Header=BB143_9 Depth=1
	s_or_b64 exec, exec, s[4:5]
	s_and_saveexec_b64 s[2:3], s[0:1]
	s_cbranch_execnz .LBB143_23
.LBB143_19:                             ;   in Loop: Header=BB143_9 Depth=1
	s_or_b64 exec, exec, s[2:3]
	s_and_saveexec_b64 s[0:1], vcc
	s_cbranch_execz .LBB143_8
	s_branch .LBB143_24
.LBB143_20:                             ;   in Loop: Header=BB143_9 Depth=1
	v_mov_b32_e32 v28, s9
	v_add_co_u32_e64 v32, s[6:7], s8, v6
	v_addc_co_u32_e64 v33, s[6:7], v5, v28, s[6:7]
	global_load_dword v28, v[32:33], off
	s_or_b64 exec, exec, s[16:17]
	s_and_saveexec_b64 s[6:7], s[4:5]
	s_cbranch_execz .LBB143_17
.LBB143_21:                             ;   in Loop: Header=BB143_9 Depth=1
	s_waitcnt vmcnt(0)
	v_mul_f32_e32 v32, 0x3fb8aa3b, v31
	v_rndne_f32_e32 v32, v32
	v_mov_b32_e32 v34, v31
	v_fmac_f32_e32 v34, 0xbf317218, v32
	v_cvt_i32_f32_e32 v33, v32
	v_cmp_eq_f32_e64 s[4:5], s21, v32
	v_fmac_f32_e32 v34, 0x3102e308, v32
	v_mov_b32_e32 v32, 0x3ab69700
	v_fmac_f32_e32 v32, 0x395133b1, v34
	v_fma_f32 v32, v34, v32, v23
	v_fma_f32 v32, v34, v32, v24
	;; [unrolled: 1-line block ×3, first 2 shown]
	v_cndmask_b32_e64 v33, v33, v26, s[4:5]
	v_fma_f32 v32, v34, v32, 0.5
	v_ldexp_f32 v33, 1.0, v33
	v_mul_f32_e32 v32, v34, v32
	v_fmac_f32_e32 v34, v34, v32
	v_add_f32_e32 v32, -1.0, v33
	v_fmac_f32_e32 v32, v33, v34
	v_add_f32_e32 v33, v32, v32
	v_cndmask_b32_e64 v32, v32, v33, s[4:5]
	v_cmp_nlt_f32_e64 s[4:5], s22, v31
	v_cndmask_b32_e64 v32, v27, v32, s[4:5]
	v_cmp_ngt_f32_e64 s[4:5], s23, v31
	v_cndmask_b32_e64 v31, -1.0, v32, s[4:5]
	v_mov_b32_e32 v33, s9
	v_add_co_u32_e64 v32, s[4:5], s8, v4
	v_addc_co_u32_e64 v33, s[4:5], v3, v33, s[4:5]
	global_store_dword v[32:33], v31, off
	s_or_b64 exec, exec, s[6:7]
	s_and_saveexec_b64 s[4:5], s[2:3]
	s_cbranch_execz .LBB143_18
.LBB143_22:                             ;   in Loop: Header=BB143_9 Depth=1
	s_waitcnt vmcnt(0)
	v_mul_f32_e32 v31, 0x3fb8aa3b, v30
	v_rndne_f32_e32 v31, v31
	v_mov_b32_e32 v32, v30
	v_fmac_f32_e32 v32, 0xbf317218, v31
	v_fmac_f32_e32 v32, 0x3102e308, v31
	v_mov_b32_e32 v33, 0x3ab69700
	v_fmac_f32_e32 v33, 0x395133b1, v32
	v_cvt_i32_f32_e32 v34, v31
	v_fma_f32 v33, v32, v33, v23
	v_fma_f32 v33, v32, v33, v24
	;; [unrolled: 1-line block ×3, first 2 shown]
	v_cmp_eq_f32_e64 s[2:3], s21, v31
	v_fma_f32 v33, v32, v33, 0.5
	v_cndmask_b32_e64 v31, v34, v26, s[2:3]
	v_mul_f32_e32 v33, v32, v33
	v_ldexp_f32 v31, 1.0, v31
	v_fmac_f32_e32 v32, v32, v33
	v_add_f32_e32 v33, -1.0, v31
	v_fmac_f32_e32 v33, v31, v32
	v_add_f32_e32 v31, v33, v33
	v_cndmask_b32_e64 v31, v33, v31, s[2:3]
	v_cmp_nlt_f32_e64 s[2:3], s22, v30
	v_cndmask_b32_e64 v31, v27, v31, s[2:3]
	v_cmp_ngt_f32_e64 s[2:3], s23, v30
	v_cndmask_b32_e64 v32, -1.0, v31, s[2:3]
	v_mov_b32_e32 v31, s9
	v_add_co_u32_e64 v30, s[2:3], s8, v16
	v_addc_co_u32_e64 v31, s[2:3], v15, v31, s[2:3]
	global_store_dword v[30:31], v32, off
	s_or_b64 exec, exec, s[4:5]
	s_and_saveexec_b64 s[2:3], s[0:1]
	s_cbranch_execz .LBB143_19
.LBB143_23:                             ;   in Loop: Header=BB143_9 Depth=1
	s_waitcnt vmcnt(0)
	v_mul_f32_e32 v30, 0x3fb8aa3b, v29
	v_rndne_f32_e32 v30, v30
	v_mov_b32_e32 v31, v29
	v_fmac_f32_e32 v31, 0xbf317218, v30
	v_fmac_f32_e32 v31, 0x3102e308, v30
	v_mov_b32_e32 v32, 0x3ab69700
	v_fmac_f32_e32 v32, 0x395133b1, v31
	v_cvt_i32_f32_e32 v33, v30
	v_fma_f32 v32, v31, v32, v23
	v_fma_f32 v32, v31, v32, v24
	;; [unrolled: 1-line block ×3, first 2 shown]
	v_cmp_eq_f32_e64 s[0:1], s21, v30
	v_fma_f32 v32, v31, v32, 0.5
	v_cndmask_b32_e64 v30, v33, v26, s[0:1]
	v_mul_f32_e32 v32, v31, v32
	v_ldexp_f32 v30, 1.0, v30
	v_fmac_f32_e32 v31, v31, v32
	v_add_f32_e32 v32, -1.0, v30
	v_fmac_f32_e32 v32, v30, v31
	v_add_f32_e32 v30, v32, v32
	v_cndmask_b32_e64 v30, v32, v30, s[0:1]
	v_cmp_nlt_f32_e64 s[0:1], s22, v29
	v_cndmask_b32_e64 v30, v27, v30, s[0:1]
	v_cmp_ngt_f32_e64 s[0:1], s23, v29
	v_cndmask_b32_e64 v29, -1.0, v30, s[0:1]
	v_mov_b32_e32 v31, s9
	v_add_co_u32_e64 v30, s[0:1], s8, v12
	v_addc_co_u32_e64 v31, s[0:1], v11, v31, s[0:1]
	global_store_dword v[30:31], v29, off
	s_or_b64 exec, exec, s[2:3]
	s_and_saveexec_b64 s[0:1], vcc
	s_cbranch_execz .LBB143_8
.LBB143_24:                             ;   in Loop: Header=BB143_9 Depth=1
	s_waitcnt vmcnt(0)
	v_mul_f32_e32 v29, 0x3fb8aa3b, v28
	v_rndne_f32_e32 v29, v29
	v_mov_b32_e32 v30, v28
	v_fmac_f32_e32 v30, 0xbf317218, v29
	v_fmac_f32_e32 v30, 0x3102e308, v29
	v_mov_b32_e32 v31, 0x3ab69700
	v_fmac_f32_e32 v31, 0x395133b1, v30
	v_cvt_i32_f32_e32 v32, v29
	v_fma_f32 v31, v30, v31, v23
	v_fma_f32 v31, v30, v31, v24
	;; [unrolled: 1-line block ×3, first 2 shown]
	v_cmp_eq_f32_e32 vcc, s21, v29
	v_fma_f32 v31, v30, v31, 0.5
	v_cndmask_b32_e32 v29, v32, v26, vcc
	v_mul_f32_e32 v31, v30, v31
	v_ldexp_f32 v29, 1.0, v29
	v_fmac_f32_e32 v30, v30, v31
	v_add_f32_e32 v31, -1.0, v29
	v_fmac_f32_e32 v31, v29, v30
	v_add_f32_e32 v29, v31, v31
	v_cndmask_b32_e32 v29, v31, v29, vcc
	v_cmp_nlt_f32_e32 vcc, s22, v28
	v_cndmask_b32_e32 v29, v27, v29, vcc
	v_cmp_ngt_f32_e32 vcc, s23, v28
	v_cndmask_b32_e32 v30, -1.0, v29, vcc
	v_mov_b32_e32 v29, s9
	v_add_co_u32_e32 v28, vcc, s8, v8
	v_addc_co_u32_e32 v29, vcc, v7, v29, vcc
	global_store_dword v[28:29], v30, off
	s_branch .LBB143_8
.LBB143_25:
	s_endpgm
	.section	.rodata,"a",@progbits
	.p2align	6, 0x0
	.amdhsa_kernel _ZN2at6native12_GLOBAL__N_125multi_tensor_apply_kernelINS1_18TensorListMetadataILi2EEENS1_14UnaryOpFunctorIfLi2ELi1ELi1EEEJNS0_5Expm1IfEEEEEvT_T0_DpT1_
		.amdhsa_group_segment_fixed_size 0
		.amdhsa_private_segment_fixed_size 0
		.amdhsa_kernarg_size 3408
		.amdhsa_user_sgpr_count 6
		.amdhsa_user_sgpr_private_segment_buffer 1
		.amdhsa_user_sgpr_dispatch_ptr 0
		.amdhsa_user_sgpr_queue_ptr 0
		.amdhsa_user_sgpr_kernarg_segment_ptr 1
		.amdhsa_user_sgpr_dispatch_id 0
		.amdhsa_user_sgpr_flat_scratch_init 0
		.amdhsa_user_sgpr_kernarg_preload_length 0
		.amdhsa_user_sgpr_kernarg_preload_offset 0
		.amdhsa_user_sgpr_private_segment_size 0
		.amdhsa_uses_dynamic_stack 0
		.amdhsa_system_sgpr_private_segment_wavefront_offset 0
		.amdhsa_system_sgpr_workgroup_id_x 1
		.amdhsa_system_sgpr_workgroup_id_y 0
		.amdhsa_system_sgpr_workgroup_id_z 0
		.amdhsa_system_sgpr_workgroup_info 0
		.amdhsa_system_vgpr_workitem_id 0
		.amdhsa_next_free_vgpr 36
		.amdhsa_next_free_sgpr 38
		.amdhsa_accum_offset 36
		.amdhsa_reserve_vcc 1
		.amdhsa_reserve_flat_scratch 0
		.amdhsa_float_round_mode_32 0
		.amdhsa_float_round_mode_16_64 0
		.amdhsa_float_denorm_mode_32 3
		.amdhsa_float_denorm_mode_16_64 3
		.amdhsa_dx10_clamp 1
		.amdhsa_ieee_mode 1
		.amdhsa_fp16_overflow 0
		.amdhsa_tg_split 0
		.amdhsa_exception_fp_ieee_invalid_op 0
		.amdhsa_exception_fp_denorm_src 0
		.amdhsa_exception_fp_ieee_div_zero 0
		.amdhsa_exception_fp_ieee_overflow 0
		.amdhsa_exception_fp_ieee_underflow 0
		.amdhsa_exception_fp_ieee_inexact 0
		.amdhsa_exception_int_div_zero 0
	.end_amdhsa_kernel
	.section	.text._ZN2at6native12_GLOBAL__N_125multi_tensor_apply_kernelINS1_18TensorListMetadataILi2EEENS1_14UnaryOpFunctorIfLi2ELi1ELi1EEEJNS0_5Expm1IfEEEEEvT_T0_DpT1_,"axG",@progbits,_ZN2at6native12_GLOBAL__N_125multi_tensor_apply_kernelINS1_18TensorListMetadataILi2EEENS1_14UnaryOpFunctorIfLi2ELi1ELi1EEEJNS0_5Expm1IfEEEEEvT_T0_DpT1_,comdat
.Lfunc_end143:
	.size	_ZN2at6native12_GLOBAL__N_125multi_tensor_apply_kernelINS1_18TensorListMetadataILi2EEENS1_14UnaryOpFunctorIfLi2ELi1ELi1EEEJNS0_5Expm1IfEEEEEvT_T0_DpT1_, .Lfunc_end143-_ZN2at6native12_GLOBAL__N_125multi_tensor_apply_kernelINS1_18TensorListMetadataILi2EEENS1_14UnaryOpFunctorIfLi2ELi1ELi1EEEJNS0_5Expm1IfEEEEEvT_T0_DpT1_
                                        ; -- End function
	.section	.AMDGPU.csdata,"",@progbits
; Kernel info:
; codeLenInByte = 2480
; NumSgprs: 42
; NumVgprs: 36
; NumAgprs: 0
; TotalNumVgprs: 36
; ScratchSize: 0
; MemoryBound: 0
; FloatMode: 240
; IeeeMode: 1
; LDSByteSize: 0 bytes/workgroup (compile time only)
; SGPRBlocks: 5
; VGPRBlocks: 4
; NumSGPRsForWavesPerEU: 42
; NumVGPRsForWavesPerEU: 36
; AccumOffset: 36
; Occupancy: 8
; WaveLimiterHint : 0
; COMPUTE_PGM_RSRC2:SCRATCH_EN: 0
; COMPUTE_PGM_RSRC2:USER_SGPR: 6
; COMPUTE_PGM_RSRC2:TRAP_HANDLER: 0
; COMPUTE_PGM_RSRC2:TGID_X_EN: 1
; COMPUTE_PGM_RSRC2:TGID_Y_EN: 0
; COMPUTE_PGM_RSRC2:TGID_Z_EN: 0
; COMPUTE_PGM_RSRC2:TIDIG_COMP_CNT: 0
; COMPUTE_PGM_RSRC3_GFX90A:ACCUM_OFFSET: 8
; COMPUTE_PGM_RSRC3_GFX90A:TG_SPLIT: 0
	.section	.text._ZN2at6native12_GLOBAL__N_125multi_tensor_apply_kernelINS1_18TensorListMetadataILi2EEENS1_14UnaryOpFunctorIN3c107complexIdEELi2ELi1ELi1EEEJNS0_5Expm1IS8_EEEEEvT_T0_DpT1_,"axG",@progbits,_ZN2at6native12_GLOBAL__N_125multi_tensor_apply_kernelINS1_18TensorListMetadataILi2EEENS1_14UnaryOpFunctorIN3c107complexIdEELi2ELi1ELi1EEEJNS0_5Expm1IS8_EEEEEvT_T0_DpT1_,comdat
	.globl	_ZN2at6native12_GLOBAL__N_125multi_tensor_apply_kernelINS1_18TensorListMetadataILi2EEENS1_14UnaryOpFunctorIN3c107complexIdEELi2ELi1ELi1EEEJNS0_5Expm1IS8_EEEEEvT_T0_DpT1_ ; -- Begin function _ZN2at6native12_GLOBAL__N_125multi_tensor_apply_kernelINS1_18TensorListMetadataILi2EEENS1_14UnaryOpFunctorIN3c107complexIdEELi2ELi1ELi1EEEJNS0_5Expm1IS8_EEEEEvT_T0_DpT1_
	.p2align	8
	.type	_ZN2at6native12_GLOBAL__N_125multi_tensor_apply_kernelINS1_18TensorListMetadataILi2EEENS1_14UnaryOpFunctorIN3c107complexIdEELi2ELi1ELi1EEEJNS0_5Expm1IS8_EEEEEvT_T0_DpT1_,@function
_ZN2at6native12_GLOBAL__N_125multi_tensor_apply_kernelINS1_18TensorListMetadataILi2EEENS1_14UnaryOpFunctorIN3c107complexIdEELi2ELi1ELi1EEEJNS0_5Expm1IS8_EEEEEvT_T0_DpT1_: ; @_ZN2at6native12_GLOBAL__N_125multi_tensor_apply_kernelINS1_18TensorListMetadataILi2EEENS1_14UnaryOpFunctorIN3c107complexIdEELi2ELi1ELi1EEEJNS0_5Expm1IS8_EEEEEvT_T0_DpT1_
; %bb.0:
	v_mov_b32_e32 v1, s6
	global_load_ubyte v1, v1, s[4:5] offset:1536
	s_add_u32 s0, s4, s6
	s_mul_hi_u32 s3, s6, 3
	s_mul_i32 s6, s6, 3
	s_addc_u32 s7, s5, 0
	s_add_u32 s2, s0, s6
	s_addc_u32 s3, s7, s3
	s_load_dword s2, s[2:3], 0x740
                                        ; implicit-def: $vgpr164 : SGPR spill to VGPR lane
	s_mov_b32 s65, 0
	s_mov_b32 s1, s65
	s_waitcnt lgkmcnt(0)
	s_ashr_i32 s3, s2, 31
	s_lshl_b64 s[10:11], s[2:3], 20
	s_waitcnt vmcnt(0)
	v_readfirstlane_b32 s0, v1
	s_lshl_b32 s0, s0, 3
	s_load_dwordx2 s[8:9], s[4:5], s0 offset:0x0
	s_load_dwordx2 s[12:13], s[4:5], s0 offset:0x400
	;; [unrolled: 1-line block ×3, first 2 shown]
	s_waitcnt lgkmcnt(0)
	s_add_u32 s33, s8, s10
	v_writelane_b32 v164, s8, 0
	v_writelane_b32 v164, s9, 1
	s_addc_u32 s50, s9, s11
	s_add_u32 s51, s6, s10
	v_writelane_b32 v164, s6, 2
	v_writelane_b32 v164, s7, 3
	s_addc_u32 s52, s7, s11
	s_and_b32 s0, s33, 63
	s_and_b32 s6, s12, 3
	s_mov_b32 s7, s65
	s_and_b32 s64, s51, 63
	s_or_b64 s[0:1], s[0:1], s[6:7]
	s_lshl_b64 s[2:3], s[2:3], 16
	s_or_b64 s[0:1], s[64:65], s[0:1]
	s_sub_u32 s2, s12, s2
	s_subb_u32 s3, s13, s3
	v_writelane_b32 v164, s2, 4
	s_cmp_eq_u64 s[0:1], 0
	s_mov_b64 s[0:1], -1
	v_writelane_b32 v164, s3, 5
	s_cbranch_scc0 .LBB144_53
; %bb.1:
	v_writelane_b32 v164, s4, 6
	v_writelane_b32 v164, s5, 7
	v_mov_b32_e32 v18, 0
	v_readlane_b32 s0, v164, 4
	v_lshlrev_b32_e32 v2, 2, v0
	v_mov_b32_e32 v3, v18
	v_readlane_b32 s1, v164, 5
	v_cmp_gt_i64_e32 vcc, s[0:1], v[2:3]
	s_mov_b64 s[0:1], exec
	v_writelane_b32 v164, s0, 8
	v_writelane_b32 v164, s1, 9
	s_and_b64 s[0:1], s[0:1], vcc
	s_mov_b64 exec, s[0:1]
	s_cbranch_execz .LBB144_52
; %bb.2:
	v_readlane_b32 s0, v164, 6
	v_readlane_b32 s1, v164, 7
	s_load_dword s0, s[0:1], 0xc5c
	s_mov_b32 s80, 0xfefa39ef
	s_mov_b32 s70, 0x14761f6e
	;; [unrolled: 1-line block ×4, first 2 shown]
	s_waitcnt lgkmcnt(0)
	s_and_b32 s0, s0, 0xffff
	s_mov_b32 s84, 0x555502a1
	s_mov_b32 s78, 0x55555511
	;; [unrolled: 1-line block ×3, first 2 shown]
	s_lshl_b32 s1, s0, 2
	s_mov_b32 s18, 0
	s_mov_b32 s26, 0x54442d18
	s_mov_b32 s36, 0x33145c00
	s_mov_b32 s81, 0xbfe62e42
	s_mov_b32 s71, 0x3f2a01a0
	s_mov_b32 s73, 0x3f56c16c
	s_mov_b32 s87, 0x3f811111
	s_mov_b32 s85, 0x3fa55555
	s_mov_b32 s79, 0x3fc55555
	s_mov_b32 s66, 0
	s_mov_b32 s83, 0x3efa01a0
	s_mov_b32 s46, 0x46cc5e42
	s_mov_b32 s90, 0xa17f65f6
	s_mov_b32 s6, 0x16c16967
	s_mov_b32 s12, 0x55555555
	s_mov_b32 s8, 0xf9a43bb8
	s_mov_b32 s4, 0x796cde01
	s_mov_b32 s40, 0x19e83e5c
	s_mov_b32 s54, 0xfefa39ef
	s_mov_b32 s42, 0x6a5dcb37
	s_mov_b32 s56, 0x623fde64
	s_mov_b32 s62, 0x7c89e6b0
	s_mov_b32 s58, 0x14761f6e
	s_mov_b32 s60, 0x1852b7b0
	s_mov_b32 s68, 0x11122322
	s_mov_b32 s88, 0x555502a1
	s_mov_b32 s92, 0x55555511
	s_mov_b32 s94, 11
	s_mov_b32 s20, 0xa9d67f34
	s_mov_b32 s22, 0xe0ac05b
	s_mov_b32 s34, 0x1b889c29
	s_mov_b32 s14, 0x197bcfd8
	s_mov_b32 s38, 0
	v_mov_b32_e32 v21, v18
	v_lshlrev_b32_e32 v22, 6, v0
	v_add_lshl_u32 v20, v0, s0, 2
	v_writelane_b32 v164, s1, 10
	s_lshl_b32 s0, s0, 6
	s_mov_b64 s[16:17], 0
	s_mov_b32 s19, 0x41d00000
	s_movk_i32 s53, 0xff80
	s_mov_b32 s25, 0x3ff921fb
	s_mov_b32 s27, 0xbff921fb
	;; [unrolled: 1-line block ×14, first 2 shown]
	s_movk_i32 s64, 0x1f8
	s_mov_b32 s82, 0x19f4ec90
	s_mov_b32 s84, 0x55555555
	;; [unrolled: 1-line block ×3, first 2 shown]
	v_mov_b32_e32 v1, 0x40100000
	v_mov_b32_e32 v23, 0x3ff00000
	;; [unrolled: 1-line block ×6, first 2 shown]
	s_mov_b32 s47, 0xbda907db
	s_mov_b32 s91, 0xbe927e4f
	s_mov_b32 s7, 0xbf56c16c
	s_mov_b32 s13, 0xbfc55555
	s_mov_b32 s9, 0x3de5e0b2
	s_mov_b32 s5, 0x3ec71de3
	s_mov_b32 s41, 0xbf2a01a0
	s_mov_b32 s55, 0xbfe62e42
	s_mov_b32 s43, 0x3e5ade15
	s_mov_b32 s57, 0x3ec71dee
	s_mov_b32 s63, 0x3efa0199
	s_mov_b32 s59, 0x3f2a01a0
	s_mov_b32 s61, 0x3f56c16c
	s_mov_b32 s69, 0x3f811111
	s_mov_b32 s89, 0x3fa55555
	s_mov_b32 s93, 0x3fc55555
	s_mov_b32 s95, 0x3fe00000
	s_mov_b32 s21, 0x3e21f32e
	s_mov_b32 s23, 0x3e927e50
	s_mov_b32 s35, 0x3ec71de0
	s_mov_b32 s15, 0x3efa01a0
	s_mov_b32 s39, 0xc0428000
	v_writelane_b32 v164, s0, 11
	s_branch .LBB144_4
.LBB144_3:                              ;   in Loop: Header=BB144_4 Depth=1
	s_or_b64 exec, exec, s[0:1]
	s_mov_b32 s44, 0x652b82fe
	s_mov_b32 s45, 0x3ff71547
	v_mul_f64 v[72:73], v[14:15], s[44:45]
	v_rndne_f64_e32 v[82:83], v[72:73]
	s_mov_b32 s48, 0x3b39803f
	s_mov_b32 s0, 0xfca7ab0c
	v_fma_f64 v[84:85], s[54:55], v[82:83], v[14:15]
	s_mov_b32 s49, 0xbc7abc9e
	s_mov_b32 s1, 0x3e928af3
	v_fmac_f64_e32 v[84:85], s[48:49], v[82:83]
	v_pk_mov_b32 v[86:87], s[0:1], s[0:1] op_sel:[0,1]
	v_fma_f64 v[72:73], s[42:43], v[84:85], v[86:87]
	v_fma_f64 v[72:73], v[84:85], v[72:73], s[56:57]
	;; [unrolled: 1-line block ×9, first 2 shown]
	v_fma_f64 v[72:73], v[84:85], v[72:73], 1.0
	v_fma_f64 v[72:73], v[84:85], v[72:73], 1.0
	v_cvt_i32_f64_e32 v19, v[82:83]
	s_mov_b32 s2, 0
	v_ldexp_f64 v[72:73], v[72:73], v19
	v_cmp_nlt_f64_e32 vcc, s[66:67], v[14:15]
	s_mov_b32 s3, 0xc090cc00
	v_cndmask_b32_e32 v73, v90, v73, vcc
	v_cmp_ngt_f64_e64 s[0:1], s[2:3], v[14:15]
	v_cndmask_b32_e64 v73, 0, v73, s[0:1]
	s_and_b64 vcc, s[0:1], vcc
	s_mov_b32 s0, 0x2a1b768b
	s_mov_b32 s1, 0x3e5af4eb
	v_pk_mov_b32 v[88:89], s[0:1], s[0:1] op_sel:[0,1]
	v_fma_f64 v[106:107], s[20:21], v[84:85], v[88:89]
	v_fma_f64 v[106:107], v[84:85], v[106:107], s[22:23]
	;; [unrolled: 1-line block ×8, first 2 shown]
	v_cndmask_b32_e32 v72, 0, v72, vcc
	v_cmp_eq_f64_e32 vcc, s[66:67], v[82:83]
	v_fma_f64 v[106:107], v[84:85], v[106:107], s[78:79]
	v_cndmask_b32_e32 v19, v19, v91, vcc
	v_fma_f64 v[106:107], v[84:85], v[106:107], 0.5
	v_ldexp_f64 v[82:83], 1.0, v19
	v_mul_f64 v[106:107], v[84:85], v[106:107]
	v_fmac_f64_e32 v[84:85], v[84:85], v[106:107]
	v_add_f64 v[106:107], v[82:83], -1.0
	v_fmac_f64_e32 v[106:107], v[82:83], v[84:85]
	v_add_f64 v[82:83], v[106:107], v[106:107]
	v_cndmask_b32_e32 v19, v106, v82, vcc
	v_cndmask_b32_e32 v82, v107, v83, vcc
	v_cmp_nlt_f64_e32 vcc, s[80:81], v[14:15]
	v_cndmask_b32_e32 v82, v90, v82, vcc
	v_cmp_ngt_f64_e64 s[0:1], s[38:39], v[14:15]
	v_cndmask_b32_e64 v15, v92, v82, s[0:1]
	s_and_b64 vcc, s[0:1], vcc
	s_mov_b32 s0, 0x9037ab78
	s_mov_b32 s1, 0x3e21eeb6
	v_mul_f64 v[106:107], v[74:75], v[74:75]
	v_pk_mov_b32 v[82:83], s[0:1], s[0:1] op_sel:[0,1]
	v_mul_f64 v[84:85], v[106:107], 0.5
	v_fma_f64 v[112:113], s[46:47], v[106:107], v[82:83]
	v_add_f64 v[108:109], -v[84:85], 1.0
	v_fma_f64 v[112:113], v[106:107], v[112:113], s[90:91]
	v_fma_f64 v[112:113], v[106:107], v[112:113], s[82:83]
	v_add_f64 v[114:115], -v[108:109], 1.0
	v_fma_f64 v[112:113], v[106:107], v[112:113], s[6:7]
	v_add_f64 v[84:85], v[114:115], -v[84:85]
	v_mul_f64 v[110:111], v[106:107], v[106:107]
	v_fma_f64 v[112:113], v[106:107], v[112:113], s[84:85]
	v_fma_f64 v[84:85], v[74:75], -v[76:77], v[84:85]
	s_mov_b32 s0, 0xb42fdfa7
	v_fmac_f64_e32 v[84:85], v[110:111], v[112:113]
	s_mov_b32 s1, 0xbe5ae600
	v_add_f64 v[108:109], v[108:109], v[84:85]
	v_pk_mov_b32 v[84:85], s[0:1], s[0:1] op_sel:[0,1]
	v_fma_f64 v[112:113], s[8:9], v[106:107], v[84:85]
	v_fma_f64 v[112:113], v[106:107], v[112:113], s[4:5]
	;; [unrolled: 1-line block ×3, first 2 shown]
	v_mul_f64 v[110:111], v[74:75], -v[106:107]
	v_fma_f64 v[112:113], v[106:107], v[112:113], s[86:87]
	v_mul_f64 v[114:115], v[76:77], 0.5
	v_fmac_f64_e32 v[114:115], v[110:111], v[112:113]
	v_fma_f64 v[76:77], v[106:107], v[114:115], -v[76:77]
	v_fmac_f64_e32 v[76:77], s[12:13], v[110:111]
	v_cndmask_b32_e32 v14, 0, v19, vcc
	v_and_b32_e32 v19, 1, v103
	v_add_f64 v[74:75], v[74:75], -v[76:77]
	v_xor_b32_e32 v75, 0x80000000, v75
	v_cmp_eq_u32_e32 vcc, 0, v19
	v_cndmask_b32_e32 v19, v74, v108, vcc
	v_cndmask_b32_e32 v114, v75, v109, vcc
	v_mul_f64 v[74:75], v[60:61], v[60:61]
	v_fma_f64 v[106:107], s[8:9], v[74:75], v[84:85]
	v_fma_f64 v[106:107], v[74:75], v[106:107], s[4:5]
	;; [unrolled: 1-line block ×3, first 2 shown]
	v_mul_f64 v[76:77], v[60:61], -v[74:75]
	v_fma_f64 v[106:107], v[74:75], v[106:107], s[86:87]
	v_mul_f64 v[108:109], v[62:63], 0.5
	v_fmac_f64_e32 v[108:109], v[76:77], v[106:107]
	v_fma_f64 v[106:107], v[74:75], v[108:109], -v[62:63]
	v_fma_f64 v[112:113], s[46:47], v[74:75], v[82:83]
	v_fmac_f64_e32 v[106:107], s[12:13], v[76:77]
	v_fma_f64 v[112:113], v[74:75], v[112:113], s[90:91]
	v_add_f64 v[76:77], v[60:61], -v[106:107]
	v_mul_f64 v[106:107], v[74:75], 0.5
	v_fma_f64 v[112:113], v[74:75], v[112:113], s[82:83]
	v_add_f64 v[108:109], -v[106:107], 1.0
	v_fma_f64 v[112:113], v[74:75], v[112:113], s[6:7]
	v_mul_f64 v[110:111], v[74:75], v[74:75]
	v_fma_f64 v[74:75], v[74:75], v[112:113], s[84:85]
	v_add_f64 v[112:113], -v[108:109], 1.0
	v_add_f64 v[106:107], v[112:113], -v[106:107]
	v_fma_f64 v[60:61], v[60:61], -v[62:63], v[106:107]
	v_and_b32_e32 v115, 1, v102
	v_fmac_f64_e32 v[60:61], v[110:111], v[74:75]
	v_lshlrev_b32_e32 v62, 30, v102
	v_add_f64 v[60:61], v[108:109], v[60:61]
	v_cmp_eq_u32_e32 vcc, 0, v115
	v_xor_b32_e32 v62, v62, v59
	v_cndmask_b32_e32 v61, v61, v77, vcc
	v_and_b32_e32 v62, 0x80000000, v62
	v_cndmask_b32_e32 v60, v60, v76, vcc
	v_xor_b32_e32 v61, v61, v62
	v_cmp_class_f64_e64 vcc, v[58:59], s64
	v_cndmask_b32_e32 v58, 0, v60, vcc
	v_cndmask_b32_e32 v59, v93, v61, vcc
	v_mul_f64 v[60:61], v[78:79], v[78:79]
	v_mul_f64 v[62:63], v[60:61], 0.5
	v_fma_f64 v[106:107], s[46:47], v[60:61], v[82:83]
	v_add_f64 v[74:75], -v[62:63], 1.0
	v_fma_f64 v[106:107], v[60:61], v[106:107], s[90:91]
	v_add_f64 v[76:77], -v[74:75], 1.0
	v_fma_f64 v[106:107], v[60:61], v[106:107], s[82:83]
	v_add_f64 v[62:63], v[76:77], -v[62:63]
	v_fma_f64 v[106:107], v[60:61], v[106:107], s[6:7]
	v_mul_f64 v[76:77], v[60:61], v[60:61]
	v_fma_f64 v[106:107], v[60:61], v[106:107], s[84:85]
	v_fma_f64 v[62:63], v[78:79], -v[80:81], v[62:63]
	v_fmac_f64_e32 v[62:63], v[76:77], v[106:107]
	v_add_f64 v[62:63], v[74:75], v[62:63]
	v_fma_f64 v[74:75], s[8:9], v[60:61], v[84:85]
	v_fma_f64 v[74:75], v[60:61], v[74:75], s[4:5]
	;; [unrolled: 1-line block ×4, first 2 shown]
	v_mul_f64 v[76:77], v[78:79], -v[60:61]
	v_mul_f64 v[106:107], v[80:81], 0.5
	v_fmac_f64_e32 v[106:107], v[76:77], v[74:75]
	v_fma_f64 v[60:61], v[60:61], v[106:107], -v[80:81]
	v_fmac_f64_e32 v[60:61], s[12:13], v[76:77]
	v_and_b32_e32 v74, 1, v105
	v_add_f64 v[60:61], v[78:79], -v[60:61]
	v_cmp_eq_u32_e32 vcc, 0, v74
	v_cndmask_b32_e32 v62, v62, v60, vcc
	v_cndmask_b32_e32 v63, v63, v61, vcc
	v_cmp_class_f64_e64 vcc, v[16:17], s64
	v_lshlrev_b32_e32 v16, 30, v105
	v_xor_b32_e32 v16, v16, v17
	v_and_b32_e32 v16, 0x80000000, v16
	v_xor_b32_e32 v17, v63, v16
	v_cndmask_b32_e32 v16, 0, v62, vcc
	v_mul_f64 v[62:63], v[10:11], s[44:45]
	v_rndne_f64_e32 v[74:75], v[62:63]
	v_fma_f64 v[76:77], s[54:55], v[74:75], v[10:11]
	v_fmac_f64_e32 v[76:77], s[48:49], v[74:75]
	v_fma_f64 v[62:63], s[42:43], v[76:77], v[86:87]
	v_fma_f64 v[62:63], v[76:77], v[62:63], s[56:57]
	;; [unrolled: 1-line block ×11, first 2 shown]
	v_lshlrev_b32_e32 v60, 30, v103
	v_fma_f64 v[62:63], v[76:77], v[62:63], s[94:95]
	v_fma_f64 v[78:79], v[76:77], v[78:79], s[14:15]
	v_and_b32_e32 v60, 0x80000000, v60
	v_fma_f64 v[62:63], v[76:77], v[62:63], 1.0
	v_fma_f64 v[78:79], v[76:77], v[78:79], s[70:71]
	v_xor_b32_e32 v61, v114, v60
	v_cndmask_b32_e32 v60, 0, v19, vcc
	v_fma_f64 v[62:63], v[76:77], v[62:63], 1.0
	v_cvt_i32_f64_e32 v19, v[74:75]
	v_fma_f64 v[78:79], v[76:77], v[78:79], s[72:73]
	v_cndmask_b32_e32 v61, v93, v61, vcc
	v_cndmask_b32_e32 v17, v93, v17, vcc
	v_ldexp_f64 v[62:63], v[62:63], v19
	v_cmp_nlt_f64_e32 vcc, s[66:67], v[10:11]
	v_cmp_ngt_f64_e64 s[0:1], s[2:3], v[10:11]
	v_fma_f64 v[78:79], v[76:77], v[78:79], s[74:75]
	v_cndmask_b32_e32 v63, v90, v63, vcc
	s_and_b64 vcc, s[0:1], vcc
	v_fma_f64 v[78:79], v[76:77], v[78:79], s[76:77]
	v_cndmask_b32_e32 v62, 0, v62, vcc
	v_cmp_eq_f64_e32 vcc, s[66:67], v[74:75]
	v_fma_f64 v[78:79], v[76:77], v[78:79], s[78:79]
	v_cndmask_b32_e32 v19, v19, v91, vcc
	v_fma_f64 v[78:79], v[76:77], v[78:79], 0.5
	v_ldexp_f64 v[74:75], 1.0, v19
	v_mul_f64 v[78:79], v[76:77], v[78:79]
	v_fmac_f64_e32 v[76:77], v[76:77], v[78:79]
	v_add_f64 v[78:79], v[74:75], -1.0
	v_fmac_f64_e32 v[78:79], v[74:75], v[76:77]
	v_add_f64 v[74:75], v[78:79], v[78:79]
	v_cndmask_b32_e32 v19, v78, v74, vcc
	v_cndmask_b32_e32 v74, v79, v75, vcc
	v_cmp_nlt_f64_e32 vcc, s[80:81], v[10:11]
	v_cndmask_b32_e64 v63, 0, v63, s[0:1]
	v_cndmask_b32_e32 v74, v90, v74, vcc
	v_cmp_ngt_f64_e64 s[0:1], s[38:39], v[10:11]
	v_cndmask_b32_e64 v11, v92, v74, s[0:1]
	v_mul_f64 v[74:75], v[44:45], v[44:45]
	v_mul_f64 v[76:77], v[74:75], 0.5
	v_fma_f64 v[102:103], s[46:47], v[74:75], v[82:83]
	v_add_f64 v[78:79], -v[76:77], 1.0
	v_fma_f64 v[102:103], v[74:75], v[102:103], s[90:91]
	v_fma_f64 v[102:103], v[74:75], v[102:103], s[82:83]
	v_add_f64 v[106:107], -v[78:79], 1.0
	v_fma_f64 v[102:103], v[74:75], v[102:103], s[6:7]
	v_add_f64 v[76:77], v[106:107], -v[76:77]
	v_mul_f64 v[80:81], v[74:75], v[74:75]
	v_fma_f64 v[102:103], v[74:75], v[102:103], s[84:85]
	v_fma_f64 v[76:77], v[44:45], -v[46:47], v[76:77]
	v_fmac_f64_e32 v[76:77], v[80:81], v[102:103]
	v_fma_f64 v[80:81], s[8:9], v[74:75], v[84:85]
	v_fma_f64 v[80:81], v[74:75], v[80:81], s[4:5]
	;; [unrolled: 1-line block ×3, first 2 shown]
	v_add_f64 v[76:77], v[78:79], v[76:77]
	v_mul_f64 v[78:79], v[44:45], -v[74:75]
	v_fma_f64 v[80:81], v[74:75], v[80:81], s[86:87]
	v_mul_f64 v[102:103], v[46:47], 0.5
	v_fmac_f64_e32 v[102:103], v[78:79], v[80:81]
	v_fma_f64 v[46:47], v[74:75], v[102:103], -v[46:47]
	s_and_b64 vcc, s[0:1], vcc
	v_fmac_f64_e32 v[46:47], s[12:13], v[78:79]
	v_cndmask_b32_e32 v10, 0, v19, vcc
	v_and_b32_e32 v19, 1, v98
	v_add_f64 v[44:45], v[44:45], -v[46:47]
	v_xor_b32_e32 v45, 0x80000000, v45
	v_cmp_eq_u32_e32 vcc, 0, v19
	v_cndmask_b32_e32 v19, v44, v76, vcc
	v_cndmask_b32_e32 v102, v45, v77, vcc
	v_mul_f64 v[44:45], v[40:41], v[40:41]
	v_fma_f64 v[74:75], s[8:9], v[44:45], v[84:85]
	v_fma_f64 v[74:75], v[44:45], v[74:75], s[4:5]
	;; [unrolled: 1-line block ×3, first 2 shown]
	v_mul_f64 v[46:47], v[40:41], -v[44:45]
	v_fma_f64 v[74:75], v[44:45], v[74:75], s[86:87]
	v_mul_f64 v[76:77], v[42:43], 0.5
	v_fmac_f64_e32 v[76:77], v[46:47], v[74:75]
	v_fma_f64 v[74:75], v[44:45], v[76:77], -v[42:43]
	v_fma_f64 v[80:81], s[46:47], v[44:45], v[82:83]
	v_fmac_f64_e32 v[74:75], s[12:13], v[46:47]
	v_fma_f64 v[80:81], v[44:45], v[80:81], s[90:91]
	v_add_f64 v[46:47], v[40:41], -v[74:75]
	v_mul_f64 v[74:75], v[44:45], 0.5
	v_fma_f64 v[80:81], v[44:45], v[80:81], s[82:83]
	v_add_f64 v[76:77], -v[74:75], 1.0
	v_fma_f64 v[80:81], v[44:45], v[80:81], s[6:7]
	v_mul_f64 v[78:79], v[44:45], v[44:45]
	v_fma_f64 v[44:45], v[44:45], v[80:81], s[84:85]
	v_add_f64 v[80:81], -v[76:77], 1.0
	v_add_f64 v[74:75], v[80:81], -v[74:75]
	v_fma_f64 v[40:41], v[40:41], -v[42:43], v[74:75]
	v_and_b32_e32 v103, 1, v97
	v_fmac_f64_e32 v[40:41], v[78:79], v[44:45]
	v_lshlrev_b32_e32 v42, 30, v97
	v_add_f64 v[40:41], v[76:77], v[40:41]
	v_cmp_eq_u32_e32 vcc, 0, v103
	v_xor_b32_e32 v42, v42, v39
	v_cndmask_b32_e32 v41, v41, v47, vcc
	v_and_b32_e32 v42, 0x80000000, v42
	v_cndmask_b32_e32 v40, v40, v46, vcc
	v_xor_b32_e32 v41, v41, v42
	v_cmp_class_f64_e64 vcc, v[38:39], s64
	v_cndmask_b32_e32 v38, 0, v40, vcc
	v_cndmask_b32_e32 v39, v93, v41, vcc
	v_mul_f64 v[40:41], v[48:49], v[48:49]
	v_mul_f64 v[42:43], v[40:41], 0.5
	v_fma_f64 v[74:75], s[46:47], v[40:41], v[82:83]
	v_add_f64 v[44:45], -v[42:43], 1.0
	v_fma_f64 v[74:75], v[40:41], v[74:75], s[90:91]
	v_add_f64 v[46:47], -v[44:45], 1.0
	v_fma_f64 v[74:75], v[40:41], v[74:75], s[82:83]
	v_add_f64 v[42:43], v[46:47], -v[42:43]
	v_fma_f64 v[74:75], v[40:41], v[74:75], s[6:7]
	v_mul_f64 v[46:47], v[40:41], v[40:41]
	v_fma_f64 v[74:75], v[40:41], v[74:75], s[84:85]
	v_fma_f64 v[42:43], v[48:49], -v[50:51], v[42:43]
	v_fmac_f64_e32 v[42:43], v[46:47], v[74:75]
	v_add_f64 v[42:43], v[44:45], v[42:43]
	v_fma_f64 v[44:45], s[8:9], v[40:41], v[84:85]
	v_fma_f64 v[44:45], v[40:41], v[44:45], s[4:5]
	;; [unrolled: 1-line block ×4, first 2 shown]
	v_mul_f64 v[46:47], v[48:49], -v[40:41]
	v_mul_f64 v[74:75], v[50:51], 0.5
	v_fmac_f64_e32 v[74:75], v[46:47], v[44:45]
	v_fma_f64 v[40:41], v[40:41], v[74:75], -v[50:51]
	v_fmac_f64_e32 v[40:41], s[12:13], v[46:47]
	v_and_b32_e32 v44, 1, v99
	v_add_f64 v[40:41], v[48:49], -v[40:41]
	v_cmp_eq_u32_e32 vcc, 0, v44
	v_cndmask_b32_e32 v42, v42, v40, vcc
	v_cndmask_b32_e32 v43, v43, v41, vcc
	v_cmp_class_f64_e64 vcc, v[12:13], s64
	v_lshlrev_b32_e32 v12, 30, v99
	v_xor_b32_e32 v12, v12, v13
	v_and_b32_e32 v12, 0x80000000, v12
	v_xor_b32_e32 v13, v43, v12
	v_cndmask_b32_e32 v12, 0, v42, vcc
	v_mul_f64 v[42:43], v[6:7], s[44:45]
	v_rndne_f64_e32 v[44:45], v[42:43]
	v_fma_f64 v[46:47], s[54:55], v[44:45], v[6:7]
	v_fmac_f64_e32 v[46:47], s[48:49], v[44:45]
	v_fma_f64 v[42:43], s[42:43], v[46:47], v[86:87]
	v_fma_f64 v[42:43], v[46:47], v[42:43], s[56:57]
	;; [unrolled: 1-line block ×11, first 2 shown]
	v_lshlrev_b32_e32 v40, 30, v98
	v_fma_f64 v[42:43], v[46:47], v[42:43], s[94:95]
	v_fma_f64 v[48:49], v[46:47], v[48:49], s[14:15]
	v_and_b32_e32 v40, 0x80000000, v40
	v_fma_f64 v[42:43], v[46:47], v[42:43], 1.0
	v_fma_f64 v[48:49], v[46:47], v[48:49], s[70:71]
	v_xor_b32_e32 v41, v102, v40
	v_cndmask_b32_e32 v40, 0, v19, vcc
	v_fma_f64 v[42:43], v[46:47], v[42:43], 1.0
	v_cvt_i32_f64_e32 v19, v[44:45]
	v_fma_f64 v[48:49], v[46:47], v[48:49], s[72:73]
	v_cndmask_b32_e32 v41, v93, v41, vcc
	v_cndmask_b32_e32 v13, v93, v13, vcc
	v_ldexp_f64 v[42:43], v[42:43], v19
	v_cmp_nlt_f64_e32 vcc, s[66:67], v[6:7]
	v_cmp_ngt_f64_e64 s[0:1], s[2:3], v[6:7]
	v_fma_f64 v[48:49], v[46:47], v[48:49], s[74:75]
	v_cndmask_b32_e32 v43, v90, v43, vcc
	s_and_b64 vcc, s[0:1], vcc
	v_fma_f64 v[48:49], v[46:47], v[48:49], s[76:77]
	v_cndmask_b32_e32 v42, 0, v42, vcc
	v_cmp_eq_f64_e32 vcc, s[66:67], v[44:45]
	v_fma_f64 v[48:49], v[46:47], v[48:49], s[78:79]
	v_cndmask_b32_e32 v19, v19, v91, vcc
	v_fma_f64 v[48:49], v[46:47], v[48:49], 0.5
	v_ldexp_f64 v[44:45], 1.0, v19
	v_mul_f64 v[48:49], v[46:47], v[48:49]
	v_fmac_f64_e32 v[46:47], v[46:47], v[48:49]
	v_add_f64 v[48:49], v[44:45], -1.0
	v_fmac_f64_e32 v[48:49], v[44:45], v[46:47]
	v_add_f64 v[44:45], v[48:49], v[48:49]
	v_cndmask_b32_e32 v19, v48, v44, vcc
	v_cndmask_b32_e32 v44, v49, v45, vcc
	v_cmp_nlt_f64_e32 vcc, s[80:81], v[6:7]
	v_cndmask_b32_e64 v43, 0, v43, s[0:1]
	v_cndmask_b32_e32 v44, v90, v44, vcc
	v_cmp_ngt_f64_e64 s[0:1], s[38:39], v[6:7]
	v_cndmask_b32_e64 v7, v92, v44, s[0:1]
	v_mul_f64 v[44:45], v[30:31], v[30:31]
	v_mul_f64 v[46:47], v[44:45], 0.5
	v_fma_f64 v[74:75], s[46:47], v[44:45], v[82:83]
	v_add_f64 v[48:49], -v[46:47], 1.0
	v_fma_f64 v[74:75], v[44:45], v[74:75], s[90:91]
	v_fma_f64 v[74:75], v[44:45], v[74:75], s[82:83]
	v_add_f64 v[76:77], -v[48:49], 1.0
	v_fma_f64 v[74:75], v[44:45], v[74:75], s[6:7]
	v_add_f64 v[46:47], v[76:77], -v[46:47]
	v_mul_f64 v[50:51], v[44:45], v[44:45]
	v_fma_f64 v[74:75], v[44:45], v[74:75], s[84:85]
	v_fma_f64 v[46:47], v[30:31], -v[32:33], v[46:47]
	v_fmac_f64_e32 v[46:47], v[50:51], v[74:75]
	v_fma_f64 v[50:51], s[8:9], v[44:45], v[84:85]
	v_fma_f64 v[50:51], v[44:45], v[50:51], s[4:5]
	;; [unrolled: 1-line block ×3, first 2 shown]
	v_add_f64 v[46:47], v[48:49], v[46:47]
	v_mul_f64 v[48:49], v[30:31], -v[44:45]
	v_fma_f64 v[50:51], v[44:45], v[50:51], s[86:87]
	v_mul_f64 v[74:75], v[32:33], 0.5
	v_fmac_f64_e32 v[74:75], v[48:49], v[50:51]
	v_fma_f64 v[32:33], v[44:45], v[74:75], -v[32:33]
	s_and_b64 vcc, s[0:1], vcc
	v_fmac_f64_e32 v[32:33], s[12:13], v[48:49]
	v_cndmask_b32_e32 v6, 0, v19, vcc
	v_and_b32_e32 v19, 1, v95
	v_add_f64 v[30:31], v[30:31], -v[32:33]
	v_xor_b32_e32 v31, 0x80000000, v31
	v_cmp_eq_u32_e32 vcc, 0, v19
	v_cndmask_b32_e32 v19, v30, v46, vcc
	v_cndmask_b32_e32 v74, v31, v47, vcc
	v_mul_f64 v[30:31], v[26:27], v[26:27]
	v_fma_f64 v[44:45], s[8:9], v[30:31], v[84:85]
	v_fma_f64 v[44:45], v[30:31], v[44:45], s[4:5]
	;; [unrolled: 1-line block ×3, first 2 shown]
	v_mul_f64 v[32:33], v[26:27], -v[30:31]
	v_fma_f64 v[44:45], v[30:31], v[44:45], s[86:87]
	v_mul_f64 v[46:47], v[28:29], 0.5
	v_fmac_f64_e32 v[46:47], v[32:33], v[44:45]
	v_fma_f64 v[44:45], v[30:31], v[46:47], -v[28:29]
	v_fma_f64 v[50:51], s[46:47], v[30:31], v[82:83]
	v_fmac_f64_e32 v[44:45], s[12:13], v[32:33]
	v_fma_f64 v[50:51], v[30:31], v[50:51], s[90:91]
	v_add_f64 v[32:33], v[26:27], -v[44:45]
	v_mul_f64 v[44:45], v[30:31], 0.5
	v_fma_f64 v[50:51], v[30:31], v[50:51], s[82:83]
	v_add_f64 v[46:47], -v[44:45], 1.0
	v_fma_f64 v[50:51], v[30:31], v[50:51], s[6:7]
	v_mul_f64 v[48:49], v[30:31], v[30:31]
	v_fma_f64 v[30:31], v[30:31], v[50:51], s[84:85]
	v_add_f64 v[50:51], -v[46:47], 1.0
	v_add_f64 v[44:45], v[50:51], -v[44:45]
	v_fma_f64 v[26:27], v[26:27], -v[28:29], v[44:45]
	v_and_b32_e32 v75, 1, v94
	v_fmac_f64_e32 v[26:27], v[48:49], v[30:31]
	v_lshlrev_b32_e32 v28, 30, v94
	v_add_f64 v[26:27], v[46:47], v[26:27]
	v_cmp_eq_u32_e32 vcc, 0, v75
	v_xor_b32_e32 v28, v28, v25
	v_cndmask_b32_e32 v27, v27, v33, vcc
	v_and_b32_e32 v28, 0x80000000, v28
	v_cndmask_b32_e32 v26, v26, v32, vcc
	v_xor_b32_e32 v27, v27, v28
	v_cmp_class_f64_e64 vcc, v[24:25], s64
	v_cndmask_b32_e32 v24, 0, v26, vcc
	v_cndmask_b32_e32 v25, v93, v27, vcc
	v_mul_f64 v[26:27], v[34:35], v[34:35]
	v_mul_f64 v[28:29], v[26:27], 0.5
	v_fma_f64 v[44:45], s[46:47], v[26:27], v[82:83]
	v_add_f64 v[30:31], -v[28:29], 1.0
	v_fma_f64 v[44:45], v[26:27], v[44:45], s[90:91]
	v_add_f64 v[32:33], -v[30:31], 1.0
	v_fma_f64 v[44:45], v[26:27], v[44:45], s[82:83]
	v_add_f64 v[28:29], v[32:33], -v[28:29]
	v_fma_f64 v[44:45], v[26:27], v[44:45], s[6:7]
	v_mul_f64 v[32:33], v[26:27], v[26:27]
	v_fma_f64 v[44:45], v[26:27], v[44:45], s[84:85]
	v_fma_f64 v[28:29], v[34:35], -v[36:37], v[28:29]
	v_fmac_f64_e32 v[28:29], v[32:33], v[44:45]
	v_add_f64 v[28:29], v[30:31], v[28:29]
	v_fma_f64 v[30:31], s[8:9], v[26:27], v[84:85]
	v_fma_f64 v[30:31], v[26:27], v[30:31], s[4:5]
	;; [unrolled: 1-line block ×4, first 2 shown]
	v_mul_f64 v[32:33], v[34:35], -v[26:27]
	v_mul_f64 v[44:45], v[36:37], 0.5
	v_fmac_f64_e32 v[44:45], v[32:33], v[30:31]
	v_fma_f64 v[26:27], v[26:27], v[44:45], -v[36:37]
	v_fmac_f64_e32 v[26:27], s[12:13], v[32:33]
	v_and_b32_e32 v30, 1, v96
	v_add_f64 v[26:27], v[34:35], -v[26:27]
	v_cmp_eq_u32_e32 vcc, 0, v30
	v_cndmask_b32_e32 v28, v28, v26, vcc
	v_cndmask_b32_e32 v29, v29, v27, vcc
	v_cmp_class_f64_e64 vcc, v[8:9], s64
	v_lshlrev_b32_e32 v8, 30, v96
	v_xor_b32_e32 v8, v8, v9
	v_and_b32_e32 v8, 0x80000000, v8
	v_xor_b32_e32 v9, v29, v8
	v_cndmask_b32_e32 v8, 0, v28, vcc
	v_mul_f64 v[28:29], v[2:3], s[44:45]
	v_rndne_f64_e32 v[28:29], v[28:29]
	v_fma_f64 v[30:31], s[54:55], v[28:29], v[2:3]
	v_fmac_f64_e32 v[30:31], s[48:49], v[28:29]
	v_fma_f64 v[32:33], s[42:43], v[30:31], v[86:87]
	v_fma_f64 v[32:33], v[30:31], v[32:33], s[56:57]
	;; [unrolled: 1-line block ×11, first 2 shown]
	v_lshlrev_b32_e32 v26, 30, v95
	v_fma_f64 v[32:33], v[30:31], v[32:33], s[94:95]
	v_fma_f64 v[34:35], v[30:31], v[34:35], s[14:15]
	v_and_b32_e32 v26, 0x80000000, v26
	v_fma_f64 v[32:33], v[30:31], v[32:33], 1.0
	v_fma_f64 v[34:35], v[30:31], v[34:35], s[70:71]
	v_xor_b32_e32 v27, v74, v26
	v_cndmask_b32_e32 v26, 0, v19, vcc
	v_fma_f64 v[32:33], v[30:31], v[32:33], 1.0
	v_cvt_i32_f64_e32 v19, v[28:29]
	v_fma_f64 v[34:35], v[30:31], v[34:35], s[72:73]
	v_cndmask_b32_e32 v27, v93, v27, vcc
	v_cndmask_b32_e32 v9, v93, v9, vcc
	v_ldexp_f64 v[32:33], v[32:33], v19
	v_cmp_nlt_f64_e32 vcc, s[66:67], v[2:3]
	v_cmp_ngt_f64_e64 s[0:1], s[2:3], v[2:3]
	v_fma_f64 v[34:35], v[30:31], v[34:35], s[74:75]
	v_cndmask_b32_e32 v33, v90, v33, vcc
	s_and_b64 vcc, s[0:1], vcc
	v_fma_f64 v[34:35], v[30:31], v[34:35], s[76:77]
	v_cndmask_b32_e32 v32, 0, v32, vcc
	v_cmp_eq_f64_e32 vcc, s[66:67], v[28:29]
	v_fma_f64 v[34:35], v[30:31], v[34:35], s[78:79]
	v_cndmask_b32_e32 v19, v19, v91, vcc
	v_fma_f64 v[34:35], v[30:31], v[34:35], 0.5
	v_ldexp_f64 v[28:29], 1.0, v19
	v_mul_f64 v[34:35], v[30:31], v[34:35]
	v_fmac_f64_e32 v[30:31], v[30:31], v[34:35]
	v_add_f64 v[34:35], v[28:29], -1.0
	v_fmac_f64_e32 v[34:35], v[28:29], v[30:31]
	v_add_f64 v[28:29], v[34:35], v[34:35]
	v_cndmask_b32_e64 v33, 0, v33, s[0:1]
	v_cndmask_b32_e32 v19, v34, v28, vcc
	v_cndmask_b32_e32 v28, v35, v29, vcc
	v_cmp_nlt_f64_e32 vcc, s[80:81], v[2:3]
	v_cmp_ngt_f64_e64 s[0:1], s[38:39], v[2:3]
	v_mul_f64 v[2:3], v[64:65], v[64:65]
	v_mul_f64 v[30:31], v[2:3], 0.5
	v_fma_f64 v[44:45], s[46:47], v[2:3], v[82:83]
	v_add_f64 v[34:35], -v[30:31], 1.0
	v_fma_f64 v[44:45], v[2:3], v[44:45], s[90:91]
	v_fma_f64 v[44:45], v[2:3], v[44:45], s[82:83]
	v_add_f64 v[46:47], -v[34:35], 1.0
	v_fma_f64 v[44:45], v[2:3], v[44:45], s[6:7]
	v_add_f64 v[30:31], v[46:47], -v[30:31]
	v_mul_f64 v[36:37], v[2:3], v[2:3]
	v_fma_f64 v[44:45], v[2:3], v[44:45], s[84:85]
	v_fma_f64 v[30:31], v[64:65], -v[66:67], v[30:31]
	v_fmac_f64_e32 v[30:31], v[36:37], v[44:45]
	v_fma_f64 v[36:37], s[8:9], v[2:3], v[84:85]
	v_fma_f64 v[36:37], v[2:3], v[36:37], s[4:5]
	;; [unrolled: 1-line block ×3, first 2 shown]
	v_add_f64 v[30:31], v[34:35], v[30:31]
	v_mul_f64 v[34:35], v[64:65], -v[2:3]
	v_fma_f64 v[36:37], v[2:3], v[36:37], s[86:87]
	v_mul_f64 v[44:45], v[66:67], 0.5
	v_fmac_f64_e32 v[44:45], v[34:35], v[36:37]
	v_fma_f64 v[2:3], v[2:3], v[44:45], -v[66:67]
	v_cndmask_b32_e32 v28, v90, v28, vcc
	s_and_b64 vcc, s[0:1], vcc
	v_fmac_f64_e32 v[2:3], s[12:13], v[34:35]
	v_cndmask_b32_e64 v29, v92, v28, s[0:1]
	v_cndmask_b32_e32 v28, 0, v19, vcc
	v_and_b32_e32 v19, 1, v101
	v_add_f64 v[2:3], v[64:65], -v[2:3]
	v_xor_b32_e32 v3, 0x80000000, v3
	v_cmp_eq_u32_e32 vcc, 0, v19
	v_cndmask_b32_e32 v19, v2, v30, vcc
	v_cndmask_b32_e32 v48, v3, v31, vcc
	v_mul_f64 v[2:3], v[54:55], v[54:55]
	v_fma_f64 v[34:35], s[8:9], v[2:3], v[84:85]
	v_fma_f64 v[34:35], v[2:3], v[34:35], s[4:5]
	;; [unrolled: 1-line block ×3, first 2 shown]
	v_mul_f64 v[30:31], v[54:55], -v[2:3]
	v_fma_f64 v[34:35], v[2:3], v[34:35], s[86:87]
	v_mul_f64 v[36:37], v[56:57], 0.5
	v_fmac_f64_e32 v[36:37], v[30:31], v[34:35]
	v_fma_f64 v[34:35], v[2:3], v[36:37], -v[56:57]
	v_fma_f64 v[46:47], s[46:47], v[2:3], v[82:83]
	v_fmac_f64_e32 v[34:35], s[12:13], v[30:31]
	v_fma_f64 v[46:47], v[2:3], v[46:47], s[90:91]
	v_add_f64 v[30:31], v[54:55], -v[34:35]
	v_mul_f64 v[34:35], v[2:3], 0.5
	v_fma_f64 v[46:47], v[2:3], v[46:47], s[82:83]
	v_add_f64 v[36:37], -v[34:35], 1.0
	v_fma_f64 v[46:47], v[2:3], v[46:47], s[6:7]
	v_mul_f64 v[44:45], v[2:3], v[2:3]
	v_fma_f64 v[2:3], v[2:3], v[46:47], s[84:85]
	v_add_f64 v[46:47], -v[36:37], 1.0
	v_add_f64 v[34:35], v[46:47], -v[34:35]
	v_fma_f64 v[34:35], v[54:55], -v[56:57], v[34:35]
	v_and_b32_e32 v49, 1, v100
	v_fmac_f64_e32 v[34:35], v[44:45], v[2:3]
	v_add_f64 v[2:3], v[36:37], v[34:35]
	v_cmp_eq_u32_e32 vcc, 0, v49
	v_cndmask_b32_e32 v2, v2, v30, vcc
	v_lshlrev_b32_e32 v30, 30, v100
	v_xor_b32_e32 v30, v30, v53
	v_cndmask_b32_e32 v3, v3, v31, vcc
	v_and_b32_e32 v30, 0x80000000, v30
	v_xor_b32_e32 v3, v3, v30
	v_cmp_class_f64_e64 vcc, v[52:53], s64
	v_cndmask_b32_e32 v30, 0, v2, vcc
	v_cndmask_b32_e32 v31, v93, v3, vcc
	v_mul_f64 v[2:3], v[68:69], v[68:69]
	v_mul_f64 v[34:35], v[2:3], 0.5
	v_fma_f64 v[46:47], s[46:47], v[2:3], v[82:83]
	v_add_f64 v[36:37], -v[34:35], 1.0
	v_fma_f64 v[46:47], v[2:3], v[46:47], s[90:91]
	v_add_f64 v[44:45], -v[36:37], 1.0
	v_fma_f64 v[46:47], v[2:3], v[46:47], s[82:83]
	v_add_f64 v[34:35], v[44:45], -v[34:35]
	v_fma_f64 v[46:47], v[2:3], v[46:47], s[6:7]
	v_mul_f64 v[44:45], v[2:3], v[2:3]
	v_fma_f64 v[46:47], v[2:3], v[46:47], s[84:85]
	v_fma_f64 v[34:35], v[68:69], -v[70:71], v[34:35]
	v_fmac_f64_e32 v[34:35], v[44:45], v[46:47]
	v_add_f64 v[34:35], v[36:37], v[34:35]
	v_fma_f64 v[36:37], s[8:9], v[2:3], v[84:85]
	v_fma_f64 v[36:37], v[2:3], v[36:37], s[4:5]
	;; [unrolled: 1-line block ×4, first 2 shown]
	v_mul_f64 v[44:45], v[68:69], -v[2:3]
	v_mul_f64 v[46:47], v[70:71], 0.5
	v_fmac_f64_e32 v[46:47], v[44:45], v[36:37]
	v_fma_f64 v[2:3], v[2:3], v[46:47], -v[70:71]
	v_fmac_f64_e32 v[2:3], s[12:13], v[44:45]
	v_and_b32_e32 v36, 1, v104
	v_add_f64 v[2:3], v[68:69], -v[2:3]
	v_cmp_eq_u32_e32 vcc, 0, v36
	v_cndmask_b32_e32 v2, v34, v2, vcc
	v_cndmask_b32_e32 v3, v35, v3, vcc
	v_cmp_class_f64_e64 vcc, v[4:5], s64
	v_lshlrev_b32_e32 v4, 30, v104
	v_lshlrev_b32_e32 v34, 30, v101
	v_xor_b32_e32 v4, v4, v5
	v_and_b32_e32 v34, 0x80000000, v34
	v_and_b32_e32 v4, 0x80000000, v4
	v_xor_b32_e32 v35, v48, v34
	v_xor_b32_e32 v3, v3, v4
	v_cndmask_b32_e32 v34, 0, v19, vcc
	v_cndmask_b32_e32 v35, v93, v35, vcc
	v_cndmask_b32_e32 v36, 0, v2, vcc
	v_cndmask_b32_e32 v37, v93, v3, vcc
	v_mov_b32_e32 v2, s52
	v_add_co_u32_e32 v44, vcc, s51, v22
	v_readlane_b32 s0, v164, 4
	v_addc_co_u32_e32 v45, vcc, 0, v2, vcc
	v_readlane_b32 s1, v164, 5
	v_cmp_le_i64_e32 vcc, s[0:1], v[20:21]
	s_mov_b64 s[0:1], 0xffff
	v_cmp_lt_u64_e64 s[0:1], s[0:1], v[20:21]
	v_readlane_b32 s24, v164, 10
	s_or_b64 s[0:1], vcc, s[0:1]
	v_mov_b32_e32 v2, s65
	v_add_co_u32_e32 v20, vcc, s24, v20
	v_addc_co_u32_e32 v21, vcc, v21, v2, vcc
	v_add_f64 v[2:3], v[58:59], v[58:59]
	v_readlane_b32 s24, v164, 11
	v_mul_f64 v[2:3], v[2:3], v[58:59]
	s_add_u32 s33, s33, s24
	v_fma_f64 v[2:3], v[14:15], v[60:61], -v[2:3]
	v_add_f64 v[14:15], v[38:39], v[38:39]
	s_addc_u32 s50, s50, 0
	v_mul_f64 v[14:15], v[14:15], v[38:39]
	s_add_u32 s51, s51, s24
	v_fma_f64 v[10:11], v[10:11], v[40:41], -v[14:15]
	v_add_f64 v[14:15], v[24:25], v[24:25]
	s_addc_u32 s52, s52, 0
	v_mul_f64 v[14:15], v[14:15], v[24:25]
	s_and_b64 s[0:1], exec, s[0:1]
	v_fma_f64 v[6:7], v[6:7], v[26:27], -v[14:15]
	v_add_f64 v[14:15], v[30:31], v[30:31]
	s_or_b64 s[16:17], s[0:1], s[16:17]
	v_mul_f64 v[8:9], v[42:43], v[8:9]
	v_mul_f64 v[14:15], v[14:15], v[30:31]
	v_mul_f64 v[4:5], v[72:73], v[16:17]
	v_mul_f64 v[12:13], v[62:63], v[12:13]
	v_fma_f64 v[14:15], v[28:29], v[34:35], -v[14:15]
	v_mul_f64 v[16:17], v[32:33], v[36:37]
	global_store_dwordx4 v[44:45], v[6:9], off
	global_store_dwordx4 v[44:45], v[10:13], off offset:16
	global_store_dwordx4 v[44:45], v[2:5], off offset:32
	;; [unrolled: 1-line block ×3, first 2 shown]
	s_andn2_b64 exec, exec, s[16:17]
	s_cbranch_execz .LBB144_52
.LBB144_4:                              ; =>This Inner Loop Header: Depth=1
	v_mov_b32_e32 v2, s50
	v_add_co_u32_e32 v14, vcc, s33, v22
	v_addc_co_u32_e32 v15, vcc, 0, v2, vcc
	global_load_dwordx4 v[10:13], v[14:15], off offset:16
	global_load_dwordx4 v[6:9], v[14:15], off
	global_load_dwordx4 v[2:5], v[14:15], off offset:48
	s_nop 0
	global_load_dwordx4 v[14:17], v[14:15], off offset:32
                                        ; implicit-def: $vgpr94
                                        ; implicit-def: $vgpr26_vgpr27
                                        ; implicit-def: $vgpr28_vgpr29
	s_waitcnt vmcnt(2)
	v_mul_f64 v[24:25], v[8:9], 0.5
	v_cmp_nlt_f64_e64 s[0:1], |v[24:25]|, s[18:19]
	s_and_saveexec_b64 s[44:45], s[0:1]
	s_xor_b64 s[44:45], exec, s[44:45]
	s_cbranch_execz .LBB144_6
; %bb.5:                                ;   in Loop: Header=BB144_4 Depth=1
	s_mov_b32 s0, 0
	s_mov_b32 s1, 0x7b000000
	v_and_b32_e32 v19, 0x7fffffff, v25
	v_ldexp_f64 v[30:31], |v[24:25]|, s53
	v_cmp_ge_f64_e64 vcc, |v[24:25]|, s[0:1]
	v_trig_preop_f64 v[26:27], |v[24:25]|, 0
	v_cndmask_b32_e32 v31, v19, v31, vcc
	v_cndmask_b32_e32 v30, v24, v30, vcc
	v_trig_preop_f64 v[28:29], |v[24:25]|, 1
	v_mul_f64 v[34:35], v[26:27], v[30:31]
	v_mul_f64 v[32:33], v[28:29], v[30:31]
	v_fma_f64 v[26:27], v[26:27], v[30:31], -v[34:35]
	v_add_f64 v[36:37], v[32:33], v[26:27]
	v_add_f64 v[38:39], v[34:35], v[36:37]
	s_mov_b32 s0, 0
	v_ldexp_f64 v[40:41], v[38:39], -2
	s_mov_b32 s1, 0x7ff00000
	v_fract_f64_e32 v[42:43], v[40:41]
	v_cmp_neq_f64_e64 vcc, |v[40:41]|, s[0:1]
	v_cndmask_b32_e32 v41, 0, v43, vcc
	v_cndmask_b32_e32 v40, 0, v42, vcc
	v_add_f64 v[42:43], v[36:37], -v[32:33]
	v_add_f64 v[26:27], v[26:27], -v[42:43]
	;; [unrolled: 1-line block ×4, first 2 shown]
	v_fma_f64 v[28:29], v[28:29], v[30:31], -v[32:33]
	v_trig_preop_f64 v[32:33], |v[24:25]|, 2
	v_add_f64 v[26:27], v[26:27], v[42:43]
	v_mul_f64 v[42:43], v[32:33], v[30:31]
	v_add_f64 v[44:45], v[42:43], v[28:29]
	v_add_f64 v[46:47], v[44:45], v[26:27]
	v_add_f64 v[34:35], v[38:39], -v[34:35]
	v_add_f64 v[38:39], v[46:47], -v[44:45]
	;; [unrolled: 1-line block ×5, first 2 shown]
	v_add_f64 v[26:27], v[26:27], v[38:39]
	v_add_f64 v[38:39], v[44:45], -v[42:43]
	v_add_f64 v[28:29], v[28:29], -v[38:39]
	;; [unrolled: 1-line block ×4, first 2 shown]
	v_add_f64 v[28:29], v[28:29], v[38:39]
	v_add_f64 v[34:35], v[36:37], -v[34:35]
	v_add_f64 v[26:27], v[28:29], v[26:27]
	v_fma_f64 v[28:29], v[32:33], v[30:31], -v[42:43]
	v_add_f64 v[36:37], v[34:35], v[46:47]
	v_add_f64 v[26:27], v[28:29], v[26:27]
	v_ldexp_f64 v[28:29], v[40:41], 2
	v_add_f64 v[30:31], v[36:37], v[28:29]
	v_cmp_gt_f64_e32 vcc, 0, v[30:31]
	v_cndmask_b32_e32 v19, 0, v1, vcc
	v_add_f64 v[28:29], v[28:29], v[18:19]
	v_add_f64 v[30:31], v[36:37], v[28:29]
	v_cvt_i32_f64_e32 v19, v[30:31]
	v_cvt_f64_i32_e32 v[30:31], v19
	v_add_f64 v[28:29], v[28:29], -v[30:31]
	v_add_f64 v[34:35], v[36:37], -v[34:35]
	v_add_f64 v[30:31], v[36:37], v[28:29]
	v_add_f64 v[34:35], v[46:47], -v[34:35]
	v_add_f64 v[28:29], v[30:31], -v[28:29]
	v_cmp_le_f64_e32 vcc, 0.5, v[30:31]
	v_add_f64 v[26:27], v[34:35], v[26:27]
	v_add_f64 v[28:29], v[36:37], -v[28:29]
	v_addc_co_u32_e64 v94, s[0:1], 0, v19, vcc
	v_cndmask_b32_e32 v19, 0, v23, vcc
	v_add_f64 v[26:27], v[26:27], v[28:29]
	v_add_f64 v[28:29], v[30:31], -v[18:19]
	v_add_f64 v[30:31], v[28:29], v[26:27]
	v_add_f64 v[28:29], v[30:31], -v[28:29]
	s_mov_b32 s24, s26
	v_add_f64 v[26:27], v[26:27], -v[28:29]
	v_mul_f64 v[28:29], v[30:31], s[24:25]
	v_fma_f64 v[32:33], v[30:31], s[24:25], -v[28:29]
	s_mov_b32 s31, s29
	v_fmac_f64_e32 v[32:33], s[30:31], v[30:31]
	v_fmac_f64_e32 v[32:33], s[24:25], v[26:27]
	v_add_f64 v[26:27], v[28:29], v[32:33]
	v_add_f64 v[28:29], v[26:27], -v[28:29]
	v_add_f64 v[28:29], v[32:33], -v[28:29]
.LBB144_6:                              ;   in Loop: Header=BB144_4 Depth=1
	s_andn2_saveexec_b64 s[0:1], s[44:45]
	s_cbranch_execz .LBB144_8
; %bb.7:                                ;   in Loop: Header=BB144_4 Depth=1
	s_mov_b32 s2, 0x6dc9c883
	s_mov_b32 s3, 0x3fe45f30
	v_mul_f64 v[26:27], |v[24:25]|, s[2:3]
	v_rndne_f64_e32 v[30:31], v[26:27]
	v_fma_f64 v[26:27], v[30:31], s[26:27], |v[24:25]|
	v_mul_f64 v[32:33], v[30:31], s[36:37]
	v_add_f64 v[36:37], v[26:27], v[32:33]
	v_fma_f64 v[28:29], s[36:37], v[30:31], v[26:27]
	s_mov_b32 s28, s36
	v_add_f64 v[26:27], v[26:27], -v[36:37]
	v_fma_f64 v[34:35], s[28:29], v[30:31], v[32:33]
	v_add_f64 v[26:27], v[26:27], v[32:33]
	v_add_f64 v[32:33], v[36:37], -v[28:29]
	v_add_f64 v[26:27], v[32:33], v[26:27]
	s_mov_b32 s2, 0x252049c0
	v_add_f64 v[32:33], v[26:27], -v[34:35]
	s_mov_b32 s3, 0xb97b839a
	v_fmac_f64_e32 v[32:33], s[2:3], v[30:31]
	v_add_f64 v[26:27], v[28:29], v[32:33]
	v_add_f64 v[28:29], v[26:27], -v[28:29]
	v_add_f64 v[28:29], v[32:33], -v[28:29]
	v_cvt_i32_f64_e32 v94, v[30:31]
.LBB144_8:                              ;   in Loop: Header=BB144_4 Depth=1
	s_or_b64 exec, exec, s[0:1]
	v_cmp_nlt_f64_e64 s[44:45], |v[8:9]|, s[18:19]
                                        ; implicit-def: $vgpr95
                                        ; implicit-def: $vgpr30_vgpr31
                                        ; implicit-def: $vgpr32_vgpr33
	s_and_saveexec_b64 s[0:1], s[44:45]
	s_xor_b64 s[48:49], exec, s[0:1]
	s_cbranch_execz .LBB144_10
; %bb.9:                                ;   in Loop: Header=BB144_4 Depth=1
	s_mov_b32 s0, 0
	s_mov_b32 s1, 0x7b000000
	v_and_b32_e32 v19, 0x7fffffff, v9
	v_ldexp_f64 v[34:35], |v[8:9]|, s53
	v_cmp_ge_f64_e64 vcc, |v[8:9]|, s[0:1]
	v_trig_preop_f64 v[30:31], |v[8:9]|, 0
	v_cndmask_b32_e32 v35, v19, v35, vcc
	v_cndmask_b32_e32 v34, v8, v34, vcc
	v_trig_preop_f64 v[32:33], |v[8:9]|, 1
	v_mul_f64 v[38:39], v[30:31], v[34:35]
	v_mul_f64 v[36:37], v[32:33], v[34:35]
	v_fma_f64 v[30:31], v[30:31], v[34:35], -v[38:39]
	v_add_f64 v[40:41], v[36:37], v[30:31]
	v_add_f64 v[42:43], v[38:39], v[40:41]
	s_mov_b32 s0, 0
	v_ldexp_f64 v[44:45], v[42:43], -2
	s_mov_b32 s1, 0x7ff00000
	v_fract_f64_e32 v[46:47], v[44:45]
	v_cmp_neq_f64_e64 vcc, |v[44:45]|, s[0:1]
	v_cndmask_b32_e32 v45, 0, v47, vcc
	v_cndmask_b32_e32 v44, 0, v46, vcc
	v_add_f64 v[46:47], v[40:41], -v[36:37]
	v_add_f64 v[30:31], v[30:31], -v[46:47]
	;; [unrolled: 1-line block ×4, first 2 shown]
	v_fma_f64 v[32:33], v[32:33], v[34:35], -v[36:37]
	v_trig_preop_f64 v[36:37], |v[8:9]|, 2
	v_add_f64 v[30:31], v[30:31], v[46:47]
	v_mul_f64 v[46:47], v[36:37], v[34:35]
	v_add_f64 v[48:49], v[46:47], v[32:33]
	v_add_f64 v[50:51], v[48:49], v[30:31]
	v_add_f64 v[38:39], v[42:43], -v[38:39]
	v_add_f64 v[42:43], v[50:51], -v[48:49]
	;; [unrolled: 1-line block ×5, first 2 shown]
	v_add_f64 v[30:31], v[30:31], v[42:43]
	v_add_f64 v[42:43], v[48:49], -v[46:47]
	v_add_f64 v[32:33], v[32:33], -v[42:43]
	v_add_f64 v[42:43], v[48:49], -v[42:43]
	v_add_f64 v[42:43], v[46:47], -v[42:43]
	v_add_f64 v[32:33], v[32:33], v[42:43]
	v_add_f64 v[38:39], v[40:41], -v[38:39]
	v_add_f64 v[30:31], v[32:33], v[30:31]
	v_fma_f64 v[32:33], v[36:37], v[34:35], -v[46:47]
	v_add_f64 v[40:41], v[38:39], v[50:51]
	v_add_f64 v[30:31], v[32:33], v[30:31]
	v_ldexp_f64 v[32:33], v[44:45], 2
	v_add_f64 v[34:35], v[40:41], v[32:33]
	v_cmp_gt_f64_e32 vcc, 0, v[34:35]
	v_cndmask_b32_e32 v19, 0, v1, vcc
	v_add_f64 v[32:33], v[32:33], v[18:19]
	v_add_f64 v[34:35], v[40:41], v[32:33]
	v_cvt_i32_f64_e32 v19, v[34:35]
	v_cvt_f64_i32_e32 v[34:35], v19
	v_add_f64 v[32:33], v[32:33], -v[34:35]
	v_add_f64 v[38:39], v[40:41], -v[38:39]
	v_add_f64 v[34:35], v[40:41], v[32:33]
	v_add_f64 v[38:39], v[50:51], -v[38:39]
	v_add_f64 v[32:33], v[34:35], -v[32:33]
	v_cmp_le_f64_e32 vcc, 0.5, v[34:35]
	v_add_f64 v[30:31], v[38:39], v[30:31]
	v_add_f64 v[32:33], v[40:41], -v[32:33]
	v_addc_co_u32_e64 v95, s[0:1], 0, v19, vcc
	v_cndmask_b32_e32 v19, 0, v23, vcc
	v_add_f64 v[30:31], v[30:31], v[32:33]
	v_add_f64 v[32:33], v[34:35], -v[18:19]
	v_add_f64 v[34:35], v[32:33], v[30:31]
	v_add_f64 v[32:33], v[34:35], -v[32:33]
	s_mov_b32 s24, s26
	v_add_f64 v[30:31], v[30:31], -v[32:33]
	v_mul_f64 v[32:33], v[34:35], s[24:25]
	v_fma_f64 v[36:37], v[34:35], s[24:25], -v[32:33]
	s_mov_b32 s31, s29
	v_fmac_f64_e32 v[36:37], s[30:31], v[34:35]
	v_fmac_f64_e32 v[36:37], s[24:25], v[30:31]
	v_add_f64 v[30:31], v[32:33], v[36:37]
	v_add_f64 v[32:33], v[30:31], -v[32:33]
	v_add_f64 v[32:33], v[36:37], -v[32:33]
	s_andn2_saveexec_b64 s[0:1], s[48:49]
	s_cbranch_execz .LBB144_12
	s_branch .LBB144_11
.LBB144_10:                             ;   in Loop: Header=BB144_4 Depth=1
	s_andn2_saveexec_b64 s[0:1], s[48:49]
	s_cbranch_execz .LBB144_12
.LBB144_11:                             ;   in Loop: Header=BB144_4 Depth=1
	s_mov_b32 s2, 0x6dc9c883
	s_mov_b32 s3, 0x3fe45f30
	v_mul_f64 v[30:31], |v[8:9]|, s[2:3]
	v_rndne_f64_e32 v[34:35], v[30:31]
	v_fma_f64 v[30:31], v[34:35], s[26:27], |v[8:9]|
	v_mul_f64 v[36:37], v[34:35], s[36:37]
	v_add_f64 v[40:41], v[30:31], v[36:37]
	v_fma_f64 v[32:33], s[36:37], v[34:35], v[30:31]
	s_mov_b32 s28, s36
	v_add_f64 v[30:31], v[30:31], -v[40:41]
	v_fma_f64 v[38:39], s[28:29], v[34:35], v[36:37]
	v_add_f64 v[30:31], v[30:31], v[36:37]
	v_add_f64 v[36:37], v[40:41], -v[32:33]
	v_add_f64 v[30:31], v[36:37], v[30:31]
	s_mov_b32 s2, 0x252049c0
	v_add_f64 v[36:37], v[30:31], -v[38:39]
	s_mov_b32 s3, 0xb97b839a
	v_fmac_f64_e32 v[36:37], s[2:3], v[34:35]
	v_add_f64 v[30:31], v[32:33], v[36:37]
	v_add_f64 v[32:33], v[30:31], -v[32:33]
	v_add_f64 v[32:33], v[36:37], -v[32:33]
	v_cvt_i32_f64_e32 v95, v[34:35]
.LBB144_12:                             ;   in Loop: Header=BB144_4 Depth=1
	s_or_b64 exec, exec, s[0:1]
                                        ; implicit-def: $vgpr96
                                        ; implicit-def: $vgpr34_vgpr35
                                        ; implicit-def: $vgpr36_vgpr37
	s_and_saveexec_b64 s[0:1], s[44:45]
	s_xor_b64 s[44:45], exec, s[0:1]
	s_cbranch_execz .LBB144_14
; %bb.13:                               ;   in Loop: Header=BB144_4 Depth=1
	s_mov_b32 s0, 0
	s_mov_b32 s1, 0x7b000000
	v_and_b32_e32 v19, 0x7fffffff, v9
	v_ldexp_f64 v[38:39], |v[8:9]|, s53
	v_cmp_ge_f64_e64 vcc, |v[8:9]|, s[0:1]
	v_trig_preop_f64 v[34:35], |v[8:9]|, 0
	v_cndmask_b32_e32 v39, v19, v39, vcc
	v_cndmask_b32_e32 v38, v8, v38, vcc
	v_trig_preop_f64 v[36:37], |v[8:9]|, 1
	v_mul_f64 v[42:43], v[34:35], v[38:39]
	v_mul_f64 v[40:41], v[36:37], v[38:39]
	v_fma_f64 v[34:35], v[34:35], v[38:39], -v[42:43]
	v_add_f64 v[44:45], v[40:41], v[34:35]
	v_add_f64 v[46:47], v[42:43], v[44:45]
	s_mov_b32 s0, 0
	v_ldexp_f64 v[48:49], v[46:47], -2
	s_mov_b32 s1, 0x7ff00000
	v_fract_f64_e32 v[50:51], v[48:49]
	v_cmp_neq_f64_e64 vcc, |v[48:49]|, s[0:1]
	v_cndmask_b32_e32 v49, 0, v51, vcc
	v_cndmask_b32_e32 v48, 0, v50, vcc
	v_add_f64 v[50:51], v[44:45], -v[40:41]
	v_add_f64 v[34:35], v[34:35], -v[50:51]
	;; [unrolled: 1-line block ×4, first 2 shown]
	v_fma_f64 v[36:37], v[36:37], v[38:39], -v[40:41]
	v_trig_preop_f64 v[40:41], |v[8:9]|, 2
	v_add_f64 v[34:35], v[34:35], v[50:51]
	v_mul_f64 v[50:51], v[40:41], v[38:39]
	v_add_f64 v[52:53], v[50:51], v[36:37]
	v_add_f64 v[54:55], v[52:53], v[34:35]
	v_add_f64 v[42:43], v[46:47], -v[42:43]
	v_add_f64 v[46:47], v[54:55], -v[52:53]
	v_add_f64 v[34:35], v[34:35], -v[46:47]
	v_add_f64 v[46:47], v[54:55], -v[46:47]
	v_add_f64 v[46:47], v[52:53], -v[46:47]
	v_add_f64 v[34:35], v[34:35], v[46:47]
	v_add_f64 v[46:47], v[52:53], -v[50:51]
	v_add_f64 v[36:37], v[36:37], -v[46:47]
	;; [unrolled: 1-line block ×4, first 2 shown]
	v_add_f64 v[36:37], v[36:37], v[46:47]
	v_add_f64 v[42:43], v[44:45], -v[42:43]
	v_add_f64 v[34:35], v[36:37], v[34:35]
	v_fma_f64 v[36:37], v[40:41], v[38:39], -v[50:51]
	v_add_f64 v[44:45], v[42:43], v[54:55]
	v_add_f64 v[34:35], v[36:37], v[34:35]
	v_ldexp_f64 v[36:37], v[48:49], 2
	v_add_f64 v[38:39], v[44:45], v[36:37]
	v_cmp_gt_f64_e32 vcc, 0, v[38:39]
	v_cndmask_b32_e32 v19, 0, v1, vcc
	v_add_f64 v[36:37], v[36:37], v[18:19]
	v_add_f64 v[38:39], v[44:45], v[36:37]
	v_cvt_i32_f64_e32 v19, v[38:39]
	v_cvt_f64_i32_e32 v[38:39], v19
	v_add_f64 v[36:37], v[36:37], -v[38:39]
	v_add_f64 v[42:43], v[44:45], -v[42:43]
	v_add_f64 v[38:39], v[44:45], v[36:37]
	v_add_f64 v[42:43], v[54:55], -v[42:43]
	v_add_f64 v[36:37], v[38:39], -v[36:37]
	v_cmp_le_f64_e32 vcc, 0.5, v[38:39]
	v_add_f64 v[34:35], v[42:43], v[34:35]
	v_add_f64 v[36:37], v[44:45], -v[36:37]
	v_addc_co_u32_e64 v96, s[0:1], 0, v19, vcc
	v_cndmask_b32_e32 v19, 0, v23, vcc
	v_add_f64 v[34:35], v[34:35], v[36:37]
	v_add_f64 v[36:37], v[38:39], -v[18:19]
	v_add_f64 v[38:39], v[36:37], v[34:35]
	v_add_f64 v[36:37], v[38:39], -v[36:37]
	s_mov_b32 s24, s26
	v_add_f64 v[34:35], v[34:35], -v[36:37]
	v_mul_f64 v[36:37], v[38:39], s[24:25]
	v_fma_f64 v[40:41], v[38:39], s[24:25], -v[36:37]
	s_mov_b32 s31, s29
	v_fmac_f64_e32 v[40:41], s[30:31], v[38:39]
	v_fmac_f64_e32 v[40:41], s[24:25], v[34:35]
	v_add_f64 v[34:35], v[36:37], v[40:41]
	v_add_f64 v[36:37], v[34:35], -v[36:37]
	v_add_f64 v[36:37], v[40:41], -v[36:37]
	s_andn2_saveexec_b64 s[0:1], s[44:45]
	s_cbranch_execnz .LBB144_15
	s_branch .LBB144_16
.LBB144_14:                             ;   in Loop: Header=BB144_4 Depth=1
	s_andn2_saveexec_b64 s[0:1], s[44:45]
	s_cbranch_execz .LBB144_16
.LBB144_15:                             ;   in Loop: Header=BB144_4 Depth=1
	s_mov_b32 s2, 0x6dc9c883
	s_mov_b32 s3, 0x3fe45f30
	v_mul_f64 v[34:35], |v[8:9]|, s[2:3]
	v_rndne_f64_e32 v[38:39], v[34:35]
	v_fma_f64 v[34:35], v[38:39], s[26:27], |v[8:9]|
	v_mul_f64 v[40:41], v[38:39], s[36:37]
	v_add_f64 v[44:45], v[34:35], v[40:41]
	v_fma_f64 v[36:37], s[36:37], v[38:39], v[34:35]
	s_mov_b32 s28, s36
	v_add_f64 v[34:35], v[34:35], -v[44:45]
	v_fma_f64 v[42:43], s[28:29], v[38:39], v[40:41]
	v_add_f64 v[34:35], v[34:35], v[40:41]
	v_add_f64 v[40:41], v[44:45], -v[36:37]
	v_add_f64 v[34:35], v[40:41], v[34:35]
	s_mov_b32 s2, 0x252049c0
	v_add_f64 v[40:41], v[34:35], -v[42:43]
	s_mov_b32 s3, 0xb97b839a
	v_fmac_f64_e32 v[40:41], s[2:3], v[38:39]
	v_add_f64 v[34:35], v[36:37], v[40:41]
	v_add_f64 v[36:37], v[34:35], -v[36:37]
	v_add_f64 v[36:37], v[40:41], -v[36:37]
	v_cvt_i32_f64_e32 v96, v[38:39]
.LBB144_16:                             ;   in Loop: Header=BB144_4 Depth=1
	s_or_b64 exec, exec, s[0:1]
	v_mul_f64 v[38:39], v[12:13], 0.5
	v_cmp_nlt_f64_e64 s[0:1], |v[38:39]|, s[18:19]
                                        ; implicit-def: $vgpr97
                                        ; implicit-def: $vgpr40_vgpr41
                                        ; implicit-def: $vgpr42_vgpr43
	s_and_saveexec_b64 s[44:45], s[0:1]
	s_xor_b64 s[44:45], exec, s[44:45]
	s_cbranch_execz .LBB144_18
; %bb.17:                               ;   in Loop: Header=BB144_4 Depth=1
	s_mov_b32 s0, 0
	s_mov_b32 s1, 0x7b000000
	v_and_b32_e32 v19, 0x7fffffff, v39
	v_ldexp_f64 v[44:45], |v[38:39]|, s53
	v_cmp_ge_f64_e64 vcc, |v[38:39]|, s[0:1]
	v_trig_preop_f64 v[40:41], |v[38:39]|, 0
	v_cndmask_b32_e32 v45, v19, v45, vcc
	v_cndmask_b32_e32 v44, v38, v44, vcc
	v_trig_preop_f64 v[42:43], |v[38:39]|, 1
	v_mul_f64 v[48:49], v[40:41], v[44:45]
	v_mul_f64 v[46:47], v[42:43], v[44:45]
	v_fma_f64 v[40:41], v[40:41], v[44:45], -v[48:49]
	v_add_f64 v[50:51], v[46:47], v[40:41]
	v_add_f64 v[52:53], v[48:49], v[50:51]
	s_mov_b32 s0, 0
	v_ldexp_f64 v[54:55], v[52:53], -2
	s_mov_b32 s1, 0x7ff00000
	v_fract_f64_e32 v[56:57], v[54:55]
	v_cmp_neq_f64_e64 vcc, |v[54:55]|, s[0:1]
	v_cndmask_b32_e32 v55, 0, v57, vcc
	v_cndmask_b32_e32 v54, 0, v56, vcc
	v_add_f64 v[56:57], v[50:51], -v[46:47]
	v_add_f64 v[40:41], v[40:41], -v[56:57]
	v_add_f64 v[56:57], v[50:51], -v[56:57]
	v_add_f64 v[56:57], v[46:47], -v[56:57]
	v_fma_f64 v[42:43], v[42:43], v[44:45], -v[46:47]
	v_trig_preop_f64 v[46:47], |v[38:39]|, 2
	v_add_f64 v[40:41], v[40:41], v[56:57]
	v_mul_f64 v[56:57], v[46:47], v[44:45]
	v_add_f64 v[58:59], v[56:57], v[42:43]
	v_add_f64 v[60:61], v[58:59], v[40:41]
	v_add_f64 v[48:49], v[52:53], -v[48:49]
	v_add_f64 v[52:53], v[60:61], -v[58:59]
	;; [unrolled: 1-line block ×5, first 2 shown]
	v_add_f64 v[40:41], v[40:41], v[52:53]
	v_add_f64 v[52:53], v[58:59], -v[56:57]
	v_add_f64 v[42:43], v[42:43], -v[52:53]
	v_add_f64 v[52:53], v[58:59], -v[52:53]
	v_add_f64 v[52:53], v[56:57], -v[52:53]
	v_add_f64 v[42:43], v[42:43], v[52:53]
	v_add_f64 v[48:49], v[50:51], -v[48:49]
	v_add_f64 v[40:41], v[42:43], v[40:41]
	v_fma_f64 v[42:43], v[46:47], v[44:45], -v[56:57]
	v_add_f64 v[50:51], v[48:49], v[60:61]
	v_add_f64 v[40:41], v[42:43], v[40:41]
	v_ldexp_f64 v[42:43], v[54:55], 2
	v_add_f64 v[44:45], v[50:51], v[42:43]
	v_cmp_gt_f64_e32 vcc, 0, v[44:45]
	v_cndmask_b32_e32 v19, 0, v1, vcc
	v_add_f64 v[42:43], v[42:43], v[18:19]
	v_add_f64 v[44:45], v[50:51], v[42:43]
	v_cvt_i32_f64_e32 v19, v[44:45]
	v_cvt_f64_i32_e32 v[44:45], v19
	v_add_f64 v[42:43], v[42:43], -v[44:45]
	v_add_f64 v[48:49], v[50:51], -v[48:49]
	v_add_f64 v[44:45], v[50:51], v[42:43]
	v_add_f64 v[48:49], v[60:61], -v[48:49]
	v_add_f64 v[42:43], v[44:45], -v[42:43]
	v_cmp_le_f64_e32 vcc, 0.5, v[44:45]
	v_add_f64 v[40:41], v[48:49], v[40:41]
	v_add_f64 v[42:43], v[50:51], -v[42:43]
	v_addc_co_u32_e64 v97, s[0:1], 0, v19, vcc
	v_cndmask_b32_e32 v19, 0, v23, vcc
	v_add_f64 v[40:41], v[40:41], v[42:43]
	v_add_f64 v[42:43], v[44:45], -v[18:19]
	v_add_f64 v[44:45], v[42:43], v[40:41]
	v_add_f64 v[42:43], v[44:45], -v[42:43]
	s_mov_b32 s24, s26
	v_add_f64 v[40:41], v[40:41], -v[42:43]
	v_mul_f64 v[42:43], v[44:45], s[24:25]
	v_fma_f64 v[46:47], v[44:45], s[24:25], -v[42:43]
	s_mov_b32 s31, s29
	v_fmac_f64_e32 v[46:47], s[30:31], v[44:45]
	v_fmac_f64_e32 v[46:47], s[24:25], v[40:41]
	v_add_f64 v[40:41], v[42:43], v[46:47]
	v_add_f64 v[42:43], v[40:41], -v[42:43]
	v_add_f64 v[42:43], v[46:47], -v[42:43]
.LBB144_18:                             ;   in Loop: Header=BB144_4 Depth=1
	s_andn2_saveexec_b64 s[0:1], s[44:45]
	s_cbranch_execz .LBB144_20
; %bb.19:                               ;   in Loop: Header=BB144_4 Depth=1
	s_mov_b32 s2, 0x6dc9c883
	s_mov_b32 s3, 0x3fe45f30
	v_mul_f64 v[40:41], |v[38:39]|, s[2:3]
	v_rndne_f64_e32 v[44:45], v[40:41]
	v_fma_f64 v[40:41], v[44:45], s[26:27], |v[38:39]|
	v_mul_f64 v[46:47], v[44:45], s[36:37]
	v_add_f64 v[50:51], v[40:41], v[46:47]
	v_fma_f64 v[42:43], s[36:37], v[44:45], v[40:41]
	s_mov_b32 s28, s36
	v_add_f64 v[40:41], v[40:41], -v[50:51]
	v_fma_f64 v[48:49], s[28:29], v[44:45], v[46:47]
	v_add_f64 v[40:41], v[40:41], v[46:47]
	v_add_f64 v[46:47], v[50:51], -v[42:43]
	v_add_f64 v[40:41], v[46:47], v[40:41]
	s_mov_b32 s2, 0x252049c0
	v_add_f64 v[46:47], v[40:41], -v[48:49]
	s_mov_b32 s3, 0xb97b839a
	v_fmac_f64_e32 v[46:47], s[2:3], v[44:45]
	v_add_f64 v[40:41], v[42:43], v[46:47]
	v_add_f64 v[42:43], v[40:41], -v[42:43]
	v_add_f64 v[42:43], v[46:47], -v[42:43]
	v_cvt_i32_f64_e32 v97, v[44:45]
.LBB144_20:                             ;   in Loop: Header=BB144_4 Depth=1
	s_or_b64 exec, exec, s[0:1]
	v_cmp_nlt_f64_e64 s[44:45], |v[12:13]|, s[18:19]
                                        ; implicit-def: $vgpr98
                                        ; implicit-def: $vgpr44_vgpr45
                                        ; implicit-def: $vgpr46_vgpr47
	s_and_saveexec_b64 s[0:1], s[44:45]
	s_xor_b64 s[48:49], exec, s[0:1]
	s_cbranch_execz .LBB144_22
; %bb.21:                               ;   in Loop: Header=BB144_4 Depth=1
	s_mov_b32 s0, 0
	s_mov_b32 s1, 0x7b000000
	v_and_b32_e32 v19, 0x7fffffff, v13
	v_ldexp_f64 v[48:49], |v[12:13]|, s53
	v_cmp_ge_f64_e64 vcc, |v[12:13]|, s[0:1]
	v_trig_preop_f64 v[44:45], |v[12:13]|, 0
	v_cndmask_b32_e32 v49, v19, v49, vcc
	v_cndmask_b32_e32 v48, v12, v48, vcc
	v_trig_preop_f64 v[46:47], |v[12:13]|, 1
	v_mul_f64 v[52:53], v[44:45], v[48:49]
	v_mul_f64 v[50:51], v[46:47], v[48:49]
	v_fma_f64 v[44:45], v[44:45], v[48:49], -v[52:53]
	v_add_f64 v[54:55], v[50:51], v[44:45]
	v_add_f64 v[56:57], v[52:53], v[54:55]
	s_mov_b32 s0, 0
	v_ldexp_f64 v[58:59], v[56:57], -2
	s_mov_b32 s1, 0x7ff00000
	v_fract_f64_e32 v[60:61], v[58:59]
	v_cmp_neq_f64_e64 vcc, |v[58:59]|, s[0:1]
	v_cndmask_b32_e32 v59, 0, v61, vcc
	v_cndmask_b32_e32 v58, 0, v60, vcc
	v_add_f64 v[60:61], v[54:55], -v[50:51]
	v_add_f64 v[44:45], v[44:45], -v[60:61]
	;; [unrolled: 1-line block ×4, first 2 shown]
	v_fma_f64 v[46:47], v[46:47], v[48:49], -v[50:51]
	v_trig_preop_f64 v[50:51], |v[12:13]|, 2
	v_add_f64 v[44:45], v[44:45], v[60:61]
	v_mul_f64 v[60:61], v[50:51], v[48:49]
	v_add_f64 v[62:63], v[60:61], v[46:47]
	v_add_f64 v[64:65], v[62:63], v[44:45]
	v_add_f64 v[52:53], v[56:57], -v[52:53]
	v_add_f64 v[56:57], v[64:65], -v[62:63]
	;; [unrolled: 1-line block ×5, first 2 shown]
	v_add_f64 v[44:45], v[44:45], v[56:57]
	v_add_f64 v[56:57], v[62:63], -v[60:61]
	v_add_f64 v[46:47], v[46:47], -v[56:57]
	;; [unrolled: 1-line block ×4, first 2 shown]
	v_add_f64 v[46:47], v[46:47], v[56:57]
	v_add_f64 v[52:53], v[54:55], -v[52:53]
	v_add_f64 v[44:45], v[46:47], v[44:45]
	v_fma_f64 v[46:47], v[50:51], v[48:49], -v[60:61]
	v_add_f64 v[54:55], v[52:53], v[64:65]
	v_add_f64 v[44:45], v[46:47], v[44:45]
	v_ldexp_f64 v[46:47], v[58:59], 2
	v_add_f64 v[48:49], v[54:55], v[46:47]
	v_cmp_gt_f64_e32 vcc, 0, v[48:49]
	v_cndmask_b32_e32 v19, 0, v1, vcc
	v_add_f64 v[46:47], v[46:47], v[18:19]
	v_add_f64 v[48:49], v[54:55], v[46:47]
	v_cvt_i32_f64_e32 v19, v[48:49]
	v_cvt_f64_i32_e32 v[48:49], v19
	v_add_f64 v[46:47], v[46:47], -v[48:49]
	v_add_f64 v[52:53], v[54:55], -v[52:53]
	v_add_f64 v[48:49], v[54:55], v[46:47]
	v_add_f64 v[52:53], v[64:65], -v[52:53]
	v_add_f64 v[46:47], v[48:49], -v[46:47]
	v_cmp_le_f64_e32 vcc, 0.5, v[48:49]
	v_add_f64 v[44:45], v[52:53], v[44:45]
	v_add_f64 v[46:47], v[54:55], -v[46:47]
	v_addc_co_u32_e64 v98, s[0:1], 0, v19, vcc
	v_cndmask_b32_e32 v19, 0, v23, vcc
	v_add_f64 v[44:45], v[44:45], v[46:47]
	v_add_f64 v[46:47], v[48:49], -v[18:19]
	v_add_f64 v[48:49], v[46:47], v[44:45]
	v_add_f64 v[46:47], v[48:49], -v[46:47]
	s_mov_b32 s24, s26
	v_add_f64 v[44:45], v[44:45], -v[46:47]
	v_mul_f64 v[46:47], v[48:49], s[24:25]
	v_fma_f64 v[50:51], v[48:49], s[24:25], -v[46:47]
	s_mov_b32 s31, s29
	v_fmac_f64_e32 v[50:51], s[30:31], v[48:49]
	v_fmac_f64_e32 v[50:51], s[24:25], v[44:45]
	v_add_f64 v[44:45], v[46:47], v[50:51]
	v_add_f64 v[46:47], v[44:45], -v[46:47]
	v_add_f64 v[46:47], v[50:51], -v[46:47]
	s_andn2_saveexec_b64 s[0:1], s[48:49]
	s_cbranch_execz .LBB144_24
	s_branch .LBB144_23
.LBB144_22:                             ;   in Loop: Header=BB144_4 Depth=1
	s_andn2_saveexec_b64 s[0:1], s[48:49]
	s_cbranch_execz .LBB144_24
.LBB144_23:                             ;   in Loop: Header=BB144_4 Depth=1
	s_mov_b32 s2, 0x6dc9c883
	s_mov_b32 s3, 0x3fe45f30
	v_mul_f64 v[44:45], |v[12:13]|, s[2:3]
	v_rndne_f64_e32 v[48:49], v[44:45]
	v_fma_f64 v[44:45], v[48:49], s[26:27], |v[12:13]|
	v_mul_f64 v[50:51], v[48:49], s[36:37]
	v_add_f64 v[54:55], v[44:45], v[50:51]
	v_fma_f64 v[46:47], s[36:37], v[48:49], v[44:45]
	s_mov_b32 s28, s36
	v_add_f64 v[44:45], v[44:45], -v[54:55]
	v_fma_f64 v[52:53], s[28:29], v[48:49], v[50:51]
	v_add_f64 v[44:45], v[44:45], v[50:51]
	v_add_f64 v[50:51], v[54:55], -v[46:47]
	v_add_f64 v[44:45], v[50:51], v[44:45]
	s_mov_b32 s2, 0x252049c0
	v_add_f64 v[50:51], v[44:45], -v[52:53]
	s_mov_b32 s3, 0xb97b839a
	v_fmac_f64_e32 v[50:51], s[2:3], v[48:49]
	v_add_f64 v[44:45], v[46:47], v[50:51]
	v_add_f64 v[46:47], v[44:45], -v[46:47]
	v_add_f64 v[46:47], v[50:51], -v[46:47]
	v_cvt_i32_f64_e32 v98, v[48:49]
.LBB144_24:                             ;   in Loop: Header=BB144_4 Depth=1
	s_or_b64 exec, exec, s[0:1]
                                        ; implicit-def: $vgpr99
                                        ; implicit-def: $vgpr48_vgpr49
                                        ; implicit-def: $vgpr50_vgpr51
	s_and_saveexec_b64 s[0:1], s[44:45]
	s_xor_b64 s[44:45], exec, s[0:1]
	s_cbranch_execz .LBB144_26
; %bb.25:                               ;   in Loop: Header=BB144_4 Depth=1
	s_mov_b32 s0, 0
	s_mov_b32 s1, 0x7b000000
	v_and_b32_e32 v19, 0x7fffffff, v13
	v_ldexp_f64 v[52:53], |v[12:13]|, s53
	v_cmp_ge_f64_e64 vcc, |v[12:13]|, s[0:1]
	v_trig_preop_f64 v[48:49], |v[12:13]|, 0
	v_cndmask_b32_e32 v53, v19, v53, vcc
	v_cndmask_b32_e32 v52, v12, v52, vcc
	v_trig_preop_f64 v[50:51], |v[12:13]|, 1
	v_mul_f64 v[56:57], v[48:49], v[52:53]
	v_mul_f64 v[54:55], v[50:51], v[52:53]
	v_fma_f64 v[48:49], v[48:49], v[52:53], -v[56:57]
	v_add_f64 v[58:59], v[54:55], v[48:49]
	v_add_f64 v[60:61], v[56:57], v[58:59]
	s_mov_b32 s0, 0
	v_ldexp_f64 v[62:63], v[60:61], -2
	s_mov_b32 s1, 0x7ff00000
	v_fract_f64_e32 v[64:65], v[62:63]
	v_cmp_neq_f64_e64 vcc, |v[62:63]|, s[0:1]
	v_cndmask_b32_e32 v63, 0, v65, vcc
	v_cndmask_b32_e32 v62, 0, v64, vcc
	v_add_f64 v[64:65], v[58:59], -v[54:55]
	v_add_f64 v[48:49], v[48:49], -v[64:65]
	;; [unrolled: 1-line block ×4, first 2 shown]
	v_fma_f64 v[50:51], v[50:51], v[52:53], -v[54:55]
	v_trig_preop_f64 v[54:55], |v[12:13]|, 2
	v_add_f64 v[48:49], v[48:49], v[64:65]
	v_mul_f64 v[64:65], v[54:55], v[52:53]
	v_add_f64 v[66:67], v[64:65], v[50:51]
	v_add_f64 v[68:69], v[66:67], v[48:49]
	v_add_f64 v[56:57], v[60:61], -v[56:57]
	v_add_f64 v[60:61], v[68:69], -v[66:67]
	;; [unrolled: 1-line block ×5, first 2 shown]
	v_add_f64 v[48:49], v[48:49], v[60:61]
	v_add_f64 v[60:61], v[66:67], -v[64:65]
	v_add_f64 v[50:51], v[50:51], -v[60:61]
	;; [unrolled: 1-line block ×4, first 2 shown]
	v_add_f64 v[50:51], v[50:51], v[60:61]
	v_add_f64 v[56:57], v[58:59], -v[56:57]
	v_add_f64 v[48:49], v[50:51], v[48:49]
	v_fma_f64 v[50:51], v[54:55], v[52:53], -v[64:65]
	v_add_f64 v[58:59], v[56:57], v[68:69]
	v_add_f64 v[48:49], v[50:51], v[48:49]
	v_ldexp_f64 v[50:51], v[62:63], 2
	v_add_f64 v[52:53], v[58:59], v[50:51]
	v_cmp_gt_f64_e32 vcc, 0, v[52:53]
	v_cndmask_b32_e32 v19, 0, v1, vcc
	v_add_f64 v[50:51], v[50:51], v[18:19]
	v_add_f64 v[52:53], v[58:59], v[50:51]
	v_cvt_i32_f64_e32 v19, v[52:53]
	v_cvt_f64_i32_e32 v[52:53], v19
	v_add_f64 v[50:51], v[50:51], -v[52:53]
	v_add_f64 v[56:57], v[58:59], -v[56:57]
	v_add_f64 v[52:53], v[58:59], v[50:51]
	v_add_f64 v[56:57], v[68:69], -v[56:57]
	v_add_f64 v[50:51], v[52:53], -v[50:51]
	v_cmp_le_f64_e32 vcc, 0.5, v[52:53]
	v_add_f64 v[48:49], v[56:57], v[48:49]
	v_add_f64 v[50:51], v[58:59], -v[50:51]
	v_addc_co_u32_e64 v99, s[0:1], 0, v19, vcc
	v_cndmask_b32_e32 v19, 0, v23, vcc
	v_add_f64 v[48:49], v[48:49], v[50:51]
	v_add_f64 v[50:51], v[52:53], -v[18:19]
	v_add_f64 v[52:53], v[50:51], v[48:49]
	v_add_f64 v[50:51], v[52:53], -v[50:51]
	s_mov_b32 s24, s26
	v_add_f64 v[48:49], v[48:49], -v[50:51]
	v_mul_f64 v[50:51], v[52:53], s[24:25]
	v_fma_f64 v[54:55], v[52:53], s[24:25], -v[50:51]
	s_mov_b32 s31, s29
	v_fmac_f64_e32 v[54:55], s[30:31], v[52:53]
	v_fmac_f64_e32 v[54:55], s[24:25], v[48:49]
	v_add_f64 v[48:49], v[50:51], v[54:55]
	v_add_f64 v[50:51], v[48:49], -v[50:51]
	v_add_f64 v[50:51], v[54:55], -v[50:51]
	s_andn2_saveexec_b64 s[0:1], s[44:45]
	s_cbranch_execnz .LBB144_27
	s_branch .LBB144_28
.LBB144_26:                             ;   in Loop: Header=BB144_4 Depth=1
	s_andn2_saveexec_b64 s[0:1], s[44:45]
	s_cbranch_execz .LBB144_28
.LBB144_27:                             ;   in Loop: Header=BB144_4 Depth=1
	s_mov_b32 s2, 0x6dc9c883
	s_mov_b32 s3, 0x3fe45f30
	v_mul_f64 v[48:49], |v[12:13]|, s[2:3]
	v_rndne_f64_e32 v[52:53], v[48:49]
	v_fma_f64 v[48:49], v[52:53], s[26:27], |v[12:13]|
	v_mul_f64 v[54:55], v[52:53], s[36:37]
	v_add_f64 v[58:59], v[48:49], v[54:55]
	v_fma_f64 v[50:51], s[36:37], v[52:53], v[48:49]
	s_mov_b32 s28, s36
	v_add_f64 v[48:49], v[48:49], -v[58:59]
	v_fma_f64 v[56:57], s[28:29], v[52:53], v[54:55]
	v_add_f64 v[48:49], v[48:49], v[54:55]
	v_add_f64 v[54:55], v[58:59], -v[50:51]
	v_add_f64 v[48:49], v[54:55], v[48:49]
	s_mov_b32 s2, 0x252049c0
	v_add_f64 v[54:55], v[48:49], -v[56:57]
	s_mov_b32 s3, 0xb97b839a
	v_fmac_f64_e32 v[54:55], s[2:3], v[52:53]
	v_add_f64 v[48:49], v[50:51], v[54:55]
	v_add_f64 v[50:51], v[48:49], -v[50:51]
	v_add_f64 v[50:51], v[54:55], -v[50:51]
	v_cvt_i32_f64_e32 v99, v[52:53]
.LBB144_28:                             ;   in Loop: Header=BB144_4 Depth=1
	s_or_b64 exec, exec, s[0:1]
	s_waitcnt vmcnt(0)
	v_mul_f64 v[58:59], v[16:17], 0.5
	v_cmp_nlt_f64_e64 s[0:1], |v[58:59]|, s[18:19]
                                        ; implicit-def: $vgpr102
                                        ; implicit-def: $vgpr60_vgpr61
                                        ; implicit-def: $vgpr62_vgpr63
	s_and_saveexec_b64 s[44:45], s[0:1]
	s_xor_b64 s[44:45], exec, s[44:45]
	s_cbranch_execz .LBB144_30
; %bb.29:                               ;   in Loop: Header=BB144_4 Depth=1
	s_mov_b32 s0, 0
	s_mov_b32 s1, 0x7b000000
	v_and_b32_e32 v19, 0x7fffffff, v59
	v_ldexp_f64 v[56:57], |v[58:59]|, s53
	v_cmp_ge_f64_e64 vcc, |v[58:59]|, s[0:1]
	v_trig_preop_f64 v[52:53], |v[58:59]|, 0
	v_cndmask_b32_e32 v57, v19, v57, vcc
	v_cndmask_b32_e32 v56, v58, v56, vcc
	v_trig_preop_f64 v[54:55], |v[58:59]|, 1
	v_mul_f64 v[62:63], v[52:53], v[56:57]
	v_mul_f64 v[60:61], v[54:55], v[56:57]
	v_fma_f64 v[52:53], v[52:53], v[56:57], -v[62:63]
	v_add_f64 v[64:65], v[60:61], v[52:53]
	v_add_f64 v[66:67], v[62:63], v[64:65]
	s_mov_b32 s0, 0
	v_ldexp_f64 v[68:69], v[66:67], -2
	s_mov_b32 s1, 0x7ff00000
	v_fract_f64_e32 v[70:71], v[68:69]
	v_cmp_neq_f64_e64 vcc, |v[68:69]|, s[0:1]
	v_cndmask_b32_e32 v69, 0, v71, vcc
	v_cndmask_b32_e32 v68, 0, v70, vcc
	v_add_f64 v[70:71], v[64:65], -v[60:61]
	v_add_f64 v[52:53], v[52:53], -v[70:71]
	;; [unrolled: 1-line block ×4, first 2 shown]
	v_fma_f64 v[54:55], v[54:55], v[56:57], -v[60:61]
	v_trig_preop_f64 v[60:61], |v[58:59]|, 2
	v_add_f64 v[52:53], v[52:53], v[70:71]
	v_mul_f64 v[70:71], v[60:61], v[56:57]
	v_add_f64 v[72:73], v[70:71], v[54:55]
	v_add_f64 v[74:75], v[72:73], v[52:53]
	v_add_f64 v[62:63], v[66:67], -v[62:63]
	v_add_f64 v[66:67], v[74:75], -v[72:73]
	;; [unrolled: 1-line block ×5, first 2 shown]
	v_add_f64 v[52:53], v[52:53], v[66:67]
	v_add_f64 v[66:67], v[72:73], -v[70:71]
	v_add_f64 v[54:55], v[54:55], -v[66:67]
	;; [unrolled: 1-line block ×4, first 2 shown]
	v_add_f64 v[54:55], v[54:55], v[66:67]
	v_add_f64 v[62:63], v[64:65], -v[62:63]
	v_add_f64 v[52:53], v[54:55], v[52:53]
	v_fma_f64 v[54:55], v[60:61], v[56:57], -v[70:71]
	v_add_f64 v[64:65], v[62:63], v[74:75]
	v_add_f64 v[52:53], v[54:55], v[52:53]
	v_ldexp_f64 v[54:55], v[68:69], 2
	v_add_f64 v[56:57], v[64:65], v[54:55]
	v_cmp_gt_f64_e32 vcc, 0, v[56:57]
	v_cndmask_b32_e32 v19, 0, v1, vcc
	v_add_f64 v[54:55], v[54:55], v[18:19]
	v_add_f64 v[56:57], v[64:65], v[54:55]
	v_cvt_i32_f64_e32 v19, v[56:57]
	v_cvt_f64_i32_e32 v[56:57], v19
	v_add_f64 v[54:55], v[54:55], -v[56:57]
	v_add_f64 v[62:63], v[64:65], -v[62:63]
	v_add_f64 v[56:57], v[64:65], v[54:55]
	v_add_f64 v[62:63], v[74:75], -v[62:63]
	v_add_f64 v[54:55], v[56:57], -v[54:55]
	v_cmp_le_f64_e32 vcc, 0.5, v[56:57]
	v_add_f64 v[52:53], v[62:63], v[52:53]
	v_add_f64 v[54:55], v[64:65], -v[54:55]
	v_addc_co_u32_e64 v102, s[0:1], 0, v19, vcc
	v_cndmask_b32_e32 v19, 0, v23, vcc
	v_add_f64 v[52:53], v[52:53], v[54:55]
	v_add_f64 v[54:55], v[56:57], -v[18:19]
	v_add_f64 v[56:57], v[54:55], v[52:53]
	v_add_f64 v[54:55], v[56:57], -v[54:55]
	s_mov_b32 s24, s26
	v_add_f64 v[52:53], v[52:53], -v[54:55]
	v_mul_f64 v[54:55], v[56:57], s[24:25]
	v_fma_f64 v[62:63], v[56:57], s[24:25], -v[54:55]
	s_mov_b32 s31, s29
	v_fmac_f64_e32 v[62:63], s[30:31], v[56:57]
	v_fmac_f64_e32 v[62:63], s[24:25], v[52:53]
	v_add_f64 v[60:61], v[54:55], v[62:63]
	v_add_f64 v[52:53], v[60:61], -v[54:55]
	v_add_f64 v[62:63], v[62:63], -v[52:53]
.LBB144_30:                             ;   in Loop: Header=BB144_4 Depth=1
	s_andn2_saveexec_b64 s[0:1], s[44:45]
	s_cbranch_execz .LBB144_32
; %bb.31:                               ;   in Loop: Header=BB144_4 Depth=1
	s_mov_b32 s2, 0x6dc9c883
	s_mov_b32 s3, 0x3fe45f30
	v_mul_f64 v[52:53], |v[58:59]|, s[2:3]
	v_rndne_f64_e32 v[52:53], v[52:53]
	v_fma_f64 v[54:55], v[52:53], s[26:27], |v[58:59]|
	v_mul_f64 v[60:61], v[52:53], s[36:37]
	v_add_f64 v[64:65], v[54:55], v[60:61]
	v_fma_f64 v[56:57], s[36:37], v[52:53], v[54:55]
	s_mov_b32 s28, s36
	v_add_f64 v[54:55], v[54:55], -v[64:65]
	v_fma_f64 v[62:63], s[28:29], v[52:53], v[60:61]
	v_add_f64 v[54:55], v[54:55], v[60:61]
	v_add_f64 v[60:61], v[64:65], -v[56:57]
	v_add_f64 v[54:55], v[60:61], v[54:55]
	s_mov_b32 s2, 0x252049c0
	v_add_f64 v[54:55], v[54:55], -v[62:63]
	s_mov_b32 s3, 0xb97b839a
	v_fmac_f64_e32 v[54:55], s[2:3], v[52:53]
	v_add_f64 v[60:61], v[56:57], v[54:55]
	v_add_f64 v[56:57], v[60:61], -v[56:57]
	v_add_f64 v[62:63], v[54:55], -v[56:57]
	v_cvt_i32_f64_e32 v102, v[52:53]
.LBB144_32:                             ;   in Loop: Header=BB144_4 Depth=1
	s_or_b64 exec, exec, s[0:1]
	v_cmp_nlt_f64_e64 s[44:45], |v[16:17]|, s[18:19]
                                        ; implicit-def: $vgpr103
                                        ; implicit-def: $vgpr74_vgpr75
                                        ; implicit-def: $vgpr76_vgpr77
	s_and_saveexec_b64 s[0:1], s[44:45]
	s_xor_b64 s[48:49], exec, s[0:1]
	s_cbranch_execz .LBB144_34
; %bb.33:                               ;   in Loop: Header=BB144_4 Depth=1
	s_mov_b32 s0, 0
	s_mov_b32 s1, 0x7b000000
	v_and_b32_e32 v19, 0x7fffffff, v17
	v_ldexp_f64 v[56:57], |v[16:17]|, s53
	v_cmp_ge_f64_e64 vcc, |v[16:17]|, s[0:1]
	v_trig_preop_f64 v[52:53], |v[16:17]|, 0
	v_cndmask_b32_e32 v57, v19, v57, vcc
	v_cndmask_b32_e32 v56, v16, v56, vcc
	v_trig_preop_f64 v[54:55], |v[16:17]|, 1
	v_mul_f64 v[66:67], v[52:53], v[56:57]
	v_mul_f64 v[64:65], v[54:55], v[56:57]
	v_fma_f64 v[52:53], v[52:53], v[56:57], -v[66:67]
	v_add_f64 v[68:69], v[64:65], v[52:53]
	v_add_f64 v[70:71], v[66:67], v[68:69]
	s_mov_b32 s0, 0
	v_ldexp_f64 v[72:73], v[70:71], -2
	s_mov_b32 s1, 0x7ff00000
	v_fract_f64_e32 v[74:75], v[72:73]
	v_cmp_neq_f64_e64 vcc, |v[72:73]|, s[0:1]
	v_cndmask_b32_e32 v73, 0, v75, vcc
	v_cndmask_b32_e32 v72, 0, v74, vcc
	v_add_f64 v[74:75], v[68:69], -v[64:65]
	v_add_f64 v[52:53], v[52:53], -v[74:75]
	;; [unrolled: 1-line block ×4, first 2 shown]
	v_fma_f64 v[54:55], v[54:55], v[56:57], -v[64:65]
	v_trig_preop_f64 v[64:65], |v[16:17]|, 2
	v_add_f64 v[52:53], v[52:53], v[74:75]
	v_mul_f64 v[74:75], v[64:65], v[56:57]
	v_add_f64 v[76:77], v[74:75], v[54:55]
	v_add_f64 v[78:79], v[76:77], v[52:53]
	v_add_f64 v[66:67], v[70:71], -v[66:67]
	v_add_f64 v[70:71], v[78:79], -v[76:77]
	v_add_f64 v[52:53], v[52:53], -v[70:71]
	v_add_f64 v[70:71], v[78:79], -v[70:71]
	v_add_f64 v[70:71], v[76:77], -v[70:71]
	v_add_f64 v[52:53], v[52:53], v[70:71]
	v_add_f64 v[70:71], v[76:77], -v[74:75]
	v_add_f64 v[54:55], v[54:55], -v[70:71]
	;; [unrolled: 1-line block ×4, first 2 shown]
	v_add_f64 v[54:55], v[54:55], v[70:71]
	v_add_f64 v[66:67], v[68:69], -v[66:67]
	v_add_f64 v[52:53], v[54:55], v[52:53]
	v_fma_f64 v[54:55], v[64:65], v[56:57], -v[74:75]
	v_add_f64 v[68:69], v[66:67], v[78:79]
	v_add_f64 v[52:53], v[54:55], v[52:53]
	v_ldexp_f64 v[54:55], v[72:73], 2
	v_add_f64 v[56:57], v[68:69], v[54:55]
	v_cmp_gt_f64_e32 vcc, 0, v[56:57]
	v_cndmask_b32_e32 v19, 0, v1, vcc
	v_add_f64 v[54:55], v[54:55], v[18:19]
	v_add_f64 v[56:57], v[68:69], v[54:55]
	v_cvt_i32_f64_e32 v19, v[56:57]
	v_cvt_f64_i32_e32 v[56:57], v19
	v_add_f64 v[54:55], v[54:55], -v[56:57]
	v_add_f64 v[66:67], v[68:69], -v[66:67]
	v_add_f64 v[56:57], v[68:69], v[54:55]
	v_add_f64 v[66:67], v[78:79], -v[66:67]
	v_add_f64 v[54:55], v[56:57], -v[54:55]
	v_cmp_le_f64_e32 vcc, 0.5, v[56:57]
	v_add_f64 v[52:53], v[66:67], v[52:53]
	v_add_f64 v[54:55], v[68:69], -v[54:55]
	v_addc_co_u32_e64 v103, s[0:1], 0, v19, vcc
	v_cndmask_b32_e32 v19, 0, v23, vcc
	v_add_f64 v[52:53], v[52:53], v[54:55]
	v_add_f64 v[54:55], v[56:57], -v[18:19]
	v_add_f64 v[56:57], v[54:55], v[52:53]
	v_add_f64 v[54:55], v[56:57], -v[54:55]
	s_mov_b32 s24, s26
	v_add_f64 v[52:53], v[52:53], -v[54:55]
	v_mul_f64 v[54:55], v[56:57], s[24:25]
	v_fma_f64 v[64:65], v[56:57], s[24:25], -v[54:55]
	s_mov_b32 s31, s29
	v_fmac_f64_e32 v[64:65], s[30:31], v[56:57]
	v_fmac_f64_e32 v[64:65], s[24:25], v[52:53]
	v_add_f64 v[74:75], v[54:55], v[64:65]
	v_add_f64 v[52:53], v[74:75], -v[54:55]
	v_add_f64 v[76:77], v[64:65], -v[52:53]
	s_andn2_saveexec_b64 s[0:1], s[48:49]
	s_cbranch_execz .LBB144_36
	s_branch .LBB144_35
.LBB144_34:                             ;   in Loop: Header=BB144_4 Depth=1
	s_andn2_saveexec_b64 s[0:1], s[48:49]
	s_cbranch_execz .LBB144_36
.LBB144_35:                             ;   in Loop: Header=BB144_4 Depth=1
	s_mov_b32 s2, 0x6dc9c883
	s_mov_b32 s3, 0x3fe45f30
	v_mul_f64 v[52:53], |v[16:17]|, s[2:3]
	v_rndne_f64_e32 v[52:53], v[52:53]
	v_fma_f64 v[54:55], v[52:53], s[26:27], |v[16:17]|
	v_mul_f64 v[64:65], v[52:53], s[36:37]
	v_add_f64 v[68:69], v[54:55], v[64:65]
	v_fma_f64 v[56:57], s[36:37], v[52:53], v[54:55]
	s_mov_b32 s28, s36
	v_add_f64 v[54:55], v[54:55], -v[68:69]
	v_fma_f64 v[66:67], s[28:29], v[52:53], v[64:65]
	v_add_f64 v[54:55], v[54:55], v[64:65]
	v_add_f64 v[64:65], v[68:69], -v[56:57]
	v_add_f64 v[54:55], v[64:65], v[54:55]
	s_mov_b32 s2, 0x252049c0
	v_add_f64 v[54:55], v[54:55], -v[66:67]
	s_mov_b32 s3, 0xb97b839a
	v_fmac_f64_e32 v[54:55], s[2:3], v[52:53]
	v_add_f64 v[74:75], v[56:57], v[54:55]
	v_add_f64 v[56:57], v[74:75], -v[56:57]
	v_add_f64 v[76:77], v[54:55], -v[56:57]
	v_cvt_i32_f64_e32 v103, v[52:53]
.LBB144_36:                             ;   in Loop: Header=BB144_4 Depth=1
	s_or_b64 exec, exec, s[0:1]
                                        ; implicit-def: $vgpr105
                                        ; implicit-def: $vgpr78_vgpr79
                                        ; implicit-def: $vgpr80_vgpr81
	s_and_saveexec_b64 s[0:1], s[44:45]
	s_xor_b64 s[44:45], exec, s[0:1]
	s_cbranch_execz .LBB144_38
; %bb.37:                               ;   in Loop: Header=BB144_4 Depth=1
	s_mov_b32 s0, 0
	s_mov_b32 s1, 0x7b000000
	v_and_b32_e32 v19, 0x7fffffff, v17
	v_ldexp_f64 v[56:57], |v[16:17]|, s53
	v_cmp_ge_f64_e64 vcc, |v[16:17]|, s[0:1]
	v_trig_preop_f64 v[52:53], |v[16:17]|, 0
	v_cndmask_b32_e32 v57, v19, v57, vcc
	v_cndmask_b32_e32 v56, v16, v56, vcc
	v_trig_preop_f64 v[54:55], |v[16:17]|, 1
	v_mul_f64 v[66:67], v[52:53], v[56:57]
	v_mul_f64 v[64:65], v[54:55], v[56:57]
	v_fma_f64 v[52:53], v[52:53], v[56:57], -v[66:67]
	v_add_f64 v[68:69], v[64:65], v[52:53]
	v_add_f64 v[70:71], v[66:67], v[68:69]
	s_mov_b32 s0, 0
	v_ldexp_f64 v[72:73], v[70:71], -2
	s_mov_b32 s1, 0x7ff00000
	v_fract_f64_e32 v[78:79], v[72:73]
	v_cmp_neq_f64_e64 vcc, |v[72:73]|, s[0:1]
	v_cndmask_b32_e32 v73, 0, v79, vcc
	v_cndmask_b32_e32 v72, 0, v78, vcc
	v_add_f64 v[78:79], v[68:69], -v[64:65]
	v_add_f64 v[52:53], v[52:53], -v[78:79]
	;; [unrolled: 1-line block ×4, first 2 shown]
	v_fma_f64 v[54:55], v[54:55], v[56:57], -v[64:65]
	v_trig_preop_f64 v[64:65], |v[16:17]|, 2
	v_add_f64 v[52:53], v[52:53], v[78:79]
	v_mul_f64 v[78:79], v[64:65], v[56:57]
	v_add_f64 v[80:81], v[78:79], v[54:55]
	v_add_f64 v[82:83], v[80:81], v[52:53]
	v_add_f64 v[66:67], v[70:71], -v[66:67]
	v_add_f64 v[70:71], v[82:83], -v[80:81]
	;; [unrolled: 1-line block ×5, first 2 shown]
	v_add_f64 v[52:53], v[52:53], v[70:71]
	v_add_f64 v[70:71], v[80:81], -v[78:79]
	v_add_f64 v[54:55], v[54:55], -v[70:71]
	;; [unrolled: 1-line block ×4, first 2 shown]
	v_add_f64 v[54:55], v[54:55], v[70:71]
	v_add_f64 v[66:67], v[68:69], -v[66:67]
	v_add_f64 v[52:53], v[54:55], v[52:53]
	v_fma_f64 v[54:55], v[64:65], v[56:57], -v[78:79]
	v_add_f64 v[68:69], v[66:67], v[82:83]
	v_add_f64 v[52:53], v[54:55], v[52:53]
	v_ldexp_f64 v[54:55], v[72:73], 2
	v_add_f64 v[56:57], v[68:69], v[54:55]
	v_cmp_gt_f64_e32 vcc, 0, v[56:57]
	v_cndmask_b32_e32 v19, 0, v1, vcc
	v_add_f64 v[54:55], v[54:55], v[18:19]
	v_add_f64 v[56:57], v[68:69], v[54:55]
	v_cvt_i32_f64_e32 v19, v[56:57]
	v_cvt_f64_i32_e32 v[56:57], v19
	v_add_f64 v[54:55], v[54:55], -v[56:57]
	v_add_f64 v[66:67], v[68:69], -v[66:67]
	v_add_f64 v[56:57], v[68:69], v[54:55]
	v_add_f64 v[66:67], v[82:83], -v[66:67]
	v_add_f64 v[54:55], v[56:57], -v[54:55]
	v_cmp_le_f64_e32 vcc, 0.5, v[56:57]
	v_add_f64 v[52:53], v[66:67], v[52:53]
	v_add_f64 v[54:55], v[68:69], -v[54:55]
	v_addc_co_u32_e64 v105, s[0:1], 0, v19, vcc
	v_cndmask_b32_e32 v19, 0, v23, vcc
	v_add_f64 v[52:53], v[52:53], v[54:55]
	v_add_f64 v[54:55], v[56:57], -v[18:19]
	v_add_f64 v[56:57], v[54:55], v[52:53]
	v_add_f64 v[54:55], v[56:57], -v[54:55]
	s_mov_b32 s24, s26
	v_add_f64 v[52:53], v[52:53], -v[54:55]
	v_mul_f64 v[54:55], v[56:57], s[24:25]
	v_fma_f64 v[64:65], v[56:57], s[24:25], -v[54:55]
	s_mov_b32 s31, s29
	v_fmac_f64_e32 v[64:65], s[30:31], v[56:57]
	v_fmac_f64_e32 v[64:65], s[24:25], v[52:53]
	v_add_f64 v[78:79], v[54:55], v[64:65]
	v_add_f64 v[52:53], v[78:79], -v[54:55]
	v_add_f64 v[80:81], v[64:65], -v[52:53]
	s_andn2_saveexec_b64 s[0:1], s[44:45]
	s_cbranch_execnz .LBB144_39
	s_branch .LBB144_40
.LBB144_38:                             ;   in Loop: Header=BB144_4 Depth=1
	s_andn2_saveexec_b64 s[0:1], s[44:45]
	s_cbranch_execz .LBB144_40
.LBB144_39:                             ;   in Loop: Header=BB144_4 Depth=1
	s_mov_b32 s2, 0x6dc9c883
	s_mov_b32 s3, 0x3fe45f30
	v_mul_f64 v[52:53], |v[16:17]|, s[2:3]
	v_rndne_f64_e32 v[52:53], v[52:53]
	v_fma_f64 v[54:55], v[52:53], s[26:27], |v[16:17]|
	v_mul_f64 v[64:65], v[52:53], s[36:37]
	v_add_f64 v[68:69], v[54:55], v[64:65]
	v_fma_f64 v[56:57], s[36:37], v[52:53], v[54:55]
	s_mov_b32 s28, s36
	v_add_f64 v[54:55], v[54:55], -v[68:69]
	v_fma_f64 v[66:67], s[28:29], v[52:53], v[64:65]
	v_add_f64 v[54:55], v[54:55], v[64:65]
	v_add_f64 v[64:65], v[68:69], -v[56:57]
	v_add_f64 v[54:55], v[64:65], v[54:55]
	s_mov_b32 s2, 0x252049c0
	v_add_f64 v[54:55], v[54:55], -v[66:67]
	s_mov_b32 s3, 0xb97b839a
	v_fmac_f64_e32 v[54:55], s[2:3], v[52:53]
	v_add_f64 v[78:79], v[56:57], v[54:55]
	v_add_f64 v[56:57], v[78:79], -v[56:57]
	v_add_f64 v[80:81], v[54:55], -v[56:57]
	v_cvt_i32_f64_e32 v105, v[52:53]
.LBB144_40:                             ;   in Loop: Header=BB144_4 Depth=1
	s_or_b64 exec, exec, s[0:1]
	v_mul_f64 v[52:53], v[4:5], 0.5
	v_cmp_nlt_f64_e64 s[0:1], |v[52:53]|, s[18:19]
                                        ; implicit-def: $vgpr100
                                        ; implicit-def: $vgpr54_vgpr55
                                        ; implicit-def: $vgpr56_vgpr57
	s_and_saveexec_b64 s[44:45], s[0:1]
	s_xor_b64 s[44:45], exec, s[44:45]
	s_cbranch_execz .LBB144_42
; %bb.41:                               ;   in Loop: Header=BB144_4 Depth=1
	s_mov_b32 s0, 0
	s_mov_b32 s1, 0x7b000000
	v_and_b32_e32 v19, 0x7fffffff, v53
	v_ldexp_f64 v[64:65], |v[52:53]|, s53
	v_cmp_ge_f64_e64 vcc, |v[52:53]|, s[0:1]
	v_trig_preop_f64 v[54:55], |v[52:53]|, 0
	v_cndmask_b32_e32 v65, v19, v65, vcc
	v_cndmask_b32_e32 v64, v52, v64, vcc
	v_trig_preop_f64 v[56:57], |v[52:53]|, 1
	v_mul_f64 v[68:69], v[54:55], v[64:65]
	v_mul_f64 v[66:67], v[56:57], v[64:65]
	v_fma_f64 v[54:55], v[54:55], v[64:65], -v[68:69]
	v_add_f64 v[70:71], v[66:67], v[54:55]
	v_add_f64 v[72:73], v[68:69], v[70:71]
	s_mov_b32 s0, 0
	v_ldexp_f64 v[82:83], v[72:73], -2
	s_mov_b32 s1, 0x7ff00000
	v_fract_f64_e32 v[84:85], v[82:83]
	v_cmp_neq_f64_e64 vcc, |v[82:83]|, s[0:1]
	v_cndmask_b32_e32 v83, 0, v85, vcc
	v_cndmask_b32_e32 v82, 0, v84, vcc
	v_add_f64 v[84:85], v[70:71], -v[66:67]
	v_add_f64 v[54:55], v[54:55], -v[84:85]
	;; [unrolled: 1-line block ×4, first 2 shown]
	v_fma_f64 v[56:57], v[56:57], v[64:65], -v[66:67]
	v_trig_preop_f64 v[66:67], |v[52:53]|, 2
	v_add_f64 v[54:55], v[54:55], v[84:85]
	v_mul_f64 v[84:85], v[66:67], v[64:65]
	v_add_f64 v[86:87], v[84:85], v[56:57]
	v_add_f64 v[88:89], v[86:87], v[54:55]
	v_add_f64 v[68:69], v[72:73], -v[68:69]
	v_add_f64 v[72:73], v[88:89], -v[86:87]
	;; [unrolled: 1-line block ×5, first 2 shown]
	v_add_f64 v[54:55], v[54:55], v[72:73]
	v_add_f64 v[72:73], v[86:87], -v[84:85]
	v_add_f64 v[56:57], v[56:57], -v[72:73]
	;; [unrolled: 1-line block ×4, first 2 shown]
	v_add_f64 v[56:57], v[56:57], v[72:73]
	v_add_f64 v[68:69], v[70:71], -v[68:69]
	v_add_f64 v[54:55], v[56:57], v[54:55]
	v_fma_f64 v[56:57], v[66:67], v[64:65], -v[84:85]
	v_add_f64 v[70:71], v[68:69], v[88:89]
	v_add_f64 v[54:55], v[56:57], v[54:55]
	v_ldexp_f64 v[56:57], v[82:83], 2
	v_add_f64 v[64:65], v[70:71], v[56:57]
	v_cmp_gt_f64_e32 vcc, 0, v[64:65]
	v_cndmask_b32_e32 v19, 0, v1, vcc
	v_add_f64 v[56:57], v[56:57], v[18:19]
	v_add_f64 v[64:65], v[70:71], v[56:57]
	v_cvt_i32_f64_e32 v19, v[64:65]
	v_cvt_f64_i32_e32 v[64:65], v19
	v_add_f64 v[56:57], v[56:57], -v[64:65]
	v_add_f64 v[68:69], v[70:71], -v[68:69]
	v_add_f64 v[64:65], v[70:71], v[56:57]
	v_add_f64 v[68:69], v[88:89], -v[68:69]
	v_add_f64 v[56:57], v[64:65], -v[56:57]
	v_cmp_le_f64_e32 vcc, 0.5, v[64:65]
	v_add_f64 v[54:55], v[68:69], v[54:55]
	v_add_f64 v[56:57], v[70:71], -v[56:57]
	v_addc_co_u32_e64 v100, s[0:1], 0, v19, vcc
	v_cndmask_b32_e32 v19, 0, v23, vcc
	v_add_f64 v[54:55], v[54:55], v[56:57]
	v_add_f64 v[56:57], v[64:65], -v[18:19]
	v_add_f64 v[64:65], v[56:57], v[54:55]
	v_add_f64 v[56:57], v[64:65], -v[56:57]
	s_mov_b32 s24, s26
	v_add_f64 v[54:55], v[54:55], -v[56:57]
	v_mul_f64 v[56:57], v[64:65], s[24:25]
	v_fma_f64 v[66:67], v[64:65], s[24:25], -v[56:57]
	s_mov_b32 s31, s29
	v_fmac_f64_e32 v[66:67], s[30:31], v[64:65]
	v_fmac_f64_e32 v[66:67], s[24:25], v[54:55]
	v_add_f64 v[54:55], v[56:57], v[66:67]
	v_add_f64 v[56:57], v[54:55], -v[56:57]
	v_add_f64 v[56:57], v[66:67], -v[56:57]
.LBB144_42:                             ;   in Loop: Header=BB144_4 Depth=1
	s_andn2_saveexec_b64 s[0:1], s[44:45]
	s_cbranch_execz .LBB144_44
; %bb.43:                               ;   in Loop: Header=BB144_4 Depth=1
	s_mov_b32 s2, 0x6dc9c883
	s_mov_b32 s3, 0x3fe45f30
	v_mul_f64 v[54:55], |v[52:53]|, s[2:3]
	v_rndne_f64_e32 v[64:65], v[54:55]
	v_fma_f64 v[54:55], v[64:65], s[26:27], |v[52:53]|
	v_mul_f64 v[66:67], v[64:65], s[36:37]
	v_add_f64 v[70:71], v[54:55], v[66:67]
	v_fma_f64 v[56:57], s[36:37], v[64:65], v[54:55]
	s_mov_b32 s28, s36
	v_add_f64 v[54:55], v[54:55], -v[70:71]
	v_fma_f64 v[68:69], s[28:29], v[64:65], v[66:67]
	v_add_f64 v[54:55], v[54:55], v[66:67]
	v_add_f64 v[66:67], v[70:71], -v[56:57]
	v_add_f64 v[54:55], v[66:67], v[54:55]
	s_mov_b32 s2, 0x252049c0
	v_add_f64 v[66:67], v[54:55], -v[68:69]
	s_mov_b32 s3, 0xb97b839a
	v_fmac_f64_e32 v[66:67], s[2:3], v[64:65]
	v_add_f64 v[54:55], v[56:57], v[66:67]
	v_add_f64 v[56:57], v[54:55], -v[56:57]
	v_add_f64 v[56:57], v[66:67], -v[56:57]
	v_cvt_i32_f64_e32 v100, v[64:65]
.LBB144_44:                             ;   in Loop: Header=BB144_4 Depth=1
	s_or_b64 exec, exec, s[0:1]
	v_cmp_nlt_f64_e64 s[44:45], |v[4:5]|, s[18:19]
                                        ; implicit-def: $vgpr101
                                        ; implicit-def: $vgpr64_vgpr65
                                        ; implicit-def: $vgpr66_vgpr67
	s_and_saveexec_b64 s[0:1], s[44:45]
	s_xor_b64 s[48:49], exec, s[0:1]
	s_cbranch_execz .LBB144_46
; %bb.45:                               ;   in Loop: Header=BB144_4 Depth=1
	s_mov_b32 s0, 0
	s_mov_b32 s1, 0x7b000000
	v_and_b32_e32 v19, 0x7fffffff, v5
	v_ldexp_f64 v[68:69], |v[4:5]|, s53
	v_cmp_ge_f64_e64 vcc, |v[4:5]|, s[0:1]
	v_trig_preop_f64 v[64:65], |v[4:5]|, 0
	v_cndmask_b32_e32 v69, v19, v69, vcc
	v_cndmask_b32_e32 v68, v4, v68, vcc
	v_trig_preop_f64 v[66:67], |v[4:5]|, 1
	v_mul_f64 v[72:73], v[64:65], v[68:69]
	v_mul_f64 v[70:71], v[66:67], v[68:69]
	v_fma_f64 v[64:65], v[64:65], v[68:69], -v[72:73]
	v_add_f64 v[82:83], v[70:71], v[64:65]
	v_add_f64 v[84:85], v[72:73], v[82:83]
	s_mov_b32 s0, 0
	v_ldexp_f64 v[86:87], v[84:85], -2
	s_mov_b32 s1, 0x7ff00000
	v_fract_f64_e32 v[88:89], v[86:87]
	v_cmp_neq_f64_e64 vcc, |v[86:87]|, s[0:1]
	v_cndmask_b32_e32 v87, 0, v89, vcc
	v_cndmask_b32_e32 v86, 0, v88, vcc
	v_add_f64 v[88:89], v[82:83], -v[70:71]
	v_add_f64 v[64:65], v[64:65], -v[88:89]
	;; [unrolled: 1-line block ×4, first 2 shown]
	v_fma_f64 v[66:67], v[66:67], v[68:69], -v[70:71]
	v_trig_preop_f64 v[70:71], |v[4:5]|, 2
	v_add_f64 v[64:65], v[64:65], v[88:89]
	v_mul_f64 v[88:89], v[70:71], v[68:69]
	v_add_f64 v[106:107], v[88:89], v[66:67]
	v_add_f64 v[108:109], v[106:107], v[64:65]
	v_add_f64 v[72:73], v[84:85], -v[72:73]
	v_add_f64 v[84:85], v[108:109], -v[106:107]
	;; [unrolled: 1-line block ×5, first 2 shown]
	v_add_f64 v[64:65], v[64:65], v[84:85]
	v_add_f64 v[84:85], v[106:107], -v[88:89]
	v_add_f64 v[66:67], v[66:67], -v[84:85]
	;; [unrolled: 1-line block ×4, first 2 shown]
	v_add_f64 v[66:67], v[66:67], v[84:85]
	v_add_f64 v[72:73], v[82:83], -v[72:73]
	v_add_f64 v[64:65], v[66:67], v[64:65]
	v_fma_f64 v[66:67], v[70:71], v[68:69], -v[88:89]
	v_add_f64 v[82:83], v[72:73], v[108:109]
	v_add_f64 v[64:65], v[66:67], v[64:65]
	v_ldexp_f64 v[66:67], v[86:87], 2
	v_add_f64 v[68:69], v[82:83], v[66:67]
	v_cmp_gt_f64_e32 vcc, 0, v[68:69]
	v_cndmask_b32_e32 v19, 0, v1, vcc
	v_add_f64 v[66:67], v[66:67], v[18:19]
	v_add_f64 v[68:69], v[82:83], v[66:67]
	v_cvt_i32_f64_e32 v19, v[68:69]
	v_cvt_f64_i32_e32 v[68:69], v19
	v_add_f64 v[66:67], v[66:67], -v[68:69]
	v_add_f64 v[72:73], v[82:83], -v[72:73]
	v_add_f64 v[68:69], v[82:83], v[66:67]
	v_add_f64 v[72:73], v[108:109], -v[72:73]
	v_add_f64 v[66:67], v[68:69], -v[66:67]
	v_cmp_le_f64_e32 vcc, 0.5, v[68:69]
	v_add_f64 v[64:65], v[72:73], v[64:65]
	v_add_f64 v[66:67], v[82:83], -v[66:67]
	v_addc_co_u32_e64 v101, s[0:1], 0, v19, vcc
	v_cndmask_b32_e32 v19, 0, v23, vcc
	v_add_f64 v[64:65], v[64:65], v[66:67]
	v_add_f64 v[66:67], v[68:69], -v[18:19]
	v_add_f64 v[68:69], v[66:67], v[64:65]
	v_add_f64 v[66:67], v[68:69], -v[66:67]
	s_mov_b32 s24, s26
	v_add_f64 v[64:65], v[64:65], -v[66:67]
	v_mul_f64 v[66:67], v[68:69], s[24:25]
	v_fma_f64 v[70:71], v[68:69], s[24:25], -v[66:67]
	s_mov_b32 s31, s29
	v_fmac_f64_e32 v[70:71], s[30:31], v[68:69]
	v_fmac_f64_e32 v[70:71], s[24:25], v[64:65]
	v_add_f64 v[64:65], v[66:67], v[70:71]
	v_add_f64 v[66:67], v[64:65], -v[66:67]
	v_add_f64 v[66:67], v[70:71], -v[66:67]
	s_andn2_saveexec_b64 s[0:1], s[48:49]
	s_cbranch_execz .LBB144_48
	s_branch .LBB144_47
.LBB144_46:                             ;   in Loop: Header=BB144_4 Depth=1
	s_andn2_saveexec_b64 s[0:1], s[48:49]
	s_cbranch_execz .LBB144_48
.LBB144_47:                             ;   in Loop: Header=BB144_4 Depth=1
	s_mov_b32 s2, 0x6dc9c883
	s_mov_b32 s3, 0x3fe45f30
	v_mul_f64 v[64:65], |v[4:5]|, s[2:3]
	v_rndne_f64_e32 v[68:69], v[64:65]
	v_fma_f64 v[64:65], v[68:69], s[26:27], |v[4:5]|
	v_mul_f64 v[70:71], v[68:69], s[36:37]
	v_add_f64 v[82:83], v[64:65], v[70:71]
	v_fma_f64 v[66:67], s[36:37], v[68:69], v[64:65]
	s_mov_b32 s28, s36
	v_add_f64 v[64:65], v[64:65], -v[82:83]
	v_fma_f64 v[72:73], s[28:29], v[68:69], v[70:71]
	v_add_f64 v[64:65], v[64:65], v[70:71]
	v_add_f64 v[70:71], v[82:83], -v[66:67]
	v_add_f64 v[64:65], v[70:71], v[64:65]
	s_mov_b32 s2, 0x252049c0
	v_add_f64 v[70:71], v[64:65], -v[72:73]
	s_mov_b32 s3, 0xb97b839a
	v_fmac_f64_e32 v[70:71], s[2:3], v[68:69]
	v_add_f64 v[64:65], v[66:67], v[70:71]
	v_add_f64 v[66:67], v[64:65], -v[66:67]
	v_add_f64 v[66:67], v[70:71], -v[66:67]
	v_cvt_i32_f64_e32 v101, v[68:69]
.LBB144_48:                             ;   in Loop: Header=BB144_4 Depth=1
	s_or_b64 exec, exec, s[0:1]
                                        ; implicit-def: $vgpr104
                                        ; implicit-def: $vgpr68_vgpr69
                                        ; implicit-def: $vgpr70_vgpr71
	s_and_saveexec_b64 s[0:1], s[44:45]
	s_xor_b64 s[44:45], exec, s[0:1]
	s_cbranch_execz .LBB144_50
; %bb.49:                               ;   in Loop: Header=BB144_4 Depth=1
	s_mov_b32 s0, 0
	s_mov_b32 s1, 0x7b000000
	v_and_b32_e32 v19, 0x7fffffff, v5
	v_ldexp_f64 v[72:73], |v[4:5]|, s53
	v_cmp_ge_f64_e64 vcc, |v[4:5]|, s[0:1]
	v_trig_preop_f64 v[68:69], |v[4:5]|, 0
	v_cndmask_b32_e32 v73, v19, v73, vcc
	v_cndmask_b32_e32 v72, v4, v72, vcc
	v_trig_preop_f64 v[70:71], |v[4:5]|, 1
	v_mul_f64 v[84:85], v[68:69], v[72:73]
	v_mul_f64 v[82:83], v[70:71], v[72:73]
	v_fma_f64 v[68:69], v[68:69], v[72:73], -v[84:85]
	v_add_f64 v[86:87], v[82:83], v[68:69]
	v_add_f64 v[88:89], v[84:85], v[86:87]
	s_mov_b32 s0, 0
	v_ldexp_f64 v[106:107], v[88:89], -2
	s_mov_b32 s1, 0x7ff00000
	v_fract_f64_e32 v[108:109], v[106:107]
	v_cmp_neq_f64_e64 vcc, |v[106:107]|, s[0:1]
	v_cndmask_b32_e32 v107, 0, v109, vcc
	v_cndmask_b32_e32 v106, 0, v108, vcc
	v_add_f64 v[108:109], v[86:87], -v[82:83]
	v_add_f64 v[68:69], v[68:69], -v[108:109]
	v_add_f64 v[108:109], v[86:87], -v[108:109]
	v_add_f64 v[108:109], v[82:83], -v[108:109]
	v_fma_f64 v[70:71], v[70:71], v[72:73], -v[82:83]
	v_trig_preop_f64 v[82:83], |v[4:5]|, 2
	v_add_f64 v[68:69], v[68:69], v[108:109]
	v_mul_f64 v[108:109], v[82:83], v[72:73]
	v_add_f64 v[110:111], v[108:109], v[70:71]
	v_add_f64 v[112:113], v[110:111], v[68:69]
	v_add_f64 v[84:85], v[88:89], -v[84:85]
	v_add_f64 v[88:89], v[112:113], -v[110:111]
	;; [unrolled: 1-line block ×5, first 2 shown]
	v_add_f64 v[68:69], v[68:69], v[88:89]
	v_add_f64 v[88:89], v[110:111], -v[108:109]
	v_add_f64 v[70:71], v[70:71], -v[88:89]
	v_add_f64 v[88:89], v[110:111], -v[88:89]
	v_add_f64 v[88:89], v[108:109], -v[88:89]
	v_add_f64 v[70:71], v[70:71], v[88:89]
	v_add_f64 v[84:85], v[86:87], -v[84:85]
	v_add_f64 v[68:69], v[70:71], v[68:69]
	v_fma_f64 v[70:71], v[82:83], v[72:73], -v[108:109]
	v_add_f64 v[86:87], v[84:85], v[112:113]
	v_add_f64 v[68:69], v[70:71], v[68:69]
	v_ldexp_f64 v[70:71], v[106:107], 2
	v_add_f64 v[72:73], v[86:87], v[70:71]
	v_cmp_gt_f64_e32 vcc, 0, v[72:73]
	v_cndmask_b32_e32 v19, 0, v1, vcc
	v_add_f64 v[70:71], v[70:71], v[18:19]
	v_add_f64 v[72:73], v[86:87], v[70:71]
	v_cvt_i32_f64_e32 v19, v[72:73]
	v_cvt_f64_i32_e32 v[72:73], v19
	v_add_f64 v[70:71], v[70:71], -v[72:73]
	v_add_f64 v[84:85], v[86:87], -v[84:85]
	v_add_f64 v[72:73], v[86:87], v[70:71]
	v_add_f64 v[84:85], v[112:113], -v[84:85]
	v_add_f64 v[70:71], v[72:73], -v[70:71]
	v_cmp_le_f64_e32 vcc, 0.5, v[72:73]
	v_add_f64 v[68:69], v[84:85], v[68:69]
	v_add_f64 v[70:71], v[86:87], -v[70:71]
	v_addc_co_u32_e64 v104, s[0:1], 0, v19, vcc
	v_cndmask_b32_e32 v19, 0, v23, vcc
	v_add_f64 v[68:69], v[68:69], v[70:71]
	v_add_f64 v[70:71], v[72:73], -v[18:19]
	v_add_f64 v[72:73], v[70:71], v[68:69]
	v_add_f64 v[70:71], v[72:73], -v[70:71]
	s_mov_b32 s24, s26
	v_add_f64 v[68:69], v[68:69], -v[70:71]
	v_mul_f64 v[70:71], v[72:73], s[24:25]
	v_fma_f64 v[82:83], v[72:73], s[24:25], -v[70:71]
	s_mov_b32 s31, s29
	v_fmac_f64_e32 v[82:83], s[30:31], v[72:73]
	v_fmac_f64_e32 v[82:83], s[24:25], v[68:69]
	v_add_f64 v[68:69], v[70:71], v[82:83]
	v_add_f64 v[70:71], v[68:69], -v[70:71]
	v_add_f64 v[70:71], v[82:83], -v[70:71]
	s_andn2_saveexec_b64 s[0:1], s[44:45]
	s_cbranch_execz .LBB144_3
	s_branch .LBB144_51
.LBB144_50:                             ;   in Loop: Header=BB144_4 Depth=1
	s_andn2_saveexec_b64 s[0:1], s[44:45]
	s_cbranch_execz .LBB144_3
.LBB144_51:                             ;   in Loop: Header=BB144_4 Depth=1
	s_mov_b32 s2, 0x6dc9c883
	s_mov_b32 s3, 0x3fe45f30
	v_mul_f64 v[68:69], |v[4:5]|, s[2:3]
	v_rndne_f64_e32 v[72:73], v[68:69]
	v_fma_f64 v[68:69], v[72:73], s[26:27], |v[4:5]|
	v_mul_f64 v[82:83], v[72:73], s[36:37]
	v_add_f64 v[86:87], v[68:69], v[82:83]
	v_fma_f64 v[70:71], s[36:37], v[72:73], v[68:69]
	s_mov_b32 s28, s36
	v_add_f64 v[68:69], v[68:69], -v[86:87]
	v_fma_f64 v[84:85], s[28:29], v[72:73], v[82:83]
	v_add_f64 v[68:69], v[68:69], v[82:83]
	v_add_f64 v[82:83], v[86:87], -v[70:71]
	v_add_f64 v[68:69], v[82:83], v[68:69]
	s_mov_b32 s2, 0x252049c0
	v_add_f64 v[82:83], v[68:69], -v[84:85]
	s_mov_b32 s3, 0xb97b839a
	v_fmac_f64_e32 v[82:83], s[2:3], v[72:73]
	v_add_f64 v[68:69], v[70:71], v[82:83]
	v_add_f64 v[70:71], v[68:69], -v[70:71]
	v_add_f64 v[70:71], v[82:83], -v[70:71]
	v_cvt_i32_f64_e32 v104, v[72:73]
	s_branch .LBB144_3
.LBB144_52:
	v_readlane_b32 s0, v164, 8
	v_readlane_b32 s1, v164, 9
	s_or_b64 exec, exec, s[0:1]
	v_readlane_b32 s4, v164, 6
	s_mov_b64 s[0:1], 0
	v_readlane_b32 s5, v164, 7
.LBB144_53:
	s_andn2_b64 vcc, exec, s[0:1]
	s_cbranch_vccnz .LBB144_121
; %bb.54:
	v_readlane_b32 s0, v164, 4
	v_readlane_b32 s1, v164, 5
	v_cmp_lt_i64_e64 s[0:1], s[0:1], 1
	s_and_b64 vcc, exec, s[0:1]
	s_cbranch_vccnz .LBB144_121
; %bb.55:
	s_load_dword s0, s[4:5], 0xc5c
	v_mov_b32_e32 v2, 0x10000
	v_readlane_b32 s2, v164, 4
	v_mov_b32_e32 v3, 0
	v_readlane_b32 s3, v164, 5
	s_waitcnt lgkmcnt(0)
	s_and_b32 s86, s0, 0xffff
	v_cmp_lt_u64_e32 vcc, s[2:3], v[2:3]
	v_readlane_b32 s4, v164, 0
	s_and_b64 s[0:1], vcc, exec
	v_lshl_or_b32 v2, v0, 4, 8
	v_readlane_b32 s5, v164, 1
	s_cselect_b32 s15, s3, 0
	s_cselect_b32 s14, s2, 0x10000
	v_mov_b32_e32 v6, s5
	v_add_co_u32_e32 v20, vcc, s4, v2
	v_readlane_b32 s2, v164, 2
	v_addc_co_u32_e32 v21, vcc, 0, v6, vcc
	v_readlane_b32 s3, v164, 3
	v_mov_b32_e32 v7, s3
	v_add_co_u32_e32 v22, vcc, s2, v2
	v_mov_b32_e32 v18, 0
	v_addc_co_u32_e32 v23, vcc, 0, v7, vcc
	v_add_lshl_u32 v8, v0, s86, 4
	v_mov_b32_e32 v3, v18
	v_add_co_u32_e32 v24, vcc, s2, v8
	v_addc_co_u32_e32 v25, vcc, 0, v7, vcc
	v_mad_u64_u32 v[4:5], s[0:1], s86, 48, v[2:3]
	v_add_co_u32_e32 v26, vcc, s4, v4
	v_addc_co_u32_e32 v27, vcc, v6, v5, vcc
	v_add_co_u32_e32 v28, vcc, s4, v8
	v_addc_co_u32_e32 v29, vcc, 0, v6, vcc
	v_add_co_u32_e32 v30, vcc, s2, v4
	v_addc_co_u32_e32 v31, vcc, v7, v5, vcc
	s_lshl_b32 s0, s86, 5
	v_add_co_u32_e32 v2, vcc, s0, v2
	v_addc_co_u32_e64 v3, s[0:1], 0, 0, vcc
	v_add_co_u32_e32 v32, vcc, s4, v2
	s_mov_b32 s33, 0
	v_addc_co_u32_e32 v33, vcc, v6, v3, vcc
	s_lshl_b32 s16, s86, 2
	s_mov_b32 s17, s33
	v_add_co_u32_e32 v34, vcc, s2, v2
	s_mov_b32 s18, 0
	s_mov_b32 s20, 0
	;; [unrolled: 1-line block ×26, first 2 shown]
	v_mov_b32_e32 v1, v18
	s_lshl_b32 s87, s86, 1
	s_mov_b32 s88, s33
	s_mul_i32 s89, s86, 3
	s_mov_b32 s90, s33
	s_lshl_b32 s91, s86, 6
	s_mov_b32 s92, s33
	v_addc_co_u32_e32 v35, vcc, v7, v3, vcc
	s_mov_b32 s19, 0x41d00000
	s_mov_b32 s21, 0x7b000000
	s_movk_i32 s93, 0xff80
	s_mov_b32 s23, 0x7ff00000
	s_mov_b32 s25, 0x3ff921fb
	;; [unrolled: 1-line block ×20, first 2 shown]
	s_movk_i32 s94, 0x1f8
	s_mov_b32 s65, 0x3e21eeb6
	s_mov_b32 s67, 0xbda907db
	;; [unrolled: 1-line block ×8, first 2 shown]
	v_mov_b32_e32 v36, 0xfca7ab0c
	v_mov_b32_e32 v38, 0x623fde64
	;; [unrolled: 1-line block ×13, first 2 shown]
	s_mov_b32 s81, 0xbfc55555
	v_mov_b32_e32 v37, 0x3e928af3
	v_mov_b32_e32 v39, 0x3ec71dee
	;; [unrolled: 1-line block ×15, first 2 shown]
	s_mov_b64 s[82:83], s[16:17]
	v_mov_b32_e32 v130, 0x7ff00000
	v_mov_b32_e32 v131, 0x3ff
	;; [unrolled: 1-line block ×9, first 2 shown]
	s_branch .LBB144_57
.LBB144_56:                             ;   in Loop: Header=BB144_57 Depth=1
	s_or_b64 exec, exec, s[2:3]
	v_readlane_b32 s0, v164, 4
	v_readlane_b32 s1, v164, 5
	v_pk_mov_b32 v[2:3], s[0:1], s[0:1] op_sel:[0,1]
	v_cmp_ge_i64_e32 vcc, s[82:83], v[2:3]
	v_mov_b32_e32 v2, 0xffff
	v_mov_b32_e32 v3, 0
	v_cmp_gt_u64_e64 s[0:1], s[82:83], v[2:3]
	s_or_b64 s[0:1], vcc, s[0:1]
	v_mov_b32_e32 v2, s17
	v_add_co_u32_e32 v0, vcc, s16, v0
	v_addc_co_u32_e32 v1, vcc, v1, v2, vcc
	v_mov_b32_e32 v2, s92
	v_add_co_u32_e32 v20, vcc, s91, v20
	v_addc_co_u32_e32 v21, vcc, v21, v2, vcc
	v_add_co_u32_e32 v22, vcc, s91, v22
	v_addc_co_u32_e32 v23, vcc, v23, v2, vcc
	;; [unrolled: 2-line block ×7, first 2 shown]
	v_add_co_u32_e32 v34, vcc, s91, v34
	s_add_u32 s82, s82, s16
	v_addc_co_u32_e32 v35, vcc, v35, v2, vcc
	s_addc_u32 s83, s83, 0
	s_and_b64 vcc, exec, s[0:1]
	s_cbranch_vccnz .LBB144_121
.LBB144_57:                             ; =>This Inner Loop Header: Depth=1
	v_pk_mov_b32 v[12:13], 0, 0
	v_cmp_gt_u64_e64 s[4:5], s[14:15], v[0:1]
	v_pk_mov_b32 v[16:17], v[12:13], v[12:13] op_sel:[0,1]
	v_pk_mov_b32 v[14:15], v[12:13], v[12:13] op_sel:[0,1]
	s_and_saveexec_b64 s[0:1], s[4:5]
	s_cbranch_execz .LBB144_59
; %bb.58:                               ;   in Loop: Header=BB144_57 Depth=1
	v_mov_b32_e32 v3, s11
	v_add_co_u32_e32 v2, vcc, s10, v20
	v_addc_co_u32_e32 v3, vcc, v21, v3, vcc
	global_load_dwordx4 v[14:17], v[2:3], off offset:-8
.LBB144_59:                             ;   in Loop: Header=BB144_57 Depth=1
	s_or_b64 exec, exec, s[0:1]
	v_mov_b32_e32 v3, s33
	v_add_co_u32_e32 v2, vcc, s86, v0
	v_addc_co_u32_e32 v3, vcc, v3, v1, vcc
	v_cmp_gt_u64_e64 s[2:3], s[14:15], v[2:3]
	v_pk_mov_b32 v[10:11], v[12:13], v[12:13] op_sel:[0,1]
	s_and_saveexec_b64 s[0:1], s[2:3]
	s_cbranch_execz .LBB144_61
; %bb.60:                               ;   in Loop: Header=BB144_57 Depth=1
	v_mov_b32_e32 v3, s11
	v_add_co_u32_e32 v2, vcc, s10, v28
	v_addc_co_u32_e32 v3, vcc, v29, v3, vcc
	global_load_dwordx4 v[10:13], v[2:3], off
.LBB144_61:                             ;   in Loop: Header=BB144_57 Depth=1
	s_or_b64 exec, exec, s[0:1]
	v_mov_b32_e32 v3, s88
	v_add_co_u32_e32 v2, vcc, s87, v0
	v_addc_co_u32_e32 v3, vcc, v3, v1, vcc
	v_pk_mov_b32 v[4:5], 0, 0
	v_cmp_gt_u64_e64 s[0:1], s[14:15], v[2:3]
	v_pk_mov_b32 v[8:9], v[4:5], v[4:5] op_sel:[0,1]
	v_pk_mov_b32 v[6:7], v[4:5], v[4:5] op_sel:[0,1]
	s_and_saveexec_b64 s[6:7], s[0:1]
	s_cbranch_execz .LBB144_63
; %bb.62:                               ;   in Loop: Header=BB144_57 Depth=1
	v_mov_b32_e32 v3, s11
	v_add_co_u32_e32 v2, vcc, s10, v32
	v_addc_co_u32_e32 v3, vcc, v33, v3, vcc
	global_load_dwordx4 v[6:9], v[2:3], off offset:-8
.LBB144_63:                             ;   in Loop: Header=BB144_57 Depth=1
	s_or_b64 exec, exec, s[6:7]
	v_mov_b32_e32 v3, s90
	v_add_co_u32_e32 v2, vcc, s89, v0
	v_addc_co_u32_e32 v3, vcc, v3, v1, vcc
	v_cmp_gt_u64_e32 vcc, s[14:15], v[2:3]
	v_pk_mov_b32 v[2:3], v[4:5], v[4:5] op_sel:[0,1]
	s_and_saveexec_b64 s[8:9], vcc
	s_cbranch_execz .LBB144_65
; %bb.64:                               ;   in Loop: Header=BB144_57 Depth=1
	v_mov_b32_e32 v3, s11
	v_add_co_u32_e64 v2, s[6:7], s10, v26
	v_addc_co_u32_e64 v3, s[6:7], v27, v3, s[6:7]
	global_load_dwordx4 v[2:5], v[2:3], off offset:-8
.LBB144_65:                             ;   in Loop: Header=BB144_57 Depth=1
	s_or_b64 exec, exec, s[8:9]
	s_waitcnt vmcnt(0)
	v_mul_f64 v[72:73], v[16:17], 0.5
	v_cmp_nlt_f64_e64 s[6:7], |v[72:73]|, s[18:19]
                                        ; implicit-def: $vgpr134
                                        ; implicit-def: $vgpr74_vgpr75
                                        ; implicit-def: $vgpr76_vgpr77
	s_and_saveexec_b64 s[8:9], s[6:7]
	s_xor_b64 s[12:13], exec, s[8:9]
	s_cbranch_execz .LBB144_67
; %bb.66:                               ;   in Loop: Header=BB144_57 Depth=1
	v_and_b32_e32 v19, 0x7fffffff, v73
	v_ldexp_f64 v[78:79], |v[72:73]|, s93
	v_cmp_ge_f64_e64 s[6:7], |v[72:73]|, s[20:21]
	v_trig_preop_f64 v[74:75], |v[72:73]|, 0
	v_cndmask_b32_e64 v79, v19, v79, s[6:7]
	v_cndmask_b32_e64 v78, v72, v78, s[6:7]
	v_trig_preop_f64 v[76:77], |v[72:73]|, 1
	v_mul_f64 v[82:83], v[74:75], v[78:79]
	v_mul_f64 v[80:81], v[76:77], v[78:79]
	v_fma_f64 v[74:75], v[74:75], v[78:79], -v[82:83]
	v_add_f64 v[84:85], v[80:81], v[74:75]
	v_add_f64 v[86:87], v[82:83], v[84:85]
	v_ldexp_f64 v[88:89], v[86:87], -2
	v_fract_f64_e32 v[90:91], v[88:89]
	v_cmp_neq_f64_e64 s[6:7], |v[88:89]|, s[22:23]
	v_cndmask_b32_e64 v89, 0, v91, s[6:7]
	v_cndmask_b32_e64 v88, 0, v90, s[6:7]
	v_add_f64 v[90:91], v[84:85], -v[80:81]
	v_add_f64 v[74:75], v[74:75], -v[90:91]
	;; [unrolled: 1-line block ×4, first 2 shown]
	v_fma_f64 v[76:77], v[76:77], v[78:79], -v[80:81]
	v_trig_preop_f64 v[80:81], |v[72:73]|, 2
	v_add_f64 v[74:75], v[74:75], v[90:91]
	v_mul_f64 v[90:91], v[80:81], v[78:79]
	v_add_f64 v[92:93], v[90:91], v[76:77]
	v_add_f64 v[94:95], v[92:93], v[74:75]
	v_add_f64 v[82:83], v[86:87], -v[82:83]
	v_add_f64 v[86:87], v[94:95], -v[92:93]
	;; [unrolled: 1-line block ×5, first 2 shown]
	v_add_f64 v[74:75], v[74:75], v[86:87]
	v_add_f64 v[86:87], v[92:93], -v[90:91]
	v_add_f64 v[76:77], v[76:77], -v[86:87]
	;; [unrolled: 1-line block ×4, first 2 shown]
	v_add_f64 v[76:77], v[76:77], v[86:87]
	v_add_f64 v[82:83], v[84:85], -v[82:83]
	v_add_f64 v[74:75], v[76:77], v[74:75]
	v_fma_f64 v[76:77], v[80:81], v[78:79], -v[90:91]
	v_add_f64 v[84:85], v[82:83], v[94:95]
	v_add_f64 v[74:75], v[76:77], v[74:75]
	v_ldexp_f64 v[76:77], v[88:89], 2
	v_add_f64 v[78:79], v[84:85], v[76:77]
	v_cmp_gt_f64_e64 s[6:7], 0, v[78:79]
	v_cndmask_b32_e64 v19, 0, v128, s[6:7]
	v_add_f64 v[76:77], v[76:77], v[18:19]
	v_add_f64 v[78:79], v[84:85], v[76:77]
	v_cvt_i32_f64_e32 v19, v[78:79]
	v_cvt_f64_i32_e32 v[78:79], v19
	v_add_f64 v[76:77], v[76:77], -v[78:79]
	v_add_f64 v[82:83], v[84:85], -v[82:83]
	v_add_f64 v[78:79], v[84:85], v[76:77]
	v_add_f64 v[82:83], v[94:95], -v[82:83]
	v_add_f64 v[76:77], v[78:79], -v[76:77]
	v_cmp_le_f64_e64 s[6:7], 0.5, v[78:79]
	v_add_f64 v[74:75], v[82:83], v[74:75]
	v_add_f64 v[76:77], v[84:85], -v[76:77]
	v_addc_co_u32_e64 v134, s[8:9], 0, v19, s[6:7]
	v_cndmask_b32_e64 v19, 0, v129, s[6:7]
	v_add_f64 v[74:75], v[74:75], v[76:77]
	v_add_f64 v[76:77], v[78:79], -v[18:19]
	v_add_f64 v[78:79], v[76:77], v[74:75]
	v_add_f64 v[76:77], v[78:79], -v[76:77]
	s_mov_b32 s24, s26
	v_add_f64 v[74:75], v[74:75], -v[76:77]
	v_mul_f64 v[76:77], v[78:79], s[24:25]
	v_fma_f64 v[80:81], v[78:79], s[24:25], -v[76:77]
	s_mov_b32 s31, s29
	v_fmac_f64_e32 v[80:81], s[30:31], v[78:79]
	v_fmac_f64_e32 v[80:81], s[24:25], v[74:75]
	v_add_f64 v[74:75], v[76:77], v[80:81]
	v_add_f64 v[76:77], v[74:75], -v[76:77]
	v_add_f64 v[76:77], v[80:81], -v[76:77]
.LBB144_67:                             ;   in Loop: Header=BB144_57 Depth=1
	s_andn2_saveexec_b64 s[6:7], s[12:13]
	s_cbranch_execz .LBB144_69
; %bb.68:                               ;   in Loop: Header=BB144_57 Depth=1
	v_mul_f64 v[74:75], |v[72:73]|, s[34:35]
	v_rndne_f64_e32 v[78:79], v[74:75]
	v_fma_f64 v[74:75], v[78:79], s[26:27], |v[72:73]|
	v_mul_f64 v[80:81], v[78:79], s[36:37]
	v_add_f64 v[84:85], v[74:75], v[80:81]
	v_fma_f64 v[76:77], s[36:37], v[78:79], v[74:75]
	s_mov_b32 s28, s36
	v_add_f64 v[74:75], v[74:75], -v[84:85]
	v_fma_f64 v[82:83], s[28:29], v[78:79], v[80:81]
	v_add_f64 v[74:75], v[74:75], v[80:81]
	v_add_f64 v[80:81], v[84:85], -v[76:77]
	v_add_f64 v[74:75], v[80:81], v[74:75]
	v_add_f64 v[80:81], v[74:75], -v[82:83]
	v_fmac_f64_e32 v[80:81], s[38:39], v[78:79]
	v_add_f64 v[74:75], v[76:77], v[80:81]
	v_add_f64 v[76:77], v[74:75], -v[76:77]
	v_add_f64 v[76:77], v[80:81], -v[76:77]
	v_cvt_i32_f64_e32 v134, v[78:79]
.LBB144_69:                             ;   in Loop: Header=BB144_57 Depth=1
	s_or_b64 exec, exec, s[6:7]
	v_cmp_nlt_f64_e64 s[12:13], |v[16:17]|, s[18:19]
                                        ; implicit-def: $vgpr136
                                        ; implicit-def: $vgpr86_vgpr87
                                        ; implicit-def: $vgpr88_vgpr89
	s_and_saveexec_b64 s[6:7], s[12:13]
	s_xor_b64 s[84:85], exec, s[6:7]
	s_cbranch_execz .LBB144_71
; %bb.70:                               ;   in Loop: Header=BB144_57 Depth=1
	v_and_b32_e32 v19, 0x7fffffff, v17
	v_ldexp_f64 v[82:83], |v[16:17]|, s93
	v_cmp_ge_f64_e64 s[6:7], |v[16:17]|, s[20:21]
	v_trig_preop_f64 v[78:79], |v[16:17]|, 0
	v_cndmask_b32_e64 v83, v19, v83, s[6:7]
	v_cndmask_b32_e64 v82, v16, v82, s[6:7]
	v_trig_preop_f64 v[80:81], |v[16:17]|, 1
	v_mul_f64 v[86:87], v[78:79], v[82:83]
	v_mul_f64 v[84:85], v[80:81], v[82:83]
	v_fma_f64 v[78:79], v[78:79], v[82:83], -v[86:87]
	v_add_f64 v[88:89], v[84:85], v[78:79]
	v_add_f64 v[90:91], v[86:87], v[88:89]
	v_ldexp_f64 v[92:93], v[90:91], -2
	v_fract_f64_e32 v[94:95], v[92:93]
	v_cmp_neq_f64_e64 s[6:7], |v[92:93]|, s[22:23]
	v_cndmask_b32_e64 v93, 0, v95, s[6:7]
	v_cndmask_b32_e64 v92, 0, v94, s[6:7]
	v_add_f64 v[94:95], v[88:89], -v[84:85]
	v_add_f64 v[78:79], v[78:79], -v[94:95]
	;; [unrolled: 1-line block ×4, first 2 shown]
	v_fma_f64 v[80:81], v[80:81], v[82:83], -v[84:85]
	v_trig_preop_f64 v[84:85], |v[16:17]|, 2
	v_add_f64 v[78:79], v[78:79], v[94:95]
	v_mul_f64 v[94:95], v[84:85], v[82:83]
	v_add_f64 v[96:97], v[94:95], v[80:81]
	v_add_f64 v[98:99], v[96:97], v[78:79]
	v_add_f64 v[86:87], v[90:91], -v[86:87]
	v_add_f64 v[90:91], v[98:99], -v[96:97]
	;; [unrolled: 1-line block ×5, first 2 shown]
	v_add_f64 v[78:79], v[78:79], v[90:91]
	v_add_f64 v[90:91], v[96:97], -v[94:95]
	v_add_f64 v[80:81], v[80:81], -v[90:91]
	;; [unrolled: 1-line block ×4, first 2 shown]
	v_add_f64 v[80:81], v[80:81], v[90:91]
	v_add_f64 v[86:87], v[88:89], -v[86:87]
	v_add_f64 v[78:79], v[80:81], v[78:79]
	v_fma_f64 v[80:81], v[84:85], v[82:83], -v[94:95]
	v_add_f64 v[88:89], v[86:87], v[98:99]
	v_add_f64 v[78:79], v[80:81], v[78:79]
	v_ldexp_f64 v[80:81], v[92:93], 2
	v_add_f64 v[82:83], v[88:89], v[80:81]
	v_cmp_gt_f64_e64 s[6:7], 0, v[82:83]
	v_cndmask_b32_e64 v19, 0, v128, s[6:7]
	v_add_f64 v[80:81], v[80:81], v[18:19]
	v_add_f64 v[82:83], v[88:89], v[80:81]
	v_cvt_i32_f64_e32 v19, v[82:83]
	v_cvt_f64_i32_e32 v[82:83], v19
	v_add_f64 v[80:81], v[80:81], -v[82:83]
	v_add_f64 v[86:87], v[88:89], -v[86:87]
	v_add_f64 v[82:83], v[88:89], v[80:81]
	v_add_f64 v[86:87], v[98:99], -v[86:87]
	v_add_f64 v[80:81], v[82:83], -v[80:81]
	v_cmp_le_f64_e64 s[6:7], 0.5, v[82:83]
	v_add_f64 v[78:79], v[86:87], v[78:79]
	v_add_f64 v[80:81], v[88:89], -v[80:81]
	v_addc_co_u32_e64 v136, s[8:9], 0, v19, s[6:7]
	v_cndmask_b32_e64 v19, 0, v129, s[6:7]
	v_add_f64 v[78:79], v[78:79], v[80:81]
	v_add_f64 v[80:81], v[82:83], -v[18:19]
	v_add_f64 v[82:83], v[80:81], v[78:79]
	v_add_f64 v[80:81], v[82:83], -v[80:81]
	s_mov_b32 s24, s26
	v_add_f64 v[78:79], v[78:79], -v[80:81]
	v_mul_f64 v[80:81], v[82:83], s[24:25]
	v_fma_f64 v[84:85], v[82:83], s[24:25], -v[80:81]
	s_mov_b32 s31, s29
	v_fmac_f64_e32 v[84:85], s[30:31], v[82:83]
	v_fmac_f64_e32 v[84:85], s[24:25], v[78:79]
	v_add_f64 v[86:87], v[80:81], v[84:85]
	v_add_f64 v[78:79], v[86:87], -v[80:81]
	v_add_f64 v[88:89], v[84:85], -v[78:79]
	s_andn2_saveexec_b64 s[6:7], s[84:85]
	s_cbranch_execz .LBB144_73
	s_branch .LBB144_72
.LBB144_71:                             ;   in Loop: Header=BB144_57 Depth=1
	s_andn2_saveexec_b64 s[6:7], s[84:85]
	s_cbranch_execz .LBB144_73
.LBB144_72:                             ;   in Loop: Header=BB144_57 Depth=1
	v_mul_f64 v[78:79], |v[16:17]|, s[34:35]
	v_rndne_f64_e32 v[78:79], v[78:79]
	v_fma_f64 v[80:81], v[78:79], s[26:27], |v[16:17]|
	v_mul_f64 v[84:85], v[78:79], s[36:37]
	v_add_f64 v[88:89], v[80:81], v[84:85]
	v_fma_f64 v[82:83], s[36:37], v[78:79], v[80:81]
	s_mov_b32 s28, s36
	v_add_f64 v[80:81], v[80:81], -v[88:89]
	v_fma_f64 v[86:87], s[28:29], v[78:79], v[84:85]
	v_add_f64 v[80:81], v[80:81], v[84:85]
	v_add_f64 v[84:85], v[88:89], -v[82:83]
	v_add_f64 v[80:81], v[84:85], v[80:81]
	v_add_f64 v[80:81], v[80:81], -v[86:87]
	v_fmac_f64_e32 v[80:81], s[38:39], v[78:79]
	v_add_f64 v[86:87], v[82:83], v[80:81]
	v_add_f64 v[82:83], v[86:87], -v[82:83]
	v_add_f64 v[88:89], v[80:81], -v[82:83]
	v_cvt_i32_f64_e32 v136, v[78:79]
.LBB144_73:                             ;   in Loop: Header=BB144_57 Depth=1
	s_or_b64 exec, exec, s[6:7]
                                        ; implicit-def: $vgpr137
                                        ; implicit-def: $vgpr90_vgpr91
                                        ; implicit-def: $vgpr92_vgpr93
	s_and_saveexec_b64 s[6:7], s[12:13]
	s_xor_b64 s[12:13], exec, s[6:7]
	s_cbranch_execz .LBB144_75
; %bb.74:                               ;   in Loop: Header=BB144_57 Depth=1
	v_and_b32_e32 v19, 0x7fffffff, v17
	v_ldexp_f64 v[82:83], |v[16:17]|, s93
	v_cmp_ge_f64_e64 s[6:7], |v[16:17]|, s[20:21]
	v_trig_preop_f64 v[78:79], |v[16:17]|, 0
	v_cndmask_b32_e64 v83, v19, v83, s[6:7]
	v_cndmask_b32_e64 v82, v16, v82, s[6:7]
	v_trig_preop_f64 v[80:81], |v[16:17]|, 1
	v_mul_f64 v[90:91], v[78:79], v[82:83]
	v_mul_f64 v[84:85], v[80:81], v[82:83]
	v_fma_f64 v[78:79], v[78:79], v[82:83], -v[90:91]
	v_add_f64 v[92:93], v[84:85], v[78:79]
	v_add_f64 v[94:95], v[90:91], v[92:93]
	v_ldexp_f64 v[96:97], v[94:95], -2
	v_fract_f64_e32 v[98:99], v[96:97]
	v_cmp_neq_f64_e64 s[6:7], |v[96:97]|, s[22:23]
	v_cndmask_b32_e64 v97, 0, v99, s[6:7]
	v_cndmask_b32_e64 v96, 0, v98, s[6:7]
	v_add_f64 v[98:99], v[92:93], -v[84:85]
	v_add_f64 v[78:79], v[78:79], -v[98:99]
	;; [unrolled: 1-line block ×4, first 2 shown]
	v_fma_f64 v[80:81], v[80:81], v[82:83], -v[84:85]
	v_trig_preop_f64 v[84:85], |v[16:17]|, 2
	v_add_f64 v[78:79], v[78:79], v[98:99]
	v_mul_f64 v[98:99], v[84:85], v[82:83]
	v_add_f64 v[100:101], v[98:99], v[80:81]
	v_add_f64 v[102:103], v[100:101], v[78:79]
	v_add_f64 v[90:91], v[94:95], -v[90:91]
	v_add_f64 v[94:95], v[102:103], -v[100:101]
	;; [unrolled: 1-line block ×5, first 2 shown]
	v_add_f64 v[78:79], v[78:79], v[94:95]
	v_add_f64 v[94:95], v[100:101], -v[98:99]
	v_add_f64 v[80:81], v[80:81], -v[94:95]
	;; [unrolled: 1-line block ×4, first 2 shown]
	v_add_f64 v[80:81], v[80:81], v[94:95]
	v_add_f64 v[90:91], v[92:93], -v[90:91]
	v_add_f64 v[78:79], v[80:81], v[78:79]
	v_fma_f64 v[80:81], v[84:85], v[82:83], -v[98:99]
	v_add_f64 v[92:93], v[90:91], v[102:103]
	v_add_f64 v[78:79], v[80:81], v[78:79]
	v_ldexp_f64 v[80:81], v[96:97], 2
	v_add_f64 v[82:83], v[92:93], v[80:81]
	v_cmp_gt_f64_e64 s[6:7], 0, v[82:83]
	v_cndmask_b32_e64 v19, 0, v128, s[6:7]
	v_add_f64 v[80:81], v[80:81], v[18:19]
	v_add_f64 v[82:83], v[92:93], v[80:81]
	v_cvt_i32_f64_e32 v19, v[82:83]
	v_cvt_f64_i32_e32 v[82:83], v19
	v_add_f64 v[80:81], v[80:81], -v[82:83]
	v_add_f64 v[90:91], v[92:93], -v[90:91]
	v_add_f64 v[82:83], v[92:93], v[80:81]
	v_add_f64 v[90:91], v[102:103], -v[90:91]
	v_add_f64 v[80:81], v[82:83], -v[80:81]
	v_cmp_le_f64_e64 s[6:7], 0.5, v[82:83]
	v_add_f64 v[78:79], v[90:91], v[78:79]
	v_add_f64 v[80:81], v[92:93], -v[80:81]
	v_addc_co_u32_e64 v137, s[8:9], 0, v19, s[6:7]
	v_cndmask_b32_e64 v19, 0, v129, s[6:7]
	v_add_f64 v[78:79], v[78:79], v[80:81]
	v_add_f64 v[80:81], v[82:83], -v[18:19]
	v_add_f64 v[82:83], v[80:81], v[78:79]
	v_add_f64 v[80:81], v[82:83], -v[80:81]
	s_mov_b32 s24, s26
	v_add_f64 v[78:79], v[78:79], -v[80:81]
	v_mul_f64 v[80:81], v[82:83], s[24:25]
	v_fma_f64 v[84:85], v[82:83], s[24:25], -v[80:81]
	s_mov_b32 s31, s29
	v_fmac_f64_e32 v[84:85], s[30:31], v[82:83]
	v_fmac_f64_e32 v[84:85], s[24:25], v[78:79]
	v_add_f64 v[90:91], v[80:81], v[84:85]
	v_add_f64 v[78:79], v[90:91], -v[80:81]
	v_add_f64 v[92:93], v[84:85], -v[78:79]
	s_andn2_saveexec_b64 s[6:7], s[12:13]
	s_cbranch_execnz .LBB144_76
	s_branch .LBB144_77
.LBB144_75:                             ;   in Loop: Header=BB144_57 Depth=1
	s_andn2_saveexec_b64 s[6:7], s[12:13]
	s_cbranch_execz .LBB144_77
.LBB144_76:                             ;   in Loop: Header=BB144_57 Depth=1
	v_mul_f64 v[78:79], |v[16:17]|, s[34:35]
	v_rndne_f64_e32 v[78:79], v[78:79]
	v_fma_f64 v[80:81], v[78:79], s[26:27], |v[16:17]|
	v_mul_f64 v[84:85], v[78:79], s[36:37]
	v_add_f64 v[92:93], v[80:81], v[84:85]
	v_fma_f64 v[82:83], s[36:37], v[78:79], v[80:81]
	s_mov_b32 s28, s36
	v_add_f64 v[80:81], v[80:81], -v[92:93]
	v_fma_f64 v[90:91], s[28:29], v[78:79], v[84:85]
	v_add_f64 v[80:81], v[80:81], v[84:85]
	v_add_f64 v[84:85], v[92:93], -v[82:83]
	v_add_f64 v[80:81], v[84:85], v[80:81]
	v_add_f64 v[80:81], v[80:81], -v[90:91]
	v_fmac_f64_e32 v[80:81], s[38:39], v[78:79]
	v_add_f64 v[90:91], v[82:83], v[80:81]
	v_add_f64 v[82:83], v[90:91], -v[82:83]
	v_add_f64 v[92:93], v[80:81], -v[82:83]
	v_cvt_i32_f64_e32 v137, v[78:79]
.LBB144_77:                             ;   in Loop: Header=BB144_57 Depth=1
	s_or_b64 exec, exec, s[6:7]
	v_mul_f64 v[78:79], v[12:13], 0.5
	v_cmp_nlt_f64_e64 s[6:7], |v[78:79]|, s[18:19]
                                        ; implicit-def: $vgpr135
                                        ; implicit-def: $vgpr80_vgpr81
                                        ; implicit-def: $vgpr82_vgpr83
	s_and_saveexec_b64 s[8:9], s[6:7]
	s_xor_b64 s[12:13], exec, s[8:9]
	s_cbranch_execz .LBB144_79
; %bb.78:                               ;   in Loop: Header=BB144_57 Depth=1
	v_and_b32_e32 v19, 0x7fffffff, v79
	v_ldexp_f64 v[84:85], |v[78:79]|, s93
	v_cmp_ge_f64_e64 s[6:7], |v[78:79]|, s[20:21]
	v_trig_preop_f64 v[80:81], |v[78:79]|, 0
	v_cndmask_b32_e64 v85, v19, v85, s[6:7]
	v_cndmask_b32_e64 v84, v78, v84, s[6:7]
	v_trig_preop_f64 v[82:83], |v[78:79]|, 1
	v_mul_f64 v[96:97], v[80:81], v[84:85]
	v_mul_f64 v[94:95], v[82:83], v[84:85]
	v_fma_f64 v[80:81], v[80:81], v[84:85], -v[96:97]
	v_add_f64 v[98:99], v[94:95], v[80:81]
	v_add_f64 v[100:101], v[96:97], v[98:99]
	v_ldexp_f64 v[102:103], v[100:101], -2
	v_fract_f64_e32 v[104:105], v[102:103]
	v_cmp_neq_f64_e64 s[6:7], |v[102:103]|, s[22:23]
	v_cndmask_b32_e64 v103, 0, v105, s[6:7]
	v_cndmask_b32_e64 v102, 0, v104, s[6:7]
	v_add_f64 v[104:105], v[98:99], -v[94:95]
	v_add_f64 v[80:81], v[80:81], -v[104:105]
	;; [unrolled: 1-line block ×4, first 2 shown]
	v_fma_f64 v[82:83], v[82:83], v[84:85], -v[94:95]
	v_trig_preop_f64 v[94:95], |v[78:79]|, 2
	v_add_f64 v[80:81], v[80:81], v[104:105]
	v_mul_f64 v[104:105], v[94:95], v[84:85]
	v_add_f64 v[106:107], v[104:105], v[82:83]
	v_add_f64 v[108:109], v[106:107], v[80:81]
	v_add_f64 v[96:97], v[100:101], -v[96:97]
	v_add_f64 v[100:101], v[108:109], -v[106:107]
	;; [unrolled: 1-line block ×5, first 2 shown]
	v_add_f64 v[80:81], v[80:81], v[100:101]
	v_add_f64 v[100:101], v[106:107], -v[104:105]
	v_add_f64 v[82:83], v[82:83], -v[100:101]
	;; [unrolled: 1-line block ×4, first 2 shown]
	v_add_f64 v[82:83], v[82:83], v[100:101]
	v_add_f64 v[96:97], v[98:99], -v[96:97]
	v_add_f64 v[80:81], v[82:83], v[80:81]
	v_fma_f64 v[82:83], v[94:95], v[84:85], -v[104:105]
	v_add_f64 v[98:99], v[96:97], v[108:109]
	v_add_f64 v[80:81], v[82:83], v[80:81]
	v_ldexp_f64 v[82:83], v[102:103], 2
	v_add_f64 v[84:85], v[98:99], v[82:83]
	v_cmp_gt_f64_e64 s[6:7], 0, v[84:85]
	v_cndmask_b32_e64 v19, 0, v128, s[6:7]
	v_add_f64 v[82:83], v[82:83], v[18:19]
	v_add_f64 v[84:85], v[98:99], v[82:83]
	v_cvt_i32_f64_e32 v19, v[84:85]
	v_cvt_f64_i32_e32 v[84:85], v19
	v_add_f64 v[82:83], v[82:83], -v[84:85]
	v_add_f64 v[96:97], v[98:99], -v[96:97]
	v_add_f64 v[84:85], v[98:99], v[82:83]
	v_add_f64 v[96:97], v[108:109], -v[96:97]
	v_add_f64 v[82:83], v[84:85], -v[82:83]
	v_cmp_le_f64_e64 s[6:7], 0.5, v[84:85]
	v_add_f64 v[80:81], v[96:97], v[80:81]
	v_add_f64 v[82:83], v[98:99], -v[82:83]
	v_addc_co_u32_e64 v135, s[8:9], 0, v19, s[6:7]
	v_cndmask_b32_e64 v19, 0, v129, s[6:7]
	v_add_f64 v[80:81], v[80:81], v[82:83]
	v_add_f64 v[82:83], v[84:85], -v[18:19]
	v_add_f64 v[84:85], v[82:83], v[80:81]
	v_add_f64 v[82:83], v[84:85], -v[82:83]
	s_mov_b32 s24, s26
	v_add_f64 v[80:81], v[80:81], -v[82:83]
	v_mul_f64 v[82:83], v[84:85], s[24:25]
	v_fma_f64 v[94:95], v[84:85], s[24:25], -v[82:83]
	s_mov_b32 s31, s29
	v_fmac_f64_e32 v[94:95], s[30:31], v[84:85]
	v_fmac_f64_e32 v[94:95], s[24:25], v[80:81]
	v_add_f64 v[80:81], v[82:83], v[94:95]
	v_add_f64 v[82:83], v[80:81], -v[82:83]
	v_add_f64 v[82:83], v[94:95], -v[82:83]
.LBB144_79:                             ;   in Loop: Header=BB144_57 Depth=1
	s_andn2_saveexec_b64 s[6:7], s[12:13]
	s_cbranch_execz .LBB144_81
; %bb.80:                               ;   in Loop: Header=BB144_57 Depth=1
	v_mul_f64 v[80:81], |v[78:79]|, s[34:35]
	v_rndne_f64_e32 v[84:85], v[80:81]
	v_fma_f64 v[80:81], v[84:85], s[26:27], |v[78:79]|
	v_mul_f64 v[94:95], v[84:85], s[36:37]
	v_add_f64 v[98:99], v[80:81], v[94:95]
	v_fma_f64 v[82:83], s[36:37], v[84:85], v[80:81]
	s_mov_b32 s28, s36
	v_add_f64 v[80:81], v[80:81], -v[98:99]
	v_fma_f64 v[96:97], s[28:29], v[84:85], v[94:95]
	v_add_f64 v[80:81], v[80:81], v[94:95]
	v_add_f64 v[94:95], v[98:99], -v[82:83]
	v_add_f64 v[80:81], v[94:95], v[80:81]
	v_add_f64 v[94:95], v[80:81], -v[96:97]
	v_fmac_f64_e32 v[94:95], s[38:39], v[84:85]
	v_add_f64 v[80:81], v[82:83], v[94:95]
	v_add_f64 v[82:83], v[80:81], -v[82:83]
	v_add_f64 v[82:83], v[94:95], -v[82:83]
	v_cvt_i32_f64_e32 v135, v[84:85]
.LBB144_81:                             ;   in Loop: Header=BB144_57 Depth=1
	s_or_b64 exec, exec, s[6:7]
	v_cmp_nlt_f64_e64 s[12:13], |v[12:13]|, s[18:19]
                                        ; implicit-def: $vgpr139
                                        ; implicit-def: $vgpr100_vgpr101
                                        ; implicit-def: $vgpr102_vgpr103
	s_and_saveexec_b64 s[6:7], s[12:13]
	s_xor_b64 s[84:85], exec, s[6:7]
	s_cbranch_execz .LBB144_83
; %bb.82:                               ;   in Loop: Header=BB144_57 Depth=1
	v_and_b32_e32 v19, 0x7fffffff, v13
	v_ldexp_f64 v[96:97], |v[12:13]|, s93
	v_cmp_ge_f64_e64 s[6:7], |v[12:13]|, s[20:21]
	v_trig_preop_f64 v[84:85], |v[12:13]|, 0
	v_cndmask_b32_e64 v97, v19, v97, s[6:7]
	v_cndmask_b32_e64 v96, v12, v96, s[6:7]
	v_trig_preop_f64 v[94:95], |v[12:13]|, 1
	v_mul_f64 v[100:101], v[84:85], v[96:97]
	v_mul_f64 v[98:99], v[94:95], v[96:97]
	v_fma_f64 v[84:85], v[84:85], v[96:97], -v[100:101]
	v_add_f64 v[102:103], v[98:99], v[84:85]
	v_add_f64 v[104:105], v[100:101], v[102:103]
	v_ldexp_f64 v[106:107], v[104:105], -2
	v_fract_f64_e32 v[108:109], v[106:107]
	v_cmp_neq_f64_e64 s[6:7], |v[106:107]|, s[22:23]
	v_cndmask_b32_e64 v107, 0, v109, s[6:7]
	v_cndmask_b32_e64 v106, 0, v108, s[6:7]
	v_add_f64 v[108:109], v[102:103], -v[98:99]
	v_add_f64 v[84:85], v[84:85], -v[108:109]
	;; [unrolled: 1-line block ×4, first 2 shown]
	v_fma_f64 v[94:95], v[94:95], v[96:97], -v[98:99]
	v_trig_preop_f64 v[98:99], |v[12:13]|, 2
	v_add_f64 v[84:85], v[84:85], v[108:109]
	v_mul_f64 v[108:109], v[98:99], v[96:97]
	v_add_f64 v[110:111], v[108:109], v[94:95]
	v_add_f64 v[112:113], v[110:111], v[84:85]
	v_add_f64 v[100:101], v[104:105], -v[100:101]
	v_add_f64 v[104:105], v[112:113], -v[110:111]
	;; [unrolled: 1-line block ×5, first 2 shown]
	v_add_f64 v[84:85], v[84:85], v[104:105]
	v_add_f64 v[104:105], v[110:111], -v[108:109]
	v_add_f64 v[94:95], v[94:95], -v[104:105]
	v_add_f64 v[104:105], v[110:111], -v[104:105]
	v_add_f64 v[104:105], v[108:109], -v[104:105]
	v_add_f64 v[94:95], v[94:95], v[104:105]
	v_add_f64 v[100:101], v[102:103], -v[100:101]
	v_add_f64 v[84:85], v[94:95], v[84:85]
	v_fma_f64 v[94:95], v[98:99], v[96:97], -v[108:109]
	v_add_f64 v[102:103], v[100:101], v[112:113]
	v_add_f64 v[84:85], v[94:95], v[84:85]
	v_ldexp_f64 v[94:95], v[106:107], 2
	v_add_f64 v[96:97], v[102:103], v[94:95]
	v_cmp_gt_f64_e64 s[6:7], 0, v[96:97]
	v_cndmask_b32_e64 v19, 0, v128, s[6:7]
	v_add_f64 v[94:95], v[94:95], v[18:19]
	v_add_f64 v[96:97], v[102:103], v[94:95]
	v_cvt_i32_f64_e32 v19, v[96:97]
	v_cvt_f64_i32_e32 v[96:97], v19
	v_add_f64 v[94:95], v[94:95], -v[96:97]
	v_add_f64 v[100:101], v[102:103], -v[100:101]
	v_add_f64 v[96:97], v[102:103], v[94:95]
	v_add_f64 v[100:101], v[112:113], -v[100:101]
	v_add_f64 v[94:95], v[96:97], -v[94:95]
	v_cmp_le_f64_e64 s[6:7], 0.5, v[96:97]
	v_add_f64 v[84:85], v[100:101], v[84:85]
	v_add_f64 v[94:95], v[102:103], -v[94:95]
	v_addc_co_u32_e64 v139, s[8:9], 0, v19, s[6:7]
	v_cndmask_b32_e64 v19, 0, v129, s[6:7]
	v_add_f64 v[84:85], v[84:85], v[94:95]
	v_add_f64 v[94:95], v[96:97], -v[18:19]
	v_add_f64 v[96:97], v[94:95], v[84:85]
	v_add_f64 v[94:95], v[96:97], -v[94:95]
	s_mov_b32 s24, s26
	v_add_f64 v[84:85], v[84:85], -v[94:95]
	v_mul_f64 v[94:95], v[96:97], s[24:25]
	v_fma_f64 v[98:99], v[96:97], s[24:25], -v[94:95]
	s_mov_b32 s31, s29
	v_fmac_f64_e32 v[98:99], s[30:31], v[96:97]
	v_fmac_f64_e32 v[98:99], s[24:25], v[84:85]
	v_add_f64 v[100:101], v[94:95], v[98:99]
	v_add_f64 v[84:85], v[100:101], -v[94:95]
	v_add_f64 v[102:103], v[98:99], -v[84:85]
	s_andn2_saveexec_b64 s[6:7], s[84:85]
	s_cbranch_execz .LBB144_85
	s_branch .LBB144_84
.LBB144_83:                             ;   in Loop: Header=BB144_57 Depth=1
	s_andn2_saveexec_b64 s[6:7], s[84:85]
	s_cbranch_execz .LBB144_85
.LBB144_84:                             ;   in Loop: Header=BB144_57 Depth=1
	v_mul_f64 v[84:85], |v[12:13]|, s[34:35]
	v_rndne_f64_e32 v[84:85], v[84:85]
	v_fma_f64 v[94:95], v[84:85], s[26:27], |v[12:13]|
	v_mul_f64 v[98:99], v[84:85], s[36:37]
	v_add_f64 v[102:103], v[94:95], v[98:99]
	v_fma_f64 v[96:97], s[36:37], v[84:85], v[94:95]
	s_mov_b32 s28, s36
	v_add_f64 v[94:95], v[94:95], -v[102:103]
	v_fma_f64 v[100:101], s[28:29], v[84:85], v[98:99]
	v_add_f64 v[94:95], v[94:95], v[98:99]
	v_add_f64 v[98:99], v[102:103], -v[96:97]
	v_add_f64 v[94:95], v[98:99], v[94:95]
	v_add_f64 v[94:95], v[94:95], -v[100:101]
	v_fmac_f64_e32 v[94:95], s[38:39], v[84:85]
	v_add_f64 v[100:101], v[96:97], v[94:95]
	v_add_f64 v[96:97], v[100:101], -v[96:97]
	v_add_f64 v[102:103], v[94:95], -v[96:97]
	v_cvt_i32_f64_e32 v139, v[84:85]
.LBB144_85:                             ;   in Loop: Header=BB144_57 Depth=1
	s_or_b64 exec, exec, s[6:7]
                                        ; implicit-def: $vgpr140
                                        ; implicit-def: $vgpr104_vgpr105
                                        ; implicit-def: $vgpr106_vgpr107
	s_and_saveexec_b64 s[6:7], s[12:13]
	s_xor_b64 s[12:13], exec, s[6:7]
	s_cbranch_execz .LBB144_87
; %bb.86:                               ;   in Loop: Header=BB144_57 Depth=1
	v_and_b32_e32 v19, 0x7fffffff, v13
	v_ldexp_f64 v[96:97], |v[12:13]|, s93
	v_cmp_ge_f64_e64 s[6:7], |v[12:13]|, s[20:21]
	v_trig_preop_f64 v[84:85], |v[12:13]|, 0
	v_cndmask_b32_e64 v97, v19, v97, s[6:7]
	v_cndmask_b32_e64 v96, v12, v96, s[6:7]
	v_trig_preop_f64 v[94:95], |v[12:13]|, 1
	v_mul_f64 v[104:105], v[84:85], v[96:97]
	v_mul_f64 v[98:99], v[94:95], v[96:97]
	v_fma_f64 v[84:85], v[84:85], v[96:97], -v[104:105]
	v_add_f64 v[106:107], v[98:99], v[84:85]
	v_add_f64 v[108:109], v[104:105], v[106:107]
	v_ldexp_f64 v[110:111], v[108:109], -2
	v_fract_f64_e32 v[112:113], v[110:111]
	v_cmp_neq_f64_e64 s[6:7], |v[110:111]|, s[22:23]
	v_cndmask_b32_e64 v111, 0, v113, s[6:7]
	v_cndmask_b32_e64 v110, 0, v112, s[6:7]
	v_add_f64 v[112:113], v[106:107], -v[98:99]
	v_add_f64 v[84:85], v[84:85], -v[112:113]
	;; [unrolled: 1-line block ×4, first 2 shown]
	v_fma_f64 v[94:95], v[94:95], v[96:97], -v[98:99]
	v_trig_preop_f64 v[98:99], |v[12:13]|, 2
	v_add_f64 v[84:85], v[84:85], v[112:113]
	v_mul_f64 v[112:113], v[98:99], v[96:97]
	v_add_f64 v[114:115], v[112:113], v[94:95]
	v_add_f64 v[116:117], v[114:115], v[84:85]
	v_add_f64 v[104:105], v[108:109], -v[104:105]
	v_add_f64 v[108:109], v[116:117], -v[114:115]
	v_add_f64 v[84:85], v[84:85], -v[108:109]
	v_add_f64 v[108:109], v[116:117], -v[108:109]
	v_add_f64 v[108:109], v[114:115], -v[108:109]
	v_add_f64 v[84:85], v[84:85], v[108:109]
	v_add_f64 v[108:109], v[114:115], -v[112:113]
	v_add_f64 v[94:95], v[94:95], -v[108:109]
	;; [unrolled: 1-line block ×4, first 2 shown]
	v_add_f64 v[94:95], v[94:95], v[108:109]
	v_add_f64 v[104:105], v[106:107], -v[104:105]
	v_add_f64 v[84:85], v[94:95], v[84:85]
	v_fma_f64 v[94:95], v[98:99], v[96:97], -v[112:113]
	v_add_f64 v[106:107], v[104:105], v[116:117]
	v_add_f64 v[84:85], v[94:95], v[84:85]
	v_ldexp_f64 v[94:95], v[110:111], 2
	v_add_f64 v[96:97], v[106:107], v[94:95]
	v_cmp_gt_f64_e64 s[6:7], 0, v[96:97]
	v_cndmask_b32_e64 v19, 0, v128, s[6:7]
	v_add_f64 v[94:95], v[94:95], v[18:19]
	v_add_f64 v[96:97], v[106:107], v[94:95]
	v_cvt_i32_f64_e32 v19, v[96:97]
	v_cvt_f64_i32_e32 v[96:97], v19
	v_add_f64 v[94:95], v[94:95], -v[96:97]
	v_add_f64 v[104:105], v[106:107], -v[104:105]
	v_add_f64 v[96:97], v[106:107], v[94:95]
	v_add_f64 v[104:105], v[116:117], -v[104:105]
	v_add_f64 v[94:95], v[96:97], -v[94:95]
	v_cmp_le_f64_e64 s[6:7], 0.5, v[96:97]
	v_add_f64 v[84:85], v[104:105], v[84:85]
	v_add_f64 v[94:95], v[106:107], -v[94:95]
	v_addc_co_u32_e64 v140, s[8:9], 0, v19, s[6:7]
	v_cndmask_b32_e64 v19, 0, v129, s[6:7]
	v_add_f64 v[84:85], v[84:85], v[94:95]
	v_add_f64 v[94:95], v[96:97], -v[18:19]
	v_add_f64 v[96:97], v[94:95], v[84:85]
	v_add_f64 v[94:95], v[96:97], -v[94:95]
	s_mov_b32 s24, s26
	v_add_f64 v[84:85], v[84:85], -v[94:95]
	v_mul_f64 v[94:95], v[96:97], s[24:25]
	v_fma_f64 v[98:99], v[96:97], s[24:25], -v[94:95]
	s_mov_b32 s31, s29
	v_fmac_f64_e32 v[98:99], s[30:31], v[96:97]
	v_fmac_f64_e32 v[98:99], s[24:25], v[84:85]
	v_add_f64 v[104:105], v[94:95], v[98:99]
	v_add_f64 v[84:85], v[104:105], -v[94:95]
	v_add_f64 v[106:107], v[98:99], -v[84:85]
	s_andn2_saveexec_b64 s[6:7], s[12:13]
	s_cbranch_execnz .LBB144_88
	s_branch .LBB144_89
.LBB144_87:                             ;   in Loop: Header=BB144_57 Depth=1
	s_andn2_saveexec_b64 s[6:7], s[12:13]
	s_cbranch_execz .LBB144_89
.LBB144_88:                             ;   in Loop: Header=BB144_57 Depth=1
	v_mul_f64 v[84:85], |v[12:13]|, s[34:35]
	v_rndne_f64_e32 v[84:85], v[84:85]
	v_fma_f64 v[94:95], v[84:85], s[26:27], |v[12:13]|
	v_mul_f64 v[98:99], v[84:85], s[36:37]
	v_add_f64 v[106:107], v[94:95], v[98:99]
	v_fma_f64 v[96:97], s[36:37], v[84:85], v[94:95]
	s_mov_b32 s28, s36
	v_add_f64 v[94:95], v[94:95], -v[106:107]
	v_fma_f64 v[104:105], s[28:29], v[84:85], v[98:99]
	v_add_f64 v[94:95], v[94:95], v[98:99]
	v_add_f64 v[98:99], v[106:107], -v[96:97]
	v_add_f64 v[94:95], v[98:99], v[94:95]
	v_add_f64 v[94:95], v[94:95], -v[104:105]
	v_fmac_f64_e32 v[94:95], s[38:39], v[84:85]
	v_add_f64 v[104:105], v[96:97], v[94:95]
	v_add_f64 v[96:97], v[104:105], -v[96:97]
	v_add_f64 v[106:107], v[94:95], -v[96:97]
	v_cvt_i32_f64_e32 v140, v[84:85]
.LBB144_89:                             ;   in Loop: Header=BB144_57 Depth=1
	s_or_b64 exec, exec, s[6:7]
	v_mul_f64 v[84:85], v[8:9], 0.5
	v_cmp_nlt_f64_e64 s[6:7], |v[84:85]|, s[18:19]
                                        ; implicit-def: $vgpr138
                                        ; implicit-def: $vgpr94_vgpr95
                                        ; implicit-def: $vgpr96_vgpr97
	s_and_saveexec_b64 s[8:9], s[6:7]
	s_xor_b64 s[12:13], exec, s[8:9]
	s_cbranch_execz .LBB144_91
; %bb.90:                               ;   in Loop: Header=BB144_57 Depth=1
	v_and_b32_e32 v19, 0x7fffffff, v85
	v_ldexp_f64 v[98:99], |v[84:85]|, s93
	v_cmp_ge_f64_e64 s[6:7], |v[84:85]|, s[20:21]
	v_trig_preop_f64 v[94:95], |v[84:85]|, 0
	v_cndmask_b32_e64 v99, v19, v99, s[6:7]
	v_cndmask_b32_e64 v98, v84, v98, s[6:7]
	v_trig_preop_f64 v[96:97], |v[84:85]|, 1
	v_mul_f64 v[110:111], v[94:95], v[98:99]
	v_mul_f64 v[108:109], v[96:97], v[98:99]
	v_fma_f64 v[94:95], v[94:95], v[98:99], -v[110:111]
	v_add_f64 v[112:113], v[108:109], v[94:95]
	v_add_f64 v[114:115], v[110:111], v[112:113]
	v_ldexp_f64 v[116:117], v[114:115], -2
	v_fract_f64_e32 v[118:119], v[116:117]
	v_cmp_neq_f64_e64 s[6:7], |v[116:117]|, s[22:23]
	v_cndmask_b32_e64 v117, 0, v119, s[6:7]
	v_cndmask_b32_e64 v116, 0, v118, s[6:7]
	v_add_f64 v[118:119], v[112:113], -v[108:109]
	v_add_f64 v[94:95], v[94:95], -v[118:119]
	v_add_f64 v[118:119], v[112:113], -v[118:119]
	v_add_f64 v[118:119], v[108:109], -v[118:119]
	v_fma_f64 v[96:97], v[96:97], v[98:99], -v[108:109]
	v_trig_preop_f64 v[108:109], |v[84:85]|, 2
	v_add_f64 v[94:95], v[94:95], v[118:119]
	v_mul_f64 v[118:119], v[108:109], v[98:99]
	v_add_f64 v[120:121], v[118:119], v[96:97]
	v_add_f64 v[122:123], v[120:121], v[94:95]
	v_add_f64 v[110:111], v[114:115], -v[110:111]
	v_add_f64 v[114:115], v[122:123], -v[120:121]
	;; [unrolled: 1-line block ×5, first 2 shown]
	v_add_f64 v[94:95], v[94:95], v[114:115]
	v_add_f64 v[114:115], v[120:121], -v[118:119]
	v_add_f64 v[96:97], v[96:97], -v[114:115]
	;; [unrolled: 1-line block ×4, first 2 shown]
	v_add_f64 v[96:97], v[96:97], v[114:115]
	v_add_f64 v[110:111], v[112:113], -v[110:111]
	v_add_f64 v[94:95], v[96:97], v[94:95]
	v_fma_f64 v[96:97], v[108:109], v[98:99], -v[118:119]
	v_add_f64 v[112:113], v[110:111], v[122:123]
	v_add_f64 v[94:95], v[96:97], v[94:95]
	v_ldexp_f64 v[96:97], v[116:117], 2
	v_add_f64 v[98:99], v[112:113], v[96:97]
	v_cmp_gt_f64_e64 s[6:7], 0, v[98:99]
	v_cndmask_b32_e64 v19, 0, v128, s[6:7]
	v_add_f64 v[96:97], v[96:97], v[18:19]
	v_add_f64 v[98:99], v[112:113], v[96:97]
	v_cvt_i32_f64_e32 v19, v[98:99]
	v_cvt_f64_i32_e32 v[98:99], v19
	v_add_f64 v[96:97], v[96:97], -v[98:99]
	v_add_f64 v[110:111], v[112:113], -v[110:111]
	v_add_f64 v[98:99], v[112:113], v[96:97]
	v_add_f64 v[110:111], v[122:123], -v[110:111]
	v_add_f64 v[96:97], v[98:99], -v[96:97]
	v_cmp_le_f64_e64 s[6:7], 0.5, v[98:99]
	v_add_f64 v[94:95], v[110:111], v[94:95]
	v_add_f64 v[96:97], v[112:113], -v[96:97]
	v_addc_co_u32_e64 v138, s[8:9], 0, v19, s[6:7]
	v_cndmask_b32_e64 v19, 0, v129, s[6:7]
	v_add_f64 v[94:95], v[94:95], v[96:97]
	v_add_f64 v[96:97], v[98:99], -v[18:19]
	v_add_f64 v[98:99], v[96:97], v[94:95]
	v_add_f64 v[96:97], v[98:99], -v[96:97]
	s_mov_b32 s24, s26
	v_add_f64 v[94:95], v[94:95], -v[96:97]
	v_mul_f64 v[96:97], v[98:99], s[24:25]
	v_fma_f64 v[108:109], v[98:99], s[24:25], -v[96:97]
	s_mov_b32 s31, s29
	v_fmac_f64_e32 v[108:109], s[30:31], v[98:99]
	v_fmac_f64_e32 v[108:109], s[24:25], v[94:95]
	v_add_f64 v[94:95], v[96:97], v[108:109]
	v_add_f64 v[96:97], v[94:95], -v[96:97]
	v_add_f64 v[96:97], v[108:109], -v[96:97]
.LBB144_91:                             ;   in Loop: Header=BB144_57 Depth=1
	s_andn2_saveexec_b64 s[6:7], s[12:13]
	s_cbranch_execz .LBB144_93
; %bb.92:                               ;   in Loop: Header=BB144_57 Depth=1
	v_mul_f64 v[94:95], |v[84:85]|, s[34:35]
	v_rndne_f64_e32 v[98:99], v[94:95]
	v_fma_f64 v[94:95], v[98:99], s[26:27], |v[84:85]|
	v_mul_f64 v[108:109], v[98:99], s[36:37]
	v_add_f64 v[112:113], v[94:95], v[108:109]
	v_fma_f64 v[96:97], s[36:37], v[98:99], v[94:95]
	s_mov_b32 s28, s36
	v_add_f64 v[94:95], v[94:95], -v[112:113]
	v_fma_f64 v[110:111], s[28:29], v[98:99], v[108:109]
	v_add_f64 v[94:95], v[94:95], v[108:109]
	v_add_f64 v[108:109], v[112:113], -v[96:97]
	v_add_f64 v[94:95], v[108:109], v[94:95]
	v_add_f64 v[108:109], v[94:95], -v[110:111]
	v_fmac_f64_e32 v[108:109], s[38:39], v[98:99]
	v_add_f64 v[94:95], v[96:97], v[108:109]
	v_add_f64 v[96:97], v[94:95], -v[96:97]
	v_add_f64 v[96:97], v[108:109], -v[96:97]
	v_cvt_i32_f64_e32 v138, v[98:99]
.LBB144_93:                             ;   in Loop: Header=BB144_57 Depth=1
	s_or_b64 exec, exec, s[6:7]
	v_cmp_nlt_f64_e64 s[12:13], |v[8:9]|, s[18:19]
                                        ; implicit-def: $vgpr142
                                        ; implicit-def: $vgpr112_vgpr113
                                        ; implicit-def: $vgpr114_vgpr115
	s_and_saveexec_b64 s[6:7], s[12:13]
	s_xor_b64 s[84:85], exec, s[6:7]
	s_cbranch_execz .LBB144_95
; %bb.94:                               ;   in Loop: Header=BB144_57 Depth=1
	v_and_b32_e32 v19, 0x7fffffff, v9
	v_ldexp_f64 v[110:111], |v[8:9]|, s93
	v_cmp_ge_f64_e64 s[6:7], |v[8:9]|, s[20:21]
	v_trig_preop_f64 v[98:99], |v[8:9]|, 0
	v_cndmask_b32_e64 v111, v19, v111, s[6:7]
	v_cndmask_b32_e64 v110, v8, v110, s[6:7]
	v_trig_preop_f64 v[108:109], |v[8:9]|, 1
	v_mul_f64 v[114:115], v[98:99], v[110:111]
	v_mul_f64 v[112:113], v[108:109], v[110:111]
	v_fma_f64 v[98:99], v[98:99], v[110:111], -v[114:115]
	v_add_f64 v[116:117], v[112:113], v[98:99]
	v_add_f64 v[118:119], v[114:115], v[116:117]
	v_ldexp_f64 v[120:121], v[118:119], -2
	v_fract_f64_e32 v[122:123], v[120:121]
	v_cmp_neq_f64_e64 s[6:7], |v[120:121]|, s[22:23]
	v_cndmask_b32_e64 v121, 0, v123, s[6:7]
	v_cndmask_b32_e64 v120, 0, v122, s[6:7]
	v_add_f64 v[122:123], v[116:117], -v[112:113]
	v_add_f64 v[98:99], v[98:99], -v[122:123]
	v_add_f64 v[122:123], v[116:117], -v[122:123]
	v_add_f64 v[122:123], v[112:113], -v[122:123]
	v_fma_f64 v[108:109], v[108:109], v[110:111], -v[112:113]
	v_trig_preop_f64 v[112:113], |v[8:9]|, 2
	v_add_f64 v[98:99], v[98:99], v[122:123]
	v_mul_f64 v[122:123], v[112:113], v[110:111]
	v_add_f64 v[124:125], v[122:123], v[108:109]
	v_add_f64 v[126:127], v[124:125], v[98:99]
	v_add_f64 v[114:115], v[118:119], -v[114:115]
	v_add_f64 v[118:119], v[126:127], -v[124:125]
	;; [unrolled: 1-line block ×5, first 2 shown]
	v_add_f64 v[98:99], v[98:99], v[118:119]
	v_add_f64 v[118:119], v[124:125], -v[122:123]
	v_add_f64 v[108:109], v[108:109], -v[118:119]
	;; [unrolled: 1-line block ×4, first 2 shown]
	v_add_f64 v[108:109], v[108:109], v[118:119]
	v_add_f64 v[114:115], v[116:117], -v[114:115]
	v_add_f64 v[98:99], v[108:109], v[98:99]
	v_fma_f64 v[108:109], v[112:113], v[110:111], -v[122:123]
	v_add_f64 v[116:117], v[114:115], v[126:127]
	v_add_f64 v[98:99], v[108:109], v[98:99]
	v_ldexp_f64 v[108:109], v[120:121], 2
	v_add_f64 v[110:111], v[116:117], v[108:109]
	v_cmp_gt_f64_e64 s[6:7], 0, v[110:111]
	v_cndmask_b32_e64 v19, 0, v128, s[6:7]
	v_add_f64 v[108:109], v[108:109], v[18:19]
	v_add_f64 v[110:111], v[116:117], v[108:109]
	v_cvt_i32_f64_e32 v19, v[110:111]
	v_cvt_f64_i32_e32 v[110:111], v19
	v_add_f64 v[108:109], v[108:109], -v[110:111]
	v_add_f64 v[114:115], v[116:117], -v[114:115]
	v_add_f64 v[110:111], v[116:117], v[108:109]
	v_add_f64 v[114:115], v[126:127], -v[114:115]
	v_add_f64 v[108:109], v[110:111], -v[108:109]
	v_cmp_le_f64_e64 s[6:7], 0.5, v[110:111]
	v_add_f64 v[98:99], v[114:115], v[98:99]
	v_add_f64 v[108:109], v[116:117], -v[108:109]
	v_addc_co_u32_e64 v142, s[8:9], 0, v19, s[6:7]
	v_cndmask_b32_e64 v19, 0, v129, s[6:7]
	v_add_f64 v[98:99], v[98:99], v[108:109]
	v_add_f64 v[108:109], v[110:111], -v[18:19]
	v_add_f64 v[110:111], v[108:109], v[98:99]
	v_add_f64 v[108:109], v[110:111], -v[108:109]
	s_mov_b32 s24, s26
	v_add_f64 v[98:99], v[98:99], -v[108:109]
	v_mul_f64 v[108:109], v[110:111], s[24:25]
	v_fma_f64 v[114:115], v[110:111], s[24:25], -v[108:109]
	s_mov_b32 s31, s29
	v_fmac_f64_e32 v[114:115], s[30:31], v[110:111]
	v_fmac_f64_e32 v[114:115], s[24:25], v[98:99]
	v_add_f64 v[112:113], v[108:109], v[114:115]
	v_add_f64 v[98:99], v[112:113], -v[108:109]
	v_add_f64 v[114:115], v[114:115], -v[98:99]
	s_andn2_saveexec_b64 s[6:7], s[84:85]
	s_cbranch_execz .LBB144_97
	s_branch .LBB144_96
.LBB144_95:                             ;   in Loop: Header=BB144_57 Depth=1
	s_andn2_saveexec_b64 s[6:7], s[84:85]
	s_cbranch_execz .LBB144_97
.LBB144_96:                             ;   in Loop: Header=BB144_57 Depth=1
	v_mul_f64 v[98:99], |v[8:9]|, s[34:35]
	v_rndne_f64_e32 v[98:99], v[98:99]
	v_fma_f64 v[108:109], v[98:99], s[26:27], |v[8:9]|
	v_mul_f64 v[112:113], v[98:99], s[36:37]
	v_add_f64 v[116:117], v[108:109], v[112:113]
	v_fma_f64 v[110:111], s[36:37], v[98:99], v[108:109]
	s_mov_b32 s28, s36
	v_add_f64 v[108:109], v[108:109], -v[116:117]
	v_fma_f64 v[114:115], s[28:29], v[98:99], v[112:113]
	v_add_f64 v[108:109], v[108:109], v[112:113]
	v_add_f64 v[112:113], v[116:117], -v[110:111]
	v_add_f64 v[108:109], v[112:113], v[108:109]
	v_add_f64 v[108:109], v[108:109], -v[114:115]
	v_fmac_f64_e32 v[108:109], s[38:39], v[98:99]
	v_add_f64 v[112:113], v[110:111], v[108:109]
	v_add_f64 v[110:111], v[112:113], -v[110:111]
	v_add_f64 v[114:115], v[108:109], -v[110:111]
	v_cvt_i32_f64_e32 v142, v[98:99]
.LBB144_97:                             ;   in Loop: Header=BB144_57 Depth=1
	s_or_b64 exec, exec, s[6:7]
                                        ; implicit-def: $vgpr143
                                        ; implicit-def: $vgpr116_vgpr117
                                        ; implicit-def: $vgpr118_vgpr119
	s_and_saveexec_b64 s[6:7], s[12:13]
	s_xor_b64 s[12:13], exec, s[6:7]
	s_cbranch_execz .LBB144_99
; %bb.98:                               ;   in Loop: Header=BB144_57 Depth=1
	v_and_b32_e32 v19, 0x7fffffff, v9
	v_ldexp_f64 v[110:111], |v[8:9]|, s93
	v_cmp_ge_f64_e64 s[6:7], |v[8:9]|, s[20:21]
	v_trig_preop_f64 v[98:99], |v[8:9]|, 0
	v_cndmask_b32_e64 v111, v19, v111, s[6:7]
	v_cndmask_b32_e64 v110, v8, v110, s[6:7]
	v_trig_preop_f64 v[108:109], |v[8:9]|, 1
	v_mul_f64 v[118:119], v[98:99], v[110:111]
	v_mul_f64 v[116:117], v[108:109], v[110:111]
	v_fma_f64 v[98:99], v[98:99], v[110:111], -v[118:119]
	v_add_f64 v[120:121], v[116:117], v[98:99]
	v_add_f64 v[122:123], v[118:119], v[120:121]
	v_ldexp_f64 v[124:125], v[122:123], -2
	v_fract_f64_e32 v[126:127], v[124:125]
	v_cmp_neq_f64_e64 s[6:7], |v[124:125]|, s[22:23]
	v_cndmask_b32_e64 v125, 0, v127, s[6:7]
	v_cndmask_b32_e64 v124, 0, v126, s[6:7]
	v_add_f64 v[126:127], v[120:121], -v[116:117]
	v_add_f64 v[98:99], v[98:99], -v[126:127]
	;; [unrolled: 1-line block ×4, first 2 shown]
	v_fma_f64 v[108:109], v[108:109], v[110:111], -v[116:117]
	v_trig_preop_f64 v[116:117], |v[8:9]|, 2
	v_add_f64 v[98:99], v[98:99], v[126:127]
	v_mul_f64 v[126:127], v[116:117], v[110:111]
	v_add_f64 v[144:145], v[126:127], v[108:109]
	v_add_f64 v[146:147], v[144:145], v[98:99]
	v_add_f64 v[118:119], v[122:123], -v[118:119]
	v_add_f64 v[122:123], v[146:147], -v[144:145]
	;; [unrolled: 1-line block ×5, first 2 shown]
	v_add_f64 v[98:99], v[98:99], v[122:123]
	v_add_f64 v[122:123], v[144:145], -v[126:127]
	v_add_f64 v[108:109], v[108:109], -v[122:123]
	;; [unrolled: 1-line block ×4, first 2 shown]
	v_add_f64 v[108:109], v[108:109], v[122:123]
	v_add_f64 v[118:119], v[120:121], -v[118:119]
	v_add_f64 v[98:99], v[108:109], v[98:99]
	v_fma_f64 v[108:109], v[116:117], v[110:111], -v[126:127]
	v_add_f64 v[120:121], v[118:119], v[146:147]
	v_add_f64 v[98:99], v[108:109], v[98:99]
	v_ldexp_f64 v[108:109], v[124:125], 2
	v_add_f64 v[110:111], v[120:121], v[108:109]
	v_cmp_gt_f64_e64 s[6:7], 0, v[110:111]
	v_cndmask_b32_e64 v19, 0, v128, s[6:7]
	v_add_f64 v[108:109], v[108:109], v[18:19]
	v_add_f64 v[110:111], v[120:121], v[108:109]
	v_cvt_i32_f64_e32 v19, v[110:111]
	v_cvt_f64_i32_e32 v[110:111], v19
	v_add_f64 v[108:109], v[108:109], -v[110:111]
	v_add_f64 v[118:119], v[120:121], -v[118:119]
	v_add_f64 v[110:111], v[120:121], v[108:109]
	v_add_f64 v[118:119], v[146:147], -v[118:119]
	v_add_f64 v[108:109], v[110:111], -v[108:109]
	v_cmp_le_f64_e64 s[6:7], 0.5, v[110:111]
	v_add_f64 v[98:99], v[118:119], v[98:99]
	v_add_f64 v[108:109], v[120:121], -v[108:109]
	v_addc_co_u32_e64 v143, s[8:9], 0, v19, s[6:7]
	v_cndmask_b32_e64 v19, 0, v129, s[6:7]
	v_add_f64 v[98:99], v[98:99], v[108:109]
	v_add_f64 v[108:109], v[110:111], -v[18:19]
	v_add_f64 v[110:111], v[108:109], v[98:99]
	v_add_f64 v[108:109], v[110:111], -v[108:109]
	s_mov_b32 s24, s26
	v_add_f64 v[98:99], v[98:99], -v[108:109]
	v_mul_f64 v[108:109], v[110:111], s[24:25]
	v_fma_f64 v[118:119], v[110:111], s[24:25], -v[108:109]
	s_mov_b32 s31, s29
	v_fmac_f64_e32 v[118:119], s[30:31], v[110:111]
	v_fmac_f64_e32 v[118:119], s[24:25], v[98:99]
	v_add_f64 v[116:117], v[108:109], v[118:119]
	v_add_f64 v[98:99], v[116:117], -v[108:109]
	v_add_f64 v[118:119], v[118:119], -v[98:99]
	s_andn2_saveexec_b64 s[6:7], s[12:13]
	s_cbranch_execnz .LBB144_100
	s_branch .LBB144_101
.LBB144_99:                             ;   in Loop: Header=BB144_57 Depth=1
	s_andn2_saveexec_b64 s[6:7], s[12:13]
	s_cbranch_execz .LBB144_101
.LBB144_100:                            ;   in Loop: Header=BB144_57 Depth=1
	v_mul_f64 v[98:99], |v[8:9]|, s[34:35]
	v_rndne_f64_e32 v[98:99], v[98:99]
	v_fma_f64 v[108:109], v[98:99], s[26:27], |v[8:9]|
	v_mul_f64 v[116:117], v[98:99], s[36:37]
	v_add_f64 v[120:121], v[108:109], v[116:117]
	v_fma_f64 v[110:111], s[36:37], v[98:99], v[108:109]
	s_mov_b32 s28, s36
	v_add_f64 v[108:109], v[108:109], -v[120:121]
	v_fma_f64 v[118:119], s[28:29], v[98:99], v[116:117]
	v_add_f64 v[108:109], v[108:109], v[116:117]
	v_add_f64 v[116:117], v[120:121], -v[110:111]
	v_add_f64 v[108:109], v[116:117], v[108:109]
	v_add_f64 v[108:109], v[108:109], -v[118:119]
	v_fmac_f64_e32 v[108:109], s[38:39], v[98:99]
	v_add_f64 v[116:117], v[110:111], v[108:109]
	v_add_f64 v[110:111], v[116:117], -v[110:111]
	v_add_f64 v[118:119], v[108:109], -v[110:111]
	v_cvt_i32_f64_e32 v143, v[98:99]
.LBB144_101:                            ;   in Loop: Header=BB144_57 Depth=1
	s_or_b64 exec, exec, s[6:7]
	v_mul_f64 v[98:99], v[4:5], 0.5
	v_cmp_nlt_f64_e64 s[6:7], |v[98:99]|, s[18:19]
                                        ; implicit-def: $vgpr141
                                        ; implicit-def: $vgpr108_vgpr109
                                        ; implicit-def: $vgpr110_vgpr111
	s_and_saveexec_b64 s[8:9], s[6:7]
	s_xor_b64 s[12:13], exec, s[8:9]
	s_cbranch_execz .LBB144_103
; %bb.102:                              ;   in Loop: Header=BB144_57 Depth=1
	v_and_b32_e32 v19, 0x7fffffff, v99
	v_ldexp_f64 v[120:121], |v[98:99]|, s93
	v_cmp_ge_f64_e64 s[6:7], |v[98:99]|, s[20:21]
	v_trig_preop_f64 v[108:109], |v[98:99]|, 0
	v_cndmask_b32_e64 v121, v19, v121, s[6:7]
	v_cndmask_b32_e64 v120, v98, v120, s[6:7]
	v_trig_preop_f64 v[110:111], |v[98:99]|, 1
	v_mul_f64 v[124:125], v[108:109], v[120:121]
	v_mul_f64 v[122:123], v[110:111], v[120:121]
	v_fma_f64 v[108:109], v[108:109], v[120:121], -v[124:125]
	v_add_f64 v[126:127], v[122:123], v[108:109]
	v_add_f64 v[144:145], v[124:125], v[126:127]
	v_ldexp_f64 v[146:147], v[144:145], -2
	v_fract_f64_e32 v[148:149], v[146:147]
	v_cmp_neq_f64_e64 s[6:7], |v[146:147]|, s[22:23]
	v_cndmask_b32_e64 v147, 0, v149, s[6:7]
	v_cndmask_b32_e64 v146, 0, v148, s[6:7]
	v_add_f64 v[148:149], v[126:127], -v[122:123]
	v_add_f64 v[108:109], v[108:109], -v[148:149]
	;; [unrolled: 1-line block ×4, first 2 shown]
	v_fma_f64 v[110:111], v[110:111], v[120:121], -v[122:123]
	v_trig_preop_f64 v[122:123], |v[98:99]|, 2
	v_add_f64 v[108:109], v[108:109], v[148:149]
	v_mul_f64 v[148:149], v[122:123], v[120:121]
	v_add_f64 v[150:151], v[148:149], v[110:111]
	v_add_f64 v[152:153], v[150:151], v[108:109]
	v_add_f64 v[124:125], v[144:145], -v[124:125]
	v_add_f64 v[144:145], v[152:153], -v[150:151]
	;; [unrolled: 1-line block ×5, first 2 shown]
	v_add_f64 v[108:109], v[108:109], v[144:145]
	v_add_f64 v[144:145], v[150:151], -v[148:149]
	v_add_f64 v[110:111], v[110:111], -v[144:145]
	v_add_f64 v[144:145], v[150:151], -v[144:145]
	v_add_f64 v[144:145], v[148:149], -v[144:145]
	v_add_f64 v[110:111], v[110:111], v[144:145]
	v_add_f64 v[124:125], v[126:127], -v[124:125]
	v_add_f64 v[108:109], v[110:111], v[108:109]
	v_fma_f64 v[110:111], v[122:123], v[120:121], -v[148:149]
	v_add_f64 v[126:127], v[124:125], v[152:153]
	v_add_f64 v[108:109], v[110:111], v[108:109]
	v_ldexp_f64 v[110:111], v[146:147], 2
	v_add_f64 v[120:121], v[126:127], v[110:111]
	v_cmp_gt_f64_e64 s[6:7], 0, v[120:121]
	v_cndmask_b32_e64 v19, 0, v128, s[6:7]
	v_add_f64 v[110:111], v[110:111], v[18:19]
	v_add_f64 v[120:121], v[126:127], v[110:111]
	v_cvt_i32_f64_e32 v19, v[120:121]
	v_cvt_f64_i32_e32 v[120:121], v19
	v_add_f64 v[110:111], v[110:111], -v[120:121]
	v_add_f64 v[124:125], v[126:127], -v[124:125]
	v_add_f64 v[120:121], v[126:127], v[110:111]
	v_add_f64 v[124:125], v[152:153], -v[124:125]
	v_add_f64 v[110:111], v[120:121], -v[110:111]
	v_cmp_le_f64_e64 s[6:7], 0.5, v[120:121]
	v_add_f64 v[108:109], v[124:125], v[108:109]
	v_add_f64 v[110:111], v[126:127], -v[110:111]
	v_addc_co_u32_e64 v141, s[8:9], 0, v19, s[6:7]
	v_cndmask_b32_e64 v19, 0, v129, s[6:7]
	v_add_f64 v[108:109], v[108:109], v[110:111]
	v_add_f64 v[110:111], v[120:121], -v[18:19]
	v_add_f64 v[120:121], v[110:111], v[108:109]
	v_add_f64 v[110:111], v[120:121], -v[110:111]
	s_mov_b32 s24, s26
	v_add_f64 v[108:109], v[108:109], -v[110:111]
	v_mul_f64 v[110:111], v[120:121], s[24:25]
	v_fma_f64 v[122:123], v[120:121], s[24:25], -v[110:111]
	s_mov_b32 s31, s29
	v_fmac_f64_e32 v[122:123], s[30:31], v[120:121]
	v_fmac_f64_e32 v[122:123], s[24:25], v[108:109]
	v_add_f64 v[108:109], v[110:111], v[122:123]
	v_add_f64 v[110:111], v[108:109], -v[110:111]
	v_add_f64 v[110:111], v[122:123], -v[110:111]
.LBB144_103:                            ;   in Loop: Header=BB144_57 Depth=1
	s_andn2_saveexec_b64 s[6:7], s[12:13]
	s_cbranch_execz .LBB144_105
; %bb.104:                              ;   in Loop: Header=BB144_57 Depth=1
	v_mul_f64 v[108:109], |v[98:99]|, s[34:35]
	v_rndne_f64_e32 v[120:121], v[108:109]
	v_fma_f64 v[108:109], v[120:121], s[26:27], |v[98:99]|
	v_mul_f64 v[122:123], v[120:121], s[36:37]
	v_add_f64 v[126:127], v[108:109], v[122:123]
	v_fma_f64 v[110:111], s[36:37], v[120:121], v[108:109]
	s_mov_b32 s28, s36
	v_add_f64 v[108:109], v[108:109], -v[126:127]
	v_fma_f64 v[124:125], s[28:29], v[120:121], v[122:123]
	v_add_f64 v[108:109], v[108:109], v[122:123]
	v_add_f64 v[122:123], v[126:127], -v[110:111]
	v_add_f64 v[108:109], v[122:123], v[108:109]
	v_add_f64 v[122:123], v[108:109], -v[124:125]
	v_fmac_f64_e32 v[122:123], s[38:39], v[120:121]
	v_add_f64 v[108:109], v[110:111], v[122:123]
	v_add_f64 v[110:111], v[108:109], -v[110:111]
	v_add_f64 v[110:111], v[122:123], -v[110:111]
	v_cvt_i32_f64_e32 v141, v[120:121]
.LBB144_105:                            ;   in Loop: Header=BB144_57 Depth=1
	s_or_b64 exec, exec, s[6:7]
	v_cmp_nlt_f64_e64 s[12:13], |v[4:5]|, s[18:19]
                                        ; implicit-def: $vgpr144
                                        ; implicit-def: $vgpr120_vgpr121
                                        ; implicit-def: $vgpr122_vgpr123
	s_and_saveexec_b64 s[6:7], s[12:13]
	s_xor_b64 s[84:85], exec, s[6:7]
	s_cbranch_execz .LBB144_107
; %bb.106:                              ;   in Loop: Header=BB144_57 Depth=1
	v_and_b32_e32 v19, 0x7fffffff, v5
	v_ldexp_f64 v[124:125], |v[4:5]|, s93
	v_cmp_ge_f64_e64 s[6:7], |v[4:5]|, s[20:21]
	v_trig_preop_f64 v[120:121], |v[4:5]|, 0
	v_cndmask_b32_e64 v125, v19, v125, s[6:7]
	v_cndmask_b32_e64 v124, v4, v124, s[6:7]
	v_trig_preop_f64 v[122:123], |v[4:5]|, 1
	v_mul_f64 v[144:145], v[120:121], v[124:125]
	v_mul_f64 v[126:127], v[122:123], v[124:125]
	v_fma_f64 v[120:121], v[120:121], v[124:125], -v[144:145]
	v_add_f64 v[146:147], v[126:127], v[120:121]
	v_add_f64 v[148:149], v[144:145], v[146:147]
	v_ldexp_f64 v[150:151], v[148:149], -2
	v_fract_f64_e32 v[152:153], v[150:151]
	v_cmp_neq_f64_e64 s[6:7], |v[150:151]|, s[22:23]
	v_cndmask_b32_e64 v151, 0, v153, s[6:7]
	v_cndmask_b32_e64 v150, 0, v152, s[6:7]
	v_add_f64 v[152:153], v[146:147], -v[126:127]
	v_add_f64 v[120:121], v[120:121], -v[152:153]
	;; [unrolled: 1-line block ×4, first 2 shown]
	v_fma_f64 v[122:123], v[122:123], v[124:125], -v[126:127]
	v_trig_preop_f64 v[126:127], |v[4:5]|, 2
	v_add_f64 v[120:121], v[120:121], v[152:153]
	v_mul_f64 v[152:153], v[126:127], v[124:125]
	v_add_f64 v[154:155], v[152:153], v[122:123]
	v_add_f64 v[156:157], v[154:155], v[120:121]
	v_add_f64 v[144:145], v[148:149], -v[144:145]
	v_add_f64 v[148:149], v[156:157], -v[154:155]
	;; [unrolled: 1-line block ×5, first 2 shown]
	v_add_f64 v[120:121], v[120:121], v[148:149]
	v_add_f64 v[148:149], v[154:155], -v[152:153]
	v_add_f64 v[122:123], v[122:123], -v[148:149]
	;; [unrolled: 1-line block ×4, first 2 shown]
	v_add_f64 v[122:123], v[122:123], v[148:149]
	v_add_f64 v[144:145], v[146:147], -v[144:145]
	v_add_f64 v[120:121], v[122:123], v[120:121]
	v_fma_f64 v[122:123], v[126:127], v[124:125], -v[152:153]
	v_add_f64 v[146:147], v[144:145], v[156:157]
	v_add_f64 v[120:121], v[122:123], v[120:121]
	v_ldexp_f64 v[122:123], v[150:151], 2
	v_add_f64 v[124:125], v[146:147], v[122:123]
	v_cmp_gt_f64_e64 s[6:7], 0, v[124:125]
	v_cndmask_b32_e64 v19, 0, v128, s[6:7]
	v_add_f64 v[122:123], v[122:123], v[18:19]
	v_add_f64 v[124:125], v[146:147], v[122:123]
	v_cvt_i32_f64_e32 v19, v[124:125]
	v_cvt_f64_i32_e32 v[124:125], v19
	v_add_f64 v[122:123], v[122:123], -v[124:125]
	v_add_f64 v[144:145], v[146:147], -v[144:145]
	v_add_f64 v[124:125], v[146:147], v[122:123]
	v_add_f64 v[144:145], v[156:157], -v[144:145]
	v_add_f64 v[122:123], v[124:125], -v[122:123]
	v_cmp_le_f64_e64 s[6:7], 0.5, v[124:125]
	v_add_f64 v[120:121], v[144:145], v[120:121]
	v_add_f64 v[122:123], v[146:147], -v[122:123]
	v_addc_co_u32_e64 v144, s[8:9], 0, v19, s[6:7]
	v_cndmask_b32_e64 v19, 0, v129, s[6:7]
	v_add_f64 v[120:121], v[120:121], v[122:123]
	v_add_f64 v[122:123], v[124:125], -v[18:19]
	v_add_f64 v[124:125], v[122:123], v[120:121]
	v_add_f64 v[122:123], v[124:125], -v[122:123]
	s_mov_b32 s24, s26
	v_add_f64 v[120:121], v[120:121], -v[122:123]
	v_mul_f64 v[122:123], v[124:125], s[24:25]
	v_fma_f64 v[126:127], v[124:125], s[24:25], -v[122:123]
	s_mov_b32 s31, s29
	v_fmac_f64_e32 v[126:127], s[30:31], v[124:125]
	v_fmac_f64_e32 v[126:127], s[24:25], v[120:121]
	v_add_f64 v[120:121], v[122:123], v[126:127]
	v_add_f64 v[122:123], v[120:121], -v[122:123]
	v_add_f64 v[122:123], v[126:127], -v[122:123]
	s_andn2_saveexec_b64 s[6:7], s[84:85]
	s_cbranch_execz .LBB144_109
	s_branch .LBB144_108
.LBB144_107:                            ;   in Loop: Header=BB144_57 Depth=1
	s_andn2_saveexec_b64 s[6:7], s[84:85]
	s_cbranch_execz .LBB144_109
.LBB144_108:                            ;   in Loop: Header=BB144_57 Depth=1
	v_mul_f64 v[120:121], |v[4:5]|, s[34:35]
	v_rndne_f64_e32 v[124:125], v[120:121]
	v_fma_f64 v[120:121], v[124:125], s[26:27], |v[4:5]|
	v_mul_f64 v[126:127], v[124:125], s[36:37]
	v_add_f64 v[146:147], v[120:121], v[126:127]
	v_fma_f64 v[122:123], s[36:37], v[124:125], v[120:121]
	s_mov_b32 s28, s36
	v_add_f64 v[120:121], v[120:121], -v[146:147]
	v_fma_f64 v[144:145], s[28:29], v[124:125], v[126:127]
	v_add_f64 v[120:121], v[120:121], v[126:127]
	v_add_f64 v[126:127], v[146:147], -v[122:123]
	v_add_f64 v[120:121], v[126:127], v[120:121]
	v_add_f64 v[126:127], v[120:121], -v[144:145]
	v_fmac_f64_e32 v[126:127], s[38:39], v[124:125]
	v_add_f64 v[120:121], v[122:123], v[126:127]
	v_add_f64 v[122:123], v[120:121], -v[122:123]
	v_add_f64 v[122:123], v[126:127], -v[122:123]
	v_cvt_i32_f64_e32 v144, v[124:125]
.LBB144_109:                            ;   in Loop: Header=BB144_57 Depth=1
	s_or_b64 exec, exec, s[6:7]
                                        ; implicit-def: $vgpr145
                                        ; implicit-def: $vgpr124_vgpr125
                                        ; implicit-def: $vgpr126_vgpr127
	s_and_saveexec_b64 s[6:7], s[12:13]
	s_xor_b64 s[12:13], exec, s[6:7]
	s_cbranch_execz .LBB144_115
; %bb.110:                              ;   in Loop: Header=BB144_57 Depth=1
	v_and_b32_e32 v19, 0x7fffffff, v5
	v_ldexp_f64 v[146:147], |v[4:5]|, s93
	v_cmp_ge_f64_e64 s[6:7], |v[4:5]|, s[20:21]
	v_trig_preop_f64 v[124:125], |v[4:5]|, 0
	v_cndmask_b32_e64 v147, v19, v147, s[6:7]
	v_cndmask_b32_e64 v146, v4, v146, s[6:7]
	v_trig_preop_f64 v[126:127], |v[4:5]|, 1
	v_mul_f64 v[150:151], v[124:125], v[146:147]
	v_mul_f64 v[148:149], v[126:127], v[146:147]
	v_fma_f64 v[124:125], v[124:125], v[146:147], -v[150:151]
	v_add_f64 v[152:153], v[148:149], v[124:125]
	v_add_f64 v[154:155], v[150:151], v[152:153]
	v_ldexp_f64 v[156:157], v[154:155], -2
	v_fract_f64_e32 v[158:159], v[156:157]
	v_cmp_neq_f64_e64 s[6:7], |v[156:157]|, s[22:23]
	v_cndmask_b32_e64 v157, 0, v159, s[6:7]
	v_cndmask_b32_e64 v156, 0, v158, s[6:7]
	v_add_f64 v[158:159], v[152:153], -v[148:149]
	v_add_f64 v[124:125], v[124:125], -v[158:159]
	;; [unrolled: 1-line block ×4, first 2 shown]
	v_fma_f64 v[126:127], v[126:127], v[146:147], -v[148:149]
	v_trig_preop_f64 v[148:149], |v[4:5]|, 2
	v_add_f64 v[124:125], v[124:125], v[158:159]
	v_mul_f64 v[158:159], v[148:149], v[146:147]
	v_add_f64 v[160:161], v[158:159], v[126:127]
	v_add_f64 v[162:163], v[160:161], v[124:125]
	v_add_f64 v[150:151], v[154:155], -v[150:151]
	v_add_f64 v[154:155], v[162:163], -v[160:161]
	;; [unrolled: 1-line block ×5, first 2 shown]
	v_add_f64 v[124:125], v[124:125], v[154:155]
	v_add_f64 v[154:155], v[160:161], -v[158:159]
	v_add_f64 v[126:127], v[126:127], -v[154:155]
	;; [unrolled: 1-line block ×4, first 2 shown]
	v_add_f64 v[126:127], v[126:127], v[154:155]
	v_add_f64 v[150:151], v[152:153], -v[150:151]
	v_add_f64 v[124:125], v[126:127], v[124:125]
	v_fma_f64 v[126:127], v[148:149], v[146:147], -v[158:159]
	v_add_f64 v[152:153], v[150:151], v[162:163]
	v_add_f64 v[124:125], v[126:127], v[124:125]
	v_ldexp_f64 v[126:127], v[156:157], 2
	v_add_f64 v[146:147], v[152:153], v[126:127]
	v_cmp_gt_f64_e64 s[6:7], 0, v[146:147]
	v_cndmask_b32_e64 v19, 0, v128, s[6:7]
	v_add_f64 v[126:127], v[126:127], v[18:19]
	v_add_f64 v[146:147], v[152:153], v[126:127]
	v_cvt_i32_f64_e32 v19, v[146:147]
	v_cvt_f64_i32_e32 v[146:147], v19
	v_add_f64 v[126:127], v[126:127], -v[146:147]
	v_add_f64 v[150:151], v[152:153], -v[150:151]
	v_add_f64 v[146:147], v[152:153], v[126:127]
	v_add_f64 v[150:151], v[162:163], -v[150:151]
	v_add_f64 v[126:127], v[146:147], -v[126:127]
	v_cmp_le_f64_e64 s[6:7], 0.5, v[146:147]
	v_add_f64 v[124:125], v[150:151], v[124:125]
	v_add_f64 v[126:127], v[152:153], -v[126:127]
	v_addc_co_u32_e64 v145, s[8:9], 0, v19, s[6:7]
	v_cndmask_b32_e64 v19, 0, v129, s[6:7]
	v_add_f64 v[124:125], v[124:125], v[126:127]
	v_add_f64 v[126:127], v[146:147], -v[18:19]
	v_add_f64 v[146:147], v[126:127], v[124:125]
	v_add_f64 v[126:127], v[146:147], -v[126:127]
	s_mov_b32 s24, s26
	v_add_f64 v[124:125], v[124:125], -v[126:127]
	v_mul_f64 v[126:127], v[146:147], s[24:25]
	v_fma_f64 v[148:149], v[146:147], s[24:25], -v[126:127]
	s_mov_b32 s31, s29
	v_fmac_f64_e32 v[148:149], s[30:31], v[146:147]
	v_fmac_f64_e32 v[148:149], s[24:25], v[124:125]
	v_add_f64 v[124:125], v[126:127], v[148:149]
	v_add_f64 v[126:127], v[124:125], -v[126:127]
	v_add_f64 v[126:127], v[148:149], -v[126:127]
	s_andn2_saveexec_b64 s[6:7], s[12:13]
	s_cbranch_execnz .LBB144_116
.LBB144_111:                            ;   in Loop: Header=BB144_57 Depth=1
	s_or_b64 exec, exec, s[6:7]
	s_and_saveexec_b64 s[6:7], s[4:5]
	s_xor_b64 s[8:9], exec, s[6:7]
	s_cbranch_execz .LBB144_117
.LBB144_112:                            ;   in Loop: Header=BB144_57 Depth=1
	v_mul_f64 v[146:147], v[14:15], s[40:41]
	v_rndne_f64_e32 v[146:147], v[146:147]
	v_fma_f64 v[148:149], s[42:43], v[146:147], v[14:15]
	v_fmac_f64_e32 v[148:149], s[44:45], v[146:147]
	v_pk_mov_b32 v[150:151], v[36:37], v[36:37] op_sel:[0,1]
	v_fmac_f64_e32 v[150:151], s[46:47], v[148:149]
	v_pk_mov_b32 v[152:153], v[38:39], v[38:39] op_sel:[0,1]
	;; [unrolled: 2-line block ×9, first 2 shown]
	v_fmac_f64_e32 v[150:151], v[148:149], v[152:153]
	v_fma_f64 v[150:151], v[148:149], v[150:151], 1.0
	v_fma_f64 v[150:151], v[148:149], v[150:151], 1.0
	v_cvt_i32_f64_e32 v19, v[146:147]
	v_pk_mov_b32 v[152:153], v[54:55], v[54:55] op_sel:[0,1]
	v_ldexp_f64 v[150:151], v[150:151], v19
	v_cmp_nlt_f64_e64 s[4:5], s[52:53], v[14:15]
	v_fmac_f64_e32 v[152:153], s[56:57], v[148:149]
	v_pk_mov_b32 v[154:155], v[56:57], v[56:57] op_sel:[0,1]
	v_cndmask_b32_e64 v63, v130, v151, s[4:5]
	v_cmp_ngt_f64_e64 s[6:7], s[54:55], v[14:15]
	v_fmac_f64_e32 v[154:155], v[148:149], v[152:153]
	v_pk_mov_b32 v[152:153], v[58:59], v[58:59] op_sel:[0,1]
	v_cndmask_b32_e64 v151, 0, v63, s[6:7]
	v_fmac_f64_e32 v[152:153], v[148:149], v[154:155]
	v_pk_mov_b32 v[154:155], v[60:61], v[60:61] op_sel:[0,1]
	v_mov_b32_e32 v63, v43
	v_fmac_f64_e32 v[154:155], v[148:149], v[152:153]
	v_pk_mov_b32 v[152:153], v[62:63], v[62:63] op_sel:[0,1]
	v_mov_b32_e32 v65, v45
	;; [unrolled: 3-line block ×5, first 2 shown]
	s_and_b64 s[4:5], s[6:7], s[4:5]
	v_fmac_f64_e32 v[154:155], v[148:149], v[152:153]
	v_pk_mov_b32 v[152:153], v[70:71], v[70:71] op_sel:[0,1]
	v_cndmask_b32_e64 v150, 0, v150, s[4:5]
	v_cmp_eq_f64_e64 s[4:5], s[52:53], v[146:147]
	v_fmac_f64_e32 v[152:153], v[148:149], v[154:155]
	v_cndmask_b32_e64 v19, v19, v131, s[4:5]
	v_fma_f64 v[152:153], v[148:149], v[152:153], 0.5
	v_ldexp_f64 v[146:147], 1.0, v19
	v_mul_f64 v[152:153], v[148:149], v[152:153]
	v_fmac_f64_e32 v[148:149], v[148:149], v[152:153]
	v_add_f64 v[152:153], v[146:147], -1.0
	v_fmac_f64_e32 v[152:153], v[146:147], v[148:149]
	v_add_f64 v[146:147], v[152:153], v[152:153]
	v_cndmask_b32_e64 v19, v152, v146, s[4:5]
	v_cndmask_b32_e64 v63, v153, v147, s[4:5]
	v_mul_f64 v[146:147], v[86:87], v[86:87]
	v_pk_mov_b32 v[156:157], s[64:65], s[64:65] op_sel:[0,1]
	v_mul_f64 v[148:149], v[146:147], 0.5
	v_fma_f64 v[158:159], s[66:67], v[146:147], v[156:157]
	v_add_f64 v[152:153], -v[148:149], 1.0
	v_fma_f64 v[158:159], v[146:147], v[158:159], s[68:69]
	v_fma_f64 v[158:159], v[146:147], v[158:159], s[58:59]
	v_add_f64 v[160:161], -v[152:153], 1.0
	v_fma_f64 v[158:159], v[146:147], v[158:159], s[70:71]
	v_add_f64 v[148:149], v[160:161], -v[148:149]
	v_mul_f64 v[154:155], v[146:147], v[146:147]
	v_fma_f64 v[158:159], v[146:147], v[158:159], s[50:51]
	v_fma_f64 v[148:149], v[86:87], -v[88:89], v[148:149]
	v_fmac_f64_e32 v[148:149], v[154:155], v[158:159]
	v_pk_mov_b32 v[154:155], s[72:73], s[72:73] op_sel:[0,1]
	v_fma_f64 v[158:159], s[74:75], v[146:147], v[154:155]
	v_fma_f64 v[158:159], v[146:147], v[158:159], s[76:77]
	;; [unrolled: 1-line block ×3, first 2 shown]
	v_add_f64 v[148:149], v[152:153], v[148:149]
	v_mul_f64 v[152:153], v[86:87], -v[146:147]
	v_fma_f64 v[158:159], v[146:147], v[158:159], s[48:49]
	v_mul_f64 v[160:161], v[88:89], 0.5
	s_mov_b32 s60, s42
	v_fmac_f64_e32 v[160:161], v[152:153], v[158:159]
	v_cmp_nlt_f64_e64 s[4:5], s[60:61], v[14:15]
	v_cmp_ngt_f64_e64 s[6:7], s[62:63], v[14:15]
	v_fma_f64 v[88:89], v[146:147], v[160:161], -v[88:89]
	s_mov_b32 s80, s50
	v_cndmask_b32_e64 v63, v130, v63, s[4:5]
	s_and_b64 s[4:5], s[6:7], s[4:5]
	v_fmac_f64_e32 v[88:89], s[80:81], v[152:153]
	v_cndmask_b32_e64 v14, 0, v19, s[4:5]
	v_and_b32_e32 v19, 1, v136
	v_add_f64 v[86:87], v[86:87], -v[88:89]
	v_cndmask_b32_e64 v15, v132, v63, s[6:7]
	v_xor_b32_e32 v63, 0x80000000, v87
	v_cmp_eq_u32_e64 s[4:5], 0, v19
	v_mul_f64 v[88:89], v[74:75], v[74:75]
	v_cndmask_b32_e64 v19, v86, v148, s[4:5]
	v_cndmask_b32_e64 v63, v63, v149, s[4:5]
	v_fma_f64 v[148:149], s[74:75], v[88:89], v[154:155]
	v_fma_f64 v[148:149], v[88:89], v[148:149], s[76:77]
	;; [unrolled: 1-line block ×3, first 2 shown]
	v_mul_f64 v[146:147], v[74:75], -v[88:89]
	v_fma_f64 v[148:149], v[88:89], v[148:149], s[48:49]
	v_mul_f64 v[152:153], v[76:77], 0.5
	v_fmac_f64_e32 v[152:153], v[146:147], v[148:149]
	v_fma_f64 v[148:149], v[88:89], v[152:153], -v[76:77]
	v_fma_f64 v[160:161], s[66:67], v[88:89], v[156:157]
	v_fmac_f64_e32 v[148:149], s[80:81], v[146:147]
	v_fma_f64 v[160:161], v[88:89], v[160:161], s[68:69]
	v_add_f64 v[146:147], v[74:75], -v[148:149]
	v_mul_f64 v[148:149], v[88:89], 0.5
	v_fma_f64 v[160:161], v[88:89], v[160:161], s[58:59]
	v_add_f64 v[152:153], -v[148:149], 1.0
	v_fma_f64 v[160:161], v[88:89], v[160:161], s[70:71]
	v_lshlrev_b32_e32 v65, 30, v136
	v_mul_f64 v[158:159], v[88:89], v[88:89]
	v_fma_f64 v[88:89], v[88:89], v[160:161], s[50:51]
	v_add_f64 v[160:161], -v[152:153], 1.0
	v_and_b32_e32 v65, 0x80000000, v65
	v_add_f64 v[148:149], v[160:161], -v[148:149]
	v_xor_b32_e32 v63, v63, v65
	v_cmp_class_f64_e64 s[4:5], v[16:17], s94
	v_fma_f64 v[74:75], v[74:75], -v[76:77], v[148:149]
	v_cndmask_b32_e64 v87, v133, v63, s[4:5]
	v_and_b32_e32 v16, 1, v134
	v_fmac_f64_e32 v[74:75], v[158:159], v[88:89]
	v_lshlrev_b32_e32 v63, 30, v134
	v_add_f64 v[74:75], v[152:153], v[74:75]
	v_cmp_eq_u32_e64 s[6:7], 0, v16
	v_xor_b32_e32 v63, v63, v73
	v_cndmask_b32_e64 v86, 0, v19, s[4:5]
	v_cndmask_b32_e64 v19, v75, v147, s[6:7]
	v_and_b32_e32 v63, 0x80000000, v63
	v_cndmask_b32_e64 v16, v74, v146, s[6:7]
	v_xor_b32_e32 v19, v19, v63
	v_cmp_class_f64_e64 s[6:7], v[72:73], s94
	v_cndmask_b32_e64 v72, 0, v16, s[6:7]
	v_cndmask_b32_e64 v73, v133, v19, s[6:7]
	v_add_f64 v[74:75], v[72:73], v[72:73]
	v_mul_f64 v[72:73], v[74:75], v[72:73]
	v_fma_f64 v[14:15], v[14:15], v[86:87], -v[72:73]
	v_mul_f64 v[72:73], v[90:91], v[90:91]
	v_mul_f64 v[74:75], v[72:73], 0.5
	v_fmac_f64_e32 v[156:157], s[66:67], v[72:73]
	v_add_f64 v[76:77], -v[74:75], 1.0
	v_fma_f64 v[88:89], v[72:73], v[156:157], s[68:69]
	v_add_f64 v[86:87], -v[76:77], 1.0
	v_fma_f64 v[88:89], v[72:73], v[88:89], s[58:59]
	v_add_f64 v[74:75], v[86:87], -v[74:75]
	v_fma_f64 v[88:89], v[72:73], v[88:89], s[70:71]
	v_mul_f64 v[86:87], v[72:73], v[72:73]
	v_fma_f64 v[88:89], v[72:73], v[88:89], s[50:51]
	v_fma_f64 v[74:75], v[90:91], -v[92:93], v[74:75]
	v_fmac_f64_e32 v[74:75], v[86:87], v[88:89]
	v_fmac_f64_e32 v[154:155], s[74:75], v[72:73]
	v_add_f64 v[74:75], v[76:77], v[74:75]
	v_fma_f64 v[76:77], v[72:73], v[154:155], s[76:77]
	v_fma_f64 v[76:77], v[72:73], v[76:77], s[78:79]
	;; [unrolled: 1-line block ×3, first 2 shown]
	v_mul_f64 v[86:87], v[90:91], -v[72:73]
	v_mul_f64 v[88:89], v[92:93], 0.5
	v_fmac_f64_e32 v[88:89], v[86:87], v[76:77]
	v_fma_f64 v[72:73], v[72:73], v[88:89], -v[92:93]
	v_fmac_f64_e32 v[72:73], s[80:81], v[86:87]
	v_and_b32_e32 v16, 1, v137
	v_lshlrev_b32_e32 v63, 30, v137
	v_add_f64 v[72:73], v[90:91], -v[72:73]
	v_cmp_eq_u32_e64 s[6:7], 0, v16
	v_xor_b32_e32 v17, v63, v17
	v_cndmask_b32_e64 v19, v75, v73, s[6:7]
	v_and_b32_e32 v17, 0x80000000, v17
	v_cndmask_b32_e64 v16, v74, v72, s[6:7]
	v_xor_b32_e32 v17, v19, v17
	v_cndmask_b32_e64 v16, 0, v16, s[4:5]
	v_cndmask_b32_e64 v17, v133, v17, s[4:5]
	v_mov_b32_e32 v19, s11
	v_add_co_u32_e64 v72, s[4:5], s10, v22
	v_mul_f64 v[16:17], v[150:151], v[16:17]
	v_addc_co_u32_e64 v73, s[4:5], v23, v19, s[4:5]
	global_store_dwordx4 v[72:73], v[14:17], off offset:-8
	s_or_b64 exec, exec, s[8:9]
	s_and_saveexec_b64 s[6:7], s[2:3]
	s_cbranch_execnz .LBB144_118
.LBB144_113:                            ;   in Loop: Header=BB144_57 Depth=1
	s_or_b64 exec, exec, s[6:7]
	s_and_saveexec_b64 s[4:5], s[0:1]
	s_cbranch_execz .LBB144_119
.LBB144_114:                            ;   in Loop: Header=BB144_57 Depth=1
	v_mul_f64 v[10:11], v[6:7], s[40:41]
	v_rndne_f64_e32 v[10:11], v[10:11]
	v_fma_f64 v[12:13], s[42:43], v[10:11], v[6:7]
	v_fmac_f64_e32 v[12:13], s[44:45], v[10:11]
	v_pk_mov_b32 v[14:15], v[36:37], v[36:37] op_sel:[0,1]
	v_fmac_f64_e32 v[14:15], s[46:47], v[12:13]
	v_pk_mov_b32 v[16:17], v[38:39], v[38:39] op_sel:[0,1]
	;; [unrolled: 2-line block ×9, first 2 shown]
	v_fmac_f64_e32 v[14:15], v[12:13], v[16:17]
	v_fma_f64 v[14:15], v[12:13], v[14:15], 1.0
	v_fma_f64 v[14:15], v[12:13], v[14:15], 1.0
	v_cvt_i32_f64_e32 v16, v[10:11]
	v_ldexp_f64 v[14:15], v[14:15], v16
	v_cmp_nlt_f64_e64 s[0:1], s[52:53], v[6:7]
	v_cmp_ngt_f64_e64 s[2:3], s[54:55], v[6:7]
	v_cndmask_b32_e64 v15, v130, v15, s[0:1]
	s_and_b64 s[0:1], s[2:3], s[0:1]
	v_cndmask_b32_e64 v14, 0, v14, s[0:1]
	v_cmp_eq_f64_e64 s[0:1], s[52:53], v[10:11]
	v_cndmask_b32_e64 v10, v16, v131, s[0:1]
	v_pk_mov_b32 v[16:17], v[54:55], v[54:55] op_sel:[0,1]
	v_fmac_f64_e32 v[16:17], s[56:57], v[12:13]
	v_pk_mov_b32 v[72:73], v[56:57], v[56:57] op_sel:[0,1]
	v_fmac_f64_e32 v[72:73], v[12:13], v[16:17]
	;; [unrolled: 2-line block ×3, first 2 shown]
	v_pk_mov_b32 v[72:73], v[60:61], v[60:61] op_sel:[0,1]
	v_mov_b32_e32 v63, v43
	v_fmac_f64_e32 v[72:73], v[12:13], v[16:17]
	v_pk_mov_b32 v[16:17], v[62:63], v[62:63] op_sel:[0,1]
	v_mov_b32_e32 v65, v45
	v_fmac_f64_e32 v[16:17], v[12:13], v[72:73]
	;; [unrolled: 3-line block ×5, first 2 shown]
	v_pk_mov_b32 v[16:17], v[70:71], v[70:71] op_sel:[0,1]
	v_fmac_f64_e32 v[16:17], v[12:13], v[72:73]
	v_fma_f64 v[16:17], v[12:13], v[16:17], 0.5
	v_ldexp_f64 v[10:11], 1.0, v10
	v_mul_f64 v[16:17], v[12:13], v[16:17]
	v_fmac_f64_e32 v[12:13], v[12:13], v[16:17]
	v_add_f64 v[16:17], v[10:11], -1.0
	v_fmac_f64_e32 v[16:17], v[10:11], v[12:13]
	v_add_f64 v[10:11], v[16:17], v[16:17]
	s_mov_b32 s60, s42
	v_cndmask_b32_e64 v15, 0, v15, s[2:3]
	v_cndmask_b32_e64 v10, v16, v10, s[0:1]
	v_cndmask_b32_e64 v11, v17, v11, s[0:1]
	v_cmp_nlt_f64_e64 s[0:1], s[60:61], v[6:7]
	v_cmp_ngt_f64_e64 s[2:3], s[62:63], v[6:7]
	v_cndmask_b32_e64 v11, v130, v11, s[0:1]
	s_and_b64 s[0:1], s[2:3], s[0:1]
	v_cndmask_b32_e64 v7, v132, v11, s[2:3]
	v_cndmask_b32_e64 v6, 0, v10, s[0:1]
	v_mul_f64 v[10:11], v[112:113], v[112:113]
	v_pk_mov_b32 v[74:75], s[64:65], s[64:65] op_sel:[0,1]
	v_mul_f64 v[12:13], v[10:11], 0.5
	v_fma_f64 v[76:77], s[66:67], v[10:11], v[74:75]
	v_add_f64 v[16:17], -v[12:13], 1.0
	v_fma_f64 v[76:77], v[10:11], v[76:77], s[68:69]
	v_fma_f64 v[76:77], v[10:11], v[76:77], s[58:59]
	v_add_f64 v[78:79], -v[16:17], 1.0
	v_fma_f64 v[76:77], v[10:11], v[76:77], s[70:71]
	v_add_f64 v[12:13], v[78:79], -v[12:13]
	v_mul_f64 v[72:73], v[10:11], v[10:11]
	v_fma_f64 v[76:77], v[10:11], v[76:77], s[50:51]
	v_fma_f64 v[12:13], v[112:113], -v[114:115], v[12:13]
	v_fmac_f64_e32 v[12:13], v[72:73], v[76:77]
	v_pk_mov_b32 v[72:73], s[72:73], s[72:73] op_sel:[0,1]
	v_fma_f64 v[76:77], s[74:75], v[10:11], v[72:73]
	v_fma_f64 v[76:77], v[10:11], v[76:77], s[76:77]
	;; [unrolled: 1-line block ×3, first 2 shown]
	v_add_f64 v[12:13], v[16:17], v[12:13]
	v_mul_f64 v[16:17], v[112:113], -v[10:11]
	v_fma_f64 v[76:77], v[10:11], v[76:77], s[48:49]
	v_mul_f64 v[78:79], v[114:115], 0.5
	v_fmac_f64_e32 v[78:79], v[16:17], v[76:77]
	v_fma_f64 v[10:11], v[10:11], v[78:79], -v[114:115]
	s_mov_b32 s80, s50
	v_and_b32_e32 v19, 1, v142
	v_fmac_f64_e32 v[10:11], s[80:81], v[16:17]
	v_add_f64 v[10:11], v[112:113], -v[10:11]
	v_cmp_eq_u32_e64 s[0:1], 0, v19
	v_xor_b32_e32 v11, 0x80000000, v11
	v_cndmask_b32_e64 v10, v10, v12, s[0:1]
	v_lshlrev_b32_e32 v12, 30, v142
	v_cndmask_b32_e64 v11, v11, v13, s[0:1]
	v_and_b32_e32 v12, 0x80000000, v12
	v_xor_b32_e32 v11, v11, v12
	v_mul_f64 v[12:13], v[94:95], v[94:95]
	v_fma_f64 v[76:77], s[74:75], v[12:13], v[72:73]
	v_fma_f64 v[76:77], v[12:13], v[76:77], s[76:77]
	;; [unrolled: 1-line block ×3, first 2 shown]
	v_mul_f64 v[16:17], v[94:95], -v[12:13]
	v_fma_f64 v[76:77], v[12:13], v[76:77], s[48:49]
	v_mul_f64 v[78:79], v[96:97], 0.5
	v_fmac_f64_e32 v[78:79], v[16:17], v[76:77]
	v_fma_f64 v[76:77], v[12:13], v[78:79], -v[96:97]
	v_fma_f64 v[82:83], s[66:67], v[12:13], v[74:75]
	v_fmac_f64_e32 v[76:77], s[80:81], v[16:17]
	v_fma_f64 v[82:83], v[12:13], v[82:83], s[68:69]
	v_add_f64 v[16:17], v[94:95], -v[76:77]
	v_mul_f64 v[76:77], v[12:13], 0.5
	v_fma_f64 v[82:83], v[12:13], v[82:83], s[58:59]
	v_add_f64 v[78:79], -v[76:77], 1.0
	v_fma_f64 v[82:83], v[12:13], v[82:83], s[70:71]
	v_mul_f64 v[80:81], v[12:13], v[12:13]
	v_fma_f64 v[12:13], v[12:13], v[82:83], s[50:51]
	v_add_f64 v[82:83], -v[78:79], 1.0
	v_add_f64 v[76:77], v[82:83], -v[76:77]
	v_fma_f64 v[76:77], v[94:95], -v[96:97], v[76:77]
	v_cmp_class_f64_e64 s[0:1], v[8:9], s94
	v_and_b32_e32 v8, 1, v138
	v_fmac_f64_e32 v[76:77], v[80:81], v[12:13]
	v_add_f64 v[12:13], v[78:79], v[76:77]
	v_cmp_eq_u32_e64 s[2:3], 0, v8
	v_cndmask_b32_e64 v8, v12, v16, s[2:3]
	v_cndmask_b32_e64 v12, v13, v17, s[2:3]
	v_lshlrev_b32_e32 v13, 30, v138
	v_xor_b32_e32 v13, v13, v85
	v_and_b32_e32 v13, 0x80000000, v13
	v_xor_b32_e32 v13, v12, v13
	v_cmp_class_f64_e64 s[2:3], v[84:85], s94
	v_cndmask_b32_e64 v12, 0, v8, s[2:3]
	v_cndmask_b32_e64 v13, v133, v13, s[2:3]
	v_add_f64 v[16:17], v[12:13], v[12:13]
	v_cndmask_b32_e64 v10, 0, v10, s[0:1]
	v_cndmask_b32_e64 v11, v133, v11, s[0:1]
	v_mul_f64 v[12:13], v[16:17], v[12:13]
	v_fma_f64 v[6:7], v[6:7], v[10:11], -v[12:13]
	v_mul_f64 v[10:11], v[116:117], v[116:117]
	v_mul_f64 v[12:13], v[10:11], 0.5
	v_fmac_f64_e32 v[74:75], s[66:67], v[10:11]
	v_add_f64 v[16:17], -v[12:13], 1.0
	v_fma_f64 v[74:75], v[10:11], v[74:75], s[68:69]
	v_add_f64 v[76:77], -v[16:17], 1.0
	v_fma_f64 v[74:75], v[10:11], v[74:75], s[58:59]
	v_add_f64 v[12:13], v[76:77], -v[12:13]
	v_fma_f64 v[74:75], v[10:11], v[74:75], s[70:71]
	v_mul_f64 v[76:77], v[10:11], v[10:11]
	v_fma_f64 v[74:75], v[10:11], v[74:75], s[50:51]
	v_fma_f64 v[12:13], v[116:117], -v[118:119], v[12:13]
	v_fmac_f64_e32 v[12:13], v[76:77], v[74:75]
	v_fmac_f64_e32 v[72:73], s[74:75], v[10:11]
	v_add_f64 v[12:13], v[16:17], v[12:13]
	v_fma_f64 v[16:17], v[10:11], v[72:73], s[76:77]
	v_fma_f64 v[16:17], v[10:11], v[16:17], s[78:79]
	;; [unrolled: 1-line block ×3, first 2 shown]
	v_mul_f64 v[72:73], v[116:117], -v[10:11]
	v_mul_f64 v[74:75], v[118:119], 0.5
	v_fmac_f64_e32 v[74:75], v[72:73], v[16:17]
	v_fma_f64 v[10:11], v[10:11], v[74:75], -v[118:119]
	v_fmac_f64_e32 v[10:11], s[80:81], v[72:73]
	v_and_b32_e32 v8, 1, v143
	v_add_f64 v[10:11], v[116:117], -v[10:11]
	v_cmp_eq_u32_e64 s[2:3], 0, v8
	v_cndmask_b32_e64 v8, v12, v10, s[2:3]
	v_cndmask_b32_e64 v10, v13, v11, s[2:3]
	v_lshlrev_b32_e32 v11, 30, v143
	v_xor_b32_e32 v9, v11, v9
	v_and_b32_e32 v9, 0x80000000, v9
	v_xor_b32_e32 v9, v10, v9
	v_cndmask_b32_e64 v8, 0, v8, s[0:1]
	v_cndmask_b32_e64 v9, v133, v9, s[0:1]
	v_mov_b32_e32 v11, s11
	v_add_co_u32_e64 v10, s[0:1], s10, v34
	v_mul_f64 v[8:9], v[14:15], v[8:9]
	v_addc_co_u32_e64 v11, s[0:1], v35, v11, s[0:1]
	global_store_dwordx4 v[10:11], v[6:9], off offset:-8
	s_or_b64 exec, exec, s[4:5]
	s_and_saveexec_b64 s[2:3], vcc
	s_cbranch_execz .LBB144_56
	s_branch .LBB144_120
.LBB144_115:                            ;   in Loop: Header=BB144_57 Depth=1
	s_andn2_saveexec_b64 s[6:7], s[12:13]
	s_cbranch_execz .LBB144_111
.LBB144_116:                            ;   in Loop: Header=BB144_57 Depth=1
	v_mul_f64 v[124:125], |v[4:5]|, s[34:35]
	v_rndne_f64_e32 v[146:147], v[124:125]
	v_fma_f64 v[124:125], v[146:147], s[26:27], |v[4:5]|
	v_mul_f64 v[148:149], v[146:147], s[36:37]
	v_add_f64 v[152:153], v[124:125], v[148:149]
	v_fma_f64 v[126:127], s[36:37], v[146:147], v[124:125]
	s_mov_b32 s28, s36
	v_add_f64 v[124:125], v[124:125], -v[152:153]
	v_fma_f64 v[150:151], s[28:29], v[146:147], v[148:149]
	v_add_f64 v[124:125], v[124:125], v[148:149]
	v_add_f64 v[148:149], v[152:153], -v[126:127]
	v_add_f64 v[124:125], v[148:149], v[124:125]
	v_add_f64 v[148:149], v[124:125], -v[150:151]
	v_fmac_f64_e32 v[148:149], s[38:39], v[146:147]
	v_add_f64 v[124:125], v[126:127], v[148:149]
	v_add_f64 v[126:127], v[124:125], -v[126:127]
	v_add_f64 v[126:127], v[148:149], -v[126:127]
	v_cvt_i32_f64_e32 v145, v[146:147]
	s_or_b64 exec, exec, s[6:7]
	s_and_saveexec_b64 s[6:7], s[4:5]
	s_xor_b64 s[8:9], exec, s[6:7]
	s_cbranch_execnz .LBB144_112
.LBB144_117:                            ;   in Loop: Header=BB144_57 Depth=1
	s_or_b64 exec, exec, s[8:9]
	s_and_saveexec_b64 s[6:7], s[2:3]
	s_cbranch_execz .LBB144_113
.LBB144_118:                            ;   in Loop: Header=BB144_57 Depth=1
	v_mul_f64 v[14:15], v[10:11], s[40:41]
	v_rndne_f64_e32 v[14:15], v[14:15]
	v_fma_f64 v[16:17], s[42:43], v[14:15], v[10:11]
	v_fmac_f64_e32 v[16:17], s[44:45], v[14:15]
	v_pk_mov_b32 v[72:73], v[36:37], v[36:37] op_sel:[0,1]
	v_fmac_f64_e32 v[72:73], s[46:47], v[16:17]
	v_pk_mov_b32 v[74:75], v[38:39], v[38:39] op_sel:[0,1]
	;; [unrolled: 2-line block ×9, first 2 shown]
	v_fmac_f64_e32 v[72:73], v[16:17], v[74:75]
	v_fma_f64 v[72:73], v[16:17], v[72:73], 1.0
	v_fma_f64 v[72:73], v[16:17], v[72:73], 1.0
	v_cvt_i32_f64_e32 v19, v[14:15]
	v_pk_mov_b32 v[74:75], v[54:55], v[54:55] op_sel:[0,1]
	v_ldexp_f64 v[72:73], v[72:73], v19
	v_cmp_nlt_f64_e64 s[2:3], s[52:53], v[10:11]
	v_fmac_f64_e32 v[74:75], s[56:57], v[16:17]
	v_pk_mov_b32 v[76:77], v[56:57], v[56:57] op_sel:[0,1]
	v_cndmask_b32_e64 v63, v130, v73, s[2:3]
	v_cmp_ngt_f64_e64 s[4:5], s[54:55], v[10:11]
	v_fmac_f64_e32 v[76:77], v[16:17], v[74:75]
	v_pk_mov_b32 v[74:75], v[58:59], v[58:59] op_sel:[0,1]
	v_cndmask_b32_e64 v73, 0, v63, s[4:5]
	v_fmac_f64_e32 v[74:75], v[16:17], v[76:77]
	v_pk_mov_b32 v[76:77], v[60:61], v[60:61] op_sel:[0,1]
	v_mov_b32_e32 v63, v43
	v_fmac_f64_e32 v[76:77], v[16:17], v[74:75]
	v_pk_mov_b32 v[74:75], v[62:63], v[62:63] op_sel:[0,1]
	v_mov_b32_e32 v65, v45
	;; [unrolled: 3-line block ×5, first 2 shown]
	s_and_b64 s[2:3], s[4:5], s[2:3]
	v_fmac_f64_e32 v[76:77], v[16:17], v[74:75]
	v_pk_mov_b32 v[74:75], v[70:71], v[70:71] op_sel:[0,1]
	v_cndmask_b32_e64 v72, 0, v72, s[2:3]
	v_cmp_eq_f64_e64 s[2:3], s[52:53], v[14:15]
	v_fmac_f64_e32 v[74:75], v[16:17], v[76:77]
	v_cndmask_b32_e64 v14, v19, v131, s[2:3]
	v_fma_f64 v[74:75], v[16:17], v[74:75], 0.5
	v_ldexp_f64 v[14:15], 1.0, v14
	v_mul_f64 v[74:75], v[16:17], v[74:75]
	v_fmac_f64_e32 v[16:17], v[16:17], v[74:75]
	v_add_f64 v[74:75], v[14:15], -1.0
	v_fmac_f64_e32 v[74:75], v[14:15], v[16:17]
	v_add_f64 v[14:15], v[74:75], v[74:75]
	s_mov_b32 s60, s42
	v_cndmask_b32_e64 v14, v74, v14, s[2:3]
	v_cndmask_b32_e64 v15, v75, v15, s[2:3]
	v_cmp_nlt_f64_e64 s[2:3], s[60:61], v[10:11]
	v_cmp_ngt_f64_e64 s[4:5], s[62:63], v[10:11]
	v_cndmask_b32_e64 v15, v130, v15, s[2:3]
	s_and_b64 s[2:3], s[4:5], s[2:3]
	v_cndmask_b32_e64 v11, v132, v15, s[4:5]
	v_cndmask_b32_e64 v10, 0, v14, s[2:3]
	v_mul_f64 v[14:15], v[100:101], v[100:101]
	v_pk_mov_b32 v[86:87], s[64:65], s[64:65] op_sel:[0,1]
	v_mul_f64 v[16:17], v[14:15], 0.5
	v_fma_f64 v[88:89], s[66:67], v[14:15], v[86:87]
	v_add_f64 v[74:75], -v[16:17], 1.0
	v_fma_f64 v[88:89], v[14:15], v[88:89], s[68:69]
	v_fma_f64 v[88:89], v[14:15], v[88:89], s[58:59]
	v_add_f64 v[90:91], -v[74:75], 1.0
	v_fma_f64 v[88:89], v[14:15], v[88:89], s[70:71]
	v_add_f64 v[16:17], v[90:91], -v[16:17]
	v_mul_f64 v[76:77], v[14:15], v[14:15]
	v_fma_f64 v[88:89], v[14:15], v[88:89], s[50:51]
	v_fma_f64 v[16:17], v[100:101], -v[102:103], v[16:17]
	v_fmac_f64_e32 v[16:17], v[76:77], v[88:89]
	v_pk_mov_b32 v[76:77], s[72:73], s[72:73] op_sel:[0,1]
	v_fma_f64 v[88:89], s[74:75], v[14:15], v[76:77]
	v_fma_f64 v[88:89], v[14:15], v[88:89], s[76:77]
	;; [unrolled: 1-line block ×3, first 2 shown]
	v_add_f64 v[16:17], v[74:75], v[16:17]
	v_mul_f64 v[74:75], v[100:101], -v[14:15]
	v_fma_f64 v[88:89], v[14:15], v[88:89], s[48:49]
	v_mul_f64 v[90:91], v[102:103], 0.5
	v_fmac_f64_e32 v[90:91], v[74:75], v[88:89]
	v_fma_f64 v[14:15], v[14:15], v[90:91], -v[102:103]
	s_mov_b32 s80, s50
	v_and_b32_e32 v19, 1, v139
	v_fmac_f64_e32 v[14:15], s[80:81], v[74:75]
	v_add_f64 v[14:15], v[100:101], -v[14:15]
	v_cmp_eq_u32_e64 s[2:3], 0, v19
	v_xor_b32_e32 v15, 0x80000000, v15
	v_cndmask_b32_e64 v14, v14, v16, s[2:3]
	v_lshlrev_b32_e32 v16, 30, v139
	v_cndmask_b32_e64 v15, v15, v17, s[2:3]
	v_and_b32_e32 v16, 0x80000000, v16
	v_xor_b32_e32 v15, v15, v16
	v_mul_f64 v[16:17], v[80:81], v[80:81]
	v_fma_f64 v[88:89], s[74:75], v[16:17], v[76:77]
	v_fma_f64 v[88:89], v[16:17], v[88:89], s[76:77]
	;; [unrolled: 1-line block ×3, first 2 shown]
	v_mul_f64 v[74:75], v[80:81], -v[16:17]
	v_fma_f64 v[88:89], v[16:17], v[88:89], s[48:49]
	v_mul_f64 v[90:91], v[82:83], 0.5
	v_fmac_f64_e32 v[90:91], v[74:75], v[88:89]
	v_fma_f64 v[88:89], v[16:17], v[90:91], -v[82:83]
	v_fma_f64 v[100:101], s[66:67], v[16:17], v[86:87]
	v_fmac_f64_e32 v[88:89], s[80:81], v[74:75]
	v_fma_f64 v[100:101], v[16:17], v[100:101], s[68:69]
	v_add_f64 v[74:75], v[80:81], -v[88:89]
	v_mul_f64 v[88:89], v[16:17], 0.5
	v_fma_f64 v[100:101], v[16:17], v[100:101], s[58:59]
	v_add_f64 v[90:91], -v[88:89], 1.0
	v_fma_f64 v[100:101], v[16:17], v[100:101], s[70:71]
	v_mul_f64 v[92:93], v[16:17], v[16:17]
	v_fma_f64 v[16:17], v[16:17], v[100:101], s[50:51]
	v_add_f64 v[100:101], -v[90:91], 1.0
	v_add_f64 v[88:89], v[100:101], -v[88:89]
	v_fma_f64 v[80:81], v[80:81], -v[82:83], v[88:89]
	v_cmp_class_f64_e64 s[2:3], v[12:13], s94
	v_and_b32_e32 v12, 1, v135
	v_fmac_f64_e32 v[80:81], v[92:93], v[16:17]
	v_add_f64 v[16:17], v[90:91], v[80:81]
	v_cmp_eq_u32_e64 s[4:5], 0, v12
	v_cndmask_b32_e64 v12, v16, v74, s[4:5]
	v_cndmask_b32_e64 v16, v17, v75, s[4:5]
	v_lshlrev_b32_e32 v17, 30, v135
	v_xor_b32_e32 v17, v17, v79
	v_and_b32_e32 v17, 0x80000000, v17
	v_xor_b32_e32 v17, v16, v17
	v_cmp_class_f64_e64 s[4:5], v[78:79], s94
	v_cndmask_b32_e64 v16, 0, v12, s[4:5]
	v_cndmask_b32_e64 v17, v133, v17, s[4:5]
	v_add_f64 v[74:75], v[16:17], v[16:17]
	v_cndmask_b32_e64 v14, 0, v14, s[2:3]
	v_cndmask_b32_e64 v15, v133, v15, s[2:3]
	v_mul_f64 v[16:17], v[74:75], v[16:17]
	v_fma_f64 v[10:11], v[10:11], v[14:15], -v[16:17]
	v_mul_f64 v[14:15], v[104:105], v[104:105]
	v_mul_f64 v[16:17], v[14:15], 0.5
	v_fmac_f64_e32 v[86:87], s[66:67], v[14:15]
	v_add_f64 v[74:75], -v[16:17], 1.0
	v_fma_f64 v[80:81], v[14:15], v[86:87], s[68:69]
	v_add_f64 v[78:79], -v[74:75], 1.0
	v_fma_f64 v[80:81], v[14:15], v[80:81], s[58:59]
	v_add_f64 v[16:17], v[78:79], -v[16:17]
	v_fma_f64 v[80:81], v[14:15], v[80:81], s[70:71]
	v_mul_f64 v[78:79], v[14:15], v[14:15]
	v_fma_f64 v[80:81], v[14:15], v[80:81], s[50:51]
	v_fma_f64 v[16:17], v[104:105], -v[106:107], v[16:17]
	v_fmac_f64_e32 v[16:17], v[78:79], v[80:81]
	v_fmac_f64_e32 v[76:77], s[74:75], v[14:15]
	v_add_f64 v[16:17], v[74:75], v[16:17]
	v_fma_f64 v[74:75], v[14:15], v[76:77], s[76:77]
	v_fma_f64 v[74:75], v[14:15], v[74:75], s[78:79]
	v_fma_f64 v[74:75], v[14:15], v[74:75], s[48:49]
	v_mul_f64 v[76:77], v[104:105], -v[14:15]
	v_mul_f64 v[78:79], v[106:107], 0.5
	v_fmac_f64_e32 v[78:79], v[76:77], v[74:75]
	v_fma_f64 v[14:15], v[14:15], v[78:79], -v[106:107]
	v_fmac_f64_e32 v[14:15], s[80:81], v[76:77]
	v_and_b32_e32 v12, 1, v140
	v_add_f64 v[14:15], v[104:105], -v[14:15]
	v_cmp_eq_u32_e64 s[4:5], 0, v12
	v_cndmask_b32_e64 v12, v16, v14, s[4:5]
	v_cndmask_b32_e64 v14, v17, v15, s[4:5]
	v_lshlrev_b32_e32 v15, 30, v140
	v_xor_b32_e32 v13, v15, v13
	v_and_b32_e32 v13, 0x80000000, v13
	v_xor_b32_e32 v13, v14, v13
	v_cndmask_b32_e64 v12, 0, v12, s[2:3]
	v_cndmask_b32_e64 v13, v133, v13, s[2:3]
	v_mov_b32_e32 v15, s11
	v_add_co_u32_e64 v14, s[2:3], s10, v24
	v_mul_f64 v[12:13], v[72:73], v[12:13]
	v_addc_co_u32_e64 v15, s[2:3], v25, v15, s[2:3]
	global_store_dwordx4 v[14:15], v[10:13], off
	s_or_b64 exec, exec, s[6:7]
	s_and_saveexec_b64 s[4:5], s[0:1]
	s_cbranch_execnz .LBB144_114
.LBB144_119:                            ;   in Loop: Header=BB144_57 Depth=1
	s_or_b64 exec, exec, s[4:5]
	s_and_saveexec_b64 s[2:3], vcc
	s_cbranch_execz .LBB144_56
.LBB144_120:                            ;   in Loop: Header=BB144_57 Depth=1
	v_mul_f64 v[6:7], v[2:3], s[40:41]
	v_rndne_f64_e32 v[6:7], v[6:7]
	v_fma_f64 v[8:9], s[42:43], v[6:7], v[2:3]
	v_fmac_f64_e32 v[8:9], s[44:45], v[6:7]
	v_pk_mov_b32 v[10:11], v[36:37], v[36:37] op_sel:[0,1]
	v_fmac_f64_e32 v[10:11], s[46:47], v[8:9]
	v_pk_mov_b32 v[12:13], v[38:39], v[38:39] op_sel:[0,1]
	;; [unrolled: 2-line block ×9, first 2 shown]
	v_fmac_f64_e32 v[10:11], v[8:9], v[12:13]
	v_fma_f64 v[10:11], v[8:9], v[10:11], 1.0
	v_fma_f64 v[10:11], v[8:9], v[10:11], 1.0
	v_cvt_i32_f64_e32 v12, v[6:7]
	v_ldexp_f64 v[10:11], v[10:11], v12
	v_cmp_nlt_f64_e32 vcc, s[52:53], v[2:3]
	v_cmp_ngt_f64_e64 s[0:1], s[54:55], v[2:3]
	v_cndmask_b32_e32 v11, v130, v11, vcc
	s_and_b64 vcc, s[0:1], vcc
	v_cndmask_b32_e32 v10, 0, v10, vcc
	v_cmp_eq_f64_e32 vcc, s[52:53], v[6:7]
	v_cndmask_b32_e32 v6, v12, v131, vcc
	v_pk_mov_b32 v[12:13], v[54:55], v[54:55] op_sel:[0,1]
	v_fmac_f64_e32 v[12:13], s[56:57], v[8:9]
	v_pk_mov_b32 v[14:15], v[56:57], v[56:57] op_sel:[0,1]
	v_fmac_f64_e32 v[14:15], v[8:9], v[12:13]
	;; [unrolled: 2-line block ×3, first 2 shown]
	v_pk_mov_b32 v[14:15], v[60:61], v[60:61] op_sel:[0,1]
	v_mov_b32_e32 v63, v43
	v_fmac_f64_e32 v[14:15], v[8:9], v[12:13]
	v_pk_mov_b32 v[12:13], v[62:63], v[62:63] op_sel:[0,1]
	v_mov_b32_e32 v65, v45
	v_fmac_f64_e32 v[12:13], v[8:9], v[14:15]
	;; [unrolled: 3-line block ×5, first 2 shown]
	v_pk_mov_b32 v[12:13], v[70:71], v[70:71] op_sel:[0,1]
	v_fmac_f64_e32 v[12:13], v[8:9], v[14:15]
	v_fma_f64 v[12:13], v[8:9], v[12:13], 0.5
	v_ldexp_f64 v[6:7], 1.0, v6
	v_mul_f64 v[12:13], v[8:9], v[12:13]
	v_fmac_f64_e32 v[8:9], v[8:9], v[12:13]
	v_add_f64 v[12:13], v[6:7], -1.0
	v_fmac_f64_e32 v[12:13], v[6:7], v[8:9]
	v_add_f64 v[6:7], v[12:13], v[12:13]
	s_mov_b32 s60, s42
	v_cndmask_b32_e64 v11, 0, v11, s[0:1]
	v_cndmask_b32_e32 v6, v12, v6, vcc
	v_cndmask_b32_e32 v7, v13, v7, vcc
	v_cmp_nlt_f64_e32 vcc, s[60:61], v[2:3]
	v_cmp_ngt_f64_e64 s[0:1], s[62:63], v[2:3]
	v_cndmask_b32_e32 v7, v130, v7, vcc
	s_and_b64 vcc, s[0:1], vcc
	v_cndmask_b32_e64 v3, v132, v7, s[0:1]
	v_cndmask_b32_e32 v2, 0, v6, vcc
	v_mul_f64 v[6:7], v[120:121], v[120:121]
	v_pk_mov_b32 v[16:17], s[64:65], s[64:65] op_sel:[0,1]
	v_mul_f64 v[8:9], v[6:7], 0.5
	v_fma_f64 v[72:73], s[66:67], v[6:7], v[16:17]
	v_add_f64 v[12:13], -v[8:9], 1.0
	v_fma_f64 v[72:73], v[6:7], v[72:73], s[68:69]
	v_fma_f64 v[72:73], v[6:7], v[72:73], s[58:59]
	v_add_f64 v[74:75], -v[12:13], 1.0
	v_fma_f64 v[72:73], v[6:7], v[72:73], s[70:71]
	v_add_f64 v[8:9], v[74:75], -v[8:9]
	v_mul_f64 v[14:15], v[6:7], v[6:7]
	v_fma_f64 v[72:73], v[6:7], v[72:73], s[50:51]
	v_fma_f64 v[8:9], v[120:121], -v[122:123], v[8:9]
	v_fmac_f64_e32 v[8:9], v[14:15], v[72:73]
	v_pk_mov_b32 v[14:15], s[72:73], s[72:73] op_sel:[0,1]
	v_fma_f64 v[72:73], s[74:75], v[6:7], v[14:15]
	v_fma_f64 v[72:73], v[6:7], v[72:73], s[76:77]
	;; [unrolled: 1-line block ×3, first 2 shown]
	v_add_f64 v[8:9], v[12:13], v[8:9]
	v_mul_f64 v[12:13], v[120:121], -v[6:7]
	v_fma_f64 v[72:73], v[6:7], v[72:73], s[48:49]
	v_mul_f64 v[74:75], v[122:123], 0.5
	v_fmac_f64_e32 v[74:75], v[12:13], v[72:73]
	v_fma_f64 v[6:7], v[6:7], v[74:75], -v[122:123]
	s_mov_b32 s80, s50
	v_and_b32_e32 v19, 1, v144
	v_fmac_f64_e32 v[6:7], s[80:81], v[12:13]
	v_add_f64 v[6:7], v[120:121], -v[6:7]
	v_cmp_eq_u32_e32 vcc, 0, v19
	v_xor_b32_e32 v7, 0x80000000, v7
	v_cndmask_b32_e32 v6, v6, v8, vcc
	v_lshlrev_b32_e32 v8, 30, v144
	v_cndmask_b32_e32 v7, v7, v9, vcc
	v_and_b32_e32 v8, 0x80000000, v8
	v_xor_b32_e32 v7, v7, v8
	v_mul_f64 v[8:9], v[108:109], v[108:109]
	v_fma_f64 v[72:73], s[74:75], v[8:9], v[14:15]
	v_fma_f64 v[72:73], v[8:9], v[72:73], s[76:77]
	;; [unrolled: 1-line block ×3, first 2 shown]
	v_mul_f64 v[12:13], v[108:109], -v[8:9]
	v_fma_f64 v[72:73], v[8:9], v[72:73], s[48:49]
	v_mul_f64 v[74:75], v[110:111], 0.5
	v_fmac_f64_e32 v[74:75], v[12:13], v[72:73]
	v_fma_f64 v[72:73], v[8:9], v[74:75], -v[110:111]
	v_fma_f64 v[78:79], s[66:67], v[8:9], v[16:17]
	v_fmac_f64_e32 v[72:73], s[80:81], v[12:13]
	v_fma_f64 v[78:79], v[8:9], v[78:79], s[68:69]
	v_add_f64 v[12:13], v[108:109], -v[72:73]
	v_mul_f64 v[72:73], v[8:9], 0.5
	v_fma_f64 v[78:79], v[8:9], v[78:79], s[58:59]
	v_add_f64 v[74:75], -v[72:73], 1.0
	v_fma_f64 v[78:79], v[8:9], v[78:79], s[70:71]
	v_mul_f64 v[76:77], v[8:9], v[8:9]
	v_fma_f64 v[8:9], v[8:9], v[78:79], s[50:51]
	v_add_f64 v[78:79], -v[74:75], 1.0
	v_add_f64 v[72:73], v[78:79], -v[72:73]
	v_fma_f64 v[72:73], v[108:109], -v[110:111], v[72:73]
	v_cmp_class_f64_e64 vcc, v[4:5], s94
	v_and_b32_e32 v4, 1, v141
	v_fmac_f64_e32 v[72:73], v[76:77], v[8:9]
	v_add_f64 v[8:9], v[74:75], v[72:73]
	v_cmp_eq_u32_e64 s[0:1], 0, v4
	v_cndmask_b32_e64 v4, v8, v12, s[0:1]
	v_cndmask_b32_e64 v8, v9, v13, s[0:1]
	v_lshlrev_b32_e32 v9, 30, v141
	v_xor_b32_e32 v9, v9, v99
	v_and_b32_e32 v9, 0x80000000, v9
	v_xor_b32_e32 v9, v8, v9
	v_cmp_class_f64_e64 s[0:1], v[98:99], s94
	v_cndmask_b32_e64 v8, 0, v4, s[0:1]
	v_cndmask_b32_e64 v9, v133, v9, s[0:1]
	v_add_f64 v[12:13], v[8:9], v[8:9]
	v_cndmask_b32_e32 v6, 0, v6, vcc
	v_cndmask_b32_e32 v7, v133, v7, vcc
	v_mul_f64 v[8:9], v[12:13], v[8:9]
	v_fma_f64 v[2:3], v[2:3], v[6:7], -v[8:9]
	v_mul_f64 v[6:7], v[124:125], v[124:125]
	v_mul_f64 v[8:9], v[6:7], 0.5
	v_fmac_f64_e32 v[16:17], s[66:67], v[6:7]
	v_add_f64 v[12:13], -v[8:9], 1.0
	v_fma_f64 v[16:17], v[6:7], v[16:17], s[68:69]
	v_add_f64 v[72:73], -v[12:13], 1.0
	v_fma_f64 v[16:17], v[6:7], v[16:17], s[58:59]
	v_add_f64 v[8:9], v[72:73], -v[8:9]
	v_fma_f64 v[16:17], v[6:7], v[16:17], s[70:71]
	v_mul_f64 v[72:73], v[6:7], v[6:7]
	v_fma_f64 v[16:17], v[6:7], v[16:17], s[50:51]
	v_fma_f64 v[8:9], v[124:125], -v[126:127], v[8:9]
	v_fmac_f64_e32 v[8:9], v[72:73], v[16:17]
	v_fmac_f64_e32 v[14:15], s[74:75], v[6:7]
	v_add_f64 v[8:9], v[12:13], v[8:9]
	v_fma_f64 v[12:13], v[6:7], v[14:15], s[76:77]
	v_fma_f64 v[12:13], v[6:7], v[12:13], s[78:79]
	;; [unrolled: 1-line block ×3, first 2 shown]
	v_mul_f64 v[14:15], v[124:125], -v[6:7]
	v_mul_f64 v[16:17], v[126:127], 0.5
	v_fmac_f64_e32 v[16:17], v[14:15], v[12:13]
	v_fma_f64 v[6:7], v[6:7], v[16:17], -v[126:127]
	v_fmac_f64_e32 v[6:7], s[80:81], v[14:15]
	v_and_b32_e32 v4, 1, v145
	v_add_f64 v[6:7], v[124:125], -v[6:7]
	v_cmp_eq_u32_e64 s[0:1], 0, v4
	v_cndmask_b32_e64 v4, v8, v6, s[0:1]
	v_cndmask_b32_e64 v6, v9, v7, s[0:1]
	v_lshlrev_b32_e32 v7, 30, v145
	v_xor_b32_e32 v5, v7, v5
	v_and_b32_e32 v5, 0x80000000, v5
	v_xor_b32_e32 v5, v6, v5
	v_cndmask_b32_e32 v4, 0, v4, vcc
	v_cndmask_b32_e32 v5, v133, v5, vcc
	v_mov_b32_e32 v7, s11
	v_add_co_u32_e32 v6, vcc, s10, v30
	v_mul_f64 v[4:5], v[10:11], v[4:5]
	v_addc_co_u32_e32 v7, vcc, v31, v7, vcc
	global_store_dwordx4 v[6:7], v[2:5], off offset:-8
	s_branch .LBB144_56
.LBB144_121:
	s_endpgm
	.section	.rodata,"a",@progbits
	.p2align	6, 0x0
	.amdhsa_kernel _ZN2at6native12_GLOBAL__N_125multi_tensor_apply_kernelINS1_18TensorListMetadataILi2EEENS1_14UnaryOpFunctorIN3c107complexIdEELi2ELi1ELi1EEEJNS0_5Expm1IS8_EEEEEvT_T0_DpT1_
		.amdhsa_group_segment_fixed_size 0
		.amdhsa_private_segment_fixed_size 0
		.amdhsa_kernarg_size 3408
		.amdhsa_user_sgpr_count 6
		.amdhsa_user_sgpr_private_segment_buffer 1
		.amdhsa_user_sgpr_dispatch_ptr 0
		.amdhsa_user_sgpr_queue_ptr 0
		.amdhsa_user_sgpr_kernarg_segment_ptr 1
		.amdhsa_user_sgpr_dispatch_id 0
		.amdhsa_user_sgpr_flat_scratch_init 0
		.amdhsa_user_sgpr_kernarg_preload_length 0
		.amdhsa_user_sgpr_kernarg_preload_offset 0
		.amdhsa_user_sgpr_private_segment_size 0
		.amdhsa_uses_dynamic_stack 0
		.amdhsa_system_sgpr_private_segment_wavefront_offset 0
		.amdhsa_system_sgpr_workgroup_id_x 1
		.amdhsa_system_sgpr_workgroup_id_y 0
		.amdhsa_system_sgpr_workgroup_id_z 0
		.amdhsa_system_sgpr_workgroup_info 0
		.amdhsa_system_vgpr_workitem_id 0
		.amdhsa_next_free_vgpr 165
		.amdhsa_next_free_sgpr 96
		.amdhsa_accum_offset 168
		.amdhsa_reserve_vcc 1
		.amdhsa_reserve_flat_scratch 0
		.amdhsa_float_round_mode_32 0
		.amdhsa_float_round_mode_16_64 0
		.amdhsa_float_denorm_mode_32 3
		.amdhsa_float_denorm_mode_16_64 3
		.amdhsa_dx10_clamp 1
		.amdhsa_ieee_mode 1
		.amdhsa_fp16_overflow 0
		.amdhsa_tg_split 0
		.amdhsa_exception_fp_ieee_invalid_op 0
		.amdhsa_exception_fp_denorm_src 0
		.amdhsa_exception_fp_ieee_div_zero 0
		.amdhsa_exception_fp_ieee_overflow 0
		.amdhsa_exception_fp_ieee_underflow 0
		.amdhsa_exception_fp_ieee_inexact 0
		.amdhsa_exception_int_div_zero 0
	.end_amdhsa_kernel
	.section	.text._ZN2at6native12_GLOBAL__N_125multi_tensor_apply_kernelINS1_18TensorListMetadataILi2EEENS1_14UnaryOpFunctorIN3c107complexIdEELi2ELi1ELi1EEEJNS0_5Expm1IS8_EEEEEvT_T0_DpT1_,"axG",@progbits,_ZN2at6native12_GLOBAL__N_125multi_tensor_apply_kernelINS1_18TensorListMetadataILi2EEENS1_14UnaryOpFunctorIN3c107complexIdEELi2ELi1ELi1EEEJNS0_5Expm1IS8_EEEEEvT_T0_DpT1_,comdat
.Lfunc_end144:
	.size	_ZN2at6native12_GLOBAL__N_125multi_tensor_apply_kernelINS1_18TensorListMetadataILi2EEENS1_14UnaryOpFunctorIN3c107complexIdEELi2ELi1ELi1EEEJNS0_5Expm1IS8_EEEEEvT_T0_DpT1_, .Lfunc_end144-_ZN2at6native12_GLOBAL__N_125multi_tensor_apply_kernelINS1_18TensorListMetadataILi2EEENS1_14UnaryOpFunctorIN3c107complexIdEELi2ELi1ELi1EEEJNS0_5Expm1IS8_EEEEEvT_T0_DpT1_
                                        ; -- End function
	.section	.AMDGPU.csdata,"",@progbits
; Kernel info:
; codeLenInByte = 30304
; NumSgprs: 100
; NumVgprs: 165
; NumAgprs: 0
; TotalNumVgprs: 165
; ScratchSize: 0
; MemoryBound: 1
; FloatMode: 240
; IeeeMode: 1
; LDSByteSize: 0 bytes/workgroup (compile time only)
; SGPRBlocks: 12
; VGPRBlocks: 20
; NumSGPRsForWavesPerEU: 100
; NumVGPRsForWavesPerEU: 165
; AccumOffset: 168
; Occupancy: 3
; WaveLimiterHint : 0
; COMPUTE_PGM_RSRC2:SCRATCH_EN: 0
; COMPUTE_PGM_RSRC2:USER_SGPR: 6
; COMPUTE_PGM_RSRC2:TRAP_HANDLER: 0
; COMPUTE_PGM_RSRC2:TGID_X_EN: 1
; COMPUTE_PGM_RSRC2:TGID_Y_EN: 0
; COMPUTE_PGM_RSRC2:TGID_Z_EN: 0
; COMPUTE_PGM_RSRC2:TIDIG_COMP_CNT: 0
; COMPUTE_PGM_RSRC3_GFX90A:ACCUM_OFFSET: 41
; COMPUTE_PGM_RSRC3_GFX90A:TG_SPLIT: 0
	.section	.text._ZN2at6native12_GLOBAL__N_125multi_tensor_apply_kernelINS1_18TensorListMetadataILi2EEENS1_14UnaryOpFunctorIN3c107complexIfEELi2ELi1ELi1EEEJNS0_5Expm1IS8_EEEEEvT_T0_DpT1_,"axG",@progbits,_ZN2at6native12_GLOBAL__N_125multi_tensor_apply_kernelINS1_18TensorListMetadataILi2EEENS1_14UnaryOpFunctorIN3c107complexIfEELi2ELi1ELi1EEEJNS0_5Expm1IS8_EEEEEvT_T0_DpT1_,comdat
	.globl	_ZN2at6native12_GLOBAL__N_125multi_tensor_apply_kernelINS1_18TensorListMetadataILi2EEENS1_14UnaryOpFunctorIN3c107complexIfEELi2ELi1ELi1EEEJNS0_5Expm1IS8_EEEEEvT_T0_DpT1_ ; -- Begin function _ZN2at6native12_GLOBAL__N_125multi_tensor_apply_kernelINS1_18TensorListMetadataILi2EEENS1_14UnaryOpFunctorIN3c107complexIfEELi2ELi1ELi1EEEJNS0_5Expm1IS8_EEEEEvT_T0_DpT1_
	.p2align	8
	.type	_ZN2at6native12_GLOBAL__N_125multi_tensor_apply_kernelINS1_18TensorListMetadataILi2EEENS1_14UnaryOpFunctorIN3c107complexIfEELi2ELi1ELi1EEEJNS0_5Expm1IS8_EEEEEvT_T0_DpT1_,@function
_ZN2at6native12_GLOBAL__N_125multi_tensor_apply_kernelINS1_18TensorListMetadataILi2EEENS1_14UnaryOpFunctorIN3c107complexIfEELi2ELi1ELi1EEEJNS0_5Expm1IS8_EEEEEvT_T0_DpT1_: ; @_ZN2at6native12_GLOBAL__N_125multi_tensor_apply_kernelINS1_18TensorListMetadataILi2EEENS1_14UnaryOpFunctorIN3c107complexIfEELi2ELi1ELi1EEEJNS0_5Expm1IS8_EEEEEvT_T0_DpT1_
; %bb.0:
	v_mov_b32_e32 v1, s6
	global_load_ubyte v1, v1, s[4:5] offset:1536
	s_add_u32 s0, s4, s6
	s_mul_hi_u32 s3, s6, 3
	s_mul_i32 s6, s6, 3
	s_addc_u32 s7, s5, 0
	s_add_u32 s2, s0, s6
	s_addc_u32 s3, s7, s3
	s_load_dword s2, s[2:3], 0x740
	s_mov_b32 s13, 0
	s_mov_b32 s1, s13
	;; [unrolled: 1-line block ×3, first 2 shown]
	s_waitcnt lgkmcnt(0)
	s_ashr_i32 s3, s2, 31
	s_lshl_b64 s[14:15], s[2:3], 19
	s_waitcnt vmcnt(0)
	v_readfirstlane_b32 s0, v1
	s_lshl_b32 s0, s0, 3
	s_load_dwordx2 s[8:9], s[4:5], s0 offset:0x0
	s_load_dwordx2 s[6:7], s[4:5], s0 offset:0x400
	;; [unrolled: 1-line block ×3, first 2 shown]
	s_waitcnt lgkmcnt(0)
	s_add_u32 s28, s8, s14
	s_addc_u32 s29, s9, s15
	s_add_u32 s30, s10, s14
	s_addc_u32 s31, s11, s15
	s_and_b32 s0, s28, 31
	s_and_b32 s16, s6, 3
	;; [unrolled: 1-line block ×3, first 2 shown]
	s_or_b64 s[0:1], s[0:1], s[16:17]
	s_lshl_b64 s[2:3], s[2:3], 16
	s_or_b64 s[0:1], s[12:13], s[0:1]
	s_sub_u32 s16, s6, s2
	s_subb_u32 s17, s7, s3
	s_cmp_eq_u64 s[0:1], 0
	s_mov_b64 s[0:1], -1
	s_cbranch_scc0 .LBB145_53
; %bb.1:
	v_mov_b32_e32 v11, 0
	v_lshlrev_b32_e32 v10, 2, v0
	v_cmp_gt_i64_e32 vcc, s[16:17], v[10:11]
	s_and_saveexec_b64 s[18:19], vcc
	s_cbranch_execz .LBB145_52
; %bb.2:
	s_load_dword s0, s[4:5], 0xc5c
	v_lshlrev_b32_e32 v12, 5, v0
	s_mov_b64 s[20:21], 0
	s_brev_b32 s34, 18
	s_mov_b32 s35, 0xfe5163ab
	s_waitcnt lgkmcnt(0)
	s_and_b32 s0, s0, 0xffff
	v_add_lshl_u32 v10, v0, s0, 2
	s_lshl_b32 s12, s0, 2
	s_lshl_b32 s33, s0, 5
	s_mov_b32 s36, 0x3c439041
	s_mov_b32 s37, 0xdb629599
	;; [unrolled: 1-line block ×13, first 2 shown]
	v_mov_b32_e32 v1, 0x3c0887f9
	v_mov_b32_e32 v13, 0x3d2aaa81
	;; [unrolled: 1-line block ×3, first 2 shown]
	s_mov_b32 s49, 0x42b17217
	s_mov_b32 s50, 0xc1880000
	s_movk_i32 s51, 0x1f8
	v_mov_b32_e32 v17, 0x3d2aabf7
	v_mov_b32_e32 v18, 0xbf000004
	;; [unrolled: 1-line block ×3, first 2 shown]
	s_mov_b64 s[22:23], 0xffff
	v_not_b32_e32 v20, 63
	v_not_b32_e32 v21, 31
	v_mov_b32_e32 v22, 0x7f800000
	v_mov_b32_e32 v23, 0x7f
	;; [unrolled: 1-line block ×3, first 2 shown]
	v_pk_mov_b32 v[14:15], v[10:11], v[10:11] op_sel:[0,1]
	s_branch .LBB145_4
.LBB145_3:                              ;   in Loop: Header=BB145_4 Depth=1
	s_or_b64 exec, exec, s[0:1]
	v_mul_f32_e32 v60, 0x3fb8aa3b, v2
	v_rndne_f32_e32 v61, v60
	v_sub_f32_e32 v62, v60, v61
	v_fma_f32 v60, v2, s45, -v60
	v_fmac_f32_e32 v60, 0x32a5705f, v2
	v_add_f32_e32 v60, v62, v60
	v_cvt_i32_f32_e32 v62, v61
	v_exp_f32_e32 v60, v60
	v_cmp_ngt_f32_e32 vcc, s46, v2
	v_mov_b32_e32 v63, v2
	v_fmac_f32_e32 v63, 0xbf317218, v61
	v_ldexp_f32 v60, v60, v62
	v_cndmask_b32_e32 v60, 0, v60, vcc
	v_cmp_nlt_f32_e32 vcc, s47, v2
	v_cndmask_b32_e32 v60, v22, v60, vcc
	v_cmp_eq_f32_e32 vcc, s48, v61
	v_fmac_f32_e32 v63, 0x3102e308, v61
	v_mov_b32_e32 v61, 0x3ab69700
	v_fmac_f32_e32 v61, 0x395133b1, v63
	v_fma_f32 v61, v63, v61, v1
	v_fma_f32 v61, v63, v61, v13
	v_fma_f32 v61, v63, v61, v16
	v_cndmask_b32_e32 v62, v62, v23, vcc
	v_fma_f32 v61, v63, v61, 0.5
	v_ldexp_f32 v62, 1.0, v62
	v_mul_f32_e32 v61, v63, v61
	v_fmac_f32_e32 v63, v63, v61
	v_add_f32_e32 v61, -1.0, v62
	v_fmac_f32_e32 v61, v62, v63
	v_add_f32_e32 v62, v61, v61
	v_cndmask_b32_e32 v61, v61, v62, vcc
	v_mul_f32_e32 v62, v53, v53
	v_mov_b32_e32 v63, 0xbab64f3b
	v_fmac_f32_e32 v63, 0x37d75334, v62
	v_mov_b32_e32 v64, 0x3c0881c4
	v_cmp_nlt_f32_e32 vcc, s49, v2
	v_fma_f32 v63, v62, v63, v17
	v_fmac_f32_e32 v64, 0xb94c1982, v62
	v_cndmask_b32_e32 v61, v22, v61, vcc
	v_cmp_ngt_f32_e32 vcc, s50, v2
	v_fma_f32 v63, v62, v63, v18
	v_fma_f32 v64, v62, v64, v19
	v_cndmask_b32_e32 v2, -1.0, v61, vcc
	v_lshlrev_b32_e32 v61, 30, v54
	v_and_b32_e32 v54, 1, v54
	v_fma_f32 v63, v62, v63, 1.0
	v_mul_f32_e32 v62, v62, v64
	v_fmac_f32_e32 v53, v53, v62
	v_cmp_eq_u32_e32 vcc, 0, v54
	v_lshlrev_b32_e32 v54, 30, v48
	v_and_b32_e32 v61, 0x80000000, v61
	v_cndmask_b32_e64 v53, -v53, v63, vcc
	v_xor_b32_e32 v44, v44, v43
	v_and_b32_e32 v54, 0x80000000, v54
	v_xor_b32_e32 v53, v61, v53
	v_xor_b32_e32 v44, v44, v54
	v_mul_f32_e32 v54, v46, v46
	v_mov_b32_e32 v61, 0x3c0881c4
	v_fmac_f32_e32 v61, 0xb94c1982, v54
	v_fma_f32 v61, v54, v61, v19
	v_mul_f32_e32 v61, v54, v61
	v_fmac_f32_e32 v46, v46, v61
	v_mov_b32_e32 v61, 0xbab64f3b
	v_fmac_f32_e32 v61, 0x37d75334, v54
	v_fma_f32 v61, v54, v61, v17
	v_and_b32_e32 v48, 1, v48
	v_fma_f32 v61, v54, v61, v18
	v_fma_f32 v54, v54, v61, 1.0
	v_cmp_eq_u32_e64 s[0:1], 0, v48
	v_cndmask_b32_e64 v46, v54, v46, s[0:1]
	v_xor_b32_e32 v44, v44, v46
	v_cmp_class_f32_e64 s[0:1], v43, s51
	v_cndmask_b32_e64 v43, v24, v44, s[0:1]
	v_cmp_class_f32_e64 vcc, v3, s51
	v_add_f32_e32 v44, v43, v43
	v_cndmask_b32_e32 v53, v24, v53, vcc
	v_mul_f32_e32 v43, v43, v44
	v_fma_f32 v2, v2, v53, -v43
	v_mul_f32_e32 v43, v56, v56
	v_mov_b32_e32 v44, 0x3c0881c4
	v_fmac_f32_e32 v44, 0xb94c1982, v43
	v_fma_f32 v44, v43, v44, v19
	v_mul_f32_e32 v44, v43, v44
	v_fmac_f32_e32 v56, v56, v44
	v_mov_b32_e32 v44, 0xbab64f3b
	v_fmac_f32_e32 v44, 0x37d75334, v43
	v_fma_f32 v44, v43, v44, v17
	v_fma_f32 v44, v43, v44, v18
	v_fma_f32 v43, v43, v44, 1.0
	v_and_b32_e32 v44, 1, v55
	v_cmp_eq_u32_e64 s[0:1], 0, v44
	v_lshlrev_b32_e32 v44, 30, v55
	v_and_b32_e32 v44, 0x80000000, v44
	v_xor_b32_e32 v3, v49, v3
	v_xor_b32_e32 v3, v3, v44
	v_mul_f32_e32 v44, 0x3fb8aa3b, v8
	v_rndne_f32_e32 v46, v44
	v_sub_f32_e32 v48, v44, v46
	v_fma_f32 v44, v8, s45, -v44
	v_fmac_f32_e32 v44, 0x32a5705f, v8
	v_add_f32_e32 v44, v48, v44
	v_exp_f32_e32 v44, v44
	v_cvt_i32_f32_e32 v48, v46
	v_cndmask_b32_e64 v43, v43, v56, s[0:1]
	v_xor_b32_e32 v3, v3, v43
	v_cndmask_b32_e32 v3, v24, v3, vcc
	v_ldexp_f32 v43, v44, v48
	v_cmp_ngt_f32_e32 vcc, s46, v8
	v_cndmask_b32_e32 v43, 0, v43, vcc
	v_cmp_nlt_f32_e32 vcc, s47, v8
	v_cndmask_b32_e32 v43, v22, v43, vcc
	v_cmp_eq_f32_e32 vcc, s48, v46
	v_cndmask_b32_e32 v44, v48, v23, vcc
	v_mov_b32_e32 v48, v8
	v_fmac_f32_e32 v48, 0xbf317218, v46
	v_fmac_f32_e32 v48, 0x3102e308, v46
	v_mov_b32_e32 v46, 0x3ab69700
	v_fmac_f32_e32 v46, 0x395133b1, v48
	v_fma_f32 v46, v48, v46, v1
	v_fma_f32 v46, v48, v46, v13
	;; [unrolled: 1-line block ×3, first 2 shown]
	v_fma_f32 v46, v48, v46, 0.5
	v_ldexp_f32 v44, 1.0, v44
	v_mul_f32_e32 v46, v48, v46
	v_fmac_f32_e32 v48, v48, v46
	v_add_f32_e32 v46, -1.0, v44
	v_fmac_f32_e32 v46, v44, v48
	v_add_f32_e32 v44, v46, v46
	v_cndmask_b32_e32 v44, v46, v44, vcc
	v_mul_f32_e32 v46, v39, v39
	v_mov_b32_e32 v48, 0xbab64f3b
	v_fmac_f32_e32 v48, 0x37d75334, v46
	v_mov_b32_e32 v49, 0x3c0881c4
	v_cmp_nlt_f32_e32 vcc, s49, v8
	v_fma_f32 v48, v46, v48, v17
	v_fmac_f32_e32 v49, 0xb94c1982, v46
	v_cndmask_b32_e32 v44, v22, v44, vcc
	v_cmp_ngt_f32_e32 vcc, s50, v8
	v_fma_f32 v48, v46, v48, v18
	v_fma_f32 v49, v46, v49, v19
	v_cndmask_b32_e32 v8, -1.0, v44, vcc
	v_lshlrev_b32_e32 v44, 30, v40
	v_and_b32_e32 v40, 1, v40
	v_fma_f32 v48, v46, v48, 1.0
	v_mul_f32_e32 v46, v46, v49
	v_fmac_f32_e32 v39, v39, v46
	v_cmp_eq_u32_e32 vcc, 0, v40
	v_lshlrev_b32_e32 v40, 30, v37
	v_and_b32_e32 v44, 0x80000000, v44
	v_cndmask_b32_e64 v39, -v39, v48, vcc
	v_xor_b32_e32 v35, v35, v34
	v_and_b32_e32 v40, 0x80000000, v40
	v_xor_b32_e32 v39, v44, v39
	v_xor_b32_e32 v35, v35, v40
	v_mul_f32_e32 v40, v36, v36
	v_mov_b32_e32 v44, 0x3c0881c4
	v_fmac_f32_e32 v44, 0xb94c1982, v40
	v_fma_f32 v44, v40, v44, v19
	v_mul_f32_e32 v44, v40, v44
	v_fmac_f32_e32 v36, v36, v44
	v_mov_b32_e32 v44, 0xbab64f3b
	v_fmac_f32_e32 v44, 0x37d75334, v40
	v_fma_f32 v44, v40, v44, v17
	v_and_b32_e32 v37, 1, v37
	v_fma_f32 v44, v40, v44, v18
	v_fma_f32 v40, v40, v44, 1.0
	v_cmp_eq_u32_e64 s[0:1], 0, v37
	v_cndmask_b32_e64 v36, v40, v36, s[0:1]
	v_xor_b32_e32 v35, v35, v36
	v_cmp_class_f32_e64 s[0:1], v34, s51
	v_cndmask_b32_e64 v34, v24, v35, s[0:1]
	v_cmp_class_f32_e64 vcc, v9, s51
	v_add_f32_e32 v35, v34, v34
	v_cndmask_b32_e32 v39, v24, v39, vcc
	v_mul_f32_e32 v34, v34, v35
	v_fma_f32 v8, v8, v39, -v34
	v_mul_f32_e32 v34, v42, v42
	v_mov_b32_e32 v35, 0x3c0881c4
	v_fmac_f32_e32 v35, 0xb94c1982, v34
	v_fma_f32 v35, v34, v35, v19
	v_mul_f32_e32 v35, v34, v35
	v_fmac_f32_e32 v42, v42, v35
	v_mov_b32_e32 v35, 0xbab64f3b
	v_fmac_f32_e32 v35, 0x37d75334, v34
	v_fma_f32 v35, v34, v35, v17
	v_fma_f32 v35, v34, v35, v18
	v_fma_f32 v34, v34, v35, 1.0
	v_and_b32_e32 v35, 1, v41
	v_cmp_eq_u32_e64 s[0:1], 0, v35
	v_lshlrev_b32_e32 v35, 30, v41
	v_and_b32_e32 v35, 0x80000000, v35
	v_xor_b32_e32 v9, v38, v9
	v_xor_b32_e32 v9, v9, v35
	v_mul_f32_e32 v35, 0x3fb8aa3b, v6
	v_rndne_f32_e32 v36, v35
	v_sub_f32_e32 v37, v35, v36
	v_fma_f32 v35, v6, s45, -v35
	v_fmac_f32_e32 v35, 0x32a5705f, v6
	v_add_f32_e32 v35, v37, v35
	v_exp_f32_e32 v35, v35
	v_cvt_i32_f32_e32 v37, v36
	v_cndmask_b32_e64 v34, v34, v42, s[0:1]
	v_xor_b32_e32 v9, v9, v34
	v_cndmask_b32_e32 v9, v24, v9, vcc
	v_ldexp_f32 v34, v35, v37
	v_cmp_ngt_f32_e32 vcc, s46, v6
	v_cndmask_b32_e32 v34, 0, v34, vcc
	v_cmp_nlt_f32_e32 vcc, s47, v6
	v_cndmask_b32_e32 v34, v22, v34, vcc
	v_cmp_eq_f32_e32 vcc, s48, v36
	v_cndmask_b32_e32 v35, v37, v23, vcc
	v_mov_b32_e32 v37, v6
	v_fmac_f32_e32 v37, 0xbf317218, v36
	v_fmac_f32_e32 v37, 0x3102e308, v36
	v_mov_b32_e32 v36, 0x3ab69700
	v_fmac_f32_e32 v36, 0x395133b1, v37
	v_fma_f32 v36, v37, v36, v1
	v_fma_f32 v36, v37, v36, v13
	;; [unrolled: 1-line block ×3, first 2 shown]
	v_fma_f32 v36, v37, v36, 0.5
	v_ldexp_f32 v35, 1.0, v35
	v_mul_f32_e32 v36, v37, v36
	v_fmac_f32_e32 v37, v37, v36
	v_add_f32_e32 v36, -1.0, v35
	v_fmac_f32_e32 v36, v35, v37
	v_add_f32_e32 v35, v36, v36
	v_cndmask_b32_e32 v35, v36, v35, vcc
	v_mul_f32_e32 v36, v30, v30
	v_mov_b32_e32 v37, 0xbab64f3b
	v_fmac_f32_e32 v37, 0x37d75334, v36
	v_mov_b32_e32 v38, 0x3c0881c4
	v_cmp_nlt_f32_e32 vcc, s49, v6
	v_fma_f32 v37, v36, v37, v17
	v_fmac_f32_e32 v38, 0xb94c1982, v36
	v_cndmask_b32_e32 v35, v22, v35, vcc
	v_cmp_ngt_f32_e32 vcc, s50, v6
	v_fma_f32 v37, v36, v37, v18
	v_fma_f32 v38, v36, v38, v19
	v_cndmask_b32_e32 v6, -1.0, v35, vcc
	v_lshlrev_b32_e32 v35, 30, v31
	v_and_b32_e32 v31, 1, v31
	v_fma_f32 v37, v36, v37, 1.0
	v_mul_f32_e32 v36, v36, v38
	v_fmac_f32_e32 v30, v30, v36
	v_cmp_eq_u32_e32 vcc, 0, v31
	v_lshlrev_b32_e32 v31, 30, v28
	v_and_b32_e32 v35, 0x80000000, v35
	v_cndmask_b32_e64 v30, -v30, v37, vcc
	v_xor_b32_e32 v26, v26, v25
	v_and_b32_e32 v31, 0x80000000, v31
	v_xor_b32_e32 v30, v35, v30
	v_xor_b32_e32 v26, v26, v31
	v_mul_f32_e32 v31, v27, v27
	v_mov_b32_e32 v35, 0x3c0881c4
	v_fmac_f32_e32 v35, 0xb94c1982, v31
	v_fma_f32 v35, v31, v35, v19
	v_mul_f32_e32 v35, v31, v35
	v_fmac_f32_e32 v27, v27, v35
	v_mov_b32_e32 v35, 0xbab64f3b
	v_fmac_f32_e32 v35, 0x37d75334, v31
	v_fma_f32 v35, v31, v35, v17
	v_and_b32_e32 v28, 1, v28
	v_fma_f32 v35, v31, v35, v18
	v_fma_f32 v31, v31, v35, 1.0
	v_cmp_eq_u32_e64 s[0:1], 0, v28
	v_cndmask_b32_e64 v27, v31, v27, s[0:1]
	v_xor_b32_e32 v26, v26, v27
	v_cmp_class_f32_e64 s[0:1], v25, s51
	v_cndmask_b32_e64 v25, v24, v26, s[0:1]
	v_cmp_class_f32_e64 vcc, v7, s51
	v_add_f32_e32 v26, v25, v25
	v_cndmask_b32_e32 v30, v24, v30, vcc
	v_mul_f32_e32 v25, v25, v26
	v_fma_f32 v6, v6, v30, -v25
	v_mul_f32_e32 v25, v33, v33
	v_mov_b32_e32 v26, 0x3c0881c4
	v_fmac_f32_e32 v26, 0xb94c1982, v25
	v_fma_f32 v26, v25, v26, v19
	v_mul_f32_e32 v26, v25, v26
	v_fmac_f32_e32 v33, v33, v26
	v_mov_b32_e32 v26, 0xbab64f3b
	v_fmac_f32_e32 v26, 0x37d75334, v25
	v_fma_f32 v26, v25, v26, v17
	v_fma_f32 v26, v25, v26, v18
	v_fma_f32 v25, v25, v26, 1.0
	v_and_b32_e32 v26, 1, v32
	v_cmp_eq_u32_e64 s[0:1], 0, v26
	v_lshlrev_b32_e32 v26, 30, v32
	v_and_b32_e32 v26, 0x80000000, v26
	v_xor_b32_e32 v7, v29, v7
	v_xor_b32_e32 v7, v7, v26
	v_mul_f32_e32 v26, 0x3fb8aa3b, v4
	v_rndne_f32_e32 v27, v26
	v_sub_f32_e32 v28, v26, v27
	v_fma_f32 v26, v4, s45, -v26
	v_fmac_f32_e32 v26, 0x32a5705f, v4
	v_add_f32_e32 v26, v28, v26
	v_exp_f32_e32 v26, v26
	v_cvt_i32_f32_e32 v28, v27
	v_cndmask_b32_e64 v25, v25, v33, s[0:1]
	v_xor_b32_e32 v7, v7, v25
	v_cndmask_b32_e32 v7, v24, v7, vcc
	v_ldexp_f32 v25, v26, v28
	v_cmp_ngt_f32_e32 vcc, s46, v4
	v_cndmask_b32_e32 v25, 0, v25, vcc
	v_cmp_nlt_f32_e32 vcc, s47, v4
	v_cndmask_b32_e32 v25, v22, v25, vcc
	v_cmp_eq_f32_e32 vcc, s48, v27
	v_cndmask_b32_e32 v26, v28, v23, vcc
	v_mov_b32_e32 v28, v4
	v_fmac_f32_e32 v28, 0xbf317218, v27
	v_fmac_f32_e32 v28, 0x3102e308, v27
	v_mov_b32_e32 v27, 0x3ab69700
	v_fmac_f32_e32 v27, 0x395133b1, v28
	v_fma_f32 v27, v28, v27, v1
	v_fma_f32 v27, v28, v27, v13
	;; [unrolled: 1-line block ×3, first 2 shown]
	v_fma_f32 v27, v28, v27, 0.5
	v_ldexp_f32 v26, 1.0, v26
	v_mul_f32_e32 v27, v28, v27
	v_fmac_f32_e32 v28, v28, v27
	v_add_f32_e32 v27, -1.0, v26
	v_fmac_f32_e32 v27, v26, v28
	v_mul_f32_e32 v28, v57, v57
	v_mov_b32_e32 v29, 0xbab64f3b
	v_fmac_f32_e32 v29, 0x37d75334, v28
	v_mov_b32_e32 v30, 0x3c0881c4
	v_add_f32_e32 v26, v27, v27
	v_fma_f32 v29, v28, v29, v17
	v_fmac_f32_e32 v30, 0xb94c1982, v28
	v_cndmask_b32_e32 v26, v27, v26, vcc
	v_cmp_nlt_f32_e32 vcc, s49, v4
	v_fma_f32 v29, v28, v29, v18
	v_fma_f32 v30, v28, v30, v19
	v_cndmask_b32_e32 v26, v22, v26, vcc
	v_cmp_ngt_f32_e32 vcc, s50, v4
	v_and_b32_e32 v27, 1, v58
	v_fma_f32 v29, v28, v29, 1.0
	v_mul_f32_e32 v28, v28, v30
	v_cndmask_b32_e32 v4, -1.0, v26, vcc
	v_fmac_f32_e32 v57, v57, v28
	v_cmp_eq_u32_e32 vcc, 0, v27
	v_cndmask_b32_e64 v27, -v57, v29, vcc
	v_mul_f32_e32 v29, v50, v50
	v_mov_b32_e32 v30, 0x3c0881c4
	v_fmac_f32_e32 v30, 0xb94c1982, v29
	v_fma_f32 v30, v29, v30, v19
	v_mul_f32_e32 v30, v29, v30
	v_lshlrev_b32_e32 v26, 30, v58
	v_fmac_f32_e32 v50, v50, v30
	v_mov_b32_e32 v30, 0xbab64f3b
	v_and_b32_e32 v26, 0x80000000, v26
	v_lshlrev_b32_e32 v28, 30, v51
	v_fmac_f32_e32 v30, 0x37d75334, v29
	v_xor_b32_e32 v26, v26, v27
	v_xor_b32_e32 v27, v47, v45
	v_and_b32_e32 v28, 0x80000000, v28
	v_fma_f32 v30, v29, v30, v17
	v_xor_b32_e32 v27, v27, v28
	v_and_b32_e32 v28, 1, v51
	v_fma_f32 v30, v29, v30, v18
	v_fma_f32 v29, v29, v30, 1.0
	v_cmp_eq_u32_e64 s[0:1], 0, v28
	v_cndmask_b32_e64 v28, v29, v50, s[0:1]
	v_xor_b32_e32 v27, v27, v28
	v_cmp_class_f32_e64 s[0:1], v45, s51
	v_cndmask_b32_e64 v27, v24, v27, s[0:1]
	v_cmp_class_f32_e64 vcc, v5, s51
	v_add_f32_e32 v28, v27, v27
	v_cndmask_b32_e32 v26, v24, v26, vcc
	v_mul_f32_e32 v27, v27, v28
	v_fma_f32 v4, v4, v26, -v27
	v_mul_f32_e32 v26, v59, v59
	v_mov_b32_e32 v27, 0x3c0881c4
	v_fmac_f32_e32 v27, 0xb94c1982, v26
	v_fma_f32 v27, v26, v27, v19
	v_mul_f32_e32 v27, v26, v27
	v_fmac_f32_e32 v59, v59, v27
	v_mov_b32_e32 v27, 0xbab64f3b
	v_fmac_f32_e32 v27, 0x37d75334, v26
	v_fma_f32 v27, v26, v27, v17
	v_fma_f32 v27, v26, v27, v18
	v_fma_f32 v26, v26, v27, 1.0
	v_and_b32_e32 v27, 1, v10
	v_lshlrev_b32_e32 v10, 30, v10
	v_cmp_eq_u32_e64 s[0:1], 0, v27
	v_and_b32_e32 v10, 0x80000000, v10
	v_xor_b32_e32 v5, v52, v5
	v_cndmask_b32_e64 v26, v26, v59, s[0:1]
	v_xor_b32_e32 v5, v5, v10
	v_xor_b32_e32 v5, v5, v26
	v_cndmask_b32_e32 v5, v24, v5, vcc
	v_mov_b32_e32 v10, s31
	v_add_co_u32_e32 v26, vcc, s30, v12
	v_addc_co_u32_e32 v27, vcc, 0, v10, vcc
	v_cmp_le_i64_e32 vcc, s[16:17], v[14:15]
	v_cmp_lt_u64_e64 s[0:1], s[22:23], v[14:15]
	s_or_b64 s[0:1], vcc, s[0:1]
	s_add_u32 s28, s28, s33
	s_addc_u32 s29, s29, 0
	s_add_u32 s30, s30, s33
	v_mul_f32_e32 v9, v43, v9
	v_mul_f32_e32 v7, v34, v7
	s_addc_u32 s31, s31, 0
	v_mul_f32_e32 v3, v60, v3
	v_mul_f32_e32 v5, v25, v5
	global_store_dwordx4 v[26:27], v[6:9], off
	global_store_dwordx4 v[26:27], v[2:5], off offset:16
	s_and_b64 s[0:1], exec, s[0:1]
	v_mov_b32_e32 v2, s13
	v_add_co_u32_e32 v14, vcc, s12, v14
	s_or_b64 s[20:21], s[0:1], s[20:21]
	v_addc_co_u32_e32 v15, vcc, v15, v2, vcc
	s_andn2_b64 exec, exec, s[20:21]
	s_cbranch_execz .LBB145_52
.LBB145_4:                              ; =>This Inner Loop Header: Depth=1
	v_mov_b32_e32 v2, s29
	v_add_co_u32_e32 v26, vcc, s28, v12
	v_addc_co_u32_e32 v27, vcc, 0, v2, vcc
	global_load_dwordx4 v[6:9], v[26:27], off
	global_load_dwordx4 v[2:5], v[26:27], off offset:16
                                        ; implicit-def: $vgpr28
                                        ; implicit-def: $vgpr27
	s_waitcnt vmcnt(1)
	v_mul_f32_e32 v25, 0.5, v7
	v_and_b32_e32 v26, 0x7fffffff, v25
	v_cmp_nlt_f32_e64 s[0:1], |v25|, s34
	s_and_saveexec_b64 s[2:3], s[0:1]
	s_xor_b64 s[24:25], exec, s[2:3]
	s_cbranch_execz .LBB145_6
; %bb.5:                                ;   in Loop: Header=BB145_4 Depth=1
	v_lshrrev_b32_e32 v10, 23, v26
	v_add_u32_e32 v10, 0xffffff88, v10
	v_cmp_lt_u32_e32 vcc, 63, v10
	v_cndmask_b32_e32 v27, 0, v20, vcc
	v_add_u32_e32 v10, v27, v10
	v_cmp_lt_u32_e64 s[0:1], 31, v10
	v_cndmask_b32_e64 v27, 0, v21, s[0:1]
	v_add_u32_e32 v10, v27, v10
	v_cmp_lt_u32_e64 s[2:3], 31, v10
	v_cndmask_b32_e64 v27, 0, v21, s[2:3]
	v_add_u32_e32 v27, v27, v10
	v_and_b32_e32 v10, 0x7fffff, v26
	v_or_b32_e32 v40, 0x800000, v10
	v_mad_u64_u32 v[28:29], s[6:7], v40, s35, 0
	v_mov_b32_e32 v10, v29
	v_mad_u64_u32 v[30:31], s[6:7], v40, s36, v[10:11]
	v_mov_b32_e32 v10, v31
	;; [unrolled: 2-line block ×6, first 2 shown]
	v_mad_u64_u32 v[40:41], s[6:7], v40, s41, v[10:11]
	v_cndmask_b32_e32 v29, v38, v34, vcc
	v_cndmask_b32_e32 v10, v40, v36, vcc
	v_cndmask_b32_e32 v33, v41, v38, vcc
	v_cndmask_b32_e64 v31, v10, v29, s[0:1]
	v_cndmask_b32_e64 v10, v33, v10, s[0:1]
	v_cndmask_b32_e32 v33, v36, v32, vcc
	v_cndmask_b32_e64 v29, v29, v33, s[0:1]
	v_sub_u32_e32 v35, 32, v27
	v_cmp_eq_u32_e64 s[6:7], 0, v27
	v_cndmask_b32_e32 v27, v34, v30, vcc
	v_cndmask_b32_e64 v10, v10, v31, s[2:3]
	v_cndmask_b32_e64 v31, v31, v29, s[2:3]
	v_cndmask_b32_e64 v30, v33, v27, s[0:1]
	v_alignbit_b32 v36, v10, v31, v35
	v_cndmask_b32_e64 v29, v29, v30, s[2:3]
	v_cndmask_b32_e64 v10, v36, v10, s[6:7]
	v_alignbit_b32 v33, v31, v29, v35
	v_cndmask_b32_e64 v31, v33, v31, s[6:7]
	v_bfe_u32 v36, v10, 29, 1
	v_cndmask_b32_e32 v28, v32, v28, vcc
	v_alignbit_b32 v33, v10, v31, 30
	v_sub_u32_e32 v37, 0, v36
	v_cndmask_b32_e64 v27, v27, v28, s[0:1]
	v_xor_b32_e32 v38, v33, v37
	v_cndmask_b32_e64 v27, v30, v27, s[2:3]
	v_alignbit_b32 v28, v29, v27, v35
	v_ffbh_u32_e32 v30, v38
	v_cndmask_b32_e64 v28, v28, v29, s[6:7]
	v_add_u32_e32 v30, 1, v30
	v_cmp_ne_u32_e32 vcc, v33, v37
	v_alignbit_b32 v29, v31, v28, 30
	v_cndmask_b32_e32 v30, 33, v30, vcc
	v_alignbit_b32 v27, v28, v27, 30
	v_xor_b32_e32 v29, v29, v37
	v_sub_u32_e32 v31, 32, v30
	v_xor_b32_e32 v27, v27, v37
	v_alignbit_b32 v32, v38, v29, v31
	v_alignbit_b32 v27, v29, v27, v31
	;; [unrolled: 1-line block ×3, first 2 shown]
	v_ffbh_u32_e32 v29, v28
	v_min_u32_e32 v29, 32, v29
	v_lshrrev_b32_e32 v34, 29, v10
	v_sub_u32_e32 v31, 31, v29
	v_alignbit_b32 v27, v28, v27, v31
	v_lshlrev_b32_e32 v28, 31, v34
	v_or_b32_e32 v31, 0x33800000, v28
	v_add_lshl_u32 v29, v29, v30, 23
	v_lshrrev_b32_e32 v27, 9, v27
	v_sub_u32_e32 v29, v31, v29
	v_or_b32_e32 v27, v29, v27
	v_alignbit_b32 v29, v30, v32, 9
	v_or_b32_e32 v28, v29, v28
	v_xor_b32_e32 v28, 1.0, v28
	v_mul_f32_e32 v29, 0x3fc90fda, v28
	v_fma_f32 v30, v28, s42, -v29
	v_fmac_f32_e32 v30, 0x33a22168, v28
	v_fmac_f32_e32 v30, 0x3fc90fda, v27
	v_lshrrev_b32_e32 v10, 30, v10
	v_add_f32_e32 v27, v29, v30
	v_add_u32_e32 v28, v36, v10
.LBB145_6:                              ;   in Loop: Header=BB145_4 Depth=1
	s_andn2_saveexec_b64 s[0:1], s[24:25]
; %bb.7:                                ;   in Loop: Header=BB145_4 Depth=1
	v_mul_f32_e64 v10, |v25|, s43
	v_rndne_f32_e32 v10, v10
	v_cvt_i32_f32_e32 v28, v10
	v_fma_f32 v27, v10, s44, |v25|
	v_fmac_f32_e32 v27, 0xb3a22168, v10
	v_fmac_f32_e32 v27, 0xa7c234c4, v10
; %bb.8:                                ;   in Loop: Header=BB145_4 Depth=1
	s_or_b64 exec, exec, s[0:1]
	v_and_b32_e32 v29, 0x7fffffff, v7
	v_cmp_nlt_f32_e64 s[24:25], |v7|, s34
                                        ; implicit-def: $vgpr31
                                        ; implicit-def: $vgpr30
	s_and_saveexec_b64 s[0:1], s[24:25]
	s_xor_b64 s[26:27], exec, s[0:1]
	s_cbranch_execz .LBB145_10
; %bb.9:                                ;   in Loop: Header=BB145_4 Depth=1
	v_lshrrev_b32_e32 v10, 23, v29
	v_add_u32_e32 v10, 0xffffff88, v10
	v_cmp_lt_u32_e32 vcc, 63, v10
	v_cndmask_b32_e32 v30, 0, v20, vcc
	v_add_u32_e32 v10, v30, v10
	v_cmp_lt_u32_e64 s[0:1], 31, v10
	v_cndmask_b32_e64 v30, 0, v21, s[0:1]
	v_add_u32_e32 v10, v30, v10
	v_cmp_lt_u32_e64 s[2:3], 31, v10
	v_cndmask_b32_e64 v30, 0, v21, s[2:3]
	v_add_u32_e32 v44, v30, v10
	v_and_b32_e32 v10, 0x7fffff, v29
	v_or_b32_e32 v42, 0x800000, v10
	v_mad_u64_u32 v[30:31], s[6:7], v42, s35, 0
	v_mov_b32_e32 v10, v31
	v_mad_u64_u32 v[32:33], s[6:7], v42, s36, v[10:11]
	v_mov_b32_e32 v10, v33
	;; [unrolled: 2-line block ×6, first 2 shown]
	v_mad_u64_u32 v[42:43], s[6:7], v42, s41, v[10:11]
	v_cndmask_b32_e32 v31, v40, v36, vcc
	v_cndmask_b32_e32 v10, v42, v38, vcc
	;; [unrolled: 1-line block ×3, first 2 shown]
	v_cndmask_b32_e64 v33, v10, v31, s[0:1]
	v_cndmask_b32_e64 v10, v35, v10, s[0:1]
	v_cndmask_b32_e32 v35, v38, v34, vcc
	v_cndmask_b32_e64 v31, v31, v35, s[0:1]
	v_cndmask_b32_e32 v32, v36, v32, vcc
	v_cndmask_b32_e64 v10, v10, v33, s[2:3]
	v_cndmask_b32_e64 v33, v33, v31, s[2:3]
	v_sub_u32_e32 v37, 32, v44
	v_cndmask_b32_e64 v35, v35, v32, s[0:1]
	v_alignbit_b32 v38, v10, v33, v37
	v_cmp_eq_u32_e64 s[6:7], 0, v44
	v_cndmask_b32_e64 v31, v31, v35, s[2:3]
	v_cndmask_b32_e32 v30, v34, v30, vcc
	v_cndmask_b32_e64 v10, v38, v10, s[6:7]
	v_alignbit_b32 v36, v33, v31, v37
	v_cndmask_b32_e64 v30, v32, v30, s[0:1]
	v_cndmask_b32_e64 v33, v36, v33, s[6:7]
	v_bfe_u32 v39, v10, 29, 1
	v_cndmask_b32_e64 v30, v35, v30, s[2:3]
	v_alignbit_b32 v36, v10, v33, 30
	v_sub_u32_e32 v40, 0, v39
	v_alignbit_b32 v32, v31, v30, v37
	v_xor_b32_e32 v41, v36, v40
	v_cndmask_b32_e64 v31, v32, v31, s[6:7]
	v_alignbit_b32 v32, v33, v31, 30
	v_ffbh_u32_e32 v33, v41
	v_add_u32_e32 v33, 1, v33
	v_cmp_ne_u32_e32 vcc, v36, v40
	v_cndmask_b32_e32 v33, 33, v33, vcc
	v_alignbit_b32 v30, v31, v30, 30
	v_xor_b32_e32 v32, v32, v40
	v_sub_u32_e32 v34, 32, v33
	v_xor_b32_e32 v30, v30, v40
	v_alignbit_b32 v35, v41, v32, v34
	v_alignbit_b32 v30, v32, v30, v34
	;; [unrolled: 1-line block ×3, first 2 shown]
	v_ffbh_u32_e32 v32, v31
	v_min_u32_e32 v32, 32, v32
	v_lshrrev_b32_e32 v38, 29, v10
	v_sub_u32_e32 v34, 31, v32
	v_alignbit_b32 v30, v31, v30, v34
	v_lshlrev_b32_e32 v31, 31, v38
	v_or_b32_e32 v34, 0x33800000, v31
	v_add_lshl_u32 v32, v32, v33, 23
	v_lshrrev_b32_e32 v30, 9, v30
	v_sub_u32_e32 v32, v34, v32
	v_or_b32_e32 v30, v32, v30
	v_alignbit_b32 v32, v33, v35, 9
	v_or_b32_e32 v31, v32, v31
	v_xor_b32_e32 v31, 1.0, v31
	v_mul_f32_e32 v32, 0x3fc90fda, v31
	v_fma_f32 v33, v31, s42, -v32
	v_fmac_f32_e32 v33, 0x33a22168, v31
	v_fmac_f32_e32 v33, 0x3fc90fda, v30
	v_lshrrev_b32_e32 v10, 30, v10
	v_add_f32_e32 v30, v32, v33
	v_add_u32_e32 v31, v39, v10
	s_andn2_saveexec_b64 s[0:1], s[26:27]
	s_branch .LBB145_11
.LBB145_10:                             ;   in Loop: Header=BB145_4 Depth=1
	s_andn2_saveexec_b64 s[0:1], s[26:27]
.LBB145_11:                             ;   in Loop: Header=BB145_4 Depth=1
	v_mul_f32_e64 v10, |v7|, s43
	v_rndne_f32_e32 v10, v10
	v_cvt_i32_f32_e32 v31, v10
	v_fma_f32 v30, v10, s44, |v7|
	v_fmac_f32_e32 v30, 0xb3a22168, v10
	v_fmac_f32_e32 v30, 0xa7c234c4, v10
; %bb.12:                               ;   in Loop: Header=BB145_4 Depth=1
	s_or_b64 exec, exec, s[0:1]
                                        ; implicit-def: $vgpr32
                                        ; implicit-def: $vgpr33
	s_and_saveexec_b64 s[0:1], s[24:25]
	s_xor_b64 s[24:25], exec, s[0:1]
	s_cbranch_execz .LBB145_14
; %bb.13:                               ;   in Loop: Header=BB145_4 Depth=1
	v_lshrrev_b32_e32 v10, 23, v29
	v_add_u32_e32 v10, 0xffffff88, v10
	v_cmp_lt_u32_e32 vcc, 63, v10
	v_cndmask_b32_e32 v32, 0, v20, vcc
	v_add_u32_e32 v10, v32, v10
	v_cmp_lt_u32_e64 s[0:1], 31, v10
	v_cndmask_b32_e64 v32, 0, v21, s[0:1]
	v_add_u32_e32 v10, v32, v10
	v_cmp_lt_u32_e64 s[2:3], 31, v10
	v_cndmask_b32_e64 v32, 0, v21, s[2:3]
	v_add_u32_e32 v46, v32, v10
	v_and_b32_e32 v10, 0x7fffff, v29
	v_or_b32_e32 v44, 0x800000, v10
	v_mad_u64_u32 v[32:33], s[6:7], v44, s35, 0
	v_mov_b32_e32 v10, v33
	v_mad_u64_u32 v[34:35], s[6:7], v44, s36, v[10:11]
	v_mov_b32_e32 v10, v35
	;; [unrolled: 2-line block ×6, first 2 shown]
	v_mad_u64_u32 v[44:45], s[6:7], v44, s41, v[10:11]
	v_cndmask_b32_e32 v33, v42, v38, vcc
	v_cndmask_b32_e32 v10, v44, v40, vcc
	;; [unrolled: 1-line block ×3, first 2 shown]
	v_cndmask_b32_e64 v35, v10, v33, s[0:1]
	v_cndmask_b32_e64 v10, v37, v10, s[0:1]
	v_cndmask_b32_e32 v37, v40, v36, vcc
	v_cndmask_b32_e64 v33, v33, v37, s[0:1]
	v_cndmask_b32_e32 v34, v38, v34, vcc
	v_cndmask_b32_e64 v10, v10, v35, s[2:3]
	v_cndmask_b32_e64 v35, v35, v33, s[2:3]
	v_sub_u32_e32 v39, 32, v46
	v_cndmask_b32_e64 v37, v37, v34, s[0:1]
	v_alignbit_b32 v40, v10, v35, v39
	v_cmp_eq_u32_e64 s[6:7], 0, v46
	v_cndmask_b32_e64 v33, v33, v37, s[2:3]
	v_cndmask_b32_e32 v32, v36, v32, vcc
	v_cndmask_b32_e64 v10, v40, v10, s[6:7]
	v_alignbit_b32 v38, v35, v33, v39
	v_cndmask_b32_e64 v32, v34, v32, s[0:1]
	v_cndmask_b32_e64 v35, v38, v35, s[6:7]
	v_bfe_u32 v41, v10, 29, 1
	v_cndmask_b32_e64 v32, v37, v32, s[2:3]
	v_alignbit_b32 v38, v10, v35, 30
	v_sub_u32_e32 v42, 0, v41
	v_alignbit_b32 v34, v33, v32, v39
	v_xor_b32_e32 v43, v38, v42
	v_cndmask_b32_e64 v33, v34, v33, s[6:7]
	v_alignbit_b32 v34, v35, v33, 30
	v_ffbh_u32_e32 v35, v43
	v_add_u32_e32 v35, 1, v35
	v_cmp_ne_u32_e32 vcc, v38, v42
	v_cndmask_b32_e32 v35, 33, v35, vcc
	v_alignbit_b32 v32, v33, v32, 30
	v_xor_b32_e32 v34, v34, v42
	v_sub_u32_e32 v36, 32, v35
	v_xor_b32_e32 v32, v32, v42
	v_alignbit_b32 v37, v43, v34, v36
	v_alignbit_b32 v32, v34, v32, v36
	;; [unrolled: 1-line block ×3, first 2 shown]
	v_ffbh_u32_e32 v34, v33
	v_min_u32_e32 v34, 32, v34
	v_lshrrev_b32_e32 v40, 29, v10
	v_sub_u32_e32 v36, 31, v34
	v_alignbit_b32 v32, v33, v32, v36
	v_lshlrev_b32_e32 v33, 31, v40
	v_or_b32_e32 v36, 0x33800000, v33
	v_add_lshl_u32 v34, v34, v35, 23
	v_lshrrev_b32_e32 v32, 9, v32
	v_sub_u32_e32 v34, v36, v34
	v_or_b32_e32 v32, v34, v32
	v_alignbit_b32 v34, v35, v37, 9
	v_or_b32_e32 v33, v34, v33
	v_xor_b32_e32 v33, 1.0, v33
	v_mul_f32_e32 v34, 0x3fc90fda, v33
	v_fma_f32 v35, v33, s42, -v34
	v_fmac_f32_e32 v35, 0x33a22168, v33
	v_fmac_f32_e32 v35, 0x3fc90fda, v32
	v_lshrrev_b32_e32 v10, 30, v10
	v_add_f32_e32 v33, v34, v35
	v_add_u32_e32 v32, v41, v10
	s_andn2_saveexec_b64 s[0:1], s[24:25]
	s_cbranch_execnz .LBB145_15
	s_branch .LBB145_16
.LBB145_14:                             ;   in Loop: Header=BB145_4 Depth=1
	s_andn2_saveexec_b64 s[0:1], s[24:25]
.LBB145_15:                             ;   in Loop: Header=BB145_4 Depth=1
	v_mul_f32_e64 v10, |v7|, s43
	v_rndne_f32_e32 v10, v10
	v_cvt_i32_f32_e32 v32, v10
	v_fma_f32 v33, v10, s44, |v7|
	v_fmac_f32_e32 v33, 0xb3a22168, v10
	v_fmac_f32_e32 v33, 0xa7c234c4, v10
.LBB145_16:                             ;   in Loop: Header=BB145_4 Depth=1
	s_or_b64 exec, exec, s[0:1]
	v_mul_f32_e32 v34, 0.5, v9
	v_and_b32_e32 v35, 0x7fffffff, v34
	v_cmp_nlt_f32_e64 s[0:1], |v34|, s34
                                        ; implicit-def: $vgpr37
                                        ; implicit-def: $vgpr36
	s_and_saveexec_b64 s[2:3], s[0:1]
	s_xor_b64 s[24:25], exec, s[2:3]
	s_cbranch_execz .LBB145_18
; %bb.17:                               ;   in Loop: Header=BB145_4 Depth=1
	v_lshrrev_b32_e32 v10, 23, v35
	v_add_u32_e32 v10, 0xffffff88, v10
	v_cmp_lt_u32_e32 vcc, 63, v10
	v_cndmask_b32_e32 v36, 0, v20, vcc
	v_add_u32_e32 v10, v36, v10
	v_cmp_lt_u32_e64 s[0:1], 31, v10
	v_cndmask_b32_e64 v36, 0, v21, s[0:1]
	v_add_u32_e32 v10, v36, v10
	v_cmp_lt_u32_e64 s[2:3], 31, v10
	v_cndmask_b32_e64 v36, 0, v21, s[2:3]
	v_add_u32_e32 v50, v36, v10
	v_and_b32_e32 v10, 0x7fffff, v35
	v_or_b32_e32 v48, 0x800000, v10
	v_mad_u64_u32 v[36:37], s[6:7], v48, s35, 0
	v_mov_b32_e32 v10, v37
	v_mad_u64_u32 v[38:39], s[6:7], v48, s36, v[10:11]
	v_mov_b32_e32 v10, v39
	;; [unrolled: 2-line block ×6, first 2 shown]
	v_mad_u64_u32 v[48:49], s[6:7], v48, s41, v[10:11]
	v_cndmask_b32_e32 v37, v46, v42, vcc
	v_cndmask_b32_e32 v10, v48, v44, vcc
	;; [unrolled: 1-line block ×3, first 2 shown]
	v_cndmask_b32_e64 v39, v10, v37, s[0:1]
	v_cndmask_b32_e64 v10, v41, v10, s[0:1]
	v_cndmask_b32_e32 v41, v44, v40, vcc
	v_cndmask_b32_e64 v37, v37, v41, s[0:1]
	v_cndmask_b32_e32 v38, v42, v38, vcc
	v_cndmask_b32_e64 v10, v10, v39, s[2:3]
	v_cndmask_b32_e64 v39, v39, v37, s[2:3]
	v_sub_u32_e32 v43, 32, v50
	v_cndmask_b32_e64 v41, v41, v38, s[0:1]
	v_alignbit_b32 v44, v10, v39, v43
	v_cmp_eq_u32_e64 s[6:7], 0, v50
	v_cndmask_b32_e64 v37, v37, v41, s[2:3]
	v_cndmask_b32_e32 v36, v40, v36, vcc
	v_cndmask_b32_e64 v10, v44, v10, s[6:7]
	v_alignbit_b32 v42, v39, v37, v43
	v_cndmask_b32_e64 v36, v38, v36, s[0:1]
	v_cndmask_b32_e64 v39, v42, v39, s[6:7]
	v_bfe_u32 v45, v10, 29, 1
	v_cndmask_b32_e64 v36, v41, v36, s[2:3]
	v_alignbit_b32 v42, v10, v39, 30
	v_sub_u32_e32 v46, 0, v45
	v_alignbit_b32 v38, v37, v36, v43
	v_xor_b32_e32 v47, v42, v46
	v_cndmask_b32_e64 v37, v38, v37, s[6:7]
	v_alignbit_b32 v38, v39, v37, 30
	v_ffbh_u32_e32 v39, v47
	v_add_u32_e32 v39, 1, v39
	v_cmp_ne_u32_e32 vcc, v42, v46
	v_cndmask_b32_e32 v39, 33, v39, vcc
	v_alignbit_b32 v36, v37, v36, 30
	v_xor_b32_e32 v38, v38, v46
	v_sub_u32_e32 v40, 32, v39
	v_xor_b32_e32 v36, v36, v46
	v_alignbit_b32 v41, v47, v38, v40
	v_alignbit_b32 v36, v38, v36, v40
	;; [unrolled: 1-line block ×3, first 2 shown]
	v_ffbh_u32_e32 v38, v37
	v_min_u32_e32 v38, 32, v38
	v_lshrrev_b32_e32 v44, 29, v10
	v_sub_u32_e32 v40, 31, v38
	v_alignbit_b32 v36, v37, v36, v40
	v_lshlrev_b32_e32 v37, 31, v44
	v_or_b32_e32 v40, 0x33800000, v37
	v_add_lshl_u32 v38, v38, v39, 23
	v_lshrrev_b32_e32 v36, 9, v36
	v_sub_u32_e32 v38, v40, v38
	v_or_b32_e32 v36, v38, v36
	v_alignbit_b32 v38, v39, v41, 9
	v_or_b32_e32 v37, v38, v37
	v_xor_b32_e32 v37, 1.0, v37
	v_mul_f32_e32 v38, 0x3fc90fda, v37
	v_fma_f32 v39, v37, s42, -v38
	v_fmac_f32_e32 v39, 0x33a22168, v37
	v_fmac_f32_e32 v39, 0x3fc90fda, v36
	v_lshrrev_b32_e32 v10, 30, v10
	v_add_f32_e32 v36, v38, v39
	v_add_u32_e32 v37, v45, v10
.LBB145_18:                             ;   in Loop: Header=BB145_4 Depth=1
	s_andn2_saveexec_b64 s[0:1], s[24:25]
; %bb.19:                               ;   in Loop: Header=BB145_4 Depth=1
	v_mul_f32_e64 v10, |v34|, s43
	v_rndne_f32_e32 v10, v10
	v_cvt_i32_f32_e32 v37, v10
	v_fma_f32 v36, v10, s44, |v34|
	v_fmac_f32_e32 v36, 0xb3a22168, v10
	v_fmac_f32_e32 v36, 0xa7c234c4, v10
; %bb.20:                               ;   in Loop: Header=BB145_4 Depth=1
	s_or_b64 exec, exec, s[0:1]
	v_and_b32_e32 v38, 0x7fffffff, v9
	v_cmp_nlt_f32_e64 s[24:25], |v9|, s34
                                        ; implicit-def: $vgpr40
                                        ; implicit-def: $vgpr39
	s_and_saveexec_b64 s[0:1], s[24:25]
	s_xor_b64 s[26:27], exec, s[0:1]
	s_cbranch_execz .LBB145_22
; %bb.21:                               ;   in Loop: Header=BB145_4 Depth=1
	v_lshrrev_b32_e32 v10, 23, v38
	v_add_u32_e32 v10, 0xffffff88, v10
	v_cmp_lt_u32_e32 vcc, 63, v10
	v_cndmask_b32_e32 v39, 0, v20, vcc
	v_add_u32_e32 v10, v39, v10
	v_cmp_lt_u32_e64 s[0:1], 31, v10
	v_cndmask_b32_e64 v39, 0, v21, s[0:1]
	v_add_u32_e32 v10, v39, v10
	v_cmp_lt_u32_e64 s[2:3], 31, v10
	v_cndmask_b32_e64 v39, 0, v21, s[2:3]
	v_add_u32_e32 v39, v39, v10
	v_and_b32_e32 v10, 0x7fffff, v38
	v_or_b32_e32 v52, 0x800000, v10
	v_mad_u64_u32 v[40:41], s[6:7], v52, s35, 0
	v_mov_b32_e32 v10, v41
	v_mad_u64_u32 v[42:43], s[6:7], v52, s36, v[10:11]
	v_mov_b32_e32 v10, v43
	;; [unrolled: 2-line block ×6, first 2 shown]
	v_mad_u64_u32 v[52:53], s[6:7], v52, s41, v[10:11]
	v_cndmask_b32_e32 v41, v50, v46, vcc
	v_cndmask_b32_e32 v10, v52, v48, vcc
	;; [unrolled: 1-line block ×3, first 2 shown]
	v_cndmask_b32_e64 v43, v10, v41, s[0:1]
	v_cndmask_b32_e64 v10, v45, v10, s[0:1]
	v_cndmask_b32_e32 v45, v48, v44, vcc
	v_cndmask_b32_e64 v41, v41, v45, s[0:1]
	v_sub_u32_e32 v47, 32, v39
	v_cmp_eq_u32_e64 s[6:7], 0, v39
	v_cndmask_b32_e32 v39, v46, v42, vcc
	v_cndmask_b32_e64 v10, v10, v43, s[2:3]
	v_cndmask_b32_e64 v43, v43, v41, s[2:3]
	;; [unrolled: 1-line block ×3, first 2 shown]
	v_alignbit_b32 v48, v10, v43, v47
	v_cndmask_b32_e64 v41, v41, v42, s[2:3]
	v_cndmask_b32_e64 v10, v48, v10, s[6:7]
	v_alignbit_b32 v45, v43, v41, v47
	v_cndmask_b32_e64 v43, v45, v43, s[6:7]
	v_bfe_u32 v48, v10, 29, 1
	v_cndmask_b32_e32 v40, v44, v40, vcc
	v_alignbit_b32 v45, v10, v43, 30
	v_sub_u32_e32 v49, 0, v48
	v_cndmask_b32_e64 v39, v39, v40, s[0:1]
	v_xor_b32_e32 v50, v45, v49
	v_cndmask_b32_e64 v39, v42, v39, s[2:3]
	v_alignbit_b32 v40, v41, v39, v47
	v_ffbh_u32_e32 v42, v50
	v_cndmask_b32_e64 v40, v40, v41, s[6:7]
	v_add_u32_e32 v42, 1, v42
	v_cmp_ne_u32_e32 vcc, v45, v49
	v_alignbit_b32 v41, v43, v40, 30
	v_cndmask_b32_e32 v42, 33, v42, vcc
	v_alignbit_b32 v39, v40, v39, 30
	v_xor_b32_e32 v41, v41, v49
	v_sub_u32_e32 v43, 32, v42
	v_xor_b32_e32 v39, v39, v49
	v_alignbit_b32 v44, v50, v41, v43
	v_alignbit_b32 v39, v41, v39, v43
	;; [unrolled: 1-line block ×3, first 2 shown]
	v_ffbh_u32_e32 v41, v40
	v_min_u32_e32 v41, 32, v41
	v_lshrrev_b32_e32 v46, 29, v10
	v_sub_u32_e32 v43, 31, v41
	v_alignbit_b32 v39, v40, v39, v43
	v_lshlrev_b32_e32 v40, 31, v46
	v_or_b32_e32 v43, 0x33800000, v40
	v_add_lshl_u32 v41, v41, v42, 23
	v_lshrrev_b32_e32 v39, 9, v39
	v_sub_u32_e32 v41, v43, v41
	v_or_b32_e32 v39, v41, v39
	v_alignbit_b32 v41, v42, v44, 9
	v_or_b32_e32 v40, v41, v40
	v_xor_b32_e32 v40, 1.0, v40
	v_mul_f32_e32 v41, 0x3fc90fda, v40
	v_fma_f32 v42, v40, s42, -v41
	v_fmac_f32_e32 v42, 0x33a22168, v40
	v_fmac_f32_e32 v42, 0x3fc90fda, v39
	v_lshrrev_b32_e32 v10, 30, v10
	v_add_f32_e32 v39, v41, v42
	v_add_u32_e32 v40, v48, v10
	s_andn2_saveexec_b64 s[0:1], s[26:27]
	s_branch .LBB145_23
.LBB145_22:                             ;   in Loop: Header=BB145_4 Depth=1
	s_andn2_saveexec_b64 s[0:1], s[26:27]
.LBB145_23:                             ;   in Loop: Header=BB145_4 Depth=1
	v_mul_f32_e64 v10, |v9|, s43
	v_rndne_f32_e32 v10, v10
	v_cvt_i32_f32_e32 v40, v10
	v_fma_f32 v39, v10, s44, |v9|
	v_fmac_f32_e32 v39, 0xb3a22168, v10
	v_fmac_f32_e32 v39, 0xa7c234c4, v10
; %bb.24:                               ;   in Loop: Header=BB145_4 Depth=1
	s_or_b64 exec, exec, s[0:1]
                                        ; implicit-def: $vgpr41
                                        ; implicit-def: $vgpr42
	s_and_saveexec_b64 s[0:1], s[24:25]
	s_xor_b64 s[24:25], exec, s[0:1]
	s_cbranch_execz .LBB145_26
; %bb.25:                               ;   in Loop: Header=BB145_4 Depth=1
	v_lshrrev_b32_e32 v10, 23, v38
	v_add_u32_e32 v10, 0xffffff88, v10
	v_cmp_lt_u32_e32 vcc, 63, v10
	v_cndmask_b32_e32 v41, 0, v20, vcc
	v_add_u32_e32 v10, v41, v10
	v_cmp_lt_u32_e64 s[0:1], 31, v10
	v_cndmask_b32_e64 v41, 0, v21, s[0:1]
	v_add_u32_e32 v10, v41, v10
	v_cmp_lt_u32_e64 s[2:3], 31, v10
	v_cndmask_b32_e64 v41, 0, v21, s[2:3]
	v_add_u32_e32 v41, v41, v10
	v_and_b32_e32 v10, 0x7fffff, v38
	v_or_b32_e32 v54, 0x800000, v10
	v_mad_u64_u32 v[42:43], s[6:7], v54, s35, 0
	v_mov_b32_e32 v10, v43
	v_mad_u64_u32 v[44:45], s[6:7], v54, s36, v[10:11]
	v_mov_b32_e32 v10, v45
	;; [unrolled: 2-line block ×6, first 2 shown]
	v_mad_u64_u32 v[54:55], s[6:7], v54, s41, v[10:11]
	v_cndmask_b32_e32 v43, v52, v48, vcc
	v_cndmask_b32_e32 v10, v54, v50, vcc
	;; [unrolled: 1-line block ×3, first 2 shown]
	v_cndmask_b32_e64 v45, v10, v43, s[0:1]
	v_cndmask_b32_e64 v10, v47, v10, s[0:1]
	v_cndmask_b32_e32 v47, v50, v46, vcc
	v_cndmask_b32_e64 v43, v43, v47, s[0:1]
	v_sub_u32_e32 v49, 32, v41
	v_cmp_eq_u32_e64 s[6:7], 0, v41
	v_cndmask_b32_e32 v41, v48, v44, vcc
	v_cndmask_b32_e64 v10, v10, v45, s[2:3]
	v_cndmask_b32_e64 v45, v45, v43, s[2:3]
	;; [unrolled: 1-line block ×3, first 2 shown]
	v_alignbit_b32 v50, v10, v45, v49
	v_cndmask_b32_e64 v43, v43, v44, s[2:3]
	v_cndmask_b32_e64 v10, v50, v10, s[6:7]
	v_alignbit_b32 v47, v45, v43, v49
	v_cndmask_b32_e64 v45, v47, v45, s[6:7]
	v_bfe_u32 v50, v10, 29, 1
	v_cndmask_b32_e32 v42, v46, v42, vcc
	v_alignbit_b32 v47, v10, v45, 30
	v_sub_u32_e32 v51, 0, v50
	v_cndmask_b32_e64 v41, v41, v42, s[0:1]
	v_xor_b32_e32 v52, v47, v51
	v_cndmask_b32_e64 v41, v44, v41, s[2:3]
	v_alignbit_b32 v42, v43, v41, v49
	v_ffbh_u32_e32 v44, v52
	v_cndmask_b32_e64 v42, v42, v43, s[6:7]
	v_add_u32_e32 v44, 1, v44
	v_cmp_ne_u32_e32 vcc, v47, v51
	v_alignbit_b32 v43, v45, v42, 30
	v_cndmask_b32_e32 v44, 33, v44, vcc
	v_alignbit_b32 v41, v42, v41, 30
	v_xor_b32_e32 v43, v43, v51
	v_sub_u32_e32 v45, 32, v44
	v_xor_b32_e32 v41, v41, v51
	v_alignbit_b32 v46, v52, v43, v45
	v_alignbit_b32 v41, v43, v41, v45
	;; [unrolled: 1-line block ×3, first 2 shown]
	v_ffbh_u32_e32 v43, v42
	v_min_u32_e32 v43, 32, v43
	v_lshrrev_b32_e32 v48, 29, v10
	v_sub_u32_e32 v45, 31, v43
	v_alignbit_b32 v41, v42, v41, v45
	v_lshlrev_b32_e32 v42, 31, v48
	v_or_b32_e32 v45, 0x33800000, v42
	v_add_lshl_u32 v43, v43, v44, 23
	v_lshrrev_b32_e32 v41, 9, v41
	v_sub_u32_e32 v43, v45, v43
	v_or_b32_e32 v41, v43, v41
	v_alignbit_b32 v43, v44, v46, 9
	v_or_b32_e32 v42, v43, v42
	v_xor_b32_e32 v42, 1.0, v42
	v_mul_f32_e32 v43, 0x3fc90fda, v42
	v_fma_f32 v44, v42, s42, -v43
	v_fmac_f32_e32 v44, 0x33a22168, v42
	v_fmac_f32_e32 v44, 0x3fc90fda, v41
	v_lshrrev_b32_e32 v10, 30, v10
	v_add_f32_e32 v42, v43, v44
	v_add_u32_e32 v41, v50, v10
	s_andn2_saveexec_b64 s[0:1], s[24:25]
	s_cbranch_execnz .LBB145_27
	s_branch .LBB145_28
.LBB145_26:                             ;   in Loop: Header=BB145_4 Depth=1
	s_andn2_saveexec_b64 s[0:1], s[24:25]
.LBB145_27:                             ;   in Loop: Header=BB145_4 Depth=1
	v_mul_f32_e64 v10, |v9|, s43
	v_rndne_f32_e32 v10, v10
	v_cvt_i32_f32_e32 v41, v10
	v_fma_f32 v42, v10, s44, |v9|
	v_fmac_f32_e32 v42, 0xb3a22168, v10
	v_fmac_f32_e32 v42, 0xa7c234c4, v10
.LBB145_28:                             ;   in Loop: Header=BB145_4 Depth=1
	s_or_b64 exec, exec, s[0:1]
	s_waitcnt vmcnt(0)
	v_mul_f32_e32 v43, 0.5, v3
	v_and_b32_e32 v44, 0x7fffffff, v43
	v_cmp_nlt_f32_e64 s[0:1], |v43|, s34
                                        ; implicit-def: $vgpr48
                                        ; implicit-def: $vgpr46
	s_and_saveexec_b64 s[2:3], s[0:1]
	s_xor_b64 s[24:25], exec, s[2:3]
	s_cbranch_execz .LBB145_30
; %bb.29:                               ;   in Loop: Header=BB145_4 Depth=1
	v_lshrrev_b32_e32 v10, 23, v44
	v_add_u32_e32 v10, 0xffffff88, v10
	v_cmp_lt_u32_e32 vcc, 63, v10
	v_cndmask_b32_e32 v45, 0, v20, vcc
	v_add_u32_e32 v10, v45, v10
	v_cmp_lt_u32_e64 s[0:1], 31, v10
	v_cndmask_b32_e64 v45, 0, v21, s[0:1]
	v_add_u32_e32 v10, v45, v10
	v_cmp_lt_u32_e64 s[2:3], 31, v10
	v_cndmask_b32_e64 v45, 0, v21, s[2:3]
	v_add_u32_e32 v45, v45, v10
	v_and_b32_e32 v10, 0x7fffff, v44
	v_or_b32_e32 v58, 0x800000, v10
	v_mad_u64_u32 v[46:47], s[6:7], v58, s35, 0
	v_mov_b32_e32 v10, v47
	v_mad_u64_u32 v[48:49], s[6:7], v58, s36, v[10:11]
	v_mov_b32_e32 v10, v49
	;; [unrolled: 2-line block ×6, first 2 shown]
	v_mad_u64_u32 v[58:59], s[6:7], v58, s41, v[10:11]
	v_cndmask_b32_e32 v47, v56, v52, vcc
	v_cndmask_b32_e32 v10, v58, v54, vcc
	;; [unrolled: 1-line block ×3, first 2 shown]
	v_cndmask_b32_e64 v49, v10, v47, s[0:1]
	v_cndmask_b32_e64 v10, v51, v10, s[0:1]
	v_cndmask_b32_e32 v51, v54, v50, vcc
	v_cndmask_b32_e64 v47, v47, v51, s[0:1]
	v_sub_u32_e32 v53, 32, v45
	v_cmp_eq_u32_e64 s[6:7], 0, v45
	v_cndmask_b32_e32 v45, v52, v48, vcc
	v_cndmask_b32_e64 v10, v10, v49, s[2:3]
	v_cndmask_b32_e64 v49, v49, v47, s[2:3]
	;; [unrolled: 1-line block ×3, first 2 shown]
	v_alignbit_b32 v54, v10, v49, v53
	v_cndmask_b32_e64 v47, v47, v48, s[2:3]
	v_cndmask_b32_e64 v10, v54, v10, s[6:7]
	v_alignbit_b32 v51, v49, v47, v53
	v_cndmask_b32_e64 v49, v51, v49, s[6:7]
	v_bfe_u32 v54, v10, 29, 1
	v_cndmask_b32_e32 v46, v50, v46, vcc
	v_alignbit_b32 v51, v10, v49, 30
	v_sub_u32_e32 v55, 0, v54
	v_cndmask_b32_e64 v45, v45, v46, s[0:1]
	v_xor_b32_e32 v56, v51, v55
	v_cndmask_b32_e64 v45, v48, v45, s[2:3]
	v_alignbit_b32 v46, v47, v45, v53
	v_ffbh_u32_e32 v48, v56
	v_cndmask_b32_e64 v46, v46, v47, s[6:7]
	v_add_u32_e32 v48, 1, v48
	v_cmp_ne_u32_e32 vcc, v51, v55
	v_alignbit_b32 v47, v49, v46, 30
	v_cndmask_b32_e32 v48, 33, v48, vcc
	v_alignbit_b32 v45, v46, v45, 30
	v_xor_b32_e32 v47, v47, v55
	v_sub_u32_e32 v49, 32, v48
	v_xor_b32_e32 v45, v45, v55
	v_alignbit_b32 v50, v56, v47, v49
	v_alignbit_b32 v45, v47, v45, v49
	;; [unrolled: 1-line block ×3, first 2 shown]
	v_ffbh_u32_e32 v47, v46
	v_min_u32_e32 v47, 32, v47
	v_lshrrev_b32_e32 v52, 29, v10
	v_sub_u32_e32 v49, 31, v47
	v_alignbit_b32 v45, v46, v45, v49
	v_lshlrev_b32_e32 v46, 31, v52
	v_or_b32_e32 v49, 0x33800000, v46
	v_add_lshl_u32 v47, v47, v48, 23
	v_lshrrev_b32_e32 v45, 9, v45
	v_sub_u32_e32 v47, v49, v47
	v_or_b32_e32 v45, v47, v45
	v_alignbit_b32 v47, v48, v50, 9
	v_or_b32_e32 v46, v47, v46
	v_xor_b32_e32 v46, 1.0, v46
	v_mul_f32_e32 v47, 0x3fc90fda, v46
	v_fma_f32 v48, v46, s42, -v47
	v_fmac_f32_e32 v48, 0x33a22168, v46
	v_fmac_f32_e32 v48, 0x3fc90fda, v45
	v_lshrrev_b32_e32 v10, 30, v10
	v_add_f32_e32 v46, v47, v48
	v_add_u32_e32 v48, v54, v10
.LBB145_30:                             ;   in Loop: Header=BB145_4 Depth=1
	s_andn2_saveexec_b64 s[0:1], s[24:25]
; %bb.31:                               ;   in Loop: Header=BB145_4 Depth=1
	v_mul_f32_e64 v10, |v43|, s43
	v_rndne_f32_e32 v10, v10
	v_cvt_i32_f32_e32 v48, v10
	v_fma_f32 v46, v10, s44, |v43|
	v_fmac_f32_e32 v46, 0xb3a22168, v10
	v_fmac_f32_e32 v46, 0xa7c234c4, v10
; %bb.32:                               ;   in Loop: Header=BB145_4 Depth=1
	s_or_b64 exec, exec, s[0:1]
	v_and_b32_e32 v49, 0x7fffffff, v3
	v_cmp_nlt_f32_e64 s[24:25], |v3|, s34
                                        ; implicit-def: $vgpr54
                                        ; implicit-def: $vgpr53
	s_and_saveexec_b64 s[0:1], s[24:25]
	s_xor_b64 s[26:27], exec, s[0:1]
	s_cbranch_execz .LBB145_34
; %bb.33:                               ;   in Loop: Header=BB145_4 Depth=1
	v_lshrrev_b32_e32 v10, 23, v49
	v_add_u32_e32 v10, 0xffffff88, v10
	v_cmp_lt_u32_e32 vcc, 63, v10
	v_cndmask_b32_e32 v45, 0, v20, vcc
	v_add_u32_e32 v10, v45, v10
	v_cmp_lt_u32_e64 s[0:1], 31, v10
	v_cndmask_b32_e64 v45, 0, v21, s[0:1]
	v_add_u32_e32 v10, v45, v10
	v_cmp_lt_u32_e64 s[2:3], 31, v10
	v_cndmask_b32_e64 v45, 0, v21, s[2:3]
	v_add_u32_e32 v45, v45, v10
	v_and_b32_e32 v10, 0x7fffff, v49
	v_or_b32_e32 v47, 0x800000, v10
	v_mad_u64_u32 v[50:51], s[6:7], v47, s35, 0
	v_mov_b32_e32 v10, v51
	v_mad_u64_u32 v[52:53], s[6:7], v47, s36, v[10:11]
	v_mov_b32_e32 v10, v53
	;; [unrolled: 2-line block ×6, first 2 shown]
	v_mad_u64_u32 v[62:63], s[6:7], v47, s41, v[10:11]
	v_cndmask_b32_e32 v51, v60, v56, vcc
	v_cndmask_b32_e32 v10, v62, v58, vcc
	;; [unrolled: 1-line block ×3, first 2 shown]
	v_cndmask_b32_e64 v47, v10, v51, s[0:1]
	v_cndmask_b32_e64 v10, v53, v10, s[0:1]
	v_cndmask_b32_e32 v53, v58, v54, vcc
	v_cndmask_b32_e64 v51, v51, v53, s[0:1]
	v_sub_u32_e32 v55, 32, v45
	v_cmp_eq_u32_e64 s[6:7], 0, v45
	v_cndmask_b32_e32 v45, v56, v52, vcc
	v_cndmask_b32_e64 v10, v10, v47, s[2:3]
	v_cndmask_b32_e64 v47, v47, v51, s[2:3]
	;; [unrolled: 1-line block ×3, first 2 shown]
	v_alignbit_b32 v57, v10, v47, v55
	v_cndmask_b32_e64 v51, v51, v52, s[2:3]
	v_cndmask_b32_e64 v10, v57, v10, s[6:7]
	v_alignbit_b32 v53, v47, v51, v55
	v_cndmask_b32_e32 v50, v54, v50, vcc
	v_cndmask_b32_e64 v47, v53, v47, s[6:7]
	v_bfe_u32 v57, v10, 29, 1
	v_cndmask_b32_e64 v45, v45, v50, s[0:1]
	v_alignbit_b32 v53, v10, v47, 30
	v_sub_u32_e32 v58, 0, v57
	v_cndmask_b32_e64 v45, v52, v45, s[2:3]
	v_xor_b32_e32 v59, v53, v58
	v_alignbit_b32 v50, v51, v45, v55
	v_cndmask_b32_e64 v50, v50, v51, s[6:7]
	v_ffbh_u32_e32 v51, v59
	v_add_u32_e32 v51, 1, v51
	v_cmp_ne_u32_e32 vcc, v53, v58
	v_alignbit_b32 v47, v47, v50, 30
	v_cndmask_b32_e32 v51, 33, v51, vcc
	v_alignbit_b32 v45, v50, v45, 30
	v_xor_b32_e32 v47, v47, v58
	v_sub_u32_e32 v52, 32, v51
	v_xor_b32_e32 v45, v45, v58
	v_alignbit_b32 v53, v59, v47, v52
	v_alignbit_b32 v45, v47, v45, v52
	;; [unrolled: 1-line block ×3, first 2 shown]
	v_ffbh_u32_e32 v50, v47
	v_min_u32_e32 v50, 32, v50
	v_lshrrev_b32_e32 v56, 29, v10
	v_sub_u32_e32 v52, 31, v50
	v_alignbit_b32 v45, v47, v45, v52
	v_lshlrev_b32_e32 v47, 31, v56
	v_or_b32_e32 v52, 0x33800000, v47
	v_add_lshl_u32 v50, v50, v51, 23
	v_lshrrev_b32_e32 v45, 9, v45
	v_sub_u32_e32 v50, v52, v50
	v_or_b32_e32 v45, v50, v45
	v_alignbit_b32 v50, v51, v53, 9
	v_or_b32_e32 v47, v50, v47
	v_xor_b32_e32 v47, 1.0, v47
	v_mul_f32_e32 v50, 0x3fc90fda, v47
	v_fma_f32 v51, v47, s42, -v50
	v_fmac_f32_e32 v51, 0x33a22168, v47
	v_fmac_f32_e32 v51, 0x3fc90fda, v45
	v_lshrrev_b32_e32 v10, 30, v10
	v_add_f32_e32 v53, v50, v51
	v_add_u32_e32 v54, v57, v10
	s_andn2_saveexec_b64 s[0:1], s[26:27]
	s_branch .LBB145_35
.LBB145_34:                             ;   in Loop: Header=BB145_4 Depth=1
	s_andn2_saveexec_b64 s[0:1], s[26:27]
.LBB145_35:                             ;   in Loop: Header=BB145_4 Depth=1
	v_mul_f32_e64 v10, |v3|, s43
	v_rndne_f32_e32 v10, v10
	v_cvt_i32_f32_e32 v54, v10
	v_fma_f32 v53, v10, s44, |v3|
	v_fmac_f32_e32 v53, 0xb3a22168, v10
	v_fmac_f32_e32 v53, 0xa7c234c4, v10
; %bb.36:                               ;   in Loop: Header=BB145_4 Depth=1
	s_or_b64 exec, exec, s[0:1]
                                        ; implicit-def: $vgpr55
                                        ; implicit-def: $vgpr56
	s_and_saveexec_b64 s[0:1], s[24:25]
	s_xor_b64 s[24:25], exec, s[0:1]
	s_cbranch_execz .LBB145_38
; %bb.37:                               ;   in Loop: Header=BB145_4 Depth=1
	v_lshrrev_b32_e32 v10, 23, v49
	v_add_u32_e32 v10, 0xffffff88, v10
	v_cmp_lt_u32_e32 vcc, 63, v10
	v_cndmask_b32_e32 v45, 0, v20, vcc
	v_add_u32_e32 v10, v45, v10
	v_cmp_lt_u32_e64 s[0:1], 31, v10
	v_cndmask_b32_e64 v45, 0, v21, s[0:1]
	v_add_u32_e32 v10, v45, v10
	v_cmp_lt_u32_e64 s[2:3], 31, v10
	v_cndmask_b32_e64 v45, 0, v21, s[2:3]
	v_add_u32_e32 v45, v45, v10
	v_and_b32_e32 v10, 0x7fffff, v49
	v_or_b32_e32 v47, 0x800000, v10
	v_mad_u64_u32 v[50:51], s[6:7], v47, s35, 0
	v_mov_b32_e32 v10, v51
	v_mad_u64_u32 v[56:57], s[6:7], v47, s36, v[10:11]
	v_mov_b32_e32 v10, v57
	;; [unrolled: 2-line block ×6, first 2 shown]
	v_mad_u64_u32 v[66:67], s[6:7], v47, s41, v[10:11]
	v_cndmask_b32_e32 v51, v64, v60, vcc
	v_cndmask_b32_e32 v10, v66, v62, vcc
	v_cndmask_b32_e32 v52, v67, v64, vcc
	v_cndmask_b32_e64 v47, v10, v51, s[0:1]
	v_cndmask_b32_e64 v10, v52, v10, s[0:1]
	v_cndmask_b32_e32 v52, v62, v58, vcc
	v_cndmask_b32_e64 v51, v51, v52, s[0:1]
	v_sub_u32_e32 v55, 32, v45
	v_cmp_eq_u32_e64 s[6:7], 0, v45
	v_cndmask_b32_e32 v45, v60, v56, vcc
	v_cndmask_b32_e64 v10, v10, v47, s[2:3]
	v_cndmask_b32_e64 v47, v47, v51, s[2:3]
	;; [unrolled: 1-line block ×3, first 2 shown]
	v_alignbit_b32 v57, v10, v47, v55
	v_cndmask_b32_e64 v51, v51, v52, s[2:3]
	v_cndmask_b32_e64 v10, v57, v10, s[6:7]
	v_alignbit_b32 v56, v47, v51, v55
	v_cndmask_b32_e32 v50, v58, v50, vcc
	v_cndmask_b32_e64 v47, v56, v47, s[6:7]
	v_bfe_u32 v59, v10, 29, 1
	v_cndmask_b32_e64 v45, v45, v50, s[0:1]
	v_alignbit_b32 v56, v10, v47, 30
	v_sub_u32_e32 v60, 0, v59
	v_cndmask_b32_e64 v45, v52, v45, s[2:3]
	v_xor_b32_e32 v61, v56, v60
	v_alignbit_b32 v50, v51, v45, v55
	v_cndmask_b32_e64 v50, v50, v51, s[6:7]
	v_ffbh_u32_e32 v51, v61
	v_add_u32_e32 v51, 1, v51
	v_cmp_ne_u32_e32 vcc, v56, v60
	v_alignbit_b32 v47, v47, v50, 30
	v_cndmask_b32_e32 v51, 33, v51, vcc
	v_alignbit_b32 v45, v50, v45, 30
	v_xor_b32_e32 v47, v47, v60
	v_sub_u32_e32 v52, 32, v51
	v_xor_b32_e32 v45, v45, v60
	v_alignbit_b32 v55, v61, v47, v52
	v_alignbit_b32 v45, v47, v45, v52
	;; [unrolled: 1-line block ×3, first 2 shown]
	v_ffbh_u32_e32 v50, v47
	v_min_u32_e32 v50, 32, v50
	v_lshrrev_b32_e32 v57, 29, v10
	v_sub_u32_e32 v52, 31, v50
	v_alignbit_b32 v45, v47, v45, v52
	v_lshlrev_b32_e32 v47, 31, v57
	v_or_b32_e32 v52, 0x33800000, v47
	v_add_lshl_u32 v50, v50, v51, 23
	v_lshrrev_b32_e32 v45, 9, v45
	v_sub_u32_e32 v50, v52, v50
	v_or_b32_e32 v45, v50, v45
	v_alignbit_b32 v50, v51, v55, 9
	v_or_b32_e32 v47, v50, v47
	v_xor_b32_e32 v47, 1.0, v47
	v_mul_f32_e32 v50, 0x3fc90fda, v47
	v_fma_f32 v51, v47, s42, -v50
	v_fmac_f32_e32 v51, 0x33a22168, v47
	v_fmac_f32_e32 v51, 0x3fc90fda, v45
	v_lshrrev_b32_e32 v10, 30, v10
	v_add_f32_e32 v56, v50, v51
	v_add_u32_e32 v55, v59, v10
	s_andn2_saveexec_b64 s[0:1], s[24:25]
	s_cbranch_execnz .LBB145_39
	s_branch .LBB145_40
.LBB145_38:                             ;   in Loop: Header=BB145_4 Depth=1
	s_andn2_saveexec_b64 s[0:1], s[24:25]
.LBB145_39:                             ;   in Loop: Header=BB145_4 Depth=1
	v_mul_f32_e64 v10, |v3|, s43
	v_rndne_f32_e32 v10, v10
	v_cvt_i32_f32_e32 v55, v10
	v_fma_f32 v56, v10, s44, |v3|
	v_fmac_f32_e32 v56, 0xb3a22168, v10
	v_fmac_f32_e32 v56, 0xa7c234c4, v10
.LBB145_40:                             ;   in Loop: Header=BB145_4 Depth=1
	s_or_b64 exec, exec, s[0:1]
	v_mul_f32_e32 v45, 0.5, v5
	v_and_b32_e32 v47, 0x7fffffff, v45
	v_cmp_nlt_f32_e64 s[0:1], |v45|, s34
                                        ; implicit-def: $vgpr51
                                        ; implicit-def: $vgpr50
	s_and_saveexec_b64 s[2:3], s[0:1]
	s_xor_b64 s[24:25], exec, s[2:3]
	s_cbranch_execz .LBB145_42
; %bb.41:                               ;   in Loop: Header=BB145_4 Depth=1
	v_lshrrev_b32_e32 v10, 23, v47
	v_add_u32_e32 v10, 0xffffff88, v10
	v_cmp_lt_u32_e32 vcc, 63, v10
	v_cndmask_b32_e32 v50, 0, v20, vcc
	v_add_u32_e32 v10, v50, v10
	v_cmp_lt_u32_e64 s[0:1], 31, v10
	v_cndmask_b32_e64 v50, 0, v21, s[0:1]
	v_add_u32_e32 v10, v50, v10
	v_cmp_lt_u32_e64 s[2:3], 31, v10
	v_cndmask_b32_e64 v50, 0, v21, s[2:3]
	v_add_u32_e32 v52, v50, v10
	v_and_b32_e32 v10, 0x7fffff, v47
	v_or_b32_e32 v57, 0x800000, v10
	v_mad_u64_u32 v[50:51], s[6:7], v57, s35, 0
	v_mov_b32_e32 v10, v51
	v_mad_u64_u32 v[58:59], s[6:7], v57, s36, v[10:11]
	v_mov_b32_e32 v10, v59
	;; [unrolled: 2-line block ×6, first 2 shown]
	v_mad_u64_u32 v[68:69], s[6:7], v57, s41, v[10:11]
	v_cndmask_b32_e32 v51, v66, v62, vcc
	v_cndmask_b32_e32 v10, v68, v64, vcc
	;; [unrolled: 1-line block ×3, first 2 shown]
	v_cndmask_b32_e64 v57, v10, v51, s[0:1]
	v_cndmask_b32_e64 v10, v59, v10, s[0:1]
	v_cndmask_b32_e32 v59, v64, v60, vcc
	v_cndmask_b32_e64 v51, v51, v59, s[0:1]
	v_sub_u32_e32 v61, 32, v52
	v_cmp_eq_u32_e64 s[6:7], 0, v52
	v_cndmask_b32_e32 v52, v62, v58, vcc
	v_cndmask_b32_e64 v10, v10, v57, s[2:3]
	v_cndmask_b32_e64 v57, v57, v51, s[2:3]
	;; [unrolled: 1-line block ×3, first 2 shown]
	v_alignbit_b32 v63, v10, v57, v61
	v_cndmask_b32_e64 v51, v51, v58, s[2:3]
	v_cndmask_b32_e32 v50, v60, v50, vcc
	v_cndmask_b32_e64 v10, v63, v10, s[6:7]
	v_alignbit_b32 v59, v57, v51, v61
	v_cndmask_b32_e64 v50, v52, v50, s[0:1]
	v_cndmask_b32_e64 v57, v59, v57, s[6:7]
	v_bfe_u32 v63, v10, 29, 1
	v_cndmask_b32_e64 v50, v58, v50, s[2:3]
	v_alignbit_b32 v59, v10, v57, 30
	v_sub_u32_e32 v64, 0, v63
	v_alignbit_b32 v52, v51, v50, v61
	v_xor_b32_e32 v65, v59, v64
	v_cndmask_b32_e64 v51, v52, v51, s[6:7]
	v_alignbit_b32 v52, v57, v51, 30
	v_ffbh_u32_e32 v57, v65
	v_add_u32_e32 v57, 1, v57
	v_cmp_ne_u32_e32 vcc, v59, v64
	v_cndmask_b32_e32 v57, 33, v57, vcc
	v_alignbit_b32 v50, v51, v50, 30
	v_xor_b32_e32 v52, v52, v64
	v_sub_u32_e32 v58, 32, v57
	v_xor_b32_e32 v50, v50, v64
	v_alignbit_b32 v59, v65, v52, v58
	v_alignbit_b32 v50, v52, v50, v58
	;; [unrolled: 1-line block ×3, first 2 shown]
	v_ffbh_u32_e32 v52, v51
	v_min_u32_e32 v52, 32, v52
	v_lshrrev_b32_e32 v62, 29, v10
	v_sub_u32_e32 v58, 31, v52
	v_alignbit_b32 v50, v51, v50, v58
	v_lshlrev_b32_e32 v51, 31, v62
	v_or_b32_e32 v58, 0x33800000, v51
	v_add_lshl_u32 v52, v52, v57, 23
	v_lshrrev_b32_e32 v50, 9, v50
	v_sub_u32_e32 v52, v58, v52
	v_or_b32_e32 v50, v52, v50
	v_alignbit_b32 v52, v57, v59, 9
	v_or_b32_e32 v51, v52, v51
	v_xor_b32_e32 v51, 1.0, v51
	v_mul_f32_e32 v52, 0x3fc90fda, v51
	v_fma_f32 v57, v51, s42, -v52
	v_fmac_f32_e32 v57, 0x33a22168, v51
	v_fmac_f32_e32 v57, 0x3fc90fda, v50
	v_lshrrev_b32_e32 v10, 30, v10
	v_add_f32_e32 v50, v52, v57
	v_add_u32_e32 v51, v63, v10
.LBB145_42:                             ;   in Loop: Header=BB145_4 Depth=1
	s_andn2_saveexec_b64 s[0:1], s[24:25]
; %bb.43:                               ;   in Loop: Header=BB145_4 Depth=1
	v_mul_f32_e64 v10, |v45|, s43
	v_rndne_f32_e32 v10, v10
	v_cvt_i32_f32_e32 v51, v10
	v_fma_f32 v50, v10, s44, |v45|
	v_fmac_f32_e32 v50, 0xb3a22168, v10
	v_fmac_f32_e32 v50, 0xa7c234c4, v10
; %bb.44:                               ;   in Loop: Header=BB145_4 Depth=1
	s_or_b64 exec, exec, s[0:1]
	v_and_b32_e32 v52, 0x7fffffff, v5
	v_cmp_nlt_f32_e64 s[24:25], |v5|, s34
                                        ; implicit-def: $vgpr58
                                        ; implicit-def: $vgpr57
	s_and_saveexec_b64 s[0:1], s[24:25]
	s_xor_b64 s[26:27], exec, s[0:1]
	s_cbranch_execz .LBB145_46
; %bb.45:                               ;   in Loop: Header=BB145_4 Depth=1
	v_lshrrev_b32_e32 v10, 23, v52
	v_add_u32_e32 v10, 0xffffff88, v10
	v_cmp_lt_u32_e32 vcc, 63, v10
	v_cndmask_b32_e32 v57, 0, v20, vcc
	v_add_u32_e32 v10, v57, v10
	v_cmp_lt_u32_e64 s[0:1], 31, v10
	v_cndmask_b32_e64 v57, 0, v21, s[0:1]
	v_add_u32_e32 v10, v57, v10
	v_cmp_lt_u32_e64 s[2:3], 31, v10
	v_cndmask_b32_e64 v57, 0, v21, s[2:3]
	v_add_u32_e32 v57, v57, v10
	v_and_b32_e32 v10, 0x7fffff, v52
	v_or_b32_e32 v70, 0x800000, v10
	v_mad_u64_u32 v[58:59], s[6:7], v70, s35, 0
	v_mov_b32_e32 v10, v59
	v_mad_u64_u32 v[60:61], s[6:7], v70, s36, v[10:11]
	v_mov_b32_e32 v10, v61
	;; [unrolled: 2-line block ×6, first 2 shown]
	v_mad_u64_u32 v[70:71], s[6:7], v70, s41, v[10:11]
	v_cndmask_b32_e32 v59, v68, v64, vcc
	v_cndmask_b32_e32 v10, v70, v66, vcc
	;; [unrolled: 1-line block ×3, first 2 shown]
	v_cndmask_b32_e64 v61, v10, v59, s[0:1]
	v_cndmask_b32_e64 v10, v63, v10, s[0:1]
	v_cndmask_b32_e32 v63, v66, v62, vcc
	v_cndmask_b32_e64 v59, v59, v63, s[0:1]
	v_sub_u32_e32 v65, 32, v57
	v_cmp_eq_u32_e64 s[6:7], 0, v57
	v_cndmask_b32_e32 v57, v64, v60, vcc
	v_cndmask_b32_e64 v10, v10, v61, s[2:3]
	v_cndmask_b32_e64 v61, v61, v59, s[2:3]
	;; [unrolled: 1-line block ×3, first 2 shown]
	v_alignbit_b32 v66, v10, v61, v65
	v_cndmask_b32_e64 v59, v59, v60, s[2:3]
	v_cndmask_b32_e64 v10, v66, v10, s[6:7]
	v_alignbit_b32 v63, v61, v59, v65
	v_cndmask_b32_e64 v61, v63, v61, s[6:7]
	v_bfe_u32 v66, v10, 29, 1
	v_cndmask_b32_e32 v58, v62, v58, vcc
	v_alignbit_b32 v63, v10, v61, 30
	v_sub_u32_e32 v67, 0, v66
	v_cndmask_b32_e64 v57, v57, v58, s[0:1]
	v_xor_b32_e32 v68, v63, v67
	v_cndmask_b32_e64 v57, v60, v57, s[2:3]
	v_alignbit_b32 v58, v59, v57, v65
	v_ffbh_u32_e32 v60, v68
	v_cndmask_b32_e64 v58, v58, v59, s[6:7]
	v_add_u32_e32 v60, 1, v60
	v_cmp_ne_u32_e32 vcc, v63, v67
	v_alignbit_b32 v59, v61, v58, 30
	v_cndmask_b32_e32 v60, 33, v60, vcc
	v_alignbit_b32 v57, v58, v57, 30
	v_xor_b32_e32 v59, v59, v67
	v_sub_u32_e32 v61, 32, v60
	v_xor_b32_e32 v57, v57, v67
	v_alignbit_b32 v62, v68, v59, v61
	v_alignbit_b32 v57, v59, v57, v61
	;; [unrolled: 1-line block ×3, first 2 shown]
	v_ffbh_u32_e32 v59, v58
	v_min_u32_e32 v59, 32, v59
	v_lshrrev_b32_e32 v64, 29, v10
	v_sub_u32_e32 v61, 31, v59
	v_alignbit_b32 v57, v58, v57, v61
	v_lshlrev_b32_e32 v58, 31, v64
	v_or_b32_e32 v61, 0x33800000, v58
	v_add_lshl_u32 v59, v59, v60, 23
	v_lshrrev_b32_e32 v57, 9, v57
	v_sub_u32_e32 v59, v61, v59
	v_or_b32_e32 v57, v59, v57
	v_alignbit_b32 v59, v60, v62, 9
	v_or_b32_e32 v58, v59, v58
	v_xor_b32_e32 v58, 1.0, v58
	v_mul_f32_e32 v59, 0x3fc90fda, v58
	v_fma_f32 v60, v58, s42, -v59
	v_fmac_f32_e32 v60, 0x33a22168, v58
	v_fmac_f32_e32 v60, 0x3fc90fda, v57
	v_lshrrev_b32_e32 v10, 30, v10
	v_add_f32_e32 v57, v59, v60
	v_add_u32_e32 v58, v66, v10
	s_andn2_saveexec_b64 s[0:1], s[26:27]
	s_branch .LBB145_47
.LBB145_46:                             ;   in Loop: Header=BB145_4 Depth=1
	s_andn2_saveexec_b64 s[0:1], s[26:27]
.LBB145_47:                             ;   in Loop: Header=BB145_4 Depth=1
	v_mul_f32_e64 v10, |v5|, s43
	v_rndne_f32_e32 v10, v10
	v_cvt_i32_f32_e32 v58, v10
	v_fma_f32 v57, v10, s44, |v5|
	v_fmac_f32_e32 v57, 0xb3a22168, v10
	v_fmac_f32_e32 v57, 0xa7c234c4, v10
; %bb.48:                               ;   in Loop: Header=BB145_4 Depth=1
	s_or_b64 exec, exec, s[0:1]
                                        ; implicit-def: $vgpr10
                                        ; implicit-def: $vgpr59
	s_and_saveexec_b64 s[0:1], s[24:25]
	s_xor_b64 s[24:25], exec, s[0:1]
	s_cbranch_execz .LBB145_50
; %bb.49:                               ;   in Loop: Header=BB145_4 Depth=1
	v_lshrrev_b32_e32 v10, 23, v52
	v_add_u32_e32 v10, 0xffffff88, v10
	v_cmp_lt_u32_e32 vcc, 63, v10
	v_cndmask_b32_e32 v59, 0, v20, vcc
	v_add_u32_e32 v10, v59, v10
	v_cmp_lt_u32_e64 s[0:1], 31, v10
	v_cndmask_b32_e64 v59, 0, v21, s[0:1]
	v_add_u32_e32 v10, v59, v10
	v_cmp_lt_u32_e64 s[2:3], 31, v10
	v_cndmask_b32_e64 v59, 0, v21, s[2:3]
	v_add_u32_e32 v59, v59, v10
	v_and_b32_e32 v10, 0x7fffff, v52
	v_or_b32_e32 v72, 0x800000, v10
	v_mad_u64_u32 v[60:61], s[6:7], v72, s35, 0
	v_mov_b32_e32 v10, v61
	v_mad_u64_u32 v[62:63], s[6:7], v72, s36, v[10:11]
	v_mov_b32_e32 v10, v63
	;; [unrolled: 2-line block ×6, first 2 shown]
	v_mad_u64_u32 v[72:73], s[6:7], v72, s41, v[10:11]
	v_cndmask_b32_e32 v61, v70, v66, vcc
	v_cndmask_b32_e32 v10, v72, v68, vcc
	;; [unrolled: 1-line block ×3, first 2 shown]
	v_cndmask_b32_e64 v63, v10, v61, s[0:1]
	v_cndmask_b32_e64 v10, v65, v10, s[0:1]
	v_cndmask_b32_e32 v65, v68, v64, vcc
	v_cndmask_b32_e64 v61, v61, v65, s[0:1]
	v_sub_u32_e32 v67, 32, v59
	v_cmp_eq_u32_e64 s[6:7], 0, v59
	v_cndmask_b32_e32 v59, v66, v62, vcc
	v_cndmask_b32_e64 v10, v10, v63, s[2:3]
	v_cndmask_b32_e64 v63, v63, v61, s[2:3]
	;; [unrolled: 1-line block ×3, first 2 shown]
	v_alignbit_b32 v68, v10, v63, v67
	v_cndmask_b32_e64 v61, v61, v62, s[2:3]
	v_cndmask_b32_e64 v10, v68, v10, s[6:7]
	v_alignbit_b32 v65, v63, v61, v67
	v_cndmask_b32_e64 v63, v65, v63, s[6:7]
	v_bfe_u32 v68, v10, 29, 1
	v_cndmask_b32_e32 v60, v64, v60, vcc
	v_alignbit_b32 v65, v10, v63, 30
	v_sub_u32_e32 v69, 0, v68
	v_cndmask_b32_e64 v59, v59, v60, s[0:1]
	v_xor_b32_e32 v70, v65, v69
	v_cndmask_b32_e64 v59, v62, v59, s[2:3]
	v_alignbit_b32 v60, v61, v59, v67
	v_ffbh_u32_e32 v62, v70
	v_cndmask_b32_e64 v60, v60, v61, s[6:7]
	v_add_u32_e32 v62, 1, v62
	v_cmp_ne_u32_e32 vcc, v65, v69
	v_alignbit_b32 v61, v63, v60, 30
	v_cndmask_b32_e32 v62, 33, v62, vcc
	v_alignbit_b32 v59, v60, v59, 30
	v_xor_b32_e32 v61, v61, v69
	v_sub_u32_e32 v63, 32, v62
	v_xor_b32_e32 v59, v59, v69
	v_alignbit_b32 v64, v70, v61, v63
	v_alignbit_b32 v59, v61, v59, v63
	;; [unrolled: 1-line block ×3, first 2 shown]
	v_ffbh_u32_e32 v61, v60
	v_min_u32_e32 v61, 32, v61
	v_lshrrev_b32_e32 v66, 29, v10
	v_sub_u32_e32 v63, 31, v61
	v_alignbit_b32 v59, v60, v59, v63
	v_lshlrev_b32_e32 v60, 31, v66
	v_or_b32_e32 v63, 0x33800000, v60
	v_add_lshl_u32 v61, v61, v62, 23
	v_lshrrev_b32_e32 v59, 9, v59
	v_sub_u32_e32 v61, v63, v61
	v_or_b32_e32 v59, v61, v59
	v_alignbit_b32 v61, v62, v64, 9
	v_or_b32_e32 v60, v61, v60
	v_xor_b32_e32 v60, 1.0, v60
	v_mul_f32_e32 v61, 0x3fc90fda, v60
	v_fma_f32 v62, v60, s42, -v61
	v_fmac_f32_e32 v62, 0x33a22168, v60
	v_fmac_f32_e32 v62, 0x3fc90fda, v59
	v_lshrrev_b32_e32 v10, 30, v10
	v_add_f32_e32 v59, v61, v62
	v_add_u32_e32 v10, v68, v10
	s_andn2_saveexec_b64 s[0:1], s[24:25]
	s_cbranch_execz .LBB145_3
	s_branch .LBB145_51
.LBB145_50:                             ;   in Loop: Header=BB145_4 Depth=1
	s_andn2_saveexec_b64 s[0:1], s[24:25]
	s_cbranch_execz .LBB145_3
.LBB145_51:                             ;   in Loop: Header=BB145_4 Depth=1
	v_mul_f32_e64 v10, |v5|, s43
	v_rndne_f32_e32 v60, v10
	v_cvt_i32_f32_e32 v10, v60
	v_fma_f32 v59, v60, s44, |v5|
	v_fmac_f32_e32 v59, 0xb3a22168, v60
	v_fmac_f32_e32 v59, 0xa7c234c4, v60
	s_branch .LBB145_3
.LBB145_52:
	s_or_b64 exec, exec, s[18:19]
	s_mov_b64 s[0:1], 0
.LBB145_53:
	s_andn2_b64 vcc, exec, s[0:1]
	s_cbranch_vccnz .LBB145_121
; %bb.54:
	v_cmp_lt_i64_e64 s[0:1], s[16:17], 1
	s_and_b64 vcc, exec, s[0:1]
	s_cbranch_vccnz .LBB145_121
; %bb.55:
	s_load_dword s0, s[4:5], 0xc5c
	v_mov_b32_e32 v2, 0x10000
	v_mov_b32_e32 v3, 0
	v_cmp_lt_u64_e32 vcc, s[16:17], v[2:3]
	v_lshlrev_b32_e32 v10, 3, v0
	s_waitcnt lgkmcnt(0)
	s_and_b32 s29, s0, 0xffff
	s_and_b64 s[0:1], vcc, exec
	v_mov_b32_e32 v17, s9
	v_add_co_u32_e32 v2, vcc, s8, v10
	v_addc_co_u32_e32 v3, vcc, 0, v17, vcc
	v_mov_b32_e32 v14, s11
	v_add_co_u32_e32 v4, vcc, s10, v10
	v_mov_b32_e32 v1, 0
	v_addc_co_u32_e32 v5, vcc, 0, v14, vcc
	v_mov_b32_e32 v11, v1
	v_add_co_u32_e32 v4, vcc, 4, v4
	v_addc_co_u32_e32 v5, vcc, 0, v5, vcc
	v_mad_u64_u32 v[8:9], s[0:1], s29, 24, v[10:11]
	v_add_co_u32_e32 v6, vcc, s8, v8
	v_addc_co_u32_e32 v7, vcc, v17, v9, vcc
	v_add_co_u32_e32 v8, vcc, s10, v8
	v_addc_co_u32_e32 v9, vcc, v9, v14, vcc
	v_add_co_u32_e32 v8, vcc, 4, v8
	s_cselect_b32 s19, s17, 0
	s_cselect_b32 s18, s16, 0x10000
	v_addc_co_u32_e32 v9, vcc, 0, v9, vcc
	s_lshl_b32 s0, s29, 4
	v_add_co_u32_e32 v15, vcc, s0, v10
	v_addc_co_u32_e64 v16, s[0:1], 0, 0, vcc
	v_add_co_u32_e32 v10, vcc, s8, v15
	v_addc_co_u32_e32 v11, vcc, v17, v16, vcc
	v_add_lshl_u32 v18, v0, s29, 3
	v_mov_b32_e32 v13, s11
	v_add_co_u32_e32 v12, vcc, s10, v18
	v_addc_co_u32_e32 v13, vcc, 0, v13, vcc
	v_add_co_u32_e32 v15, vcc, s10, v15
	v_addc_co_u32_e32 v16, vcc, v16, v14, vcc
	v_add_co_u32_e32 v14, vcc, 4, v15
	s_mov_b32 s28, 0
	v_addc_co_u32_e32 v15, vcc, 0, v16, vcc
	s_lshl_b32 s20, s29, 2
	s_mov_b32 s21, s28
	v_add_co_u32_e32 v16, vcc, s8, v18
	s_lshl_b32 s30, s29, 1
	s_mov_b32 s31, s28
	s_mul_i32 s33, s29, 3
	s_mov_b32 s34, s28
	s_lshl_b32 s35, s29, 5
	s_mov_b32 s36, s28
	v_addc_co_u32_e32 v17, vcc, 0, v17, vcc
	s_brev_b32 s37, 18
	s_mov_b32 s38, 0xfe5163ab
	s_mov_b32 s39, 0x3c439041
	;; [unrolled: 1-line block ×14, first 2 shown]
	v_mov_b32_e32 v28, 0x3c0887f9
	v_mov_b32_e32 v29, 0x3d2aaa81
	v_mov_b32_e32 v30, 0x3e2aaaab
	s_mov_b32 s52, 0x42b17217
	s_mov_b32 s53, 0xc1880000
	s_movk_i32 s54, 0x1f8
	v_mov_b32_e32 v31, 0x3d2aabf7
	v_mov_b32_e32 v32, 0xbf000004
	;; [unrolled: 1-line block ×3, first 2 shown]
	v_not_b32_e32 v34, 63
	v_not_b32_e32 v35, 31
	v_mov_b32_e32 v36, 0x7f800000
	v_mov_b32_e32 v37, 0x7f
	;; [unrolled: 1-line block ×3, first 2 shown]
	v_pk_mov_b32 v[18:19], v[0:1], v[0:1] op_sel:[0,1]
	s_mov_b64 s[22:23], s[20:21]
	s_branch .LBB145_57
.LBB145_56:                             ;   in Loop: Header=BB145_57 Depth=1
	s_or_b64 exec, exec, s[2:3]
	v_pk_mov_b32 v[20:21], s[16:17], s[16:17] op_sel:[0,1]
	v_cmp_ge_i64_e32 vcc, s[22:23], v[20:21]
	v_mov_b32_e32 v20, 0xffff
	v_mov_b32_e32 v21, 0
	v_cmp_gt_u64_e64 s[0:1], s[22:23], v[20:21]
	s_or_b64 s[0:1], vcc, s[0:1]
	v_mov_b32_e32 v0, s36
	v_add_co_u32_e32 v2, vcc, s35, v2
	v_addc_co_u32_e32 v3, vcc, v3, v0, vcc
	v_mov_b32_e32 v20, s21
	v_add_co_u32_e32 v18, vcc, s20, v18
	v_addc_co_u32_e32 v19, vcc, v19, v20, vcc
	v_add_co_u32_e32 v4, vcc, s35, v4
	v_addc_co_u32_e32 v5, vcc, v5, v0, vcc
	;; [unrolled: 2-line block ×7, first 2 shown]
	v_add_co_u32_e32 v16, vcc, s35, v16
	s_add_u32 s22, s22, s20
	v_addc_co_u32_e32 v17, vcc, v17, v0, vcc
	s_addc_u32 s23, s23, 0
	s_and_b64 vcc, exec, s[0:1]
	s_cbranch_vccnz .LBB145_121
.LBB145_57:                             ; =>This Inner Loop Header: Depth=1
	v_cmp_gt_u64_e64 s[4:5], s[18:19], v[18:19]
	v_mov_b32_e32 v26, 0
	v_mov_b32_e32 v27, 0
	s_and_saveexec_b64 s[0:1], s[4:5]
	s_cbranch_execz .LBB145_59
; %bb.58:                               ;   in Loop: Header=BB145_57 Depth=1
	v_mov_b32_e32 v0, s15
	v_add_co_u32_e32 v20, vcc, s14, v2
	v_addc_co_u32_e32 v21, vcc, v3, v0, vcc
	global_load_dwordx2 v[26:27], v[20:21], off
.LBB145_59:                             ;   in Loop: Header=BB145_57 Depth=1
	s_or_b64 exec, exec, s[0:1]
	v_mov_b32_e32 v0, s28
	v_add_co_u32_e32 v20, vcc, s29, v18
	v_addc_co_u32_e32 v21, vcc, v0, v19, vcc
	v_cmp_gt_u64_e64 s[2:3], s[18:19], v[20:21]
	v_mov_b32_e32 v22, 0
	v_mov_b32_e32 v24, 0
	;; [unrolled: 1-line block ×3, first 2 shown]
	s_and_saveexec_b64 s[0:1], s[2:3]
	s_cbranch_execz .LBB145_61
; %bb.60:                               ;   in Loop: Header=BB145_57 Depth=1
	v_mov_b32_e32 v0, s15
	v_add_co_u32_e32 v20, vcc, s14, v16
	v_addc_co_u32_e32 v21, vcc, v17, v0, vcc
	global_load_dwordx2 v[24:25], v[20:21], off
.LBB145_61:                             ;   in Loop: Header=BB145_57 Depth=1
	s_or_b64 exec, exec, s[0:1]
	v_mov_b32_e32 v0, s31
	v_add_co_u32_e32 v20, vcc, s30, v18
	v_addc_co_u32_e32 v21, vcc, v0, v19, vcc
	v_cmp_gt_u64_e64 s[0:1], s[18:19], v[20:21]
	v_mov_b32_e32 v23, 0
	s_and_saveexec_b64 s[6:7], s[0:1]
	s_cbranch_execz .LBB145_63
; %bb.62:                               ;   in Loop: Header=BB145_57 Depth=1
	v_mov_b32_e32 v0, s15
	v_add_co_u32_e32 v20, vcc, s14, v10
	v_addc_co_u32_e32 v21, vcc, v11, v0, vcc
	global_load_dwordx2 v[22:23], v[20:21], off
.LBB145_63:                             ;   in Loop: Header=BB145_57 Depth=1
	s_or_b64 exec, exec, s[6:7]
	v_mov_b32_e32 v0, s34
	v_add_co_u32_e32 v20, vcc, s33, v18
	v_addc_co_u32_e32 v21, vcc, v0, v19, vcc
	v_cmp_gt_u64_e32 vcc, s[18:19], v[20:21]
	v_mov_b32_e32 v20, 0
	v_mov_b32_e32 v21, 0
	s_and_saveexec_b64 s[8:9], vcc
	s_cbranch_execz .LBB145_65
; %bb.64:                               ;   in Loop: Header=BB145_57 Depth=1
	v_mov_b32_e32 v0, s15
	v_add_co_u32_e64 v20, s[6:7], s14, v6
	v_addc_co_u32_e64 v21, s[6:7], v7, v0, s[6:7]
	global_load_dwordx2 v[20:21], v[20:21], off
.LBB145_65:                             ;   in Loop: Header=BB145_57 Depth=1
	s_or_b64 exec, exec, s[8:9]
	s_waitcnt vmcnt(0)
	v_mul_f32_e32 v39, 0.5, v27
	v_and_b32_e32 v40, 0x7fffffff, v39
	v_cmp_nlt_f32_e64 s[6:7], |v39|, s37
                                        ; implicit-def: $vgpr42
                                        ; implicit-def: $vgpr41
	s_and_saveexec_b64 s[8:9], s[6:7]
	s_xor_b64 s[24:25], exec, s[8:9]
	s_cbranch_execz .LBB145_67
; %bb.66:                               ;   in Loop: Header=BB145_57 Depth=1
	v_lshrrev_b32_e32 v0, 23, v40
	v_add_u32_e32 v0, 0xffffff88, v0
	v_cmp_lt_u32_e64 s[6:7], 63, v0
	v_cndmask_b32_e64 v41, 0, v34, s[6:7]
	v_add_u32_e32 v0, v41, v0
	v_cmp_lt_u32_e64 s[8:9], 31, v0
	v_cndmask_b32_e64 v41, 0, v35, s[8:9]
	;; [unrolled: 3-line block ×3, first 2 shown]
	v_add_u32_e32 v41, v41, v0
	v_and_b32_e32 v0, 0x7fffff, v40
	v_or_b32_e32 v54, 0x800000, v0
	v_mad_u64_u32 v[42:43], s[12:13], v54, s38, 0
	v_mov_b32_e32 v0, v43
	v_mad_u64_u32 v[44:45], s[12:13], v54, s39, v[0:1]
	v_mov_b32_e32 v0, v45
	;; [unrolled: 2-line block ×6, first 2 shown]
	v_mad_u64_u32 v[54:55], s[12:13], v54, s44, v[0:1]
	v_cndmask_b32_e64 v43, v52, v48, s[6:7]
	v_cndmask_b32_e64 v0, v54, v50, s[6:7]
	;; [unrolled: 1-line block ×7, first 2 shown]
	v_sub_u32_e32 v49, 32, v41
	v_cmp_eq_u32_e64 s[12:13], 0, v41
	v_cndmask_b32_e64 v41, v48, v44, s[6:7]
	v_cndmask_b32_e64 v0, v0, v45, s[10:11]
	;; [unrolled: 1-line block ×4, first 2 shown]
	v_alignbit_b32 v50, v0, v45, v49
	v_cndmask_b32_e64 v43, v43, v44, s[10:11]
	v_cndmask_b32_e64 v0, v50, v0, s[12:13]
	v_alignbit_b32 v47, v45, v43, v49
	v_cndmask_b32_e64 v45, v47, v45, s[12:13]
	v_bfe_u32 v50, v0, 29, 1
	v_cndmask_b32_e64 v42, v46, v42, s[6:7]
	v_alignbit_b32 v47, v0, v45, 30
	v_sub_u32_e32 v51, 0, v50
	v_cndmask_b32_e64 v41, v41, v42, s[8:9]
	v_xor_b32_e32 v52, v47, v51
	v_cndmask_b32_e64 v41, v44, v41, s[10:11]
	v_alignbit_b32 v42, v43, v41, v49
	v_ffbh_u32_e32 v44, v52
	v_cndmask_b32_e64 v42, v42, v43, s[12:13]
	v_add_u32_e32 v44, 1, v44
	v_cmp_ne_u32_e64 s[6:7], v47, v51
	v_alignbit_b32 v43, v45, v42, 30
	v_cndmask_b32_e64 v44, 33, v44, s[6:7]
	v_alignbit_b32 v41, v42, v41, 30
	v_xor_b32_e32 v43, v43, v51
	v_sub_u32_e32 v45, 32, v44
	v_xor_b32_e32 v41, v41, v51
	v_alignbit_b32 v46, v52, v43, v45
	v_alignbit_b32 v41, v43, v41, v45
	;; [unrolled: 1-line block ×3, first 2 shown]
	v_ffbh_u32_e32 v43, v42
	v_min_u32_e32 v43, 32, v43
	v_lshrrev_b32_e32 v48, 29, v0
	v_sub_u32_e32 v45, 31, v43
	v_alignbit_b32 v41, v42, v41, v45
	v_lshlrev_b32_e32 v42, 31, v48
	v_or_b32_e32 v45, 0x33800000, v42
	v_add_lshl_u32 v43, v43, v44, 23
	v_lshrrev_b32_e32 v41, 9, v41
	v_sub_u32_e32 v43, v45, v43
	v_or_b32_e32 v41, v43, v41
	v_alignbit_b32 v43, v44, v46, 9
	v_or_b32_e32 v42, v43, v42
	v_xor_b32_e32 v42, 1.0, v42
	v_mul_f32_e32 v43, 0x3fc90fda, v42
	v_fma_f32 v44, v42, s45, -v43
	v_fmac_f32_e32 v44, 0x33a22168, v42
	v_fmac_f32_e32 v44, 0x3fc90fda, v41
	v_lshrrev_b32_e32 v0, 30, v0
	v_add_f32_e32 v41, v43, v44
	v_add_u32_e32 v42, v50, v0
.LBB145_67:                             ;   in Loop: Header=BB145_57 Depth=1
	s_andn2_saveexec_b64 s[6:7], s[24:25]
; %bb.68:                               ;   in Loop: Header=BB145_57 Depth=1
	v_mul_f32_e64 v0, |v39|, s46
	v_rndne_f32_e32 v0, v0
	v_cvt_i32_f32_e32 v42, v0
	v_fma_f32 v41, v0, s47, |v39|
	v_fmac_f32_e32 v41, 0xb3a22168, v0
	v_fmac_f32_e32 v41, 0xa7c234c4, v0
; %bb.69:                               ;   in Loop: Header=BB145_57 Depth=1
	s_or_b64 exec, exec, s[6:7]
	v_and_b32_e32 v43, 0x7fffffff, v27
	v_cmp_nlt_f32_e64 s[24:25], |v27|, s37
                                        ; implicit-def: $vgpr45
                                        ; implicit-def: $vgpr44
	s_and_saveexec_b64 s[6:7], s[24:25]
	s_xor_b64 s[26:27], exec, s[6:7]
	s_cbranch_execz .LBB145_71
; %bb.70:                               ;   in Loop: Header=BB145_57 Depth=1
	v_lshrrev_b32_e32 v0, 23, v43
	v_add_u32_e32 v0, 0xffffff88, v0
	v_cmp_lt_u32_e64 s[6:7], 63, v0
	v_cndmask_b32_e64 v44, 0, v34, s[6:7]
	v_add_u32_e32 v0, v44, v0
	v_cmp_lt_u32_e64 s[8:9], 31, v0
	v_cndmask_b32_e64 v44, 0, v35, s[8:9]
	;; [unrolled: 3-line block ×3, first 2 shown]
	v_add_u32_e32 v58, v44, v0
	v_and_b32_e32 v0, 0x7fffff, v43
	v_or_b32_e32 v56, 0x800000, v0
	v_mad_u64_u32 v[44:45], s[12:13], v56, s38, 0
	v_mov_b32_e32 v0, v45
	v_mad_u64_u32 v[46:47], s[12:13], v56, s39, v[0:1]
	v_mov_b32_e32 v0, v47
	;; [unrolled: 2-line block ×6, first 2 shown]
	v_mad_u64_u32 v[56:57], s[12:13], v56, s44, v[0:1]
	v_cndmask_b32_e64 v45, v54, v50, s[6:7]
	v_cndmask_b32_e64 v0, v56, v52, s[6:7]
	;; [unrolled: 1-line block ×10, first 2 shown]
	v_sub_u32_e32 v51, 32, v58
	v_cndmask_b32_e64 v49, v49, v46, s[8:9]
	v_alignbit_b32 v52, v0, v47, v51
	v_cmp_eq_u32_e64 s[12:13], 0, v58
	v_cndmask_b32_e64 v45, v45, v49, s[10:11]
	v_cndmask_b32_e64 v44, v48, v44, s[6:7]
	;; [unrolled: 1-line block ×3, first 2 shown]
	v_alignbit_b32 v50, v47, v45, v51
	v_cndmask_b32_e64 v44, v46, v44, s[8:9]
	v_cndmask_b32_e64 v47, v50, v47, s[12:13]
	v_bfe_u32 v53, v0, 29, 1
	v_cndmask_b32_e64 v44, v49, v44, s[10:11]
	v_alignbit_b32 v50, v0, v47, 30
	v_sub_u32_e32 v54, 0, v53
	v_alignbit_b32 v46, v45, v44, v51
	v_xor_b32_e32 v55, v50, v54
	v_cndmask_b32_e64 v45, v46, v45, s[12:13]
	v_alignbit_b32 v46, v47, v45, 30
	v_ffbh_u32_e32 v47, v55
	v_add_u32_e32 v47, 1, v47
	v_cmp_ne_u32_e64 s[6:7], v50, v54
	v_cndmask_b32_e64 v47, 33, v47, s[6:7]
	v_alignbit_b32 v44, v45, v44, 30
	v_xor_b32_e32 v46, v46, v54
	v_sub_u32_e32 v48, 32, v47
	v_xor_b32_e32 v44, v44, v54
	v_alignbit_b32 v49, v55, v46, v48
	v_alignbit_b32 v44, v46, v44, v48
	;; [unrolled: 1-line block ×3, first 2 shown]
	v_ffbh_u32_e32 v46, v45
	v_min_u32_e32 v46, 32, v46
	v_lshrrev_b32_e32 v52, 29, v0
	v_sub_u32_e32 v48, 31, v46
	v_alignbit_b32 v44, v45, v44, v48
	v_lshlrev_b32_e32 v45, 31, v52
	v_or_b32_e32 v48, 0x33800000, v45
	v_add_lshl_u32 v46, v46, v47, 23
	v_lshrrev_b32_e32 v44, 9, v44
	v_sub_u32_e32 v46, v48, v46
	v_or_b32_e32 v44, v46, v44
	v_alignbit_b32 v46, v47, v49, 9
	v_or_b32_e32 v45, v46, v45
	v_xor_b32_e32 v45, 1.0, v45
	v_mul_f32_e32 v46, 0x3fc90fda, v45
	v_fma_f32 v47, v45, s45, -v46
	v_fmac_f32_e32 v47, 0x33a22168, v45
	v_fmac_f32_e32 v47, 0x3fc90fda, v44
	v_lshrrev_b32_e32 v0, 30, v0
	v_add_f32_e32 v44, v46, v47
	v_add_u32_e32 v45, v53, v0
	s_andn2_saveexec_b64 s[6:7], s[26:27]
	s_branch .LBB145_72
.LBB145_71:                             ;   in Loop: Header=BB145_57 Depth=1
	s_andn2_saveexec_b64 s[6:7], s[26:27]
.LBB145_72:                             ;   in Loop: Header=BB145_57 Depth=1
	v_mul_f32_e64 v0, |v27|, s46
	v_rndne_f32_e32 v0, v0
	v_cvt_i32_f32_e32 v45, v0
	v_fma_f32 v44, v0, s47, |v27|
	v_fmac_f32_e32 v44, 0xb3a22168, v0
	v_fmac_f32_e32 v44, 0xa7c234c4, v0
; %bb.73:                               ;   in Loop: Header=BB145_57 Depth=1
	s_or_b64 exec, exec, s[6:7]
                                        ; implicit-def: $vgpr48
                                        ; implicit-def: $vgpr49
	s_and_saveexec_b64 s[6:7], s[24:25]
	s_xor_b64 s[24:25], exec, s[6:7]
	s_cbranch_execz .LBB145_75
; %bb.74:                               ;   in Loop: Header=BB145_57 Depth=1
	v_lshrrev_b32_e32 v0, 23, v43
	v_add_u32_e32 v0, 0xffffff88, v0
	v_cmp_lt_u32_e64 s[6:7], 63, v0
	v_cndmask_b32_e64 v46, 0, v34, s[6:7]
	v_add_u32_e32 v0, v46, v0
	v_cmp_lt_u32_e64 s[8:9], 31, v0
	v_cndmask_b32_e64 v46, 0, v35, s[8:9]
	;; [unrolled: 3-line block ×3, first 2 shown]
	v_add_u32_e32 v60, v46, v0
	v_and_b32_e32 v0, 0x7fffff, v43
	v_or_b32_e32 v58, 0x800000, v0
	v_mad_u64_u32 v[46:47], s[12:13], v58, s38, 0
	v_mov_b32_e32 v0, v47
	v_mad_u64_u32 v[48:49], s[12:13], v58, s39, v[0:1]
	v_mov_b32_e32 v0, v49
	;; [unrolled: 2-line block ×6, first 2 shown]
	v_mad_u64_u32 v[58:59], s[12:13], v58, s44, v[0:1]
	v_cndmask_b32_e64 v47, v56, v52, s[6:7]
	v_cndmask_b32_e64 v0, v58, v54, s[6:7]
	v_cndmask_b32_e64 v51, v59, v56, s[6:7]
	v_cndmask_b32_e64 v49, v0, v47, s[8:9]
	v_cndmask_b32_e64 v0, v51, v0, s[8:9]
	v_cndmask_b32_e64 v51, v54, v50, s[6:7]
	v_cndmask_b32_e64 v47, v47, v51, s[8:9]
	v_cndmask_b32_e64 v48, v52, v48, s[6:7]
	v_cndmask_b32_e64 v0, v0, v49, s[10:11]
	v_cndmask_b32_e64 v49, v49, v47, s[10:11]
	v_sub_u32_e32 v53, 32, v60
	v_cndmask_b32_e64 v51, v51, v48, s[8:9]
	v_alignbit_b32 v54, v0, v49, v53
	v_cmp_eq_u32_e64 s[12:13], 0, v60
	v_cndmask_b32_e64 v47, v47, v51, s[10:11]
	v_cndmask_b32_e64 v46, v50, v46, s[6:7]
	;; [unrolled: 1-line block ×3, first 2 shown]
	v_alignbit_b32 v52, v49, v47, v53
	v_cndmask_b32_e64 v46, v48, v46, s[8:9]
	v_cndmask_b32_e64 v49, v52, v49, s[12:13]
	v_bfe_u32 v55, v0, 29, 1
	v_cndmask_b32_e64 v46, v51, v46, s[10:11]
	v_alignbit_b32 v52, v0, v49, 30
	v_sub_u32_e32 v56, 0, v55
	v_alignbit_b32 v48, v47, v46, v53
	v_xor_b32_e32 v57, v52, v56
	v_cndmask_b32_e64 v47, v48, v47, s[12:13]
	v_alignbit_b32 v48, v49, v47, 30
	v_ffbh_u32_e32 v49, v57
	v_add_u32_e32 v49, 1, v49
	v_cmp_ne_u32_e64 s[6:7], v52, v56
	v_cndmask_b32_e64 v49, 33, v49, s[6:7]
	v_alignbit_b32 v46, v47, v46, 30
	v_xor_b32_e32 v48, v48, v56
	v_sub_u32_e32 v50, 32, v49
	v_xor_b32_e32 v46, v46, v56
	v_alignbit_b32 v51, v57, v48, v50
	v_alignbit_b32 v46, v48, v46, v50
	;; [unrolled: 1-line block ×3, first 2 shown]
	v_ffbh_u32_e32 v48, v47
	v_min_u32_e32 v48, 32, v48
	v_lshrrev_b32_e32 v54, 29, v0
	v_sub_u32_e32 v50, 31, v48
	v_alignbit_b32 v46, v47, v46, v50
	v_lshlrev_b32_e32 v47, 31, v54
	v_or_b32_e32 v50, 0x33800000, v47
	v_add_lshl_u32 v48, v48, v49, 23
	v_lshrrev_b32_e32 v46, 9, v46
	v_sub_u32_e32 v48, v50, v48
	v_or_b32_e32 v46, v48, v46
	v_alignbit_b32 v48, v49, v51, 9
	v_or_b32_e32 v47, v48, v47
	v_xor_b32_e32 v47, 1.0, v47
	v_mul_f32_e32 v48, 0x3fc90fda, v47
	v_fma_f32 v49, v47, s45, -v48
	v_fmac_f32_e32 v49, 0x33a22168, v47
	v_fmac_f32_e32 v49, 0x3fc90fda, v46
	v_lshrrev_b32_e32 v0, 30, v0
	v_add_f32_e32 v49, v48, v49
	v_add_u32_e32 v48, v55, v0
	s_andn2_saveexec_b64 s[6:7], s[24:25]
	s_cbranch_execnz .LBB145_76
	s_branch .LBB145_77
.LBB145_75:                             ;   in Loop: Header=BB145_57 Depth=1
	s_andn2_saveexec_b64 s[6:7], s[24:25]
.LBB145_76:                             ;   in Loop: Header=BB145_57 Depth=1
	v_mul_f32_e64 v0, |v27|, s46
	v_rndne_f32_e32 v0, v0
	v_cvt_i32_f32_e32 v48, v0
	v_fma_f32 v49, v0, s47, |v27|
	v_fmac_f32_e32 v49, 0xb3a22168, v0
	v_fmac_f32_e32 v49, 0xa7c234c4, v0
.LBB145_77:                             ;   in Loop: Header=BB145_57 Depth=1
	s_or_b64 exec, exec, s[6:7]
	v_mul_f32_e32 v46, 0.5, v25
	v_and_b32_e32 v47, 0x7fffffff, v46
	v_cmp_nlt_f32_e64 s[6:7], |v46|, s37
                                        ; implicit-def: $vgpr51
                                        ; implicit-def: $vgpr50
	s_and_saveexec_b64 s[8:9], s[6:7]
	s_xor_b64 s[24:25], exec, s[8:9]
	s_cbranch_execz .LBB145_79
; %bb.78:                               ;   in Loop: Header=BB145_57 Depth=1
	v_lshrrev_b32_e32 v0, 23, v47
	v_add_u32_e32 v0, 0xffffff88, v0
	v_cmp_lt_u32_e64 s[6:7], 63, v0
	v_cndmask_b32_e64 v50, 0, v34, s[6:7]
	v_add_u32_e32 v0, v50, v0
	v_cmp_lt_u32_e64 s[8:9], 31, v0
	v_cndmask_b32_e64 v50, 0, v35, s[8:9]
	;; [unrolled: 3-line block ×3, first 2 shown]
	v_add_u32_e32 v64, v50, v0
	v_and_b32_e32 v0, 0x7fffff, v47
	v_or_b32_e32 v62, 0x800000, v0
	v_mad_u64_u32 v[50:51], s[12:13], v62, s38, 0
	v_mov_b32_e32 v0, v51
	v_mad_u64_u32 v[52:53], s[12:13], v62, s39, v[0:1]
	v_mov_b32_e32 v0, v53
	;; [unrolled: 2-line block ×6, first 2 shown]
	v_mad_u64_u32 v[62:63], s[12:13], v62, s44, v[0:1]
	v_cndmask_b32_e64 v51, v60, v56, s[6:7]
	v_cndmask_b32_e64 v0, v62, v58, s[6:7]
	;; [unrolled: 1-line block ×10, first 2 shown]
	v_sub_u32_e32 v57, 32, v64
	v_cndmask_b32_e64 v55, v55, v52, s[8:9]
	v_alignbit_b32 v58, v0, v53, v57
	v_cmp_eq_u32_e64 s[12:13], 0, v64
	v_cndmask_b32_e64 v51, v51, v55, s[10:11]
	v_cndmask_b32_e64 v50, v54, v50, s[6:7]
	;; [unrolled: 1-line block ×3, first 2 shown]
	v_alignbit_b32 v56, v53, v51, v57
	v_cndmask_b32_e64 v50, v52, v50, s[8:9]
	v_cndmask_b32_e64 v53, v56, v53, s[12:13]
	v_bfe_u32 v59, v0, 29, 1
	v_cndmask_b32_e64 v50, v55, v50, s[10:11]
	v_alignbit_b32 v56, v0, v53, 30
	v_sub_u32_e32 v60, 0, v59
	v_alignbit_b32 v52, v51, v50, v57
	v_xor_b32_e32 v61, v56, v60
	v_cndmask_b32_e64 v51, v52, v51, s[12:13]
	v_alignbit_b32 v52, v53, v51, 30
	v_ffbh_u32_e32 v53, v61
	v_add_u32_e32 v53, 1, v53
	v_cmp_ne_u32_e64 s[6:7], v56, v60
	v_cndmask_b32_e64 v53, 33, v53, s[6:7]
	v_alignbit_b32 v50, v51, v50, 30
	v_xor_b32_e32 v52, v52, v60
	v_sub_u32_e32 v54, 32, v53
	v_xor_b32_e32 v50, v50, v60
	v_alignbit_b32 v55, v61, v52, v54
	v_alignbit_b32 v50, v52, v50, v54
	;; [unrolled: 1-line block ×3, first 2 shown]
	v_ffbh_u32_e32 v52, v51
	v_min_u32_e32 v52, 32, v52
	v_lshrrev_b32_e32 v58, 29, v0
	v_sub_u32_e32 v54, 31, v52
	v_alignbit_b32 v50, v51, v50, v54
	v_lshlrev_b32_e32 v51, 31, v58
	v_or_b32_e32 v54, 0x33800000, v51
	v_add_lshl_u32 v52, v52, v53, 23
	v_lshrrev_b32_e32 v50, 9, v50
	v_sub_u32_e32 v52, v54, v52
	v_or_b32_e32 v50, v52, v50
	v_alignbit_b32 v52, v53, v55, 9
	v_or_b32_e32 v51, v52, v51
	v_xor_b32_e32 v51, 1.0, v51
	v_mul_f32_e32 v52, 0x3fc90fda, v51
	v_fma_f32 v53, v51, s45, -v52
	v_fmac_f32_e32 v53, 0x33a22168, v51
	v_fmac_f32_e32 v53, 0x3fc90fda, v50
	v_lshrrev_b32_e32 v0, 30, v0
	v_add_f32_e32 v50, v52, v53
	v_add_u32_e32 v51, v59, v0
.LBB145_79:                             ;   in Loop: Header=BB145_57 Depth=1
	s_andn2_saveexec_b64 s[6:7], s[24:25]
; %bb.80:                               ;   in Loop: Header=BB145_57 Depth=1
	v_mul_f32_e64 v0, |v46|, s46
	v_rndne_f32_e32 v0, v0
	v_cvt_i32_f32_e32 v51, v0
	v_fma_f32 v50, v0, s47, |v46|
	v_fmac_f32_e32 v50, 0xb3a22168, v0
	v_fmac_f32_e32 v50, 0xa7c234c4, v0
; %bb.81:                               ;   in Loop: Header=BB145_57 Depth=1
	s_or_b64 exec, exec, s[6:7]
	v_and_b32_e32 v52, 0x7fffffff, v25
	v_cmp_nlt_f32_e64 s[24:25], |v25|, s37
                                        ; implicit-def: $vgpr54
                                        ; implicit-def: $vgpr53
	s_and_saveexec_b64 s[6:7], s[24:25]
	s_xor_b64 s[26:27], exec, s[6:7]
	s_cbranch_execz .LBB145_83
; %bb.82:                               ;   in Loop: Header=BB145_57 Depth=1
	v_lshrrev_b32_e32 v0, 23, v52
	v_add_u32_e32 v0, 0xffffff88, v0
	v_cmp_lt_u32_e64 s[6:7], 63, v0
	v_cndmask_b32_e64 v53, 0, v34, s[6:7]
	v_add_u32_e32 v0, v53, v0
	v_cmp_lt_u32_e64 s[8:9], 31, v0
	v_cndmask_b32_e64 v53, 0, v35, s[8:9]
	;; [unrolled: 3-line block ×3, first 2 shown]
	v_add_u32_e32 v53, v53, v0
	v_and_b32_e32 v0, 0x7fffff, v52
	v_or_b32_e32 v66, 0x800000, v0
	v_mad_u64_u32 v[54:55], s[12:13], v66, s38, 0
	v_mov_b32_e32 v0, v55
	v_mad_u64_u32 v[56:57], s[12:13], v66, s39, v[0:1]
	v_mov_b32_e32 v0, v57
	;; [unrolled: 2-line block ×6, first 2 shown]
	v_mad_u64_u32 v[66:67], s[12:13], v66, s44, v[0:1]
	v_cndmask_b32_e64 v55, v64, v60, s[6:7]
	v_cndmask_b32_e64 v0, v66, v62, s[6:7]
	;; [unrolled: 1-line block ×7, first 2 shown]
	v_sub_u32_e32 v61, 32, v53
	v_cmp_eq_u32_e64 s[12:13], 0, v53
	v_cndmask_b32_e64 v53, v60, v56, s[6:7]
	v_cndmask_b32_e64 v0, v0, v57, s[10:11]
	v_cndmask_b32_e64 v57, v57, v55, s[10:11]
	v_cndmask_b32_e64 v56, v59, v53, s[8:9]
	v_alignbit_b32 v62, v0, v57, v61
	v_cndmask_b32_e64 v55, v55, v56, s[10:11]
	v_cndmask_b32_e64 v0, v62, v0, s[12:13]
	v_alignbit_b32 v59, v57, v55, v61
	v_cndmask_b32_e64 v57, v59, v57, s[12:13]
	v_bfe_u32 v62, v0, 29, 1
	v_cndmask_b32_e64 v54, v58, v54, s[6:7]
	v_alignbit_b32 v59, v0, v57, 30
	v_sub_u32_e32 v63, 0, v62
	v_cndmask_b32_e64 v53, v53, v54, s[8:9]
	v_xor_b32_e32 v64, v59, v63
	v_cndmask_b32_e64 v53, v56, v53, s[10:11]
	v_alignbit_b32 v54, v55, v53, v61
	v_ffbh_u32_e32 v56, v64
	v_cndmask_b32_e64 v54, v54, v55, s[12:13]
	v_add_u32_e32 v56, 1, v56
	v_cmp_ne_u32_e64 s[6:7], v59, v63
	v_alignbit_b32 v55, v57, v54, 30
	v_cndmask_b32_e64 v56, 33, v56, s[6:7]
	v_alignbit_b32 v53, v54, v53, 30
	v_xor_b32_e32 v55, v55, v63
	v_sub_u32_e32 v57, 32, v56
	v_xor_b32_e32 v53, v53, v63
	v_alignbit_b32 v58, v64, v55, v57
	v_alignbit_b32 v53, v55, v53, v57
	;; [unrolled: 1-line block ×3, first 2 shown]
	v_ffbh_u32_e32 v55, v54
	v_min_u32_e32 v55, 32, v55
	v_lshrrev_b32_e32 v60, 29, v0
	v_sub_u32_e32 v57, 31, v55
	v_alignbit_b32 v53, v54, v53, v57
	v_lshlrev_b32_e32 v54, 31, v60
	v_or_b32_e32 v57, 0x33800000, v54
	v_add_lshl_u32 v55, v55, v56, 23
	v_lshrrev_b32_e32 v53, 9, v53
	v_sub_u32_e32 v55, v57, v55
	v_or_b32_e32 v53, v55, v53
	v_alignbit_b32 v55, v56, v58, 9
	v_or_b32_e32 v54, v55, v54
	v_xor_b32_e32 v54, 1.0, v54
	v_mul_f32_e32 v55, 0x3fc90fda, v54
	v_fma_f32 v56, v54, s45, -v55
	v_fmac_f32_e32 v56, 0x33a22168, v54
	v_fmac_f32_e32 v56, 0x3fc90fda, v53
	v_lshrrev_b32_e32 v0, 30, v0
	v_add_f32_e32 v53, v55, v56
	v_add_u32_e32 v54, v62, v0
	s_andn2_saveexec_b64 s[6:7], s[26:27]
	s_branch .LBB145_84
.LBB145_83:                             ;   in Loop: Header=BB145_57 Depth=1
	s_andn2_saveexec_b64 s[6:7], s[26:27]
.LBB145_84:                             ;   in Loop: Header=BB145_57 Depth=1
	v_mul_f32_e64 v0, |v25|, s46
	v_rndne_f32_e32 v0, v0
	v_cvt_i32_f32_e32 v54, v0
	v_fma_f32 v53, v0, s47, |v25|
	v_fmac_f32_e32 v53, 0xb3a22168, v0
	v_fmac_f32_e32 v53, 0xa7c234c4, v0
; %bb.85:                               ;   in Loop: Header=BB145_57 Depth=1
	s_or_b64 exec, exec, s[6:7]
                                        ; implicit-def: $vgpr57
                                        ; implicit-def: $vgpr58
	s_and_saveexec_b64 s[6:7], s[24:25]
	s_xor_b64 s[24:25], exec, s[6:7]
	s_cbranch_execz .LBB145_87
; %bb.86:                               ;   in Loop: Header=BB145_57 Depth=1
	v_lshrrev_b32_e32 v0, 23, v52
	v_add_u32_e32 v0, 0xffffff88, v0
	v_cmp_lt_u32_e64 s[6:7], 63, v0
	v_cndmask_b32_e64 v55, 0, v34, s[6:7]
	v_add_u32_e32 v0, v55, v0
	v_cmp_lt_u32_e64 s[8:9], 31, v0
	v_cndmask_b32_e64 v55, 0, v35, s[8:9]
	;; [unrolled: 3-line block ×3, first 2 shown]
	v_add_u32_e32 v55, v55, v0
	v_and_b32_e32 v0, 0x7fffff, v52
	v_or_b32_e32 v68, 0x800000, v0
	v_mad_u64_u32 v[56:57], s[12:13], v68, s38, 0
	v_mov_b32_e32 v0, v57
	v_mad_u64_u32 v[58:59], s[12:13], v68, s39, v[0:1]
	v_mov_b32_e32 v0, v59
	;; [unrolled: 2-line block ×6, first 2 shown]
	v_mad_u64_u32 v[68:69], s[12:13], v68, s44, v[0:1]
	v_cndmask_b32_e64 v57, v66, v62, s[6:7]
	v_cndmask_b32_e64 v0, v68, v64, s[6:7]
	;; [unrolled: 1-line block ×7, first 2 shown]
	v_sub_u32_e32 v63, 32, v55
	v_cmp_eq_u32_e64 s[12:13], 0, v55
	v_cndmask_b32_e64 v55, v62, v58, s[6:7]
	v_cndmask_b32_e64 v0, v0, v59, s[10:11]
	;; [unrolled: 1-line block ×4, first 2 shown]
	v_alignbit_b32 v64, v0, v59, v63
	v_cndmask_b32_e64 v57, v57, v58, s[10:11]
	v_cndmask_b32_e64 v0, v64, v0, s[12:13]
	v_alignbit_b32 v61, v59, v57, v63
	v_cndmask_b32_e64 v59, v61, v59, s[12:13]
	v_bfe_u32 v64, v0, 29, 1
	v_cndmask_b32_e64 v56, v60, v56, s[6:7]
	v_alignbit_b32 v61, v0, v59, 30
	v_sub_u32_e32 v65, 0, v64
	v_cndmask_b32_e64 v55, v55, v56, s[8:9]
	v_xor_b32_e32 v66, v61, v65
	v_cndmask_b32_e64 v55, v58, v55, s[10:11]
	v_alignbit_b32 v56, v57, v55, v63
	v_ffbh_u32_e32 v58, v66
	v_cndmask_b32_e64 v56, v56, v57, s[12:13]
	v_add_u32_e32 v58, 1, v58
	v_cmp_ne_u32_e64 s[6:7], v61, v65
	v_alignbit_b32 v57, v59, v56, 30
	v_cndmask_b32_e64 v58, 33, v58, s[6:7]
	v_alignbit_b32 v55, v56, v55, 30
	v_xor_b32_e32 v57, v57, v65
	v_sub_u32_e32 v59, 32, v58
	v_xor_b32_e32 v55, v55, v65
	v_alignbit_b32 v60, v66, v57, v59
	v_alignbit_b32 v55, v57, v55, v59
	;; [unrolled: 1-line block ×3, first 2 shown]
	v_ffbh_u32_e32 v57, v56
	v_min_u32_e32 v57, 32, v57
	v_lshrrev_b32_e32 v62, 29, v0
	v_sub_u32_e32 v59, 31, v57
	v_alignbit_b32 v55, v56, v55, v59
	v_lshlrev_b32_e32 v56, 31, v62
	v_or_b32_e32 v59, 0x33800000, v56
	v_add_lshl_u32 v57, v57, v58, 23
	v_lshrrev_b32_e32 v55, 9, v55
	v_sub_u32_e32 v57, v59, v57
	v_or_b32_e32 v55, v57, v55
	v_alignbit_b32 v57, v58, v60, 9
	v_or_b32_e32 v56, v57, v56
	v_xor_b32_e32 v56, 1.0, v56
	v_mul_f32_e32 v57, 0x3fc90fda, v56
	v_fma_f32 v58, v56, s45, -v57
	v_fmac_f32_e32 v58, 0x33a22168, v56
	v_fmac_f32_e32 v58, 0x3fc90fda, v55
	v_lshrrev_b32_e32 v0, 30, v0
	v_add_f32_e32 v58, v57, v58
	v_add_u32_e32 v57, v64, v0
	s_andn2_saveexec_b64 s[6:7], s[24:25]
	s_cbranch_execnz .LBB145_88
	s_branch .LBB145_89
.LBB145_87:                             ;   in Loop: Header=BB145_57 Depth=1
	s_andn2_saveexec_b64 s[6:7], s[24:25]
.LBB145_88:                             ;   in Loop: Header=BB145_57 Depth=1
	v_mul_f32_e64 v0, |v25|, s46
	v_rndne_f32_e32 v0, v0
	v_cvt_i32_f32_e32 v57, v0
	v_fma_f32 v58, v0, s47, |v25|
	v_fmac_f32_e32 v58, 0xb3a22168, v0
	v_fmac_f32_e32 v58, 0xa7c234c4, v0
.LBB145_89:                             ;   in Loop: Header=BB145_57 Depth=1
	s_or_b64 exec, exec, s[6:7]
	v_mul_f32_e32 v55, 0.5, v23
	v_and_b32_e32 v56, 0x7fffffff, v55
	v_cmp_nlt_f32_e64 s[6:7], |v55|, s37
                                        ; implicit-def: $vgpr60
                                        ; implicit-def: $vgpr59
	s_and_saveexec_b64 s[8:9], s[6:7]
	s_xor_b64 s[24:25], exec, s[8:9]
	s_cbranch_execz .LBB145_91
; %bb.90:                               ;   in Loop: Header=BB145_57 Depth=1
	v_lshrrev_b32_e32 v0, 23, v56
	v_add_u32_e32 v0, 0xffffff88, v0
	v_cmp_lt_u32_e64 s[6:7], 63, v0
	v_cndmask_b32_e64 v59, 0, v34, s[6:7]
	v_add_u32_e32 v0, v59, v0
	v_cmp_lt_u32_e64 s[8:9], 31, v0
	v_cndmask_b32_e64 v59, 0, v35, s[8:9]
	;; [unrolled: 3-line block ×3, first 2 shown]
	v_add_u32_e32 v59, v59, v0
	v_and_b32_e32 v0, 0x7fffff, v56
	v_or_b32_e32 v72, 0x800000, v0
	v_mad_u64_u32 v[60:61], s[12:13], v72, s38, 0
	v_mov_b32_e32 v0, v61
	v_mad_u64_u32 v[62:63], s[12:13], v72, s39, v[0:1]
	v_mov_b32_e32 v0, v63
	v_mad_u64_u32 v[64:65], s[12:13], v72, s40, v[0:1]
	v_mov_b32_e32 v0, v65
	v_mad_u64_u32 v[66:67], s[12:13], v72, s41, v[0:1]
	v_mov_b32_e32 v0, v67
	v_mad_u64_u32 v[68:69], s[12:13], v72, s42, v[0:1]
	v_mov_b32_e32 v0, v69
	v_mad_u64_u32 v[70:71], s[12:13], v72, s43, v[0:1]
	v_mov_b32_e32 v0, v71
	v_mad_u64_u32 v[72:73], s[12:13], v72, s44, v[0:1]
	v_cndmask_b32_e64 v61, v70, v66, s[6:7]
	v_cndmask_b32_e64 v0, v72, v68, s[6:7]
	;; [unrolled: 1-line block ×7, first 2 shown]
	v_sub_u32_e32 v67, 32, v59
	v_cmp_eq_u32_e64 s[12:13], 0, v59
	v_cndmask_b32_e64 v59, v66, v62, s[6:7]
	v_cndmask_b32_e64 v0, v0, v63, s[10:11]
	;; [unrolled: 1-line block ×4, first 2 shown]
	v_alignbit_b32 v68, v0, v63, v67
	v_cndmask_b32_e64 v61, v61, v62, s[10:11]
	v_cndmask_b32_e64 v0, v68, v0, s[12:13]
	v_alignbit_b32 v65, v63, v61, v67
	v_cndmask_b32_e64 v63, v65, v63, s[12:13]
	v_bfe_u32 v68, v0, 29, 1
	v_cndmask_b32_e64 v60, v64, v60, s[6:7]
	v_alignbit_b32 v65, v0, v63, 30
	v_sub_u32_e32 v69, 0, v68
	v_cndmask_b32_e64 v59, v59, v60, s[8:9]
	v_xor_b32_e32 v70, v65, v69
	v_cndmask_b32_e64 v59, v62, v59, s[10:11]
	v_alignbit_b32 v60, v61, v59, v67
	v_ffbh_u32_e32 v62, v70
	v_cndmask_b32_e64 v60, v60, v61, s[12:13]
	v_add_u32_e32 v62, 1, v62
	v_cmp_ne_u32_e64 s[6:7], v65, v69
	v_alignbit_b32 v61, v63, v60, 30
	v_cndmask_b32_e64 v62, 33, v62, s[6:7]
	v_alignbit_b32 v59, v60, v59, 30
	v_xor_b32_e32 v61, v61, v69
	v_sub_u32_e32 v63, 32, v62
	v_xor_b32_e32 v59, v59, v69
	v_alignbit_b32 v64, v70, v61, v63
	v_alignbit_b32 v59, v61, v59, v63
	;; [unrolled: 1-line block ×3, first 2 shown]
	v_ffbh_u32_e32 v61, v60
	v_min_u32_e32 v61, 32, v61
	v_lshrrev_b32_e32 v66, 29, v0
	v_sub_u32_e32 v63, 31, v61
	v_alignbit_b32 v59, v60, v59, v63
	v_lshlrev_b32_e32 v60, 31, v66
	v_or_b32_e32 v63, 0x33800000, v60
	v_add_lshl_u32 v61, v61, v62, 23
	v_lshrrev_b32_e32 v59, 9, v59
	v_sub_u32_e32 v61, v63, v61
	v_or_b32_e32 v59, v61, v59
	v_alignbit_b32 v61, v62, v64, 9
	v_or_b32_e32 v60, v61, v60
	v_xor_b32_e32 v60, 1.0, v60
	v_mul_f32_e32 v61, 0x3fc90fda, v60
	v_fma_f32 v62, v60, s45, -v61
	v_fmac_f32_e32 v62, 0x33a22168, v60
	v_fmac_f32_e32 v62, 0x3fc90fda, v59
	v_lshrrev_b32_e32 v0, 30, v0
	v_add_f32_e32 v59, v61, v62
	v_add_u32_e32 v60, v68, v0
.LBB145_91:                             ;   in Loop: Header=BB145_57 Depth=1
	s_andn2_saveexec_b64 s[6:7], s[24:25]
; %bb.92:                               ;   in Loop: Header=BB145_57 Depth=1
	v_mul_f32_e64 v0, |v55|, s46
	v_rndne_f32_e32 v0, v0
	v_cvt_i32_f32_e32 v60, v0
	v_fma_f32 v59, v0, s47, |v55|
	v_fmac_f32_e32 v59, 0xb3a22168, v0
	v_fmac_f32_e32 v59, 0xa7c234c4, v0
; %bb.93:                               ;   in Loop: Header=BB145_57 Depth=1
	s_or_b64 exec, exec, s[6:7]
	v_and_b32_e32 v61, 0x7fffffff, v23
	v_cmp_nlt_f32_e64 s[24:25], |v23|, s37
                                        ; implicit-def: $vgpr63
                                        ; implicit-def: $vgpr62
	s_and_saveexec_b64 s[6:7], s[24:25]
	s_xor_b64 s[26:27], exec, s[6:7]
	s_cbranch_execz .LBB145_95
; %bb.94:                               ;   in Loop: Header=BB145_57 Depth=1
	v_lshrrev_b32_e32 v0, 23, v61
	v_add_u32_e32 v0, 0xffffff88, v0
	v_cmp_lt_u32_e64 s[6:7], 63, v0
	v_cndmask_b32_e64 v62, 0, v34, s[6:7]
	v_add_u32_e32 v0, v62, v0
	v_cmp_lt_u32_e64 s[8:9], 31, v0
	v_cndmask_b32_e64 v62, 0, v35, s[8:9]
	;; [unrolled: 3-line block ×3, first 2 shown]
	v_add_u32_e32 v76, v62, v0
	v_and_b32_e32 v0, 0x7fffff, v61
	v_or_b32_e32 v74, 0x800000, v0
	v_mad_u64_u32 v[62:63], s[12:13], v74, s38, 0
	v_mov_b32_e32 v0, v63
	v_mad_u64_u32 v[64:65], s[12:13], v74, s39, v[0:1]
	v_mov_b32_e32 v0, v65
	;; [unrolled: 2-line block ×6, first 2 shown]
	v_mad_u64_u32 v[74:75], s[12:13], v74, s44, v[0:1]
	v_cndmask_b32_e64 v63, v72, v68, s[6:7]
	v_cndmask_b32_e64 v0, v74, v70, s[6:7]
	;; [unrolled: 1-line block ×10, first 2 shown]
	v_sub_u32_e32 v69, 32, v76
	v_cndmask_b32_e64 v67, v67, v64, s[8:9]
	v_alignbit_b32 v70, v0, v65, v69
	v_cmp_eq_u32_e64 s[12:13], 0, v76
	v_cndmask_b32_e64 v63, v63, v67, s[10:11]
	v_cndmask_b32_e64 v62, v66, v62, s[6:7]
	;; [unrolled: 1-line block ×3, first 2 shown]
	v_alignbit_b32 v68, v65, v63, v69
	v_cndmask_b32_e64 v62, v64, v62, s[8:9]
	v_cndmask_b32_e64 v65, v68, v65, s[12:13]
	v_bfe_u32 v71, v0, 29, 1
	v_cndmask_b32_e64 v62, v67, v62, s[10:11]
	v_alignbit_b32 v68, v0, v65, 30
	v_sub_u32_e32 v72, 0, v71
	v_alignbit_b32 v64, v63, v62, v69
	v_xor_b32_e32 v73, v68, v72
	v_cndmask_b32_e64 v63, v64, v63, s[12:13]
	v_alignbit_b32 v64, v65, v63, 30
	v_ffbh_u32_e32 v65, v73
	v_add_u32_e32 v65, 1, v65
	v_cmp_ne_u32_e64 s[6:7], v68, v72
	v_cndmask_b32_e64 v65, 33, v65, s[6:7]
	v_alignbit_b32 v62, v63, v62, 30
	v_xor_b32_e32 v64, v64, v72
	v_sub_u32_e32 v66, 32, v65
	v_xor_b32_e32 v62, v62, v72
	v_alignbit_b32 v67, v73, v64, v66
	v_alignbit_b32 v62, v64, v62, v66
	;; [unrolled: 1-line block ×3, first 2 shown]
	v_ffbh_u32_e32 v64, v63
	v_min_u32_e32 v64, 32, v64
	v_lshrrev_b32_e32 v70, 29, v0
	v_sub_u32_e32 v66, 31, v64
	v_alignbit_b32 v62, v63, v62, v66
	v_lshlrev_b32_e32 v63, 31, v70
	v_or_b32_e32 v66, 0x33800000, v63
	v_add_lshl_u32 v64, v64, v65, 23
	v_lshrrev_b32_e32 v62, 9, v62
	v_sub_u32_e32 v64, v66, v64
	v_or_b32_e32 v62, v64, v62
	v_alignbit_b32 v64, v65, v67, 9
	v_or_b32_e32 v63, v64, v63
	v_xor_b32_e32 v63, 1.0, v63
	v_mul_f32_e32 v64, 0x3fc90fda, v63
	v_fma_f32 v65, v63, s45, -v64
	v_fmac_f32_e32 v65, 0x33a22168, v63
	v_fmac_f32_e32 v65, 0x3fc90fda, v62
	v_lshrrev_b32_e32 v0, 30, v0
	v_add_f32_e32 v62, v64, v65
	v_add_u32_e32 v63, v71, v0
	s_andn2_saveexec_b64 s[6:7], s[26:27]
	s_branch .LBB145_96
.LBB145_95:                             ;   in Loop: Header=BB145_57 Depth=1
	s_andn2_saveexec_b64 s[6:7], s[26:27]
.LBB145_96:                             ;   in Loop: Header=BB145_57 Depth=1
	v_mul_f32_e64 v0, |v23|, s46
	v_rndne_f32_e32 v0, v0
	v_cvt_i32_f32_e32 v63, v0
	v_fma_f32 v62, v0, s47, |v23|
	v_fmac_f32_e32 v62, 0xb3a22168, v0
	v_fmac_f32_e32 v62, 0xa7c234c4, v0
; %bb.97:                               ;   in Loop: Header=BB145_57 Depth=1
	s_or_b64 exec, exec, s[6:7]
                                        ; implicit-def: $vgpr66
                                        ; implicit-def: $vgpr67
	s_and_saveexec_b64 s[6:7], s[24:25]
	s_xor_b64 s[24:25], exec, s[6:7]
	s_cbranch_execz .LBB145_99
; %bb.98:                               ;   in Loop: Header=BB145_57 Depth=1
	v_lshrrev_b32_e32 v0, 23, v61
	v_add_u32_e32 v0, 0xffffff88, v0
	v_cmp_lt_u32_e64 s[6:7], 63, v0
	v_cndmask_b32_e64 v64, 0, v34, s[6:7]
	v_add_u32_e32 v0, v64, v0
	v_cmp_lt_u32_e64 s[8:9], 31, v0
	v_cndmask_b32_e64 v64, 0, v35, s[8:9]
	v_add_u32_e32 v0, v64, v0
	v_cmp_lt_u32_e64 s[10:11], 31, v0
	v_cndmask_b32_e64 v64, 0, v35, s[10:11]
	v_add_u32_e32 v78, v64, v0
	v_and_b32_e32 v0, 0x7fffff, v61
	v_or_b32_e32 v76, 0x800000, v0
	v_mad_u64_u32 v[64:65], s[12:13], v76, s38, 0
	v_mov_b32_e32 v0, v65
	v_mad_u64_u32 v[66:67], s[12:13], v76, s39, v[0:1]
	v_mov_b32_e32 v0, v67
	;; [unrolled: 2-line block ×6, first 2 shown]
	v_mad_u64_u32 v[76:77], s[12:13], v76, s44, v[0:1]
	v_cndmask_b32_e64 v65, v74, v70, s[6:7]
	v_cndmask_b32_e64 v0, v76, v72, s[6:7]
	;; [unrolled: 1-line block ×10, first 2 shown]
	v_sub_u32_e32 v71, 32, v78
	v_cndmask_b32_e64 v69, v69, v66, s[8:9]
	v_alignbit_b32 v72, v0, v67, v71
	v_cmp_eq_u32_e64 s[12:13], 0, v78
	v_cndmask_b32_e64 v65, v65, v69, s[10:11]
	v_cndmask_b32_e64 v64, v68, v64, s[6:7]
	;; [unrolled: 1-line block ×3, first 2 shown]
	v_alignbit_b32 v70, v67, v65, v71
	v_cndmask_b32_e64 v64, v66, v64, s[8:9]
	v_cndmask_b32_e64 v67, v70, v67, s[12:13]
	v_bfe_u32 v73, v0, 29, 1
	v_cndmask_b32_e64 v64, v69, v64, s[10:11]
	v_alignbit_b32 v70, v0, v67, 30
	v_sub_u32_e32 v74, 0, v73
	v_alignbit_b32 v66, v65, v64, v71
	v_xor_b32_e32 v75, v70, v74
	v_cndmask_b32_e64 v65, v66, v65, s[12:13]
	v_alignbit_b32 v66, v67, v65, 30
	v_ffbh_u32_e32 v67, v75
	v_add_u32_e32 v67, 1, v67
	v_cmp_ne_u32_e64 s[6:7], v70, v74
	v_cndmask_b32_e64 v67, 33, v67, s[6:7]
	v_alignbit_b32 v64, v65, v64, 30
	v_xor_b32_e32 v66, v66, v74
	v_sub_u32_e32 v68, 32, v67
	v_xor_b32_e32 v64, v64, v74
	v_alignbit_b32 v69, v75, v66, v68
	v_alignbit_b32 v64, v66, v64, v68
	;; [unrolled: 1-line block ×3, first 2 shown]
	v_ffbh_u32_e32 v66, v65
	v_min_u32_e32 v66, 32, v66
	v_lshrrev_b32_e32 v72, 29, v0
	v_sub_u32_e32 v68, 31, v66
	v_alignbit_b32 v64, v65, v64, v68
	v_lshlrev_b32_e32 v65, 31, v72
	v_or_b32_e32 v68, 0x33800000, v65
	v_add_lshl_u32 v66, v66, v67, 23
	v_lshrrev_b32_e32 v64, 9, v64
	v_sub_u32_e32 v66, v68, v66
	v_or_b32_e32 v64, v66, v64
	v_alignbit_b32 v66, v67, v69, 9
	v_or_b32_e32 v65, v66, v65
	v_xor_b32_e32 v65, 1.0, v65
	v_mul_f32_e32 v66, 0x3fc90fda, v65
	v_fma_f32 v67, v65, s45, -v66
	v_fmac_f32_e32 v67, 0x33a22168, v65
	v_fmac_f32_e32 v67, 0x3fc90fda, v64
	v_lshrrev_b32_e32 v0, 30, v0
	v_add_f32_e32 v67, v66, v67
	v_add_u32_e32 v66, v73, v0
	s_andn2_saveexec_b64 s[6:7], s[24:25]
	s_cbranch_execnz .LBB145_100
	s_branch .LBB145_101
.LBB145_99:                             ;   in Loop: Header=BB145_57 Depth=1
	s_andn2_saveexec_b64 s[6:7], s[24:25]
.LBB145_100:                            ;   in Loop: Header=BB145_57 Depth=1
	v_mul_f32_e64 v0, |v23|, s46
	v_rndne_f32_e32 v0, v0
	v_cvt_i32_f32_e32 v66, v0
	v_fma_f32 v67, v0, s47, |v23|
	v_fmac_f32_e32 v67, 0xb3a22168, v0
	v_fmac_f32_e32 v67, 0xa7c234c4, v0
.LBB145_101:                            ;   in Loop: Header=BB145_57 Depth=1
	s_or_b64 exec, exec, s[6:7]
	v_mul_f32_e32 v64, 0.5, v21
	v_and_b32_e32 v65, 0x7fffffff, v64
	v_cmp_nlt_f32_e64 s[6:7], |v64|, s37
                                        ; implicit-def: $vgpr69
                                        ; implicit-def: $vgpr68
	s_and_saveexec_b64 s[8:9], s[6:7]
	s_xor_b64 s[24:25], exec, s[8:9]
	s_cbranch_execz .LBB145_103
; %bb.102:                              ;   in Loop: Header=BB145_57 Depth=1
	v_lshrrev_b32_e32 v0, 23, v65
	v_add_u32_e32 v0, 0xffffff88, v0
	v_cmp_lt_u32_e64 s[6:7], 63, v0
	v_cndmask_b32_e64 v68, 0, v34, s[6:7]
	v_add_u32_e32 v0, v68, v0
	v_cmp_lt_u32_e64 s[8:9], 31, v0
	v_cndmask_b32_e64 v68, 0, v35, s[8:9]
	;; [unrolled: 3-line block ×3, first 2 shown]
	v_add_u32_e32 v82, v68, v0
	v_and_b32_e32 v0, 0x7fffff, v65
	v_or_b32_e32 v80, 0x800000, v0
	v_mad_u64_u32 v[68:69], s[12:13], v80, s38, 0
	v_mov_b32_e32 v0, v69
	v_mad_u64_u32 v[70:71], s[12:13], v80, s39, v[0:1]
	v_mov_b32_e32 v0, v71
	;; [unrolled: 2-line block ×6, first 2 shown]
	v_mad_u64_u32 v[80:81], s[12:13], v80, s44, v[0:1]
	v_cndmask_b32_e64 v69, v78, v74, s[6:7]
	v_cndmask_b32_e64 v0, v80, v76, s[6:7]
	;; [unrolled: 1-line block ×10, first 2 shown]
	v_sub_u32_e32 v75, 32, v82
	v_cndmask_b32_e64 v73, v73, v70, s[8:9]
	v_alignbit_b32 v76, v0, v71, v75
	v_cmp_eq_u32_e64 s[12:13], 0, v82
	v_cndmask_b32_e64 v69, v69, v73, s[10:11]
	v_cndmask_b32_e64 v68, v72, v68, s[6:7]
	;; [unrolled: 1-line block ×3, first 2 shown]
	v_alignbit_b32 v74, v71, v69, v75
	v_cndmask_b32_e64 v68, v70, v68, s[8:9]
	v_cndmask_b32_e64 v71, v74, v71, s[12:13]
	v_bfe_u32 v77, v0, 29, 1
	v_cndmask_b32_e64 v68, v73, v68, s[10:11]
	v_alignbit_b32 v74, v0, v71, 30
	v_sub_u32_e32 v78, 0, v77
	v_alignbit_b32 v70, v69, v68, v75
	v_xor_b32_e32 v79, v74, v78
	v_cndmask_b32_e64 v69, v70, v69, s[12:13]
	v_alignbit_b32 v70, v71, v69, 30
	v_ffbh_u32_e32 v71, v79
	v_add_u32_e32 v71, 1, v71
	v_cmp_ne_u32_e64 s[6:7], v74, v78
	v_cndmask_b32_e64 v71, 33, v71, s[6:7]
	v_alignbit_b32 v68, v69, v68, 30
	v_xor_b32_e32 v70, v70, v78
	v_sub_u32_e32 v72, 32, v71
	v_xor_b32_e32 v68, v68, v78
	v_alignbit_b32 v73, v79, v70, v72
	v_alignbit_b32 v68, v70, v68, v72
	v_alignbit_b32 v69, v73, v68, 9
	v_ffbh_u32_e32 v70, v69
	v_min_u32_e32 v70, 32, v70
	v_lshrrev_b32_e32 v76, 29, v0
	v_sub_u32_e32 v72, 31, v70
	v_alignbit_b32 v68, v69, v68, v72
	v_lshlrev_b32_e32 v69, 31, v76
	v_or_b32_e32 v72, 0x33800000, v69
	v_add_lshl_u32 v70, v70, v71, 23
	v_lshrrev_b32_e32 v68, 9, v68
	v_sub_u32_e32 v70, v72, v70
	v_or_b32_e32 v68, v70, v68
	v_alignbit_b32 v70, v71, v73, 9
	v_or_b32_e32 v69, v70, v69
	v_xor_b32_e32 v69, 1.0, v69
	v_mul_f32_e32 v70, 0x3fc90fda, v69
	v_fma_f32 v71, v69, s45, -v70
	v_fmac_f32_e32 v71, 0x33a22168, v69
	v_fmac_f32_e32 v71, 0x3fc90fda, v68
	v_lshrrev_b32_e32 v0, 30, v0
	v_add_f32_e32 v68, v70, v71
	v_add_u32_e32 v69, v77, v0
.LBB145_103:                            ;   in Loop: Header=BB145_57 Depth=1
	s_andn2_saveexec_b64 s[6:7], s[24:25]
; %bb.104:                              ;   in Loop: Header=BB145_57 Depth=1
	v_mul_f32_e64 v0, |v64|, s46
	v_rndne_f32_e32 v0, v0
	v_cvt_i32_f32_e32 v69, v0
	v_fma_f32 v68, v0, s47, |v64|
	v_fmac_f32_e32 v68, 0xb3a22168, v0
	v_fmac_f32_e32 v68, 0xa7c234c4, v0
; %bb.105:                              ;   in Loop: Header=BB145_57 Depth=1
	s_or_b64 exec, exec, s[6:7]
	v_and_b32_e32 v70, 0x7fffffff, v21
	v_cmp_nlt_f32_e64 s[24:25], |v21|, s37
                                        ; implicit-def: $vgpr72
                                        ; implicit-def: $vgpr71
	s_and_saveexec_b64 s[6:7], s[24:25]
	s_xor_b64 s[26:27], exec, s[6:7]
	s_cbranch_execz .LBB145_107
; %bb.106:                              ;   in Loop: Header=BB145_57 Depth=1
	v_lshrrev_b32_e32 v0, 23, v70
	v_add_u32_e32 v0, 0xffffff88, v0
	v_cmp_lt_u32_e64 s[6:7], 63, v0
	v_cndmask_b32_e64 v71, 0, v34, s[6:7]
	v_add_u32_e32 v0, v71, v0
	v_cmp_lt_u32_e64 s[8:9], 31, v0
	v_cndmask_b32_e64 v71, 0, v35, s[8:9]
	;; [unrolled: 3-line block ×3, first 2 shown]
	v_add_u32_e32 v71, v71, v0
	v_and_b32_e32 v0, 0x7fffff, v70
	v_or_b32_e32 v84, 0x800000, v0
	v_mad_u64_u32 v[72:73], s[12:13], v84, s38, 0
	v_mov_b32_e32 v0, v73
	v_mad_u64_u32 v[74:75], s[12:13], v84, s39, v[0:1]
	v_mov_b32_e32 v0, v75
	;; [unrolled: 2-line block ×6, first 2 shown]
	v_mad_u64_u32 v[84:85], s[12:13], v84, s44, v[0:1]
	v_cndmask_b32_e64 v73, v82, v78, s[6:7]
	v_cndmask_b32_e64 v0, v84, v80, s[6:7]
	;; [unrolled: 1-line block ×7, first 2 shown]
	v_sub_u32_e32 v79, 32, v71
	v_cmp_eq_u32_e64 s[12:13], 0, v71
	v_cndmask_b32_e64 v71, v78, v74, s[6:7]
	v_cndmask_b32_e64 v0, v0, v75, s[10:11]
	;; [unrolled: 1-line block ×4, first 2 shown]
	v_alignbit_b32 v80, v0, v75, v79
	v_cndmask_b32_e64 v73, v73, v74, s[10:11]
	v_cndmask_b32_e64 v0, v80, v0, s[12:13]
	v_alignbit_b32 v77, v75, v73, v79
	v_cndmask_b32_e64 v75, v77, v75, s[12:13]
	v_bfe_u32 v80, v0, 29, 1
	v_cndmask_b32_e64 v72, v76, v72, s[6:7]
	v_alignbit_b32 v77, v0, v75, 30
	v_sub_u32_e32 v81, 0, v80
	v_cndmask_b32_e64 v71, v71, v72, s[8:9]
	v_xor_b32_e32 v82, v77, v81
	v_cndmask_b32_e64 v71, v74, v71, s[10:11]
	v_alignbit_b32 v72, v73, v71, v79
	v_ffbh_u32_e32 v74, v82
	v_cndmask_b32_e64 v72, v72, v73, s[12:13]
	v_add_u32_e32 v74, 1, v74
	v_cmp_ne_u32_e64 s[6:7], v77, v81
	v_alignbit_b32 v73, v75, v72, 30
	v_cndmask_b32_e64 v74, 33, v74, s[6:7]
	v_alignbit_b32 v71, v72, v71, 30
	v_xor_b32_e32 v73, v73, v81
	v_sub_u32_e32 v75, 32, v74
	v_xor_b32_e32 v71, v71, v81
	v_alignbit_b32 v76, v82, v73, v75
	v_alignbit_b32 v71, v73, v71, v75
	;; [unrolled: 1-line block ×3, first 2 shown]
	v_ffbh_u32_e32 v73, v72
	v_min_u32_e32 v73, 32, v73
	v_lshrrev_b32_e32 v78, 29, v0
	v_sub_u32_e32 v75, 31, v73
	v_alignbit_b32 v71, v72, v71, v75
	v_lshlrev_b32_e32 v72, 31, v78
	v_or_b32_e32 v75, 0x33800000, v72
	v_add_lshl_u32 v73, v73, v74, 23
	v_lshrrev_b32_e32 v71, 9, v71
	v_sub_u32_e32 v73, v75, v73
	v_or_b32_e32 v71, v73, v71
	v_alignbit_b32 v73, v74, v76, 9
	v_or_b32_e32 v72, v73, v72
	v_xor_b32_e32 v72, 1.0, v72
	v_mul_f32_e32 v73, 0x3fc90fda, v72
	v_fma_f32 v74, v72, s45, -v73
	v_fmac_f32_e32 v74, 0x33a22168, v72
	v_fmac_f32_e32 v74, 0x3fc90fda, v71
	v_lshrrev_b32_e32 v0, 30, v0
	v_add_f32_e32 v71, v73, v74
	v_add_u32_e32 v72, v80, v0
	s_andn2_saveexec_b64 s[6:7], s[26:27]
	s_branch .LBB145_108
.LBB145_107:                            ;   in Loop: Header=BB145_57 Depth=1
	s_andn2_saveexec_b64 s[6:7], s[26:27]
.LBB145_108:                            ;   in Loop: Header=BB145_57 Depth=1
	v_mul_f32_e64 v0, |v21|, s46
	v_rndne_f32_e32 v0, v0
	v_cvt_i32_f32_e32 v72, v0
	v_fma_f32 v71, v0, s47, |v21|
	v_fmac_f32_e32 v71, 0xb3a22168, v0
	v_fmac_f32_e32 v71, 0xa7c234c4, v0
; %bb.109:                              ;   in Loop: Header=BB145_57 Depth=1
	s_or_b64 exec, exec, s[6:7]
                                        ; implicit-def: $vgpr0
                                        ; implicit-def: $vgpr73
	s_and_saveexec_b64 s[6:7], s[24:25]
	s_xor_b64 s[24:25], exec, s[6:7]
	s_cbranch_execz .LBB145_115
; %bb.110:                              ;   in Loop: Header=BB145_57 Depth=1
	v_lshrrev_b32_e32 v0, 23, v70
	v_add_u32_e32 v0, 0xffffff88, v0
	v_cmp_lt_u32_e64 s[6:7], 63, v0
	v_cndmask_b32_e64 v73, 0, v34, s[6:7]
	v_add_u32_e32 v0, v73, v0
	v_cmp_lt_u32_e64 s[8:9], 31, v0
	v_cndmask_b32_e64 v73, 0, v35, s[8:9]
	;; [unrolled: 3-line block ×3, first 2 shown]
	v_add_u32_e32 v73, v73, v0
	v_and_b32_e32 v0, 0x7fffff, v70
	v_or_b32_e32 v86, 0x800000, v0
	v_mad_u64_u32 v[74:75], s[12:13], v86, s38, 0
	v_mov_b32_e32 v0, v75
	v_mad_u64_u32 v[76:77], s[12:13], v86, s39, v[0:1]
	v_mov_b32_e32 v0, v77
	;; [unrolled: 2-line block ×6, first 2 shown]
	v_mad_u64_u32 v[86:87], s[12:13], v86, s44, v[0:1]
	v_cndmask_b32_e64 v75, v84, v80, s[6:7]
	v_cndmask_b32_e64 v0, v86, v82, s[6:7]
	v_cndmask_b32_e64 v79, v87, v84, s[6:7]
	v_cndmask_b32_e64 v77, v0, v75, s[8:9]
	v_cndmask_b32_e64 v0, v79, v0, s[8:9]
	v_cndmask_b32_e64 v79, v82, v78, s[6:7]
	v_cndmask_b32_e64 v75, v75, v79, s[8:9]
	v_sub_u32_e32 v81, 32, v73
	v_cmp_eq_u32_e64 s[12:13], 0, v73
	v_cndmask_b32_e64 v73, v80, v76, s[6:7]
	v_cndmask_b32_e64 v0, v0, v77, s[10:11]
	;; [unrolled: 1-line block ×4, first 2 shown]
	v_alignbit_b32 v82, v0, v77, v81
	v_cndmask_b32_e64 v75, v75, v76, s[10:11]
	v_cndmask_b32_e64 v0, v82, v0, s[12:13]
	v_alignbit_b32 v79, v77, v75, v81
	v_cndmask_b32_e64 v77, v79, v77, s[12:13]
	v_bfe_u32 v82, v0, 29, 1
	v_cndmask_b32_e64 v74, v78, v74, s[6:7]
	v_alignbit_b32 v79, v0, v77, 30
	v_sub_u32_e32 v83, 0, v82
	v_cndmask_b32_e64 v73, v73, v74, s[8:9]
	v_xor_b32_e32 v84, v79, v83
	v_cndmask_b32_e64 v73, v76, v73, s[10:11]
	v_alignbit_b32 v74, v75, v73, v81
	v_ffbh_u32_e32 v76, v84
	v_cndmask_b32_e64 v74, v74, v75, s[12:13]
	v_add_u32_e32 v76, 1, v76
	v_cmp_ne_u32_e64 s[6:7], v79, v83
	v_alignbit_b32 v75, v77, v74, 30
	v_cndmask_b32_e64 v76, 33, v76, s[6:7]
	v_alignbit_b32 v73, v74, v73, 30
	v_xor_b32_e32 v75, v75, v83
	v_sub_u32_e32 v77, 32, v76
	v_xor_b32_e32 v73, v73, v83
	v_alignbit_b32 v78, v84, v75, v77
	v_alignbit_b32 v73, v75, v73, v77
	;; [unrolled: 1-line block ×3, first 2 shown]
	v_ffbh_u32_e32 v75, v74
	v_min_u32_e32 v75, 32, v75
	v_lshrrev_b32_e32 v80, 29, v0
	v_sub_u32_e32 v77, 31, v75
	v_alignbit_b32 v73, v74, v73, v77
	v_lshlrev_b32_e32 v74, 31, v80
	v_or_b32_e32 v77, 0x33800000, v74
	v_add_lshl_u32 v75, v75, v76, 23
	v_lshrrev_b32_e32 v73, 9, v73
	v_sub_u32_e32 v75, v77, v75
	v_or_b32_e32 v73, v75, v73
	v_alignbit_b32 v75, v76, v78, 9
	v_or_b32_e32 v74, v75, v74
	v_xor_b32_e32 v74, 1.0, v74
	v_mul_f32_e32 v75, 0x3fc90fda, v74
	v_fma_f32 v76, v74, s45, -v75
	v_fmac_f32_e32 v76, 0x33a22168, v74
	v_fmac_f32_e32 v76, 0x3fc90fda, v73
	v_lshrrev_b32_e32 v0, 30, v0
	v_add_f32_e32 v73, v75, v76
	v_add_u32_e32 v0, v82, v0
	s_andn2_saveexec_b64 s[6:7], s[24:25]
	s_cbranch_execnz .LBB145_116
.LBB145_111:                            ;   in Loop: Header=BB145_57 Depth=1
	s_or_b64 exec, exec, s[6:7]
	s_and_saveexec_b64 s[6:7], s[4:5]
	s_xor_b64 s[8:9], exec, s[6:7]
	s_cbranch_execz .LBB145_117
.LBB145_112:                            ;   in Loop: Header=BB145_57 Depth=1
	v_mul_f32_e32 v74, 0x3fb8aa3b, v26
	v_rndne_f32_e32 v75, v74
	v_sub_f32_e32 v76, v74, v75
	v_fma_f32 v74, v26, s48, -v74
	v_fmac_f32_e32 v74, 0x32a5705f, v26
	v_add_f32_e32 v74, v76, v74
	v_cvt_i32_f32_e32 v76, v75
	v_exp_f32_e32 v74, v74
	v_cmp_ngt_f32_e64 s[4:5], s49, v26
	v_mov_b32_e32 v77, v26
	v_fmac_f32_e32 v77, 0xbf317218, v75
	v_ldexp_f32 v74, v74, v76
	v_cndmask_b32_e64 v74, 0, v74, s[4:5]
	v_cmp_nlt_f32_e64 s[4:5], s50, v26
	v_cndmask_b32_e64 v74, v36, v74, s[4:5]
	v_cmp_eq_f32_e64 s[4:5], s51, v75
	v_fmac_f32_e32 v77, 0x3102e308, v75
	v_mov_b32_e32 v75, 0x3ab69700
	v_fmac_f32_e32 v75, 0x395133b1, v77
	v_fma_f32 v75, v77, v75, v28
	v_fma_f32 v75, v77, v75, v29
	;; [unrolled: 1-line block ×3, first 2 shown]
	v_cndmask_b32_e64 v76, v76, v37, s[4:5]
	v_fma_f32 v75, v77, v75, 0.5
	v_ldexp_f32 v76, 1.0, v76
	v_mul_f32_e32 v75, v77, v75
	v_fmac_f32_e32 v77, v77, v75
	v_add_f32_e32 v75, -1.0, v76
	v_fmac_f32_e32 v75, v76, v77
	v_add_f32_e32 v76, v75, v75
	v_cndmask_b32_e64 v75, v75, v76, s[4:5]
	v_mul_f32_e32 v76, v44, v44
	v_mov_b32_e32 v77, 0xbab64f3b
	v_fmac_f32_e32 v77, 0x37d75334, v76
	v_mov_b32_e32 v78, 0x3c0881c4
	v_cmp_nlt_f32_e64 s[4:5], s52, v26
	v_fma_f32 v77, v76, v77, v31
	v_fmac_f32_e32 v78, 0xb94c1982, v76
	v_cndmask_b32_e64 v75, v36, v75, s[4:5]
	v_cmp_ngt_f32_e64 s[4:5], s53, v26
	v_fma_f32 v77, v76, v77, v32
	v_fma_f32 v78, v76, v78, v33
	v_cndmask_b32_e64 v26, -1.0, v75, s[4:5]
	v_lshlrev_b32_e32 v75, 30, v45
	v_and_b32_e32 v45, 1, v45
	v_fma_f32 v77, v76, v77, 1.0
	v_mul_f32_e32 v76, v76, v78
	v_fmac_f32_e32 v44, v44, v76
	v_cmp_eq_u32_e64 s[4:5], 0, v45
	v_lshlrev_b32_e32 v45, 30, v42
	v_and_b32_e32 v75, 0x80000000, v75
	v_cndmask_b32_e64 v44, -v44, v77, s[4:5]
	v_xor_b32_e32 v40, v40, v39
	v_and_b32_e32 v45, 0x80000000, v45
	v_xor_b32_e32 v44, v75, v44
	v_xor_b32_e32 v40, v40, v45
	v_mul_f32_e32 v45, v41, v41
	v_mov_b32_e32 v75, 0x3c0881c4
	v_fmac_f32_e32 v75, 0xb94c1982, v45
	v_fma_f32 v75, v45, v75, v33
	v_mul_f32_e32 v75, v45, v75
	v_fmac_f32_e32 v41, v41, v75
	v_mov_b32_e32 v75, 0xbab64f3b
	v_fmac_f32_e32 v75, 0x37d75334, v45
	v_fma_f32 v75, v45, v75, v31
	v_and_b32_e32 v42, 1, v42
	v_fma_f32 v75, v45, v75, v32
	v_fma_f32 v45, v45, v75, 1.0
	v_cmp_eq_u32_e64 s[6:7], 0, v42
	v_cndmask_b32_e64 v41, v45, v41, s[6:7]
	v_xor_b32_e32 v40, v40, v41
	v_cmp_class_f32_e64 s[6:7], v39, s54
	v_cndmask_b32_e64 v39, v38, v40, s[6:7]
	v_cmp_class_f32_e64 s[4:5], v27, s54
	v_add_f32_e32 v40, v39, v39
	v_cndmask_b32_e64 v44, v38, v44, s[4:5]
	v_mul_f32_e32 v39, v39, v40
	v_fma_f32 v26, v26, v44, -v39
	v_mul_f32_e32 v39, v49, v49
	v_mov_b32_e32 v40, 0x3c0881c4
	v_fmac_f32_e32 v40, 0xb94c1982, v39
	v_fma_f32 v40, v39, v40, v33
	v_mul_f32_e32 v40, v39, v40
	v_fmac_f32_e32 v49, v49, v40
	v_mov_b32_e32 v40, 0xbab64f3b
	v_fmac_f32_e32 v40, 0x37d75334, v39
	v_fma_f32 v40, v39, v40, v31
	v_fma_f32 v40, v39, v40, v32
	v_fma_f32 v39, v39, v40, 1.0
	v_and_b32_e32 v40, 1, v48
	v_cmp_eq_u32_e64 s[6:7], 0, v40
	v_lshlrev_b32_e32 v40, 30, v48
	v_and_b32_e32 v40, 0x80000000, v40
	v_xor_b32_e32 v27, v43, v27
	v_cndmask_b32_e64 v39, v39, v49, s[6:7]
	v_xor_b32_e32 v27, v27, v40
	v_xor_b32_e32 v27, v27, v39
	v_cndmask_b32_e64 v27, v38, v27, s[4:5]
	v_mov_b32_e32 v39, s15
	v_add_co_u32_e64 v40, s[4:5], s14, v4
	v_mul_f32_e32 v27, v74, v27
	v_addc_co_u32_e64 v41, s[4:5], v5, v39, s[4:5]
	global_store_dwordx2 v[40:41], v[26:27], off offset:-4
	s_or_b64 exec, exec, s[8:9]
	s_and_saveexec_b64 s[6:7], s[2:3]
	s_cbranch_execnz .LBB145_118
.LBB145_113:                            ;   in Loop: Header=BB145_57 Depth=1
	s_or_b64 exec, exec, s[6:7]
	s_and_saveexec_b64 s[4:5], s[0:1]
	s_cbranch_execz .LBB145_119
.LBB145_114:                            ;   in Loop: Header=BB145_57 Depth=1
	v_mul_f32_e32 v24, 0x3fb8aa3b, v22
	v_rndne_f32_e32 v25, v24
	v_sub_f32_e32 v26, v24, v25
	v_fma_f32 v24, v22, s48, -v24
	v_fmac_f32_e32 v24, 0x32a5705f, v22
	v_add_f32_e32 v24, v26, v24
	v_cvt_i32_f32_e32 v26, v25
	v_exp_f32_e32 v24, v24
	v_cmp_ngt_f32_e64 s[0:1], s49, v22
	v_mov_b32_e32 v27, v22
	v_fmac_f32_e32 v27, 0xbf317218, v25
	v_ldexp_f32 v24, v24, v26
	v_cndmask_b32_e64 v24, 0, v24, s[0:1]
	v_cmp_nlt_f32_e64 s[0:1], s50, v22
	v_cndmask_b32_e64 v24, v36, v24, s[0:1]
	v_cmp_eq_f32_e64 s[0:1], s51, v25
	v_fmac_f32_e32 v27, 0x3102e308, v25
	v_mov_b32_e32 v25, 0x3ab69700
	v_fmac_f32_e32 v25, 0x395133b1, v27
	v_fma_f32 v25, v27, v25, v28
	v_fma_f32 v25, v27, v25, v29
	;; [unrolled: 1-line block ×3, first 2 shown]
	v_cndmask_b32_e64 v26, v26, v37, s[0:1]
	v_fma_f32 v25, v27, v25, 0.5
	v_ldexp_f32 v26, 1.0, v26
	v_mul_f32_e32 v25, v27, v25
	v_fmac_f32_e32 v27, v27, v25
	v_add_f32_e32 v25, -1.0, v26
	v_fmac_f32_e32 v25, v26, v27
	v_mul_f32_e32 v27, v62, v62
	v_mov_b32_e32 v39, 0xbab64f3b
	v_fmac_f32_e32 v39, 0x37d75334, v27
	v_mov_b32_e32 v40, 0x3c0881c4
	v_add_f32_e32 v26, v25, v25
	v_fma_f32 v39, v27, v39, v31
	v_fmac_f32_e32 v40, 0xb94c1982, v27
	v_cndmask_b32_e64 v25, v25, v26, s[0:1]
	v_cmp_nlt_f32_e64 s[0:1], s52, v22
	v_fma_f32 v39, v27, v39, v32
	v_fma_f32 v40, v27, v40, v33
	v_cndmask_b32_e64 v25, v36, v25, s[0:1]
	v_cmp_ngt_f32_e64 s[0:1], s53, v22
	v_and_b32_e32 v26, 1, v63
	v_fma_f32 v39, v27, v39, 1.0
	v_mul_f32_e32 v27, v27, v40
	v_cndmask_b32_e64 v22, -1.0, v25, s[0:1]
	v_fmac_f32_e32 v62, v62, v27
	v_cmp_eq_u32_e64 s[0:1], 0, v26
	v_cndmask_b32_e64 v26, -v62, v39, s[0:1]
	v_mul_f32_e32 v39, v59, v59
	v_mov_b32_e32 v40, 0x3c0881c4
	v_fmac_f32_e32 v40, 0xb94c1982, v39
	v_fma_f32 v40, v39, v40, v33
	v_mul_f32_e32 v40, v39, v40
	v_lshlrev_b32_e32 v25, 30, v63
	v_fmac_f32_e32 v59, v59, v40
	v_mov_b32_e32 v40, 0xbab64f3b
	v_and_b32_e32 v25, 0x80000000, v25
	v_lshlrev_b32_e32 v27, 30, v60
	v_fmac_f32_e32 v40, 0x37d75334, v39
	v_xor_b32_e32 v25, v25, v26
	v_xor_b32_e32 v26, v56, v55
	v_and_b32_e32 v27, 0x80000000, v27
	v_fma_f32 v40, v39, v40, v31
	v_xor_b32_e32 v26, v26, v27
	v_and_b32_e32 v27, 1, v60
	v_fma_f32 v40, v39, v40, v32
	v_fma_f32 v39, v39, v40, 1.0
	v_cmp_eq_u32_e64 s[2:3], 0, v27
	v_cndmask_b32_e64 v27, v39, v59, s[2:3]
	v_xor_b32_e32 v26, v26, v27
	v_cmp_class_f32_e64 s[2:3], v55, s54
	v_cndmask_b32_e64 v26, v38, v26, s[2:3]
	v_cmp_class_f32_e64 s[0:1], v23, s54
	v_add_f32_e32 v27, v26, v26
	v_cndmask_b32_e64 v25, v38, v25, s[0:1]
	v_mul_f32_e32 v26, v26, v27
	v_fma_f32 v22, v22, v25, -v26
	v_mul_f32_e32 v25, v67, v67
	v_mov_b32_e32 v26, 0x3c0881c4
	v_fmac_f32_e32 v26, 0xb94c1982, v25
	v_fma_f32 v26, v25, v26, v33
	v_mul_f32_e32 v26, v25, v26
	v_fmac_f32_e32 v67, v67, v26
	v_mov_b32_e32 v26, 0xbab64f3b
	v_fmac_f32_e32 v26, 0x37d75334, v25
	v_fma_f32 v26, v25, v26, v31
	v_fma_f32 v26, v25, v26, v32
	v_fma_f32 v25, v25, v26, 1.0
	v_and_b32_e32 v26, 1, v66
	v_cmp_eq_u32_e64 s[2:3], 0, v26
	v_lshlrev_b32_e32 v26, 30, v66
	v_and_b32_e32 v26, 0x80000000, v26
	v_xor_b32_e32 v23, v61, v23
	v_cndmask_b32_e64 v25, v25, v67, s[2:3]
	v_xor_b32_e32 v23, v23, v26
	v_xor_b32_e32 v23, v23, v25
	v_cndmask_b32_e64 v23, v38, v23, s[0:1]
	v_mul_f32_e32 v23, v24, v23
	v_mov_b32_e32 v25, s15
	v_add_co_u32_e64 v24, s[0:1], s14, v14
	v_addc_co_u32_e64 v25, s[0:1], v15, v25, s[0:1]
	global_store_dwordx2 v[24:25], v[22:23], off offset:-4
	s_or_b64 exec, exec, s[4:5]
	s_and_saveexec_b64 s[2:3], vcc
	s_cbranch_execz .LBB145_56
	s_branch .LBB145_120
.LBB145_115:                            ;   in Loop: Header=BB145_57 Depth=1
	s_andn2_saveexec_b64 s[6:7], s[24:25]
	s_cbranch_execz .LBB145_111
.LBB145_116:                            ;   in Loop: Header=BB145_57 Depth=1
	v_mul_f32_e64 v0, |v21|, s46
	v_rndne_f32_e32 v74, v0
	v_cvt_i32_f32_e32 v0, v74
	v_fma_f32 v73, v74, s47, |v21|
	v_fmac_f32_e32 v73, 0xb3a22168, v74
	v_fmac_f32_e32 v73, 0xa7c234c4, v74
	s_or_b64 exec, exec, s[6:7]
	s_and_saveexec_b64 s[6:7], s[4:5]
	s_xor_b64 s[8:9], exec, s[6:7]
	s_cbranch_execnz .LBB145_112
.LBB145_117:                            ;   in Loop: Header=BB145_57 Depth=1
	s_or_b64 exec, exec, s[8:9]
	s_and_saveexec_b64 s[6:7], s[2:3]
	s_cbranch_execz .LBB145_113
.LBB145_118:                            ;   in Loop: Header=BB145_57 Depth=1
	v_mul_f32_e32 v26, 0x3fb8aa3b, v24
	v_rndne_f32_e32 v27, v26
	v_sub_f32_e32 v39, v26, v27
	v_fma_f32 v26, v24, s48, -v26
	v_fmac_f32_e32 v26, 0x32a5705f, v24
	v_add_f32_e32 v26, v39, v26
	v_cvt_i32_f32_e32 v39, v27
	v_exp_f32_e32 v26, v26
	v_cmp_ngt_f32_e64 s[2:3], s49, v24
	v_mov_b32_e32 v40, v24
	v_fmac_f32_e32 v40, 0xbf317218, v27
	v_ldexp_f32 v26, v26, v39
	v_cndmask_b32_e64 v26, 0, v26, s[2:3]
	v_cmp_nlt_f32_e64 s[2:3], s50, v24
	v_cndmask_b32_e64 v26, v36, v26, s[2:3]
	v_cmp_eq_f32_e64 s[2:3], s51, v27
	v_fmac_f32_e32 v40, 0x3102e308, v27
	v_mov_b32_e32 v27, 0x3ab69700
	v_fmac_f32_e32 v27, 0x395133b1, v40
	v_fma_f32 v27, v40, v27, v28
	v_fma_f32 v27, v40, v27, v29
	;; [unrolled: 1-line block ×3, first 2 shown]
	v_cndmask_b32_e64 v39, v39, v37, s[2:3]
	v_fma_f32 v27, v40, v27, 0.5
	v_ldexp_f32 v39, 1.0, v39
	v_mul_f32_e32 v27, v40, v27
	v_fmac_f32_e32 v40, v40, v27
	v_add_f32_e32 v27, -1.0, v39
	v_fmac_f32_e32 v27, v39, v40
	v_mul_f32_e32 v40, v53, v53
	v_mov_b32_e32 v41, 0xbab64f3b
	v_fmac_f32_e32 v41, 0x37d75334, v40
	v_mov_b32_e32 v42, 0x3c0881c4
	v_add_f32_e32 v39, v27, v27
	v_fma_f32 v41, v40, v41, v31
	v_fmac_f32_e32 v42, 0xb94c1982, v40
	v_cndmask_b32_e64 v27, v27, v39, s[2:3]
	v_cmp_nlt_f32_e64 s[2:3], s52, v24
	v_fma_f32 v41, v40, v41, v32
	v_fma_f32 v42, v40, v42, v33
	v_cndmask_b32_e64 v27, v36, v27, s[2:3]
	v_cmp_ngt_f32_e64 s[2:3], s53, v24
	v_and_b32_e32 v39, 1, v54
	v_fma_f32 v41, v40, v41, 1.0
	v_mul_f32_e32 v40, v40, v42
	v_cndmask_b32_e64 v24, -1.0, v27, s[2:3]
	v_fmac_f32_e32 v53, v53, v40
	v_cmp_eq_u32_e64 s[2:3], 0, v39
	v_cndmask_b32_e64 v39, -v53, v41, s[2:3]
	v_mul_f32_e32 v41, v50, v50
	v_mov_b32_e32 v42, 0x3c0881c4
	v_fmac_f32_e32 v42, 0xb94c1982, v41
	v_fma_f32 v42, v41, v42, v33
	v_mul_f32_e32 v42, v41, v42
	v_lshlrev_b32_e32 v27, 30, v54
	v_fmac_f32_e32 v50, v50, v42
	v_mov_b32_e32 v42, 0xbab64f3b
	v_and_b32_e32 v27, 0x80000000, v27
	v_lshlrev_b32_e32 v40, 30, v51
	v_fmac_f32_e32 v42, 0x37d75334, v41
	v_xor_b32_e32 v27, v27, v39
	v_xor_b32_e32 v39, v47, v46
	v_and_b32_e32 v40, 0x80000000, v40
	v_fma_f32 v42, v41, v42, v31
	v_xor_b32_e32 v39, v39, v40
	v_and_b32_e32 v40, 1, v51
	v_fma_f32 v42, v41, v42, v32
	v_fma_f32 v41, v41, v42, 1.0
	v_cmp_eq_u32_e64 s[4:5], 0, v40
	v_cndmask_b32_e64 v40, v41, v50, s[4:5]
	v_xor_b32_e32 v39, v39, v40
	v_cmp_class_f32_e64 s[4:5], v46, s54
	v_cndmask_b32_e64 v39, v38, v39, s[4:5]
	v_cmp_class_f32_e64 s[2:3], v25, s54
	v_add_f32_e32 v40, v39, v39
	v_cndmask_b32_e64 v27, v38, v27, s[2:3]
	v_mul_f32_e32 v39, v39, v40
	v_fma_f32 v24, v24, v27, -v39
	v_mul_f32_e32 v27, v58, v58
	v_mov_b32_e32 v39, 0x3c0881c4
	v_fmac_f32_e32 v39, 0xb94c1982, v27
	v_fma_f32 v39, v27, v39, v33
	v_mul_f32_e32 v39, v27, v39
	v_fmac_f32_e32 v58, v58, v39
	v_mov_b32_e32 v39, 0xbab64f3b
	v_fmac_f32_e32 v39, 0x37d75334, v27
	v_fma_f32 v39, v27, v39, v31
	v_fma_f32 v39, v27, v39, v32
	v_fma_f32 v27, v27, v39, 1.0
	v_and_b32_e32 v39, 1, v57
	v_cmp_eq_u32_e64 s[4:5], 0, v39
	v_lshlrev_b32_e32 v39, 30, v57
	v_and_b32_e32 v39, 0x80000000, v39
	v_xor_b32_e32 v25, v52, v25
	v_cndmask_b32_e64 v27, v27, v58, s[4:5]
	v_xor_b32_e32 v25, v25, v39
	v_xor_b32_e32 v25, v25, v27
	v_cndmask_b32_e64 v25, v38, v25, s[2:3]
	v_mul_f32_e32 v25, v26, v25
	v_mov_b32_e32 v27, s15
	v_add_co_u32_e64 v26, s[2:3], s14, v12
	v_addc_co_u32_e64 v27, s[2:3], v13, v27, s[2:3]
	global_store_dwordx2 v[26:27], v[24:25], off
	s_or_b64 exec, exec, s[6:7]
	s_and_saveexec_b64 s[4:5], s[0:1]
	s_cbranch_execnz .LBB145_114
.LBB145_119:                            ;   in Loop: Header=BB145_57 Depth=1
	s_or_b64 exec, exec, s[4:5]
	s_and_saveexec_b64 s[2:3], vcc
	s_cbranch_execz .LBB145_56
.LBB145_120:                            ;   in Loop: Header=BB145_57 Depth=1
	v_mul_f32_e32 v22, 0x3fb8aa3b, v20
	v_rndne_f32_e32 v23, v22
	v_sub_f32_e32 v24, v22, v23
	v_fma_f32 v22, v20, s48, -v22
	v_fmac_f32_e32 v22, 0x32a5705f, v20
	v_add_f32_e32 v22, v24, v22
	v_cvt_i32_f32_e32 v24, v23
	v_exp_f32_e32 v22, v22
	v_cmp_ngt_f32_e32 vcc, s49, v20
	v_mov_b32_e32 v25, v20
	v_fmac_f32_e32 v25, 0xbf317218, v23
	v_ldexp_f32 v22, v22, v24
	v_cndmask_b32_e32 v22, 0, v22, vcc
	v_cmp_nlt_f32_e32 vcc, s50, v20
	v_cndmask_b32_e32 v22, v36, v22, vcc
	v_cmp_eq_f32_e32 vcc, s51, v23
	v_fmac_f32_e32 v25, 0x3102e308, v23
	v_mov_b32_e32 v23, 0x3ab69700
	v_fmac_f32_e32 v23, 0x395133b1, v25
	v_fma_f32 v23, v25, v23, v28
	v_fma_f32 v23, v25, v23, v29
	;; [unrolled: 1-line block ×3, first 2 shown]
	v_cndmask_b32_e32 v24, v24, v37, vcc
	v_fma_f32 v23, v25, v23, 0.5
	v_ldexp_f32 v24, 1.0, v24
	v_mul_f32_e32 v23, v25, v23
	v_fmac_f32_e32 v25, v25, v23
	v_add_f32_e32 v23, -1.0, v24
	v_fmac_f32_e32 v23, v24, v25
	v_mul_f32_e32 v25, v71, v71
	v_mov_b32_e32 v26, 0xbab64f3b
	v_fmac_f32_e32 v26, 0x37d75334, v25
	v_mov_b32_e32 v27, 0x3c0881c4
	v_add_f32_e32 v24, v23, v23
	v_fma_f32 v26, v25, v26, v31
	v_fmac_f32_e32 v27, 0xb94c1982, v25
	v_cndmask_b32_e32 v23, v23, v24, vcc
	v_cmp_nlt_f32_e32 vcc, s52, v20
	v_fma_f32 v26, v25, v26, v32
	v_fma_f32 v27, v25, v27, v33
	v_cndmask_b32_e32 v23, v36, v23, vcc
	v_cmp_ngt_f32_e32 vcc, s53, v20
	v_and_b32_e32 v24, 1, v72
	v_fma_f32 v26, v25, v26, 1.0
	v_mul_f32_e32 v25, v25, v27
	v_cndmask_b32_e32 v20, -1.0, v23, vcc
	v_fmac_f32_e32 v71, v71, v25
	v_cmp_eq_u32_e32 vcc, 0, v24
	v_cndmask_b32_e64 v24, -v71, v26, vcc
	v_mul_f32_e32 v26, v68, v68
	v_mov_b32_e32 v27, 0x3c0881c4
	v_fmac_f32_e32 v27, 0xb94c1982, v26
	v_fma_f32 v27, v26, v27, v33
	v_mul_f32_e32 v27, v26, v27
	v_lshlrev_b32_e32 v23, 30, v72
	v_fmac_f32_e32 v68, v68, v27
	v_mov_b32_e32 v27, 0xbab64f3b
	v_and_b32_e32 v23, 0x80000000, v23
	v_lshlrev_b32_e32 v25, 30, v69
	v_fmac_f32_e32 v27, 0x37d75334, v26
	v_xor_b32_e32 v23, v23, v24
	v_xor_b32_e32 v24, v65, v64
	v_and_b32_e32 v25, 0x80000000, v25
	v_fma_f32 v27, v26, v27, v31
	v_xor_b32_e32 v24, v24, v25
	v_and_b32_e32 v25, 1, v69
	v_fma_f32 v27, v26, v27, v32
	v_fma_f32 v26, v26, v27, 1.0
	v_cmp_eq_u32_e64 s[0:1], 0, v25
	v_cndmask_b32_e64 v25, v26, v68, s[0:1]
	v_xor_b32_e32 v24, v24, v25
	v_cmp_class_f32_e64 s[0:1], v64, s54
	v_cndmask_b32_e64 v24, v38, v24, s[0:1]
	v_cmp_class_f32_e64 vcc, v21, s54
	v_add_f32_e32 v25, v24, v24
	v_cndmask_b32_e32 v23, v38, v23, vcc
	v_mul_f32_e32 v24, v24, v25
	v_fma_f32 v20, v20, v23, -v24
	v_mul_f32_e32 v23, v73, v73
	v_mov_b32_e32 v24, 0x3c0881c4
	v_fmac_f32_e32 v24, 0xb94c1982, v23
	v_fma_f32 v24, v23, v24, v33
	v_mul_f32_e32 v24, v23, v24
	v_fmac_f32_e32 v73, v73, v24
	v_mov_b32_e32 v24, 0xbab64f3b
	v_fmac_f32_e32 v24, 0x37d75334, v23
	v_fma_f32 v24, v23, v24, v31
	v_fma_f32 v24, v23, v24, v32
	v_fma_f32 v23, v23, v24, 1.0
	v_and_b32_e32 v24, 1, v0
	v_lshlrev_b32_e32 v0, 30, v0
	v_cmp_eq_u32_e64 s[0:1], 0, v24
	v_and_b32_e32 v0, 0x80000000, v0
	v_xor_b32_e32 v21, v70, v21
	v_cndmask_b32_e64 v23, v23, v73, s[0:1]
	v_xor_b32_e32 v0, v21, v0
	v_xor_b32_e32 v0, v0, v23
	v_cndmask_b32_e32 v0, v38, v0, vcc
	v_mul_f32_e32 v21, v22, v0
	v_mov_b32_e32 v0, s15
	v_add_co_u32_e32 v22, vcc, s14, v8
	v_addc_co_u32_e32 v23, vcc, v9, v0, vcc
	global_store_dwordx2 v[22:23], v[20:21], off offset:-4
	s_branch .LBB145_56
.LBB145_121:
	s_endpgm
	.section	.rodata,"a",@progbits
	.p2align	6, 0x0
	.amdhsa_kernel _ZN2at6native12_GLOBAL__N_125multi_tensor_apply_kernelINS1_18TensorListMetadataILi2EEENS1_14UnaryOpFunctorIN3c107complexIfEELi2ELi1ELi1EEEJNS0_5Expm1IS8_EEEEEvT_T0_DpT1_
		.amdhsa_group_segment_fixed_size 0
		.amdhsa_private_segment_fixed_size 0
		.amdhsa_kernarg_size 3408
		.amdhsa_user_sgpr_count 6
		.amdhsa_user_sgpr_private_segment_buffer 1
		.amdhsa_user_sgpr_dispatch_ptr 0
		.amdhsa_user_sgpr_queue_ptr 0
		.amdhsa_user_sgpr_kernarg_segment_ptr 1
		.amdhsa_user_sgpr_dispatch_id 0
		.amdhsa_user_sgpr_flat_scratch_init 0
		.amdhsa_user_sgpr_kernarg_preload_length 0
		.amdhsa_user_sgpr_kernarg_preload_offset 0
		.amdhsa_user_sgpr_private_segment_size 0
		.amdhsa_uses_dynamic_stack 0
		.amdhsa_system_sgpr_private_segment_wavefront_offset 0
		.amdhsa_system_sgpr_workgroup_id_x 1
		.amdhsa_system_sgpr_workgroup_id_y 0
		.amdhsa_system_sgpr_workgroup_id_z 0
		.amdhsa_system_sgpr_workgroup_info 0
		.amdhsa_system_vgpr_workitem_id 0
		.amdhsa_next_free_vgpr 88
		.amdhsa_next_free_sgpr 55
		.amdhsa_accum_offset 88
		.amdhsa_reserve_vcc 1
		.amdhsa_reserve_flat_scratch 0
		.amdhsa_float_round_mode_32 0
		.amdhsa_float_round_mode_16_64 0
		.amdhsa_float_denorm_mode_32 3
		.amdhsa_float_denorm_mode_16_64 3
		.amdhsa_dx10_clamp 1
		.amdhsa_ieee_mode 1
		.amdhsa_fp16_overflow 0
		.amdhsa_tg_split 0
		.amdhsa_exception_fp_ieee_invalid_op 0
		.amdhsa_exception_fp_denorm_src 0
		.amdhsa_exception_fp_ieee_div_zero 0
		.amdhsa_exception_fp_ieee_overflow 0
		.amdhsa_exception_fp_ieee_underflow 0
		.amdhsa_exception_fp_ieee_inexact 0
		.amdhsa_exception_int_div_zero 0
	.end_amdhsa_kernel
	.section	.text._ZN2at6native12_GLOBAL__N_125multi_tensor_apply_kernelINS1_18TensorListMetadataILi2EEENS1_14UnaryOpFunctorIN3c107complexIfEELi2ELi1ELi1EEEJNS0_5Expm1IS8_EEEEEvT_T0_DpT1_,"axG",@progbits,_ZN2at6native12_GLOBAL__N_125multi_tensor_apply_kernelINS1_18TensorListMetadataILi2EEENS1_14UnaryOpFunctorIN3c107complexIfEELi2ELi1ELi1EEEJNS0_5Expm1IS8_EEEEEvT_T0_DpT1_,comdat
.Lfunc_end145:
	.size	_ZN2at6native12_GLOBAL__N_125multi_tensor_apply_kernelINS1_18TensorListMetadataILi2EEENS1_14UnaryOpFunctorIN3c107complexIfEELi2ELi1ELi1EEEJNS0_5Expm1IS8_EEEEEvT_T0_DpT1_, .Lfunc_end145-_ZN2at6native12_GLOBAL__N_125multi_tensor_apply_kernelINS1_18TensorListMetadataILi2EEENS1_14UnaryOpFunctorIN3c107complexIfEELi2ELi1ELi1EEEJNS0_5Expm1IS8_EEEEEvT_T0_DpT1_
                                        ; -- End function
	.section	.AMDGPU.csdata,"",@progbits
; Kernel info:
; codeLenInByte = 21532
; NumSgprs: 59
; NumVgprs: 88
; NumAgprs: 0
; TotalNumVgprs: 88
; ScratchSize: 0
; MemoryBound: 1
; FloatMode: 240
; IeeeMode: 1
; LDSByteSize: 0 bytes/workgroup (compile time only)
; SGPRBlocks: 7
; VGPRBlocks: 10
; NumSGPRsForWavesPerEU: 59
; NumVGPRsForWavesPerEU: 88
; AccumOffset: 88
; Occupancy: 5
; WaveLimiterHint : 0
; COMPUTE_PGM_RSRC2:SCRATCH_EN: 0
; COMPUTE_PGM_RSRC2:USER_SGPR: 6
; COMPUTE_PGM_RSRC2:TRAP_HANDLER: 0
; COMPUTE_PGM_RSRC2:TGID_X_EN: 1
; COMPUTE_PGM_RSRC2:TGID_Y_EN: 0
; COMPUTE_PGM_RSRC2:TGID_Z_EN: 0
; COMPUTE_PGM_RSRC2:TIDIG_COMP_CNT: 0
; COMPUTE_PGM_RSRC3_GFX90A:ACCUM_OFFSET: 21
; COMPUTE_PGM_RSRC3_GFX90A:TG_SPLIT: 0
	.section	.text._ZN2at6native12_GLOBAL__N_125multi_tensor_apply_kernelINS1_18TensorListMetadataILi2EEENS1_14UnaryOpFunctorIN3c104HalfELi2ELi1ELi1EEEJNS0_5Expm1IfEEEEEvT_T0_DpT1_,"axG",@progbits,_ZN2at6native12_GLOBAL__N_125multi_tensor_apply_kernelINS1_18TensorListMetadataILi2EEENS1_14UnaryOpFunctorIN3c104HalfELi2ELi1ELi1EEEJNS0_5Expm1IfEEEEEvT_T0_DpT1_,comdat
	.globl	_ZN2at6native12_GLOBAL__N_125multi_tensor_apply_kernelINS1_18TensorListMetadataILi2EEENS1_14UnaryOpFunctorIN3c104HalfELi2ELi1ELi1EEEJNS0_5Expm1IfEEEEEvT_T0_DpT1_ ; -- Begin function _ZN2at6native12_GLOBAL__N_125multi_tensor_apply_kernelINS1_18TensorListMetadataILi2EEENS1_14UnaryOpFunctorIN3c104HalfELi2ELi1ELi1EEEJNS0_5Expm1IfEEEEEvT_T0_DpT1_
	.p2align	8
	.type	_ZN2at6native12_GLOBAL__N_125multi_tensor_apply_kernelINS1_18TensorListMetadataILi2EEENS1_14UnaryOpFunctorIN3c104HalfELi2ELi1ELi1EEEJNS0_5Expm1IfEEEEEvT_T0_DpT1_,@function
_ZN2at6native12_GLOBAL__N_125multi_tensor_apply_kernelINS1_18TensorListMetadataILi2EEENS1_14UnaryOpFunctorIN3c104HalfELi2ELi1ELi1EEEJNS0_5Expm1IfEEEEEvT_T0_DpT1_: ; @_ZN2at6native12_GLOBAL__N_125multi_tensor_apply_kernelINS1_18TensorListMetadataILi2EEENS1_14UnaryOpFunctorIN3c104HalfELi2ELi1ELi1EEEJNS0_5Expm1IfEEEEEvT_T0_DpT1_
; %bb.0:
	v_mov_b32_e32 v1, s6
	global_load_ubyte v1, v1, s[4:5] offset:1536
	s_add_u32 s0, s4, s6
	s_mul_hi_u32 s2, s6, 3
	s_mul_i32 s6, s6, 3
	s_addc_u32 s7, s5, 0
	s_add_u32 s6, s0, s6
	s_addc_u32 s7, s7, s2
	s_mov_b32 s1, 0
	s_mov_b32 s3, s1
	s_waitcnt vmcnt(0)
	v_readfirstlane_b32 s0, v1
	s_lshl_b32 s0, s0, 3
	s_load_dword s10, s[6:7], 0x740
	s_load_dwordx2 s[16:17], s[4:5], s0 offset:0x0
	s_load_dwordx2 s[12:13], s[4:5], s0 offset:0x400
	;; [unrolled: 1-line block ×3, first 2 shown]
	s_mov_b32 s7, s1
	s_waitcnt lgkmcnt(0)
	s_ashr_i32 s11, s10, 31
	s_and_b32 s0, s16, 7
	s_and_b32 s6, s12, 3
	;; [unrolled: 1-line block ×3, first 2 shown]
	s_or_b64 s[6:7], s[0:1], s[6:7]
	s_lshl_b64 s[8:9], s[10:11], 17
	s_or_b64 s[2:3], s[2:3], s[6:7]
	s_lshl_b64 s[6:7], s[10:11], 16
	s_sub_u32 s10, s12, s6
	s_subb_u32 s11, s13, s7
	s_cmp_eq_u64 s[2:3], 0
	s_mov_b64 s[2:3], -1
	s_cbranch_scc0 .LBB146_5
; %bb.1:
	v_mov_b32_e32 v3, 0
	v_lshlrev_b32_e32 v2, 2, v0
	v_cmp_gt_i64_e32 vcc, s[10:11], v[2:3]
	s_and_saveexec_b64 s[12:13], vcc
	s_cbranch_execz .LBB146_4
; %bb.2:
	s_load_dword s0, s[4:5], 0xc5c
	v_lshlrev_b32_e32 v1, 3, v0
	v_mov_b32_e32 v2, s9
	v_add_co_u32_e32 v4, vcc, s8, v1
	s_waitcnt lgkmcnt(0)
	s_and_b32 s0, s0, 0xffff
	v_addc_co_u32_e32 v1, vcc, 0, v2, vcc
	s_lshl_b32 s21, s0, 3
	v_add_lshl_u32 v2, v0, s0, 2
	s_lshl_b32 s23, s0, 2
	s_mov_b32 s0, 0x3ab69700
	s_mov_b64 s[18:19], 0
	v_mov_b32_e32 v5, s17
	v_mov_b32_e32 v8, s15
	s_mov_b32 s20, 0x3fb8aa3b
	s_mov_b32 s22, 0xbf317218
	;; [unrolled: 1-line block ×4, first 2 shown]
	v_mov_b32_e32 v9, 0x7f
	s_mov_b32 s26, 0x395133b1
	v_pk_mov_b32 v[6:7], s[0:1], s[0:1] op_sel:[0,1]
	s_mov_b32 s28, 0x3c0887f9
	s_mov_b32 s30, 0x3d2aaa81
	;; [unrolled: 1-line block ×4, first 2 shown]
	v_mov_b32_e32 v10, 0x7f800000
	s_mov_b32 s29, 0xcc40
	v_mov_b32_e32 v11, 0xbc00
	s_mov_b64 s[36:37], 0xffff
	v_mov_b32_e32 v12, s1
	v_mov_b32_e32 v13, s1
.LBB146_3:                              ; =>This Inner Loop Header: Depth=1
	v_add_co_u32_e32 v14, vcc, s16, v4
	v_addc_co_u32_e32 v15, vcc, v5, v1, vcc
	global_load_dwordx2 v[14:15], v[14:15], off
	v_add_co_u32_e32 v16, vcc, s14, v4
	v_addc_co_u32_e32 v17, vcc, v8, v1, vcc
	v_add_co_u32_e64 v4, s[2:3], s21, v4
	v_cmp_le_i64_e32 vcc, s[10:11], v[2:3]
	v_cmp_lt_u64_e64 s[0:1], s[36:37], v[2:3]
	v_addc_co_u32_e64 v1, s[2:3], v1, v12, s[2:3]
	v_add_co_u32_e64 v2, s[2:3], s23, v2
	s_or_b64 s[0:1], vcc, s[0:1]
	v_addc_co_u32_e64 v3, s[2:3], v3, v13, s[2:3]
	s_and_b64 s[0:1], exec, s[0:1]
	s_or_b64 s[18:19], s[0:1], s[18:19]
	s_waitcnt vmcnt(0)
	v_cvt_f32_f16_e32 v18, v14
	v_cvt_f32_f16_e32 v20, v15
	v_cvt_f32_f16_sdwa v21, v15 dst_sel:DWORD dst_unused:UNUSED_PAD src0_sel:WORD_1
	v_cvt_f32_f16_sdwa v19, v14 dst_sel:DWORD dst_unused:UNUSED_PAD src0_sel:WORD_1
	v_pk_mul_f32 v[22:23], v[20:21], s[20:21] op_sel_hi:[1,0]
	v_pk_mul_f32 v[24:25], v[18:19], s[20:21] op_sel_hi:[1,0]
	v_rndne_f32_e32 v25, v25
	v_rndne_f32_e32 v24, v24
	;; [unrolled: 1-line block ×4, first 2 shown]
	v_pk_fma_f32 v[26:27], v[22:23], s[22:23], v[20:21] op_sel_hi:[1,0,1]
	v_pk_fma_f32 v[28:29], v[24:25], s[22:23], v[18:19] op_sel_hi:[1,0,1]
	v_cvt_i32_f32_e32 v30, v24
	v_cvt_i32_f32_e32 v31, v23
	v_cmp_eq_f32_e32 vcc, s25, v23
	v_cvt_i32_f32_e32 v32, v22
	v_cmp_eq_f32_e64 s[0:1], s25, v22
	v_cvt_i32_f32_e32 v33, v25
	v_cmp_eq_f32_e64 s[2:3], s25, v25
	v_cmp_eq_f32_e64 s[6:7], s25, v24
	v_pk_fma_f32 v[24:25], v[24:25], s[24:25], v[28:29] op_sel_hi:[1,0,1]
	v_pk_fma_f32 v[22:23], v[22:23], s[24:25], v[26:27] op_sel_hi:[1,0,1]
	;; [unrolled: 1-line block ×10, first 2 shown]
	v_cndmask_b32_e64 v30, v30, v9, s[6:7]
	v_cndmask_b32_e64 v33, v33, v9, s[2:3]
	;; [unrolled: 1-line block ×3, first 2 shown]
	v_cndmask_b32_e32 v34, v31, v9, vcc
	v_pk_fma_f32 v[26:27], v[22:23], v[26:27], 0.5 op_sel_hi:[1,1,0]
	v_pk_fma_f32 v[28:29], v[24:25], v[28:29], 0.5 op_sel_hi:[1,1,0]
	v_ldexp_f32 v30, 1.0, v30
	v_ldexp_f32 v31, 1.0, v33
	;; [unrolled: 1-line block ×4, first 2 shown]
	v_pk_mul_f32 v[28:29], v[24:25], v[28:29]
	v_pk_mul_f32 v[26:27], v[22:23], v[26:27]
	v_pk_add_f32 v[34:35], -1.0, v[32:33] op_sel_hi:[0,1]
	v_pk_add_f32 v[36:37], -1.0, v[30:31] op_sel_hi:[0,1]
	v_pk_fma_f32 v[22:23], v[22:23], v[26:27], v[22:23]
	v_pk_fma_f32 v[24:25], v[24:25], v[28:29], v[24:25]
	;; [unrolled: 1-line block ×4, first 2 shown]
	v_pk_add_f32 v[26:27], v[22:23], v[22:23]
	v_pk_add_f32 v[28:29], v[24:25], v[24:25]
	v_cndmask_b32_e64 v24, v24, v28, s[6:7]
	v_cndmask_b32_e64 v25, v25, v29, s[2:3]
	;; [unrolled: 1-line block ×3, first 2 shown]
	v_cndmask_b32_e32 v23, v23, v27, vcc
	v_cmp_nlt_f32_e32 vcc, s27, v20
	v_cmp_nlt_f32_e64 s[0:1], s27, v19
	v_cmp_nlt_f32_e64 s[2:3], s27, v18
	v_cmp_nlt_f32_e64 s[6:7], s27, v21
	v_cndmask_b32_e64 v18, v10, v23, s[6:7]
	v_cndmask_b32_e32 v19, v10, v22, vcc
	v_cndmask_b32_e64 v20, v10, v25, s[0:1]
	v_cndmask_b32_e64 v21, v10, v24, s[2:3]
	v_cvt_f16_f32_e32 v21, v21
	v_cvt_f16_f32_e32 v20, v20
	;; [unrolled: 1-line block ×4, first 2 shown]
	v_cmp_ngt_f16_e32 vcc, s29, v15
	v_cmp_nlt_f16_sdwa s[0:1], v14, s29 src0_sel:WORD_1 src1_sel:DWORD
	v_cmp_ngt_f16_e64 s[2:3], s29, v14
	v_cmp_nlt_f16_sdwa s[6:7], v15, s29 src0_sel:WORD_1 src1_sel:DWORD
	v_cndmask_b32_e64 v14, v11, v18, s[6:7]
	v_cndmask_b32_e32 v15, v11, v19, vcc
	v_cndmask_b32_e64 v18, v11, v20, s[0:1]
	v_cndmask_b32_e64 v19, v11, v21, s[2:3]
	v_pack_b32_f16 v15, v15, v14
	v_pack_b32_f16 v14, v19, v18
	global_store_dwordx2 v[16:17], v[14:15], off
	s_andn2_b64 exec, exec, s[18:19]
	s_cbranch_execnz .LBB146_3
.LBB146_4:
	s_or_b64 exec, exec, s[12:13]
	s_mov_b64 s[2:3], 0
.LBB146_5:
	s_andn2_b64 vcc, exec, s[2:3]
	s_cbranch_vccnz .LBB146_25
; %bb.6:
	v_cmp_lt_i64_e64 s[0:1], s[10:11], 1
	s_and_b64 vcc, exec, s[0:1]
	s_cbranch_vccnz .LBB146_25
; %bb.7:
	s_load_dword s0, s[4:5], 0xc5c
	v_mov_b32_e32 v2, 0x10000
	v_mov_b32_e32 v3, 0
	v_cmp_lt_u64_e32 vcc, s[10:11], v[2:3]
	v_lshlrev_b32_e32 v10, 1, v0
	s_waitcnt lgkmcnt(0)
	s_and_b32 s2, s0, 0xffff
	s_and_b64 s[0:1], vcc, exec
	v_mov_b32_e32 v13, s17
	v_add_co_u32_e32 v2, vcc, s16, v10
	v_addc_co_u32_e32 v1, vcc, 0, v13, vcc
	v_mov_b32_e32 v11, 0
	v_mov_b32_e32 v15, s15
	v_add_co_u32_e32 v4, vcc, s14, v10
	v_addc_co_u32_e32 v3, vcc, 0, v15, vcc
	v_mad_u64_u32 v[8:9], s[0:1], s2, 6, v[10:11]
	v_add_co_u32_e32 v6, vcc, s16, v8
	v_addc_co_u32_e32 v5, vcc, v13, v9, vcc
	v_add_co_u32_e32 v8, vcc, s14, v8
	s_mul_i32 s4, s2, 3
	v_addc_co_u32_e32 v7, vcc, v15, v9, vcc
	s_cselect_b32 s13, s11, 0
	s_cselect_b32 s12, s10, 0x10000
	s_lshl_b32 s19, s2, 2
	v_add_co_u32_e32 v17, vcc, s4, v0
	v_addc_co_u32_e64 v18, s[0:1], 0, 0, vcc
	v_add_co_u32_e32 v11, vcc, s19, v10
	v_addc_co_u32_e64 v14, s[0:1], 0, 0, vcc
	v_add_co_u32_e32 v10, vcc, s16, v11
	v_addc_co_u32_e32 v9, vcc, v13, v14, vcc
	v_add_co_u32_e32 v12, vcc, s14, v11
	s_lshl_b32 s3, s2, 1
	v_addc_co_u32_e32 v11, vcc, v15, v14, vcc
	v_add_co_u32_e32 v19, vcc, s3, v0
	v_addc_co_u32_e64 v20, s[0:1], 0, 0, vcc
	v_add_co_u32_e32 v21, vcc, s2, v0
	v_lshlrev_b32_e32 v16, 1, v21
	v_addc_co_u32_e64 v22, s[0:1], 0, 0, vcc
	v_add_co_u32_e32 v14, vcc, s16, v16
	v_addc_co_u32_e32 v13, vcc, 0, v13, vcc
	v_add_co_u32_e32 v16, vcc, s14, v16
	s_mov_b32 s18, 0
	s_lshl_b32 s20, s2, 3
	v_addc_co_u32_e32 v15, vcc, 0, v15, vcc
	s_mov_b64 s[14:15], 0
	s_mov_b32 s21, 0x43000000
	s_mov_b32 s22, 0xbf317218
	v_mov_b32_e32 v23, 0x3c0887f9
	v_mov_b32_e32 v24, 0x3d2aaa81
	;; [unrolled: 1-line block ×3, first 2 shown]
	s_mov_b32 s23, 0x42b17217
	s_mov_b32 s24, 0xcc40
	v_mov_b32_e32 v26, 0x7f
	v_mov_b32_e32 v27, 0x7f800000
	v_mov_b32_e32 v28, 0xbc00
	s_branch .LBB146_9
.LBB146_8:                              ;   in Loop: Header=BB146_9 Depth=1
	s_or_b64 exec, exec, s[0:1]
	s_add_u32 s14, s14, s19
	s_addc_u32 s15, s15, 0
	s_waitcnt vmcnt(0)
	v_pk_mov_b32 v[30:31], s[10:11], s[10:11] op_sel:[0,1]
	v_cmp_ge_i64_e32 vcc, s[14:15], v[30:31]
	v_mov_b32_e32 v30, 0xffff
	v_mov_b32_e32 v31, 0
	v_cmp_gt_u64_e64 s[0:1], s[14:15], v[30:31]
	s_or_b64 s[0:1], vcc, s[0:1]
	v_mov_b32_e32 v29, s18
	v_add_co_u32_e32 v2, vcc, s20, v2
	v_addc_co_u32_e32 v1, vcc, v1, v29, vcc
	v_add_co_u32_e32 v4, vcc, s20, v4
	v_addc_co_u32_e32 v3, vcc, v3, v29, vcc
	v_add_co_u32_e32 v6, vcc, s20, v6
	v_addc_co_u32_e32 v5, vcc, v5, v29, vcc
	v_add_co_u32_e32 v8, vcc, s20, v8
	v_addc_co_u32_e32 v7, vcc, v7, v29, vcc
	v_add_co_u32_e32 v10, vcc, s20, v10
	v_addc_co_u32_e32 v9, vcc, v9, v29, vcc
	v_add_co_u32_e32 v12, vcc, s20, v12
	v_addc_co_u32_e32 v11, vcc, v11, v29, vcc
	v_add_co_u32_e32 v14, vcc, s20, v14
	v_addc_co_u32_e32 v13, vcc, v13, v29, vcc
	v_add_co_u32_e32 v16, vcc, s20, v16
	v_addc_co_u32_e32 v15, vcc, v15, v29, vcc
	s_and_b64 vcc, exec, s[0:1]
	s_cbranch_vccnz .LBB146_25
.LBB146_9:                              ; =>This Inner Loop Header: Depth=1
	v_mov_b32_e32 v29, s15
	v_add_co_u32_e32 v30, vcc, s14, v0
	v_addc_co_u32_e32 v31, vcc, 0, v29, vcc
	v_cmp_gt_u64_e64 s[4:5], s[12:13], v[30:31]
	v_mov_b32_e32 v32, 0
	s_and_saveexec_b64 s[0:1], s[4:5]
	s_cbranch_execz .LBB146_11
; %bb.10:                               ;   in Loop: Header=BB146_9 Depth=1
	v_mov_b32_e32 v29, s9
	v_add_co_u32_e32 v30, vcc, s8, v2
	v_addc_co_u32_e32 v31, vcc, v1, v29, vcc
	global_load_ushort v32, v[30:31], off
.LBB146_11:                             ;   in Loop: Header=BB146_9 Depth=1
	s_or_b64 exec, exec, s[0:1]
	v_mov_b32_e32 v29, s15
	v_add_co_u32_e32 v30, vcc, s14, v21
	v_addc_co_u32_e32 v31, vcc, v22, v29, vcc
	v_cmp_gt_u64_e64 s[2:3], s[12:13], v[30:31]
	v_mov_b32_e32 v31, 0
	s_and_saveexec_b64 s[0:1], s[2:3]
	s_cbranch_execz .LBB146_13
; %bb.12:                               ;   in Loop: Header=BB146_9 Depth=1
	v_mov_b32_e32 v29, s9
	v_add_co_u32_e32 v30, vcc, s8, v14
	v_addc_co_u32_e32 v31, vcc, v13, v29, vcc
	global_load_ushort v31, v[30:31], off
.LBB146_13:                             ;   in Loop: Header=BB146_9 Depth=1
	s_or_b64 exec, exec, s[0:1]
	v_mov_b32_e32 v29, s15
	v_add_co_u32_e32 v34, vcc, s14, v19
	v_addc_co_u32_e32 v35, vcc, v20, v29, vcc
	v_cmp_gt_u64_e64 s[0:1], s[12:13], v[34:35]
	v_mov_b32_e32 v29, 0
	v_mov_b32_e32 v30, 0
	s_and_saveexec_b64 s[6:7], s[0:1]
	s_cbranch_execz .LBB146_15
; %bb.14:                               ;   in Loop: Header=BB146_9 Depth=1
	v_mov_b32_e32 v30, s9
	v_add_co_u32_e32 v34, vcc, s8, v10
	v_addc_co_u32_e32 v35, vcc, v9, v30, vcc
	global_load_ushort v30, v[34:35], off
.LBB146_15:                             ;   in Loop: Header=BB146_9 Depth=1
	s_or_b64 exec, exec, s[6:7]
	v_mov_b32_e32 v33, s15
	v_add_co_u32_e32 v34, vcc, s14, v17
	v_addc_co_u32_e32 v35, vcc, v18, v33, vcc
	v_cmp_gt_u64_e32 vcc, s[12:13], v[34:35]
	s_and_saveexec_b64 s[16:17], vcc
	s_cbranch_execnz .LBB146_20
; %bb.16:                               ;   in Loop: Header=BB146_9 Depth=1
	s_or_b64 exec, exec, s[16:17]
	s_and_saveexec_b64 s[6:7], s[4:5]
	s_cbranch_execnz .LBB146_21
.LBB146_17:                             ;   in Loop: Header=BB146_9 Depth=1
	s_or_b64 exec, exec, s[6:7]
	s_and_saveexec_b64 s[4:5], s[2:3]
	s_cbranch_execnz .LBB146_22
.LBB146_18:                             ;   in Loop: Header=BB146_9 Depth=1
	s_or_b64 exec, exec, s[4:5]
	s_and_saveexec_b64 s[2:3], s[0:1]
	s_cbranch_execnz .LBB146_23
.LBB146_19:                             ;   in Loop: Header=BB146_9 Depth=1
	s_or_b64 exec, exec, s[2:3]
	s_and_saveexec_b64 s[0:1], vcc
	s_cbranch_execz .LBB146_8
	s_branch .LBB146_24
.LBB146_20:                             ;   in Loop: Header=BB146_9 Depth=1
	v_mov_b32_e32 v29, s9
	v_add_co_u32_e64 v34, s[6:7], s8, v6
	v_addc_co_u32_e64 v35, s[6:7], v5, v29, s[6:7]
	global_load_ushort v29, v[34:35], off
	s_or_b64 exec, exec, s[16:17]
	s_and_saveexec_b64 s[6:7], s[4:5]
	s_cbranch_execz .LBB146_17
.LBB146_21:                             ;   in Loop: Header=BB146_9 Depth=1
	s_waitcnt vmcnt(0)
	v_cvt_f32_f16_e32 v33, v32
	v_mov_b32_e32 v34, 0x3ab69700
	v_mul_f32_e32 v35, 0x3fb8aa3b, v33
	v_rndne_f32_e32 v35, v35
	v_fma_mix_f32 v37, v35, s22, v32 op_sel_hi:[0,0,1]
	v_fmac_f32_e32 v37, 0x3102e308, v35
	v_cvt_i32_f32_e32 v36, v35
	v_fmac_f32_e32 v34, 0x395133b1, v37
	v_fma_f32 v34, v37, v34, v23
	v_fma_f32 v34, v37, v34, v24
	v_cmp_eq_f32_e64 s[4:5], s21, v35
	v_fma_f32 v34, v37, v34, v25
	v_cndmask_b32_e64 v35, v36, v26, s[4:5]
	v_fma_f32 v34, v37, v34, 0.5
	v_ldexp_f32 v35, 1.0, v35
	v_mul_f32_e32 v34, v37, v34
	v_fmac_f32_e32 v37, v37, v34
	v_add_f32_e32 v34, -1.0, v35
	v_fmac_f32_e32 v34, v35, v37
	v_add_f32_e32 v35, v34, v34
	v_cndmask_b32_e64 v34, v34, v35, s[4:5]
	v_cmp_nlt_f32_e64 s[4:5], s23, v33
	v_cndmask_b32_e64 v33, v27, v34, s[4:5]
	v_cvt_f16_f32_e32 v33, v33
	v_cmp_ngt_f16_e64 s[4:5], s24, v32
	v_cndmask_b32_e64 v34, v28, v33, s[4:5]
	v_mov_b32_e32 v33, s9
	v_add_co_u32_e64 v32, s[4:5], s8, v4
	v_addc_co_u32_e64 v33, s[4:5], v3, v33, s[4:5]
	global_store_short v[32:33], v34, off
	s_or_b64 exec, exec, s[6:7]
	s_and_saveexec_b64 s[4:5], s[2:3]
	s_cbranch_execz .LBB146_18
.LBB146_22:                             ;   in Loop: Header=BB146_9 Depth=1
	s_waitcnt vmcnt(0)
	v_cvt_f32_f16_e32 v32, v31
	v_mov_b32_e32 v33, 0x3ab69700
	v_mul_f32_e32 v34, 0x3fb8aa3b, v32
	v_rndne_f32_e32 v34, v34
	v_fma_mix_f32 v35, v34, s22, v31 op_sel_hi:[0,0,1]
	v_fmac_f32_e32 v35, 0x3102e308, v34
	v_fmac_f32_e32 v33, 0x395133b1, v35
	v_fma_f32 v33, v35, v33, v23
	v_cvt_i32_f32_e32 v36, v34
	v_fma_f32 v33, v35, v33, v24
	v_fma_f32 v33, v35, v33, v25
	v_fma_f32 v33, v35, v33, 0.5
	v_mul_f32_e32 v33, v35, v33
	v_cmp_eq_f32_e64 s[2:3], s21, v34
	v_fmac_f32_e32 v35, v35, v33
	v_cndmask_b32_e64 v33, v36, v26, s[2:3]
	v_ldexp_f32 v33, 1.0, v33
	v_add_f32_e32 v34, -1.0, v33
	v_fmac_f32_e32 v34, v33, v35
	v_add_f32_e32 v33, v34, v34
	v_cndmask_b32_e64 v33, v34, v33, s[2:3]
	v_cmp_nlt_f32_e64 s[2:3], s23, v32
	v_cndmask_b32_e64 v32, v27, v33, s[2:3]
	v_cvt_f16_f32_e32 v32, v32
	v_cmp_ngt_f16_e64 s[2:3], s24, v31
	v_mov_b32_e32 v33, s9
	v_cndmask_b32_e64 v31, v28, v32, s[2:3]
	v_add_co_u32_e64 v32, s[2:3], s8, v16
	v_addc_co_u32_e64 v33, s[2:3], v15, v33, s[2:3]
	global_store_short v[32:33], v31, off
	s_or_b64 exec, exec, s[4:5]
	s_and_saveexec_b64 s[2:3], s[0:1]
	s_cbranch_execz .LBB146_19
.LBB146_23:                             ;   in Loop: Header=BB146_9 Depth=1
	s_waitcnt vmcnt(0)
	v_cvt_f32_f16_e32 v31, v30
	v_mov_b32_e32 v32, 0x3ab69700
	v_mul_f32_e32 v33, 0x3fb8aa3b, v31
	v_rndne_f32_e32 v33, v33
	v_fma_mix_f32 v34, v33, s22, v30 op_sel_hi:[0,0,1]
	v_fmac_f32_e32 v34, 0x3102e308, v33
	v_fmac_f32_e32 v32, 0x395133b1, v34
	v_fma_f32 v32, v34, v32, v23
	v_cvt_i32_f32_e32 v35, v33
	v_fma_f32 v32, v34, v32, v24
	v_fma_f32 v32, v34, v32, v25
	v_fma_f32 v32, v34, v32, 0.5
	v_mul_f32_e32 v32, v34, v32
	v_cmp_eq_f32_e64 s[0:1], s21, v33
	v_fmac_f32_e32 v34, v34, v32
	v_cndmask_b32_e64 v32, v35, v26, s[0:1]
	v_ldexp_f32 v32, 1.0, v32
	v_add_f32_e32 v33, -1.0, v32
	v_fmac_f32_e32 v33, v32, v34
	v_add_f32_e32 v32, v33, v33
	v_cndmask_b32_e64 v32, v33, v32, s[0:1]
	v_cmp_nlt_f32_e64 s[0:1], s23, v31
	v_cndmask_b32_e64 v31, v27, v32, s[0:1]
	v_cvt_f16_f32_e32 v31, v31
	v_cmp_ngt_f16_e64 s[0:1], s24, v30
	v_cndmask_b32_e64 v32, v28, v31, s[0:1]
	v_mov_b32_e32 v31, s9
	v_add_co_u32_e64 v30, s[0:1], s8, v12
	v_addc_co_u32_e64 v31, s[0:1], v11, v31, s[0:1]
	global_store_short v[30:31], v32, off
	s_or_b64 exec, exec, s[2:3]
	s_and_saveexec_b64 s[0:1], vcc
	s_cbranch_execz .LBB146_8
.LBB146_24:                             ;   in Loop: Header=BB146_9 Depth=1
	s_waitcnt vmcnt(0)
	v_cvt_f32_f16_e32 v30, v29
	v_mov_b32_e32 v31, 0x3ab69700
	v_mul_f32_e32 v32, 0x3fb8aa3b, v30
	v_rndne_f32_e32 v32, v32
	v_fma_mix_f32 v33, v32, s22, v29 op_sel_hi:[0,0,1]
	v_fmac_f32_e32 v33, 0x3102e308, v32
	v_fmac_f32_e32 v31, 0x395133b1, v33
	v_fma_f32 v31, v33, v31, v23
	v_cvt_i32_f32_e32 v34, v32
	v_fma_f32 v31, v33, v31, v24
	v_fma_f32 v31, v33, v31, v25
	v_fma_f32 v31, v33, v31, 0.5
	v_mul_f32_e32 v31, v33, v31
	v_cmp_eq_f32_e32 vcc, s21, v32
	v_fmac_f32_e32 v33, v33, v31
	v_cndmask_b32_e32 v31, v34, v26, vcc
	v_ldexp_f32 v31, 1.0, v31
	v_add_f32_e32 v32, -1.0, v31
	v_fmac_f32_e32 v32, v31, v33
	v_add_f32_e32 v31, v32, v32
	v_cndmask_b32_e32 v31, v32, v31, vcc
	v_cmp_nlt_f32_e32 vcc, s23, v30
	v_cndmask_b32_e32 v30, v27, v31, vcc
	v_cvt_f16_f32_e32 v30, v30
	v_cmp_ngt_f16_e32 vcc, s24, v29
	v_mov_b32_e32 v31, s9
	v_cndmask_b32_e32 v29, v28, v30, vcc
	v_add_co_u32_e32 v30, vcc, s8, v8
	v_addc_co_u32_e32 v31, vcc, v7, v31, vcc
	global_store_short v[30:31], v29, off
	s_branch .LBB146_8
.LBB146_25:
	s_endpgm
	.section	.rodata,"a",@progbits
	.p2align	6, 0x0
	.amdhsa_kernel _ZN2at6native12_GLOBAL__N_125multi_tensor_apply_kernelINS1_18TensorListMetadataILi2EEENS1_14UnaryOpFunctorIN3c104HalfELi2ELi1ELi1EEEJNS0_5Expm1IfEEEEEvT_T0_DpT1_
		.amdhsa_group_segment_fixed_size 0
		.amdhsa_private_segment_fixed_size 0
		.amdhsa_kernarg_size 3408
		.amdhsa_user_sgpr_count 6
		.amdhsa_user_sgpr_private_segment_buffer 1
		.amdhsa_user_sgpr_dispatch_ptr 0
		.amdhsa_user_sgpr_queue_ptr 0
		.amdhsa_user_sgpr_kernarg_segment_ptr 1
		.amdhsa_user_sgpr_dispatch_id 0
		.amdhsa_user_sgpr_flat_scratch_init 0
		.amdhsa_user_sgpr_kernarg_preload_length 0
		.amdhsa_user_sgpr_kernarg_preload_offset 0
		.amdhsa_user_sgpr_private_segment_size 0
		.amdhsa_uses_dynamic_stack 0
		.amdhsa_system_sgpr_private_segment_wavefront_offset 0
		.amdhsa_system_sgpr_workgroup_id_x 1
		.amdhsa_system_sgpr_workgroup_id_y 0
		.amdhsa_system_sgpr_workgroup_id_z 0
		.amdhsa_system_sgpr_workgroup_info 0
		.amdhsa_system_vgpr_workitem_id 0
		.amdhsa_next_free_vgpr 38
		.amdhsa_next_free_sgpr 38
		.amdhsa_accum_offset 40
		.amdhsa_reserve_vcc 1
		.amdhsa_reserve_flat_scratch 0
		.amdhsa_float_round_mode_32 0
		.amdhsa_float_round_mode_16_64 0
		.amdhsa_float_denorm_mode_32 3
		.amdhsa_float_denorm_mode_16_64 3
		.amdhsa_dx10_clamp 1
		.amdhsa_ieee_mode 1
		.amdhsa_fp16_overflow 0
		.amdhsa_tg_split 0
		.amdhsa_exception_fp_ieee_invalid_op 0
		.amdhsa_exception_fp_denorm_src 0
		.amdhsa_exception_fp_ieee_div_zero 0
		.amdhsa_exception_fp_ieee_overflow 0
		.amdhsa_exception_fp_ieee_underflow 0
		.amdhsa_exception_fp_ieee_inexact 0
		.amdhsa_exception_int_div_zero 0
	.end_amdhsa_kernel
	.section	.text._ZN2at6native12_GLOBAL__N_125multi_tensor_apply_kernelINS1_18TensorListMetadataILi2EEENS1_14UnaryOpFunctorIN3c104HalfELi2ELi1ELi1EEEJNS0_5Expm1IfEEEEEvT_T0_DpT1_,"axG",@progbits,_ZN2at6native12_GLOBAL__N_125multi_tensor_apply_kernelINS1_18TensorListMetadataILi2EEENS1_14UnaryOpFunctorIN3c104HalfELi2ELi1ELi1EEEJNS0_5Expm1IfEEEEEvT_T0_DpT1_,comdat
.Lfunc_end146:
	.size	_ZN2at6native12_GLOBAL__N_125multi_tensor_apply_kernelINS1_18TensorListMetadataILi2EEENS1_14UnaryOpFunctorIN3c104HalfELi2ELi1ELi1EEEJNS0_5Expm1IfEEEEEvT_T0_DpT1_, .Lfunc_end146-_ZN2at6native12_GLOBAL__N_125multi_tensor_apply_kernelINS1_18TensorListMetadataILi2EEENS1_14UnaryOpFunctorIN3c104HalfELi2ELi1ELi1EEEJNS0_5Expm1IfEEEEEvT_T0_DpT1_
                                        ; -- End function
	.section	.AMDGPU.csdata,"",@progbits
; Kernel info:
; codeLenInByte = 2564
; NumSgprs: 42
; NumVgprs: 38
; NumAgprs: 0
; TotalNumVgprs: 38
; ScratchSize: 0
; MemoryBound: 0
; FloatMode: 240
; IeeeMode: 1
; LDSByteSize: 0 bytes/workgroup (compile time only)
; SGPRBlocks: 5
; VGPRBlocks: 4
; NumSGPRsForWavesPerEU: 42
; NumVGPRsForWavesPerEU: 38
; AccumOffset: 40
; Occupancy: 8
; WaveLimiterHint : 0
; COMPUTE_PGM_RSRC2:SCRATCH_EN: 0
; COMPUTE_PGM_RSRC2:USER_SGPR: 6
; COMPUTE_PGM_RSRC2:TRAP_HANDLER: 0
; COMPUTE_PGM_RSRC2:TGID_X_EN: 1
; COMPUTE_PGM_RSRC2:TGID_Y_EN: 0
; COMPUTE_PGM_RSRC2:TGID_Z_EN: 0
; COMPUTE_PGM_RSRC2:TIDIG_COMP_CNT: 0
; COMPUTE_PGM_RSRC3_GFX90A:ACCUM_OFFSET: 9
; COMPUTE_PGM_RSRC3_GFX90A:TG_SPLIT: 0
	.section	.text._ZN2at6native12_GLOBAL__N_125multi_tensor_apply_kernelINS1_18TensorListMetadataILi2EEENS1_14UnaryOpFunctorIN3c108BFloat16ELi2ELi1ELi1EEEJNS0_5Expm1IfEEEEEvT_T0_DpT1_,"axG",@progbits,_ZN2at6native12_GLOBAL__N_125multi_tensor_apply_kernelINS1_18TensorListMetadataILi2EEENS1_14UnaryOpFunctorIN3c108BFloat16ELi2ELi1ELi1EEEJNS0_5Expm1IfEEEEEvT_T0_DpT1_,comdat
	.globl	_ZN2at6native12_GLOBAL__N_125multi_tensor_apply_kernelINS1_18TensorListMetadataILi2EEENS1_14UnaryOpFunctorIN3c108BFloat16ELi2ELi1ELi1EEEJNS0_5Expm1IfEEEEEvT_T0_DpT1_ ; -- Begin function _ZN2at6native12_GLOBAL__N_125multi_tensor_apply_kernelINS1_18TensorListMetadataILi2EEENS1_14UnaryOpFunctorIN3c108BFloat16ELi2ELi1ELi1EEEJNS0_5Expm1IfEEEEEvT_T0_DpT1_
	.p2align	8
	.type	_ZN2at6native12_GLOBAL__N_125multi_tensor_apply_kernelINS1_18TensorListMetadataILi2EEENS1_14UnaryOpFunctorIN3c108BFloat16ELi2ELi1ELi1EEEJNS0_5Expm1IfEEEEEvT_T0_DpT1_,@function
_ZN2at6native12_GLOBAL__N_125multi_tensor_apply_kernelINS1_18TensorListMetadataILi2EEENS1_14UnaryOpFunctorIN3c108BFloat16ELi2ELi1ELi1EEEJNS0_5Expm1IfEEEEEvT_T0_DpT1_: ; @_ZN2at6native12_GLOBAL__N_125multi_tensor_apply_kernelINS1_18TensorListMetadataILi2EEENS1_14UnaryOpFunctorIN3c108BFloat16ELi2ELi1ELi1EEEJNS0_5Expm1IfEEEEEvT_T0_DpT1_
; %bb.0:
	v_mov_b32_e32 v1, s6
	global_load_ubyte v1, v1, s[4:5] offset:1536
	s_add_u32 s0, s4, s6
	s_mul_hi_u32 s2, s6, 3
	s_mul_i32 s6, s6, 3
	s_addc_u32 s7, s5, 0
	s_add_u32 s6, s0, s6
	s_addc_u32 s7, s7, s2
	s_mov_b32 s1, 0
	s_mov_b32 s3, s1
	s_waitcnt vmcnt(0)
	v_readfirstlane_b32 s0, v1
	s_lshl_b32 s0, s0, 3
	s_load_dword s10, s[6:7], 0x740
	s_load_dwordx2 s[16:17], s[4:5], s0 offset:0x0
	s_load_dwordx2 s[12:13], s[4:5], s0 offset:0x400
	;; [unrolled: 1-line block ×3, first 2 shown]
	s_mov_b32 s7, s1
	s_waitcnt lgkmcnt(0)
	s_ashr_i32 s11, s10, 31
	s_and_b32 s0, s16, 7
	s_and_b32 s6, s12, 3
	s_and_b32 s2, s14, 7
	s_or_b64 s[6:7], s[0:1], s[6:7]
	s_lshl_b64 s[8:9], s[10:11], 17
	s_or_b64 s[2:3], s[2:3], s[6:7]
	s_lshl_b64 s[6:7], s[10:11], 16
	s_sub_u32 s10, s12, s6
	s_subb_u32 s11, s13, s7
	s_cmp_eq_u64 s[2:3], 0
	s_mov_b64 s[2:3], -1
	s_cbranch_scc0 .LBB147_5
; %bb.1:
	v_mov_b32_e32 v3, 0
	v_lshlrev_b32_e32 v2, 2, v0
	v_cmp_gt_i64_e32 vcc, s[10:11], v[2:3]
	s_and_saveexec_b64 s[12:13], vcc
	s_cbranch_execz .LBB147_4
; %bb.2:
	s_load_dword s0, s[4:5], 0xc5c
	v_lshlrev_b32_e32 v1, 3, v0
	v_mov_b32_e32 v2, s9
	v_add_co_u32_e32 v4, vcc, s8, v1
	s_waitcnt lgkmcnt(0)
	s_and_b32 s0, s0, 0xffff
	v_addc_co_u32_e32 v1, vcc, 0, v2, vcc
	s_lshl_b32 s21, s0, 3
	v_add_lshl_u32 v2, v0, s0, 2
	s_lshl_b32 s23, s0, 2
	s_mov_b32 s0, 0x3ab69700
	s_mov_b64 s[18:19], 0
	v_mov_b32_e32 v5, s17
	v_mov_b32_e32 v8, s15
	s_mov_b32 s20, 0x3fb8aa3b
	s_mov_b32 s22, 0xbf317218
	;; [unrolled: 1-line block ×4, first 2 shown]
	v_mov_b32_e32 v9, 0x7f
	s_mov_b32 s26, 0x395133b1
	v_pk_mov_b32 v[6:7], s[0:1], s[0:1] op_sel:[0,1]
	s_mov_b32 s28, 0x3c0887f9
	s_mov_b32 s30, 0x3d2aaa81
	s_mov_b32 s34, 0x3e2aaaab
	s_mov_b32 s27, 0x42b17217
	v_mov_b32_e32 v10, 0x7f800000
	s_mov_b32 s29, 0xc1880000
	s_movk_i32 s31, 0x7fff
	v_mov_b32_e32 v11, 0x7fc0
	v_mov_b32_e32 v12, 0x7fc00000
	s_mov_b64 s[36:37], 0xffff
	v_mov_b32_e32 v13, s1
	v_mov_b32_e32 v14, s1
.LBB147_3:                              ; =>This Inner Loop Header: Depth=1
	v_add_co_u32_e32 v16, vcc, s16, v4
	v_addc_co_u32_e32 v17, vcc, v5, v1, vcc
	global_load_dwordx2 v[16:17], v[16:17], off
	v_add_co_u32_e32 v18, vcc, s14, v4
	v_addc_co_u32_e32 v19, vcc, v8, v1, vcc
	v_cmp_le_i64_e32 vcc, s[10:11], v[2:3]
	v_cmp_lt_u64_e64 s[0:1], s[36:37], v[2:3]
	v_add_co_u32_e64 v4, s[2:3], s21, v4
	v_addc_co_u32_e64 v1, s[2:3], v1, v13, s[2:3]
	s_or_b64 s[0:1], vcc, s[0:1]
	v_add_co_u32_e64 v2, s[2:3], s23, v2
	s_and_b64 s[0:1], exec, s[0:1]
	v_addc_co_u32_e64 v3, s[2:3], v3, v14, s[2:3]
	s_or_b64 s[18:19], s[0:1], s[18:19]
	s_waitcnt vmcnt(0)
	v_alignbit_b32 v15, v17, v16, 16
	v_lshlrev_b32_e32 v20, 16, v16
	v_and_b32_e32 v21, 0xffff0000, v16
	v_and_b32_e32 v17, 0xffff0000, v17
	;; [unrolled: 1-line block ×3, first 2 shown]
	v_pk_mul_f32 v[22:23], v[20:21], s[20:21] op_sel_hi:[1,0]
	v_pk_mul_f32 v[24:25], v[16:17], s[20:21] op_sel_hi:[1,0]
	v_rndne_f32_e32 v23, v23
	v_rndne_f32_e32 v22, v22
	;; [unrolled: 1-line block ×4, first 2 shown]
	v_pk_fma_f32 v[26:27], v[22:23], s[22:23], v[20:21] op_sel_hi:[1,0,1]
	v_cvt_i32_f32_e32 v15, v22
	v_cvt_i32_f32_e32 v30, v23
	v_cmp_eq_f32_e32 vcc, s25, v23
	v_cmp_eq_f32_e64 s[0:1], s25, v22
	v_pk_fma_f32 v[28:29], v[24:25], s[22:23], v[16:17] op_sel_hi:[1,0,1]
	v_pk_fma_f32 v[22:23], v[22:23], s[24:25], v[26:27] op_sel_hi:[1,0,1]
	v_cvt_i32_f32_e32 v32, v25
	v_cmp_eq_f32_e64 s[2:3], s25, v25
	v_cvt_i32_f32_e32 v33, v24
	v_cmp_eq_f32_e64 s[6:7], s25, v24
	v_pk_fma_f32 v[24:25], v[24:25], s[24:25], v[28:29] op_sel_hi:[1,0,1]
	v_pk_fma_f32 v[26:27], v[22:23], s[26:27], v[6:7] op_sel_hi:[1,0,0]
	v_pk_fma_f32 v[28:29], v[24:25], s[26:27], v[6:7] op_sel_hi:[1,0,0]
	v_pk_fma_f32 v[26:27], v[22:23], v[26:27], s[28:29] op_sel_hi:[1,1,0]
	v_pk_fma_f32 v[28:29], v[24:25], v[28:29], s[28:29] op_sel_hi:[1,1,0]
	v_pk_fma_f32 v[26:27], v[22:23], v[26:27], s[30:31] op_sel_hi:[1,1,0]
	v_pk_fma_f32 v[28:29], v[24:25], v[28:29], s[30:31] op_sel_hi:[1,1,0]
	v_pk_fma_f32 v[26:27], v[22:23], v[26:27], s[34:35] op_sel_hi:[1,1,0]
	v_cndmask_b32_e64 v15, v15, v9, s[0:1]
	v_cndmask_b32_e32 v31, v30, v9, vcc
	v_pk_fma_f32 v[28:29], v[24:25], v[28:29], s[34:35] op_sel_hi:[1,1,0]
	v_pk_fma_f32 v[26:27], v[22:23], v[26:27], 0.5 op_sel_hi:[1,1,0]
	v_ldexp_f32 v30, 1.0, v15
	v_ldexp_f32 v31, 1.0, v31
	v_cndmask_b32_e64 v15, v33, v9, s[6:7]
	v_cndmask_b32_e64 v33, v32, v9, s[2:3]
	v_pk_fma_f32 v[28:29], v[24:25], v[28:29], 0.5 op_sel_hi:[1,1,0]
	v_pk_mul_f32 v[26:27], v[22:23], v[26:27]
	v_ldexp_f32 v32, 1.0, v15
	v_ldexp_f32 v33, 1.0, v33
	v_pk_add_f32 v[34:35], -1.0, v[30:31] op_sel_hi:[0,1]
	v_pk_mul_f32 v[28:29], v[24:25], v[28:29]
	v_pk_fma_f32 v[22:23], v[22:23], v[26:27], v[22:23]
	v_pk_add_f32 v[36:37], -1.0, v[32:33] op_sel_hi:[0,1]
	v_pk_fma_f32 v[24:25], v[24:25], v[28:29], v[24:25]
	v_pk_fma_f32 v[22:23], v[30:31], v[22:23], v[34:35]
	;; [unrolled: 1-line block ×3, first 2 shown]
	v_pk_add_f32 v[26:27], v[22:23], v[22:23]
	v_pk_add_f32 v[28:29], v[24:25], v[24:25]
	v_cndmask_b32_e32 v15, v23, v27, vcc
	v_cndmask_b32_e64 v22, v22, v26, s[0:1]
	v_cmp_nlt_f32_e32 vcc, s27, v21
	v_cmp_nlt_f32_e64 s[0:1], s27, v20
	v_cndmask_b32_e64 v23, v25, v29, s[2:3]
	v_cndmask_b32_e64 v24, v24, v28, s[6:7]
	;; [unrolled: 1-line block ×3, first 2 shown]
	v_cndmask_b32_e32 v15, v10, v15, vcc
	v_cmp_nlt_f32_e32 vcc, s27, v17
	v_cmp_ngt_f32_e64 s[0:1], s29, v21
	v_cmp_ngt_f32_e64 s[2:3], s29, v20
	v_cmp_nlt_f32_e64 s[6:7], s27, v16
	v_cndmask_b32_e64 v20, v10, v24, s[6:7]
	v_cndmask_b32_e32 v21, v10, v23, vcc
	v_cmp_ngt_f32_e32 vcc, s29, v16
	v_cndmask_b32_e64 v15, -1.0, v15, s[0:1]
	v_cndmask_b32_e64 v16, -1.0, v22, s[2:3]
	v_cmp_ngt_f32_e64 s[0:1], s29, v17
	v_cndmask_b32_e64 v17, -1.0, v21, s[0:1]
	v_cndmask_b32_e32 v20, -1.0, v20, vcc
	v_bfe_u32 v21, v16, 16, 1
	v_bfe_u32 v22, v15, 16, 1
	v_add3_u32 v21, v16, v21, s31
	v_add3_u32 v22, v15, v22, s31
	v_bfe_u32 v23, v20, 16, 1
	v_bfe_u32 v24, v17, 16, 1
	v_lshrrev_b32_e32 v21, 16, v21
	v_and_b32_e32 v22, 0xffff0000, v22
	v_add3_u32 v24, v17, v24, s31
	v_add3_u32 v23, v20, v23, s31
	v_cmp_o_f32_e32 vcc, v15, v15
	v_cmp_o_f32_e64 s[0:1], v16, v16
	v_lshrrev_b32_e32 v15, 16, v23
	v_and_b32_e32 v16, 0xffff0000, v24
	v_cndmask_b32_e64 v21, v11, v21, s[0:1]
	v_cmp_o_f32_e64 s[0:1], v17, v17
	v_cndmask_b32_e32 v17, v12, v22, vcc
	v_cmp_o_f32_e32 vcc, v20, v20
	v_cndmask_b32_e32 v15, v11, v15, vcc
	v_cndmask_b32_e64 v20, v12, v16, s[0:1]
	v_or3_b32 v16, v21, 0, v17
	v_or3_b32 v17, 0, v15, v20
	global_store_dwordx2 v[18:19], v[16:17], off
	s_andn2_b64 exec, exec, s[18:19]
	s_cbranch_execnz .LBB147_3
.LBB147_4:
	s_or_b64 exec, exec, s[12:13]
	s_mov_b64 s[2:3], 0
.LBB147_5:
	s_andn2_b64 vcc, exec, s[2:3]
	s_cbranch_vccnz .LBB147_25
; %bb.6:
	v_cmp_lt_i64_e64 s[0:1], s[10:11], 1
	s_and_b64 vcc, exec, s[0:1]
	s_cbranch_vccnz .LBB147_25
; %bb.7:
	s_load_dword s0, s[4:5], 0xc5c
	v_mov_b32_e32 v2, 0x10000
	v_mov_b32_e32 v3, 0
	v_cmp_lt_u64_e32 vcc, s[10:11], v[2:3]
	v_lshlrev_b32_e32 v10, 1, v0
	s_waitcnt lgkmcnt(0)
	s_and_b32 s2, s0, 0xffff
	s_and_b64 s[0:1], vcc, exec
	v_mov_b32_e32 v13, s17
	v_add_co_u32_e32 v2, vcc, s16, v10
	v_addc_co_u32_e32 v1, vcc, 0, v13, vcc
	v_mov_b32_e32 v11, 0
	v_mov_b32_e32 v15, s15
	v_add_co_u32_e32 v4, vcc, s14, v10
	v_addc_co_u32_e32 v3, vcc, 0, v15, vcc
	v_mad_u64_u32 v[8:9], s[0:1], s2, 6, v[10:11]
	v_add_co_u32_e32 v6, vcc, s16, v8
	v_addc_co_u32_e32 v5, vcc, v13, v9, vcc
	v_add_co_u32_e32 v8, vcc, s14, v8
	s_mul_i32 s4, s2, 3
	v_addc_co_u32_e32 v7, vcc, v15, v9, vcc
	s_cselect_b32 s13, s11, 0
	s_cselect_b32 s12, s10, 0x10000
	s_lshl_b32 s19, s2, 2
	v_add_co_u32_e32 v17, vcc, s4, v0
	v_addc_co_u32_e64 v18, s[0:1], 0, 0, vcc
	v_add_co_u32_e32 v11, vcc, s19, v10
	v_addc_co_u32_e64 v14, s[0:1], 0, 0, vcc
	v_add_co_u32_e32 v10, vcc, s16, v11
	v_addc_co_u32_e32 v9, vcc, v13, v14, vcc
	v_add_co_u32_e32 v12, vcc, s14, v11
	s_lshl_b32 s3, s2, 1
	v_addc_co_u32_e32 v11, vcc, v15, v14, vcc
	v_add_co_u32_e32 v19, vcc, s3, v0
	v_addc_co_u32_e64 v20, s[0:1], 0, 0, vcc
	v_add_co_u32_e32 v21, vcc, s2, v0
	v_lshlrev_b32_e32 v16, 1, v21
	v_addc_co_u32_e64 v22, s[0:1], 0, 0, vcc
	v_add_co_u32_e32 v14, vcc, s16, v16
	v_addc_co_u32_e32 v13, vcc, 0, v13, vcc
	v_add_co_u32_e32 v16, vcc, s14, v16
	s_mov_b32 s18, 0
	s_lshl_b32 s20, s2, 3
	v_addc_co_u32_e32 v15, vcc, 0, v15, vcc
	s_mov_b64 s[14:15], 0
	s_mov_b32 s21, 0x43000000
	v_mov_b32_e32 v23, 0x3c0887f9
	v_mov_b32_e32 v24, 0x3d2aaa81
	;; [unrolled: 1-line block ×3, first 2 shown]
	s_mov_b32 s22, 0x42b17217
	s_mov_b32 s23, 0xc1880000
	s_movk_i32 s24, 0x7fff
	v_mov_b32_e32 v26, 0x7f
	v_mov_b32_e32 v27, 0x7f800000
	;; [unrolled: 1-line block ×3, first 2 shown]
	s_branch .LBB147_9
.LBB147_8:                              ;   in Loop: Header=BB147_9 Depth=1
	s_or_b64 exec, exec, s[0:1]
	s_add_u32 s14, s14, s19
	s_addc_u32 s15, s15, 0
	s_waitcnt vmcnt(0)
	v_pk_mov_b32 v[30:31], s[10:11], s[10:11] op_sel:[0,1]
	v_cmp_ge_i64_e32 vcc, s[14:15], v[30:31]
	v_mov_b32_e32 v30, 0xffff
	v_mov_b32_e32 v31, 0
	v_cmp_gt_u64_e64 s[0:1], s[14:15], v[30:31]
	s_or_b64 s[0:1], vcc, s[0:1]
	v_mov_b32_e32 v29, s18
	v_add_co_u32_e32 v2, vcc, s20, v2
	v_addc_co_u32_e32 v1, vcc, v1, v29, vcc
	v_add_co_u32_e32 v4, vcc, s20, v4
	v_addc_co_u32_e32 v3, vcc, v3, v29, vcc
	;; [unrolled: 2-line block ×8, first 2 shown]
	s_and_b64 vcc, exec, s[0:1]
	s_cbranch_vccnz .LBB147_25
.LBB147_9:                              ; =>This Inner Loop Header: Depth=1
	v_mov_b32_e32 v29, s15
	v_add_co_u32_e32 v30, vcc, s14, v0
	v_addc_co_u32_e32 v31, vcc, 0, v29, vcc
	v_cmp_gt_u64_e64 s[4:5], s[12:13], v[30:31]
	v_mov_b32_e32 v32, 0
	s_and_saveexec_b64 s[0:1], s[4:5]
	s_cbranch_execz .LBB147_11
; %bb.10:                               ;   in Loop: Header=BB147_9 Depth=1
	v_mov_b32_e32 v29, s9
	v_add_co_u32_e32 v30, vcc, s8, v2
	v_addc_co_u32_e32 v31, vcc, v1, v29, vcc
	global_load_ushort v32, v[30:31], off
.LBB147_11:                             ;   in Loop: Header=BB147_9 Depth=1
	s_or_b64 exec, exec, s[0:1]
	v_mov_b32_e32 v29, s15
	v_add_co_u32_e32 v30, vcc, s14, v21
	v_addc_co_u32_e32 v31, vcc, v22, v29, vcc
	v_cmp_gt_u64_e64 s[2:3], s[12:13], v[30:31]
	v_mov_b32_e32 v31, 0
	s_and_saveexec_b64 s[0:1], s[2:3]
	s_cbranch_execz .LBB147_13
; %bb.12:                               ;   in Loop: Header=BB147_9 Depth=1
	v_mov_b32_e32 v29, s9
	v_add_co_u32_e32 v30, vcc, s8, v14
	v_addc_co_u32_e32 v31, vcc, v13, v29, vcc
	global_load_ushort v31, v[30:31], off
.LBB147_13:                             ;   in Loop: Header=BB147_9 Depth=1
	s_or_b64 exec, exec, s[0:1]
	v_mov_b32_e32 v29, s15
	v_add_co_u32_e32 v34, vcc, s14, v19
	v_addc_co_u32_e32 v35, vcc, v20, v29, vcc
	v_cmp_gt_u64_e64 s[0:1], s[12:13], v[34:35]
	v_mov_b32_e32 v29, 0
	v_mov_b32_e32 v30, 0
	s_and_saveexec_b64 s[6:7], s[0:1]
	s_cbranch_execz .LBB147_15
; %bb.14:                               ;   in Loop: Header=BB147_9 Depth=1
	v_mov_b32_e32 v30, s9
	v_add_co_u32_e32 v34, vcc, s8, v10
	v_addc_co_u32_e32 v35, vcc, v9, v30, vcc
	global_load_ushort v30, v[34:35], off
.LBB147_15:                             ;   in Loop: Header=BB147_9 Depth=1
	s_or_b64 exec, exec, s[6:7]
	v_mov_b32_e32 v33, s15
	v_add_co_u32_e32 v34, vcc, s14, v17
	v_addc_co_u32_e32 v35, vcc, v18, v33, vcc
	v_cmp_gt_u64_e32 vcc, s[12:13], v[34:35]
	s_and_saveexec_b64 s[16:17], vcc
	s_cbranch_execnz .LBB147_20
; %bb.16:                               ;   in Loop: Header=BB147_9 Depth=1
	s_or_b64 exec, exec, s[16:17]
	s_and_saveexec_b64 s[6:7], s[4:5]
	s_cbranch_execnz .LBB147_21
.LBB147_17:                             ;   in Loop: Header=BB147_9 Depth=1
	s_or_b64 exec, exec, s[6:7]
	s_and_saveexec_b64 s[4:5], s[2:3]
	s_cbranch_execnz .LBB147_22
.LBB147_18:                             ;   in Loop: Header=BB147_9 Depth=1
	s_or_b64 exec, exec, s[4:5]
	s_and_saveexec_b64 s[2:3], s[0:1]
	s_cbranch_execnz .LBB147_23
.LBB147_19:                             ;   in Loop: Header=BB147_9 Depth=1
	s_or_b64 exec, exec, s[2:3]
	s_and_saveexec_b64 s[0:1], vcc
	s_cbranch_execz .LBB147_8
	s_branch .LBB147_24
.LBB147_20:                             ;   in Loop: Header=BB147_9 Depth=1
	v_mov_b32_e32 v29, s9
	v_add_co_u32_e64 v34, s[6:7], s8, v6
	v_addc_co_u32_e64 v35, s[6:7], v5, v29, s[6:7]
	global_load_ushort v29, v[34:35], off
	s_or_b64 exec, exec, s[16:17]
	s_and_saveexec_b64 s[6:7], s[4:5]
	s_cbranch_execz .LBB147_17
.LBB147_21:                             ;   in Loop: Header=BB147_9 Depth=1
	s_waitcnt vmcnt(0)
	v_lshlrev_b32_e32 v32, 16, v32
	v_mul_f32_e32 v33, 0x3fb8aa3b, v32
	v_rndne_f32_e32 v33, v33
	v_mov_b32_e32 v35, v32
	v_fmac_f32_e32 v35, 0xbf317218, v33
	v_cvt_i32_f32_e32 v34, v33
	v_cmp_eq_f32_e64 s[4:5], s21, v33
	v_fmac_f32_e32 v35, 0x3102e308, v33
	v_mov_b32_e32 v33, 0x3ab69700
	v_fmac_f32_e32 v33, 0x395133b1, v35
	v_fma_f32 v33, v35, v33, v23
	v_fma_f32 v33, v35, v33, v24
	;; [unrolled: 1-line block ×3, first 2 shown]
	v_cndmask_b32_e64 v34, v34, v26, s[4:5]
	v_fma_f32 v33, v35, v33, 0.5
	v_ldexp_f32 v34, 1.0, v34
	v_mul_f32_e32 v33, v35, v33
	v_fmac_f32_e32 v35, v35, v33
	v_add_f32_e32 v33, -1.0, v34
	v_fmac_f32_e32 v33, v34, v35
	v_add_f32_e32 v34, v33, v33
	v_cndmask_b32_e64 v33, v33, v34, s[4:5]
	v_cmp_nlt_f32_e64 s[4:5], s22, v32
	v_cndmask_b32_e64 v33, v27, v33, s[4:5]
	v_cmp_ngt_f32_e64 s[4:5], s23, v32
	v_cndmask_b32_e64 v32, -1.0, v33, s[4:5]
	v_bfe_u32 v33, v32, 16, 1
	v_add3_u32 v33, v32, v33, s24
	v_lshrrev_b32_e32 v33, 16, v33
	v_cmp_o_f32_e64 s[4:5], v32, v32
	v_cndmask_b32_e64 v34, v28, v33, s[4:5]
	v_mov_b32_e32 v33, s9
	v_add_co_u32_e64 v32, s[4:5], s8, v4
	v_addc_co_u32_e64 v33, s[4:5], v3, v33, s[4:5]
	global_store_short v[32:33], v34, off
	s_or_b64 exec, exec, s[6:7]
	s_and_saveexec_b64 s[4:5], s[2:3]
	s_cbranch_execz .LBB147_18
.LBB147_22:                             ;   in Loop: Header=BB147_9 Depth=1
	s_waitcnt vmcnt(0)
	v_lshlrev_b32_e32 v31, 16, v31
	v_mul_f32_e32 v32, 0x3fb8aa3b, v31
	v_rndne_f32_e32 v32, v32
	v_mov_b32_e32 v33, v31
	v_fmac_f32_e32 v33, 0xbf317218, v32
	v_fmac_f32_e32 v33, 0x3102e308, v32
	v_mov_b32_e32 v34, 0x3ab69700
	v_fmac_f32_e32 v34, 0x395133b1, v33
	v_cvt_i32_f32_e32 v35, v32
	v_fma_f32 v34, v33, v34, v23
	v_fma_f32 v34, v33, v34, v24
	;; [unrolled: 1-line block ×3, first 2 shown]
	v_cmp_eq_f32_e64 s[2:3], s21, v32
	v_fma_f32 v34, v33, v34, 0.5
	v_cndmask_b32_e64 v32, v35, v26, s[2:3]
	v_mul_f32_e32 v34, v33, v34
	v_ldexp_f32 v32, 1.0, v32
	v_fmac_f32_e32 v33, v33, v34
	v_add_f32_e32 v34, -1.0, v32
	v_fmac_f32_e32 v34, v32, v33
	v_add_f32_e32 v32, v34, v34
	v_cndmask_b32_e64 v32, v34, v32, s[2:3]
	v_cmp_nlt_f32_e64 s[2:3], s22, v31
	v_cndmask_b32_e64 v32, v27, v32, s[2:3]
	v_cmp_ngt_f32_e64 s[2:3], s23, v31
	v_cndmask_b32_e64 v31, -1.0, v32, s[2:3]
	v_bfe_u32 v32, v31, 16, 1
	v_add3_u32 v32, v31, v32, s24
	v_lshrrev_b32_e32 v32, 16, v32
	v_cmp_o_f32_e64 s[2:3], v31, v31
	v_cndmask_b32_e64 v31, v28, v32, s[2:3]
	v_mov_b32_e32 v33, s9
	v_add_co_u32_e64 v32, s[2:3], s8, v16
	v_addc_co_u32_e64 v33, s[2:3], v15, v33, s[2:3]
	global_store_short v[32:33], v31, off
	s_or_b64 exec, exec, s[4:5]
	s_and_saveexec_b64 s[2:3], s[0:1]
	s_cbranch_execz .LBB147_19
.LBB147_23:                             ;   in Loop: Header=BB147_9 Depth=1
	s_waitcnt vmcnt(0)
	v_lshlrev_b32_e32 v30, 16, v30
	v_mul_f32_e32 v31, 0x3fb8aa3b, v30
	v_rndne_f32_e32 v31, v31
	v_mov_b32_e32 v32, v30
	v_fmac_f32_e32 v32, 0xbf317218, v31
	v_fmac_f32_e32 v32, 0x3102e308, v31
	v_mov_b32_e32 v33, 0x3ab69700
	v_fmac_f32_e32 v33, 0x395133b1, v32
	v_cvt_i32_f32_e32 v34, v31
	v_fma_f32 v33, v32, v33, v23
	v_fma_f32 v33, v32, v33, v24
	;; [unrolled: 1-line block ×3, first 2 shown]
	v_cmp_eq_f32_e64 s[0:1], s21, v31
	v_fma_f32 v33, v32, v33, 0.5
	v_cndmask_b32_e64 v31, v34, v26, s[0:1]
	v_mul_f32_e32 v33, v32, v33
	v_ldexp_f32 v31, 1.0, v31
	v_fmac_f32_e32 v32, v32, v33
	v_add_f32_e32 v33, -1.0, v31
	v_fmac_f32_e32 v33, v31, v32
	v_add_f32_e32 v31, v33, v33
	v_cndmask_b32_e64 v31, v33, v31, s[0:1]
	v_cmp_nlt_f32_e64 s[0:1], s22, v30
	v_cndmask_b32_e64 v31, v27, v31, s[0:1]
	v_cmp_ngt_f32_e64 s[0:1], s23, v30
	v_cndmask_b32_e64 v30, -1.0, v31, s[0:1]
	v_bfe_u32 v31, v30, 16, 1
	v_add3_u32 v31, v30, v31, s24
	v_lshrrev_b32_e32 v31, 16, v31
	v_cmp_o_f32_e64 s[0:1], v30, v30
	v_cndmask_b32_e64 v32, v28, v31, s[0:1]
	v_mov_b32_e32 v31, s9
	v_add_co_u32_e64 v30, s[0:1], s8, v12
	v_addc_co_u32_e64 v31, s[0:1], v11, v31, s[0:1]
	global_store_short v[30:31], v32, off
	s_or_b64 exec, exec, s[2:3]
	s_and_saveexec_b64 s[0:1], vcc
	s_cbranch_execz .LBB147_8
.LBB147_24:                             ;   in Loop: Header=BB147_9 Depth=1
	s_waitcnt vmcnt(0)
	v_lshlrev_b32_e32 v29, 16, v29
	v_mul_f32_e32 v30, 0x3fb8aa3b, v29
	v_rndne_f32_e32 v30, v30
	v_mov_b32_e32 v31, v29
	v_fmac_f32_e32 v31, 0xbf317218, v30
	v_fmac_f32_e32 v31, 0x3102e308, v30
	v_mov_b32_e32 v32, 0x3ab69700
	v_fmac_f32_e32 v32, 0x395133b1, v31
	v_cvt_i32_f32_e32 v33, v30
	v_fma_f32 v32, v31, v32, v23
	v_fma_f32 v32, v31, v32, v24
	;; [unrolled: 1-line block ×3, first 2 shown]
	v_cmp_eq_f32_e32 vcc, s21, v30
	v_fma_f32 v32, v31, v32, 0.5
	v_cndmask_b32_e32 v30, v33, v26, vcc
	v_mul_f32_e32 v32, v31, v32
	v_ldexp_f32 v30, 1.0, v30
	v_fmac_f32_e32 v31, v31, v32
	v_add_f32_e32 v32, -1.0, v30
	v_fmac_f32_e32 v32, v30, v31
	v_add_f32_e32 v30, v32, v32
	v_cndmask_b32_e32 v30, v32, v30, vcc
	v_cmp_nlt_f32_e32 vcc, s22, v29
	v_cndmask_b32_e32 v30, v27, v30, vcc
	v_cmp_ngt_f32_e32 vcc, s23, v29
	v_cndmask_b32_e32 v29, -1.0, v30, vcc
	v_bfe_u32 v30, v29, 16, 1
	v_add3_u32 v30, v29, v30, s24
	v_lshrrev_b32_e32 v30, 16, v30
	v_cmp_o_f32_e32 vcc, v29, v29
	v_cndmask_b32_e32 v29, v28, v30, vcc
	v_mov_b32_e32 v31, s9
	v_add_co_u32_e32 v30, vcc, s8, v8
	v_addc_co_u32_e32 v31, vcc, v7, v31, vcc
	global_store_short v[30:31], v29, off
	s_branch .LBB147_8
.LBB147_25:
	s_endpgm
	.section	.rodata,"a",@progbits
	.p2align	6, 0x0
	.amdhsa_kernel _ZN2at6native12_GLOBAL__N_125multi_tensor_apply_kernelINS1_18TensorListMetadataILi2EEENS1_14UnaryOpFunctorIN3c108BFloat16ELi2ELi1ELi1EEEJNS0_5Expm1IfEEEEEvT_T0_DpT1_
		.amdhsa_group_segment_fixed_size 0
		.amdhsa_private_segment_fixed_size 0
		.amdhsa_kernarg_size 3408
		.amdhsa_user_sgpr_count 6
		.amdhsa_user_sgpr_private_segment_buffer 1
		.amdhsa_user_sgpr_dispatch_ptr 0
		.amdhsa_user_sgpr_queue_ptr 0
		.amdhsa_user_sgpr_kernarg_segment_ptr 1
		.amdhsa_user_sgpr_dispatch_id 0
		.amdhsa_user_sgpr_flat_scratch_init 0
		.amdhsa_user_sgpr_kernarg_preload_length 0
		.amdhsa_user_sgpr_kernarg_preload_offset 0
		.amdhsa_user_sgpr_private_segment_size 0
		.amdhsa_uses_dynamic_stack 0
		.amdhsa_system_sgpr_private_segment_wavefront_offset 0
		.amdhsa_system_sgpr_workgroup_id_x 1
		.amdhsa_system_sgpr_workgroup_id_y 0
		.amdhsa_system_sgpr_workgroup_id_z 0
		.amdhsa_system_sgpr_workgroup_info 0
		.amdhsa_system_vgpr_workitem_id 0
		.amdhsa_next_free_vgpr 38
		.amdhsa_next_free_sgpr 38
		.amdhsa_accum_offset 40
		.amdhsa_reserve_vcc 1
		.amdhsa_reserve_flat_scratch 0
		.amdhsa_float_round_mode_32 0
		.amdhsa_float_round_mode_16_64 0
		.amdhsa_float_denorm_mode_32 3
		.amdhsa_float_denorm_mode_16_64 3
		.amdhsa_dx10_clamp 1
		.amdhsa_ieee_mode 1
		.amdhsa_fp16_overflow 0
		.amdhsa_tg_split 0
		.amdhsa_exception_fp_ieee_invalid_op 0
		.amdhsa_exception_fp_denorm_src 0
		.amdhsa_exception_fp_ieee_div_zero 0
		.amdhsa_exception_fp_ieee_overflow 0
		.amdhsa_exception_fp_ieee_underflow 0
		.amdhsa_exception_fp_ieee_inexact 0
		.amdhsa_exception_int_div_zero 0
	.end_amdhsa_kernel
	.section	.text._ZN2at6native12_GLOBAL__N_125multi_tensor_apply_kernelINS1_18TensorListMetadataILi2EEENS1_14UnaryOpFunctorIN3c108BFloat16ELi2ELi1ELi1EEEJNS0_5Expm1IfEEEEEvT_T0_DpT1_,"axG",@progbits,_ZN2at6native12_GLOBAL__N_125multi_tensor_apply_kernelINS1_18TensorListMetadataILi2EEENS1_14UnaryOpFunctorIN3c108BFloat16ELi2ELi1ELi1EEEJNS0_5Expm1IfEEEEEvT_T0_DpT1_,comdat
.Lfunc_end147:
	.size	_ZN2at6native12_GLOBAL__N_125multi_tensor_apply_kernelINS1_18TensorListMetadataILi2EEENS1_14UnaryOpFunctorIN3c108BFloat16ELi2ELi1ELi1EEEJNS0_5Expm1IfEEEEEvT_T0_DpT1_, .Lfunc_end147-_ZN2at6native12_GLOBAL__N_125multi_tensor_apply_kernelINS1_18TensorListMetadataILi2EEENS1_14UnaryOpFunctorIN3c108BFloat16ELi2ELi1ELi1EEEJNS0_5Expm1IfEEEEEvT_T0_DpT1_
                                        ; -- End function
	.section	.AMDGPU.csdata,"",@progbits
; Kernel info:
; codeLenInByte = 2832
; NumSgprs: 42
; NumVgprs: 38
; NumAgprs: 0
; TotalNumVgprs: 38
; ScratchSize: 0
; MemoryBound: 0
; FloatMode: 240
; IeeeMode: 1
; LDSByteSize: 0 bytes/workgroup (compile time only)
; SGPRBlocks: 5
; VGPRBlocks: 4
; NumSGPRsForWavesPerEU: 42
; NumVGPRsForWavesPerEU: 38
; AccumOffset: 40
; Occupancy: 8
; WaveLimiterHint : 0
; COMPUTE_PGM_RSRC2:SCRATCH_EN: 0
; COMPUTE_PGM_RSRC2:USER_SGPR: 6
; COMPUTE_PGM_RSRC2:TRAP_HANDLER: 0
; COMPUTE_PGM_RSRC2:TGID_X_EN: 1
; COMPUTE_PGM_RSRC2:TGID_Y_EN: 0
; COMPUTE_PGM_RSRC2:TGID_Z_EN: 0
; COMPUTE_PGM_RSRC2:TIDIG_COMP_CNT: 0
; COMPUTE_PGM_RSRC3_GFX90A:ACCUM_OFFSET: 9
; COMPUTE_PGM_RSRC3_GFX90A:TG_SPLIT: 0
	.section	.text._ZN2at6native12_GLOBAL__N_125multi_tensor_apply_kernelINS1_18TensorListMetadataILi1EEENS1_14UnaryOpFunctorIdLi1ELi1ELi0EEEJNS0_5Expm1IdEEEEEvT_T0_DpT1_,"axG",@progbits,_ZN2at6native12_GLOBAL__N_125multi_tensor_apply_kernelINS1_18TensorListMetadataILi1EEENS1_14UnaryOpFunctorIdLi1ELi1ELi0EEEJNS0_5Expm1IdEEEEEvT_T0_DpT1_,comdat
	.globl	_ZN2at6native12_GLOBAL__N_125multi_tensor_apply_kernelINS1_18TensorListMetadataILi1EEENS1_14UnaryOpFunctorIdLi1ELi1ELi0EEEJNS0_5Expm1IdEEEEEvT_T0_DpT1_ ; -- Begin function _ZN2at6native12_GLOBAL__N_125multi_tensor_apply_kernelINS1_18TensorListMetadataILi1EEENS1_14UnaryOpFunctorIdLi1ELi1ELi0EEEJNS0_5Expm1IdEEEEEvT_T0_DpT1_
	.p2align	8
	.type	_ZN2at6native12_GLOBAL__N_125multi_tensor_apply_kernelINS1_18TensorListMetadataILi1EEENS1_14UnaryOpFunctorIdLi1ELi1ELi0EEEJNS0_5Expm1IdEEEEEvT_T0_DpT1_,@function
_ZN2at6native12_GLOBAL__N_125multi_tensor_apply_kernelINS1_18TensorListMetadataILi1EEENS1_14UnaryOpFunctorIdLi1ELi1ELi0EEEJNS0_5Expm1IdEEEEEvT_T0_DpT1_: ; @_ZN2at6native12_GLOBAL__N_125multi_tensor_apply_kernelINS1_18TensorListMetadataILi1EEENS1_14UnaryOpFunctorIdLi1ELi1ELi0EEEJNS0_5Expm1IdEEEEEvT_T0_DpT1_
; %bb.0:
	v_mov_b32_e32 v1, s6
	global_load_ubyte v1, v1, s[4:5] offset:1760
	s_add_u32 s0, s4, s6
	s_mul_hi_u32 s1, s6, 3
	s_mul_i32 s6, s6, 3
	s_addc_u32 s2, s5, 0
	s_add_u32 s0, s0, s6
	s_addc_u32 s1, s2, s1
	s_load_dword s0, s[0:1], 0x820
	s_mov_b32 s7, 0
	s_waitcnt vmcnt(0)
	v_readfirstlane_b32 s2, v1
	s_lshl_b32 s1, s2, 3
	s_load_dwordx2 s[2:3], s[4:5], s1 offset:0x370
	s_load_dwordx2 s[10:11], s[4:5], s1 offset:0x0
	s_waitcnt lgkmcnt(0)
	s_ashr_i32 s1, s0, 31
	s_lshl_b64 s[12:13], s[0:1], 19
	s_lshl_b64 s[0:1], s[0:1], 16
	s_and_b32 s6, s10, 31
	s_sub_u32 s14, s2, s0
	s_subb_u32 s15, s3, s1
	s_and_b32 s0, s2, 3
	s_mov_b32 s1, s7
	s_or_b64 s[0:1], s[6:7], s[0:1]
	s_cmp_eq_u64 s[0:1], 0
	s_cbranch_scc1 .LBB148_21
; %bb.1:
	v_cmp_lt_i64_e64 s[0:1], s[14:15], 1
	s_and_b64 vcc, exec, s[0:1]
	s_cbranch_vccnz .LBB148_20
; %bb.2:
	s_load_dword s0, s[4:5], 0xd3c
	v_mov_b32_e32 v2, 0x10000
	v_mov_b32_e32 v3, 0
	v_cmp_lt_u64_e32 vcc, s[14:15], v[2:3]
	v_lshlrev_b32_e32 v1, 3, v0
	s_waitcnt lgkmcnt(0)
	s_and_b32 s2, s0, 0xffff
	s_and_b64 s[0:1], vcc, exec
	s_cselect_b32 s17, s15, 0
	s_cselect_b32 s16, s14, 0x10000
	s_lshl_b32 s3, s2, 1
	s_lshl_b32 s38, s2, 2
	s_add_u32 s6, s10, s12
	s_addc_u32 s7, s11, s13
	v_mov_b32_e32 v3, s7
	v_add_co_u32_e32 v2, vcc, s6, v1
	s_mul_i32 s0, s2, 3
	v_addc_co_u32_e32 v3, vcc, 0, v3, vcc
	v_add_co_u32_e32 v1, vcc, s0, v0
	v_addc_co_u32_e64 v32, s[0:1], 0, 0, vcc
	v_add_co_u32_e32 v33, vcc, s3, v0
	v_addc_co_u32_e64 v34, s[0:1], 0, 0, vcc
	v_add_co_u32_e32 v35, vcc, s2, v0
	v_lshlrev_b32_e32 v4, 3, v35
	s_mov_b32 s33, 0
	v_addc_co_u32_e64 v36, s[0:1], 0, 0, vcc
	v_mov_b32_e32 v5, s7
	v_add_co_u32_e32 v4, vcc, s6, v4
	s_mov_b32 s20, 0x652b82fe
	s_mov_b32 s22, 0
	s_mov_b32 s24, 0xfefa39ef
	s_mov_b32 s26, 0x3b39803f
	s_mov_b32 s28, 0xa9d67f34
	s_mov_b32 s34, 0
	s_lshl_b32 s39, s2, 5
	s_mul_i32 s40, s2, 24
	s_mov_b32 s41, s33
	s_lshl_b32 s42, s2, 4
	s_mov_b32 s43, s33
	v_addc_co_u32_e32 v5, vcc, 0, v5, vcc
	s_mov_b64 s[18:19], 0
	s_mov_b32 s21, 0x3ff71547
	s_mov_b32 s23, 0x40900000
	;; [unrolled: 1-line block ×7, first 2 shown]
	v_mov_b32_e32 v37, 0x3ff
	v_mov_b32_e32 v6, 0x2a1b768b
	;; [unrolled: 1-line block ×21, first 2 shown]
	s_branch .LBB148_4
.LBB148_3:                              ;   in Loop: Header=BB148_4 Depth=1
	s_or_b64 exec, exec, s[2:3]
	s_add_u32 s18, s18, s38
	s_addc_u32 s19, s19, 0
	s_waitcnt vmcnt(0)
	v_pk_mov_b32 v[24:25], s[14:15], s[14:15] op_sel:[0,1]
	v_cmp_lt_i64_e32 vcc, s[18:19], v[24:25]
	v_mov_b32_e32 v24, 0x10000
	v_mov_b32_e32 v25, 0
	v_cmp_lt_u64_e64 s[0:1], s[18:19], v[24:25]
	s_and_b64 s[0:1], vcc, s[0:1]
	v_mov_b32_e32 v24, s33
	v_add_co_u32_e32 v2, vcc, s39, v2
	v_addc_co_u32_e32 v3, vcc, v3, v24, vcc
	v_add_co_u32_e32 v4, vcc, s39, v4
	v_addc_co_u32_e32 v5, vcc, v5, v24, vcc
	s_and_b64 vcc, exec, s[0:1]
	s_cbranch_vccz .LBB148_20
.LBB148_4:                              ; =>This Inner Loop Header: Depth=1
	v_mov_b32_e32 v25, s19
	v_add_co_u32_e32 v24, vcc, s18, v0
	v_addc_co_u32_e32 v25, vcc, 0, v25, vcc
	v_pk_mov_b32 v[28:29], 0, 0
	v_cmp_gt_u64_e64 s[6:7], s[16:17], v[24:25]
	v_pk_mov_b32 v[30:31], v[28:29], v[28:29] op_sel:[0,1]
	s_and_saveexec_b64 s[0:1], s[6:7]
	s_cbranch_execz .LBB148_6
; %bb.5:                                ;   in Loop: Header=BB148_4 Depth=1
	global_load_dwordx2 v[30:31], v[2:3], off
.LBB148_6:                              ;   in Loop: Header=BB148_4 Depth=1
	s_or_b64 exec, exec, s[0:1]
	v_mov_b32_e32 v25, s19
	v_add_co_u32_e32 v24, vcc, s18, v35
	v_addc_co_u32_e32 v25, vcc, v36, v25, vcc
	v_cmp_gt_u64_e64 s[2:3], s[16:17], v[24:25]
	s_and_saveexec_b64 s[0:1], s[2:3]
	s_cbranch_execz .LBB148_8
; %bb.7:                                ;   in Loop: Header=BB148_4 Depth=1
	global_load_dwordx2 v[28:29], v[4:5], off
.LBB148_8:                              ;   in Loop: Header=BB148_4 Depth=1
	s_or_b64 exec, exec, s[0:1]
	v_mov_b32_e32 v25, s19
	v_add_co_u32_e32 v24, vcc, s18, v33
	v_addc_co_u32_e32 v25, vcc, v34, v25, vcc
	v_cmp_gt_u64_e64 s[0:1], s[16:17], v[24:25]
	v_pk_mov_b32 v[24:25], 0, 0
	v_pk_mov_b32 v[26:27], v[24:25], v[24:25] op_sel:[0,1]
	s_and_saveexec_b64 s[8:9], s[0:1]
	s_cbranch_execz .LBB148_10
; %bb.9:                                ;   in Loop: Header=BB148_4 Depth=1
	v_mov_b32_e32 v27, s43
	v_add_co_u32_e32 v26, vcc, s42, v2
	v_addc_co_u32_e32 v27, vcc, v3, v27, vcc
	global_load_dwordx2 v[26:27], v[26:27], off
.LBB148_10:                             ;   in Loop: Header=BB148_4 Depth=1
	s_or_b64 exec, exec, s[8:9]
	v_mov_b32_e32 v41, s19
	v_add_co_u32_e32 v40, vcc, s18, v1
	v_addc_co_u32_e32 v41, vcc, v32, v41, vcc
	v_cmp_gt_u64_e32 vcc, s[16:17], v[40:41]
	s_and_saveexec_b64 s[36:37], vcc
	s_cbranch_execnz .LBB148_15
; %bb.11:                               ;   in Loop: Header=BB148_4 Depth=1
	s_or_b64 exec, exec, s[36:37]
	s_and_saveexec_b64 s[36:37], s[6:7]
	s_cbranch_execnz .LBB148_16
.LBB148_12:                             ;   in Loop: Header=BB148_4 Depth=1
	s_or_b64 exec, exec, s[36:37]
	s_and_saveexec_b64 s[8:9], s[2:3]
	s_cbranch_execnz .LBB148_17
.LBB148_13:                             ;   in Loop: Header=BB148_4 Depth=1
	s_or_b64 exec, exec, s[8:9]
	s_and_saveexec_b64 s[6:7], s[0:1]
	s_cbranch_execnz .LBB148_18
.LBB148_14:                             ;   in Loop: Header=BB148_4 Depth=1
	s_or_b64 exec, exec, s[6:7]
	s_and_saveexec_b64 s[2:3], vcc
	s_cbranch_execz .LBB148_3
	s_branch .LBB148_19
.LBB148_15:                             ;   in Loop: Header=BB148_4 Depth=1
	v_mov_b32_e32 v25, s41
	v_add_co_u32_e64 v24, s[8:9], s40, v2
	v_addc_co_u32_e64 v25, s[8:9], v3, v25, s[8:9]
	global_load_dwordx2 v[24:25], v[24:25], off
	s_or_b64 exec, exec, s[36:37]
	s_and_saveexec_b64 s[36:37], s[6:7]
	s_cbranch_execz .LBB148_12
.LBB148_16:                             ;   in Loop: Header=BB148_4 Depth=1
	s_waitcnt vmcnt(0)
	v_mul_f64 v[40:41], v[30:31], s[20:21]
	v_rndne_f64_e32 v[40:41], v[40:41]
	v_fma_f64 v[44:45], s[24:25], v[40:41], v[30:31]
	v_cvt_i32_f64_e32 v42, v[40:41]
	v_cmp_eq_f64_e64 s[6:7], s[22:23], v[40:41]
	v_fmac_f64_e32 v[44:45], s[26:27], v[40:41]
	v_pk_mov_b32 v[40:41], v[6:7], v[6:7] op_sel:[0,1]
	v_fmac_f64_e32 v[40:41], s[28:29], v[44:45]
	v_pk_mov_b32 v[46:47], v[8:9], v[8:9] op_sel:[0,1]
	;; [unrolled: 2-line block ×9, first 2 shown]
	v_fmac_f64_e32 v[40:41], v[44:45], v[46:47]
	v_cndmask_b32_e64 v42, v42, v37, s[6:7]
	v_fma_f64 v[40:41], v[44:45], v[40:41], 0.5
	v_ldexp_f64 v[42:43], 1.0, v42
	v_mul_f64 v[40:41], v[44:45], v[40:41]
	v_fmac_f64_e32 v[44:45], v[44:45], v[40:41]
	v_add_f64 v[40:41], v[42:43], -1.0
	v_fmac_f64_e32 v[40:41], v[42:43], v[44:45]
	v_add_f64 v[42:43], v[40:41], v[40:41]
	s_mov_b32 s30, s24
	v_cndmask_b32_e64 v40, v40, v42, s[6:7]
	v_cndmask_b32_e64 v41, v41, v43, s[6:7]
	v_cmp_nlt_f64_e64 s[6:7], s[30:31], v[30:31]
	v_cmp_ngt_f64_e64 s[8:9], s[34:35], v[30:31]
	v_cndmask_b32_e64 v41, v38, v41, s[6:7]
	s_and_b64 s[6:7], s[8:9], s[6:7]
	v_cndmask_b32_e64 v31, v39, v41, s[8:9]
	v_cndmask_b32_e64 v30, 0, v40, s[6:7]
	global_store_dwordx2 v[2:3], v[30:31], off
	s_or_b64 exec, exec, s[36:37]
	s_and_saveexec_b64 s[8:9], s[2:3]
	s_cbranch_execz .LBB148_13
.LBB148_17:                             ;   in Loop: Header=BB148_4 Depth=1
	s_waitcnt vmcnt(0)
	v_mul_f64 v[30:31], v[28:29], s[20:21]
	v_rndne_f64_e32 v[30:31], v[30:31]
	v_fma_f64 v[40:41], s[24:25], v[30:31], v[28:29]
	v_fmac_f64_e32 v[40:41], s[26:27], v[30:31]
	v_pk_mov_b32 v[42:43], v[6:7], v[6:7] op_sel:[0,1]
	v_fmac_f64_e32 v[42:43], s[28:29], v[40:41]
	v_pk_mov_b32 v[44:45], v[8:9], v[8:9] op_sel:[0,1]
	;; [unrolled: 2-line block ×9, first 2 shown]
	v_fmac_f64_e32 v[42:43], v[40:41], v[44:45]
	v_fma_f64 v[42:43], v[40:41], v[42:43], 0.5
	v_mul_f64 v[42:43], v[40:41], v[42:43]
	v_fmac_f64_e32 v[40:41], v[40:41], v[42:43]
	v_cvt_i32_f64_e32 v42, v[30:31]
	v_cmp_eq_f64_e64 s[2:3], s[22:23], v[30:31]
	v_cndmask_b32_e64 v30, v42, v37, s[2:3]
	v_ldexp_f64 v[30:31], 1.0, v30
	v_add_f64 v[42:43], v[30:31], -1.0
	v_fmac_f64_e32 v[42:43], v[30:31], v[40:41]
	v_add_f64 v[30:31], v[42:43], v[42:43]
	s_mov_b32 s30, s24
	v_cndmask_b32_e64 v30, v42, v30, s[2:3]
	v_cndmask_b32_e64 v31, v43, v31, s[2:3]
	v_cmp_nlt_f64_e64 s[2:3], s[30:31], v[28:29]
	v_cmp_ngt_f64_e64 s[6:7], s[34:35], v[28:29]
	v_cndmask_b32_e64 v31, v38, v31, s[2:3]
	s_and_b64 s[2:3], s[6:7], s[2:3]
	v_cndmask_b32_e64 v29, v39, v31, s[6:7]
	v_cndmask_b32_e64 v28, 0, v30, s[2:3]
	global_store_dwordx2 v[4:5], v[28:29], off
	s_or_b64 exec, exec, s[8:9]
	s_and_saveexec_b64 s[6:7], s[0:1]
	s_cbranch_execz .LBB148_14
.LBB148_18:                             ;   in Loop: Header=BB148_4 Depth=1
	s_waitcnt vmcnt(0)
	v_mul_f64 v[28:29], v[26:27], s[20:21]
	v_rndne_f64_e32 v[28:29], v[28:29]
	v_fma_f64 v[30:31], s[24:25], v[28:29], v[26:27]
	v_fmac_f64_e32 v[30:31], s[26:27], v[28:29]
	v_pk_mov_b32 v[40:41], v[6:7], v[6:7] op_sel:[0,1]
	v_fmac_f64_e32 v[40:41], s[28:29], v[30:31]
	v_pk_mov_b32 v[42:43], v[8:9], v[8:9] op_sel:[0,1]
	;; [unrolled: 2-line block ×9, first 2 shown]
	v_fmac_f64_e32 v[40:41], v[30:31], v[42:43]
	v_fma_f64 v[40:41], v[30:31], v[40:41], 0.5
	v_mul_f64 v[40:41], v[30:31], v[40:41]
	v_fmac_f64_e32 v[30:31], v[30:31], v[40:41]
	v_cvt_i32_f64_e32 v40, v[28:29]
	v_cmp_eq_f64_e64 s[0:1], s[22:23], v[28:29]
	v_cndmask_b32_e64 v28, v40, v37, s[0:1]
	v_ldexp_f64 v[28:29], 1.0, v28
	v_add_f64 v[40:41], v[28:29], -1.0
	v_fmac_f64_e32 v[40:41], v[28:29], v[30:31]
	v_add_f64 v[28:29], v[40:41], v[40:41]
	s_mov_b32 s30, s24
	v_cndmask_b32_e64 v28, v40, v28, s[0:1]
	v_cndmask_b32_e64 v29, v41, v29, s[0:1]
	v_cmp_nlt_f64_e64 s[0:1], s[30:31], v[26:27]
	v_cmp_ngt_f64_e64 s[2:3], s[34:35], v[26:27]
	v_cndmask_b32_e64 v29, v38, v29, s[0:1]
	s_and_b64 s[0:1], s[2:3], s[0:1]
	v_cndmask_b32_e64 v27, v39, v29, s[2:3]
	v_cndmask_b32_e64 v26, 0, v28, s[0:1]
	v_mov_b32_e32 v29, s43
	v_add_co_u32_e64 v28, s[0:1], s42, v2
	v_addc_co_u32_e64 v29, s[0:1], v3, v29, s[0:1]
	global_store_dwordx2 v[28:29], v[26:27], off
	s_or_b64 exec, exec, s[6:7]
	s_and_saveexec_b64 s[2:3], vcc
	s_cbranch_execz .LBB148_3
.LBB148_19:                             ;   in Loop: Header=BB148_4 Depth=1
	s_waitcnt vmcnt(0)
	v_mul_f64 v[26:27], v[24:25], s[20:21]
	v_rndne_f64_e32 v[26:27], v[26:27]
	v_fma_f64 v[28:29], s[24:25], v[26:27], v[24:25]
	v_fmac_f64_e32 v[28:29], s[26:27], v[26:27]
	v_pk_mov_b32 v[30:31], v[6:7], v[6:7] op_sel:[0,1]
	v_fmac_f64_e32 v[30:31], s[28:29], v[28:29]
	v_pk_mov_b32 v[40:41], v[8:9], v[8:9] op_sel:[0,1]
	;; [unrolled: 2-line block ×9, first 2 shown]
	v_fmac_f64_e32 v[30:31], v[28:29], v[40:41]
	v_fma_f64 v[30:31], v[28:29], v[30:31], 0.5
	v_mul_f64 v[30:31], v[28:29], v[30:31]
	v_fmac_f64_e32 v[28:29], v[28:29], v[30:31]
	v_cvt_i32_f64_e32 v30, v[26:27]
	v_cmp_eq_f64_e32 vcc, s[22:23], v[26:27]
	v_cndmask_b32_e32 v26, v30, v37, vcc
	v_ldexp_f64 v[26:27], 1.0, v26
	v_add_f64 v[30:31], v[26:27], -1.0
	v_fmac_f64_e32 v[30:31], v[26:27], v[28:29]
	v_add_f64 v[26:27], v[30:31], v[30:31]
	s_mov_b32 s30, s24
	v_cndmask_b32_e32 v26, v30, v26, vcc
	v_cndmask_b32_e32 v27, v31, v27, vcc
	v_cmp_nlt_f64_e32 vcc, s[30:31], v[24:25]
	v_cmp_ngt_f64_e64 s[0:1], s[34:35], v[24:25]
	v_cndmask_b32_e32 v27, v38, v27, vcc
	s_and_b64 vcc, s[0:1], vcc
	v_cndmask_b32_e64 v25, v39, v27, s[0:1]
	v_cndmask_b32_e32 v24, 0, v26, vcc
	v_mov_b32_e32 v27, s41
	v_add_co_u32_e32 v26, vcc, s40, v2
	v_addc_co_u32_e32 v27, vcc, v3, v27, vcc
	global_store_dwordx2 v[26:27], v[24:25], off
	s_branch .LBB148_3
.LBB148_20:
	s_cbranch_execz .LBB148_22
	s_branch .LBB148_25
.LBB148_21:
.LBB148_22:
	v_mov_b32_e32 v9, 0
	v_lshlrev_b32_e32 v8, 2, v0
	s_mov_b32 s0, 0
	v_cmp_gt_i64_e32 vcc, s[14:15], v[8:9]
	s_and_saveexec_b64 s[2:3], vcc
	s_cbranch_execz .LBB148_25
; %bb.23:
	s_load_dword s1, s[4:5], 0xd3c
	v_lshlrev_b32_e32 v1, 5, v0
	s_mov_b32 s18, 0x652b82fe
	s_mov_b32 s20, 0xfefa39ef
	;; [unrolled: 1-line block ×3, first 2 shown]
	s_waitcnt lgkmcnt(0)
	s_and_b32 s1, s1, 0xffff
	s_lshl_b32 s33, s1, 2
	s_add_u32 s2, s10, s12
	s_addc_u32 s3, s11, s13
	v_add_lshl_u32 v8, v0, s1, 2
	v_mov_b32_e32 v0, s3
	v_add_co_u32_e32 v1, vcc, s2, v1
	v_addc_co_u32_e32 v0, vcc, 0, v0, vcc
	s_mov_b32 s2, 0x2a1b768b
	v_add_co_u32_e32 v10, vcc, 16, v1
	s_mov_b32 s3, 0x3e5af4eb
	s_mov_b32 s24, 0xa9d67f34
	s_mov_b32 s26, 0xe0ac05b
	s_mov_b32 s28, 0x1b889c29
	s_mov_b32 s30, 0x197bcfd8
	s_mov_b32 s34, 0x1ac1a723
	s_mov_b32 s36, 0x16c18931
	s_mov_b32 s38, 0x11110056
	s_mov_b32 s40, 0x55555552
	s_mov_b32 s42, 0x55555557
	s_mov_b32 s44, 0
	s_mov_b32 s48, 0
	v_addc_co_u32_e32 v11, vcc, 0, v0, vcc
	s_lshl_b32 s54, s1, 5
	s_mov_b64 s[16:17], 0
	s_mov_b32 s19, 0x3ff71547
	s_mov_b32 s21, 0xbfe62e42
	;; [unrolled: 1-line block ×4, first 2 shown]
	v_pk_mov_b32 v[12:13], s[2:3], s[2:3] op_sel:[0,1]
	s_mov_b32 s27, 0x3e927e50
	s_mov_b32 s29, 0x3ec71de0
	;; [unrolled: 1-line block ×9, first 2 shown]
	v_mov_b32_e32 v14, 0x3ff
	s_mov_b32 s47, 0x40862e42
	s_mov_b32 s46, s20
	v_mov_b32_e32 v15, 0x7ff00000
	s_mov_b32 s49, 0xc0428000
	v_mov_b32_e32 v16, 0xbff00000
	s_mov_b64 s[50:51], 0xffff
	v_mov_b32_e32 v17, s0
	v_mov_b32_e32 v18, s0
.LBB148_24:                             ; =>This Inner Loop Header: Depth=1
	global_load_dwordx4 v[0:3], v[10:11], off offset:-16
	global_load_dwordx4 v[4:7], v[10:11], off
	v_cmp_le_i64_e32 vcc, s[14:15], v[8:9]
	v_cmp_lt_u64_e64 s[0:1], s[50:51], v[8:9]
	v_add_co_u32_e64 v8, s[2:3], s33, v8
	s_or_b64 s[52:53], vcc, s[0:1]
	v_addc_co_u32_e64 v9, s[2:3], v9, v17, s[2:3]
	s_waitcnt vmcnt(1)
	v_mul_f64 v[20:21], v[0:1], s[18:19]
	v_mul_f64 v[22:23], v[2:3], s[18:19]
	s_waitcnt vmcnt(0)
	v_mul_f64 v[24:25], v[4:5], s[18:19]
	v_rndne_f64_e32 v[20:21], v[20:21]
	v_rndne_f64_e32 v[22:23], v[22:23]
	v_mul_f64 v[26:27], v[6:7], s[18:19]
	v_rndne_f64_e32 v[24:25], v[24:25]
	v_fma_f64 v[28:29], s[20:21], v[20:21], v[0:1]
	v_fma_f64 v[30:31], s[20:21], v[22:23], v[2:3]
	v_rndne_f64_e32 v[26:27], v[26:27]
	v_cvt_i32_f64_e32 v36, v[22:23]
	v_cmp_eq_f64_e32 vcc, s[44:45], v[22:23]
	v_fma_f64 v[32:33], s[20:21], v[24:25], v[4:5]
	v_fmac_f64_e32 v[28:29], s[22:23], v[20:21]
	v_fmac_f64_e32 v[30:31], s[22:23], v[22:23]
	v_cvt_i32_f64_e32 v19, v[20:21]
	v_cvt_i32_f64_e32 v37, v[24:25]
	v_cmp_eq_f64_e64 s[0:1], s[44:45], v[24:25]
	v_fma_f64 v[34:35], s[20:21], v[26:27], v[6:7]
	v_cmp_eq_f64_e64 s[4:5], s[44:45], v[20:21]
	v_cndmask_b32_e32 v36, v36, v14, vcc
	v_fmac_f64_e32 v[32:33], s[22:23], v[24:25]
	v_fma_f64 v[20:21], s[24:25], v[28:29], v[12:13]
	v_fma_f64 v[24:25], s[24:25], v[30:31], v[12:13]
	v_cvt_i32_f64_e32 v38, v[26:27]
	v_cmp_eq_f64_e64 s[2:3], s[44:45], v[26:27]
	v_cndmask_b32_e64 v39, v37, v14, s[0:1]
	v_fmac_f64_e32 v[34:35], s[22:23], v[26:27]
	v_ldexp_f64 v[26:27], 1.0, v36
	v_fma_f64 v[36:37], s[24:25], v[32:33], v[12:13]
	v_fma_f64 v[20:21], v[28:29], v[20:21], s[26:27]
	;; [unrolled: 1-line block ×31, first 2 shown]
	v_cndmask_b32_e64 v19, v19, v14, s[4:5]
	v_fma_f64 v[40:41], v[34:35], v[40:41], s[40:41]
	v_fma_f64 v[36:37], v[32:33], v[36:37], s[42:43]
	v_fma_f64 v[20:21], v[28:29], v[20:21], 0.5
	v_fma_f64 v[24:25], v[30:31], v[24:25], 0.5
	v_ldexp_f64 v[22:23], 1.0, v19
	v_fma_f64 v[40:41], v[34:35], v[40:41], s[42:43]
	v_fma_f64 v[36:37], v[32:33], v[36:37], 0.5
	v_mul_f64 v[20:21], v[28:29], v[20:21]
	v_mul_f64 v[24:25], v[30:31], v[24:25]
	v_cndmask_b32_e64 v42, v38, v14, s[2:3]
	v_ldexp_f64 v[38:39], 1.0, v39
	v_add_f64 v[44:45], v[22:23], -1.0
	v_add_f64 v[46:47], v[26:27], -1.0
	v_fma_f64 v[40:41], v[34:35], v[40:41], 0.5
	v_mul_f64 v[36:37], v[32:33], v[36:37]
	v_fmac_f64_e32 v[28:29], v[28:29], v[20:21]
	v_fmac_f64_e32 v[30:31], v[30:31], v[24:25]
	v_ldexp_f64 v[42:43], 1.0, v42
	v_add_f64 v[48:49], v[38:39], -1.0
	v_mul_f64 v[40:41], v[34:35], v[40:41]
	v_fmac_f64_e32 v[32:33], v[32:33], v[36:37]
	v_fmac_f64_e32 v[44:45], v[22:23], v[28:29]
	;; [unrolled: 1-line block ×3, first 2 shown]
	v_add_f64 v[50:51], v[42:43], -1.0
	v_fmac_f64_e32 v[34:35], v[34:35], v[40:41]
	v_fmac_f64_e32 v[48:49], v[38:39], v[32:33]
	v_add_f64 v[20:21], v[44:45], v[44:45]
	v_add_f64 v[22:23], v[46:47], v[46:47]
	v_fmac_f64_e32 v[50:51], v[42:43], v[34:35]
	v_add_f64 v[24:25], v[48:49], v[48:49]
	v_cndmask_b32_e64 v19, v44, v20, s[4:5]
	v_cndmask_b32_e64 v20, v45, v21, s[4:5]
	v_cndmask_b32_e32 v21, v46, v22, vcc
	v_cndmask_b32_e32 v22, v47, v23, vcc
	v_cmp_nlt_f64_e32 vcc, s[46:47], v[2:3]
	v_cmp_ngt_f64_e64 s[6:7], s[48:49], v[2:3]
	v_add_f64 v[26:27], v[50:51], v[50:51]
	v_cndmask_b32_e64 v23, v48, v24, s[0:1]
	v_cndmask_b32_e64 v24, v49, v25, s[0:1]
	v_cmp_nlt_f64_e64 s[0:1], s[46:47], v[4:5]
	v_cmp_nlt_f64_e64 s[4:5], s[46:47], v[0:1]
	v_cndmask_b32_e32 v22, v15, v22, vcc
	v_cmp_ngt_f64_e64 s[8:9], s[48:49], v[4:5]
	v_cmp_ngt_f64_e64 s[12:13], s[48:49], v[0:1]
	s_and_b64 vcc, s[6:7], vcc
	v_cndmask_b32_e64 v25, v50, v26, s[2:3]
	v_cndmask_b32_e64 v26, v51, v27, s[2:3]
	v_cmp_nlt_f64_e64 s[2:3], s[46:47], v[6:7]
	v_cndmask_b32_e64 v20, v15, v20, s[4:5]
	v_cmp_ngt_f64_e64 s[10:11], s[48:49], v[6:7]
	s_and_b64 s[4:5], s[12:13], s[4:5]
	v_cndmask_b32_e32 v2, 0, v21, vcc
	s_and_b64 vcc, s[8:9], s[0:1]
	v_cndmask_b32_e64 v24, v15, v24, s[0:1]
	v_cndmask_b32_e64 v26, v15, v26, s[2:3]
	;; [unrolled: 1-line block ×5, first 2 shown]
	v_cndmask_b32_e32 v4, 0, v23, vcc
	s_and_b64 vcc, s[10:11], s[2:3]
	v_cndmask_b32_e64 v5, v16, v24, s[8:9]
	v_cndmask_b32_e64 v7, v16, v26, s[10:11]
	v_cndmask_b32_e32 v6, 0, v25, vcc
	global_store_dwordx4 v[10:11], v[0:3], off offset:-16
	global_store_dwordx4 v[10:11], v[4:7], off
	s_and_b64 s[0:1], exec, s[52:53]
	v_add_co_u32_e32 v10, vcc, s54, v10
	s_or_b64 s[16:17], s[0:1], s[16:17]
	v_addc_co_u32_e32 v11, vcc, v11, v18, vcc
	s_andn2_b64 exec, exec, s[16:17]
	s_cbranch_execnz .LBB148_24
.LBB148_25:
	s_endpgm
	.section	.rodata,"a",@progbits
	.p2align	6, 0x0
	.amdhsa_kernel _ZN2at6native12_GLOBAL__N_125multi_tensor_apply_kernelINS1_18TensorListMetadataILi1EEENS1_14UnaryOpFunctorIdLi1ELi1ELi0EEEJNS0_5Expm1IdEEEEEvT_T0_DpT1_
		.amdhsa_group_segment_fixed_size 0
		.amdhsa_private_segment_fixed_size 0
		.amdhsa_kernarg_size 3632
		.amdhsa_user_sgpr_count 6
		.amdhsa_user_sgpr_private_segment_buffer 1
		.amdhsa_user_sgpr_dispatch_ptr 0
		.amdhsa_user_sgpr_queue_ptr 0
		.amdhsa_user_sgpr_kernarg_segment_ptr 1
		.amdhsa_user_sgpr_dispatch_id 0
		.amdhsa_user_sgpr_flat_scratch_init 0
		.amdhsa_user_sgpr_kernarg_preload_length 0
		.amdhsa_user_sgpr_kernarg_preload_offset 0
		.amdhsa_user_sgpr_private_segment_size 0
		.amdhsa_uses_dynamic_stack 0
		.amdhsa_system_sgpr_private_segment_wavefront_offset 0
		.amdhsa_system_sgpr_workgroup_id_x 1
		.amdhsa_system_sgpr_workgroup_id_y 0
		.amdhsa_system_sgpr_workgroup_id_z 0
		.amdhsa_system_sgpr_workgroup_info 0
		.amdhsa_system_vgpr_workitem_id 0
		.amdhsa_next_free_vgpr 52
		.amdhsa_next_free_sgpr 55
		.amdhsa_accum_offset 52
		.amdhsa_reserve_vcc 1
		.amdhsa_reserve_flat_scratch 0
		.amdhsa_float_round_mode_32 0
		.amdhsa_float_round_mode_16_64 0
		.amdhsa_float_denorm_mode_32 3
		.amdhsa_float_denorm_mode_16_64 3
		.amdhsa_dx10_clamp 1
		.amdhsa_ieee_mode 1
		.amdhsa_fp16_overflow 0
		.amdhsa_tg_split 0
		.amdhsa_exception_fp_ieee_invalid_op 0
		.amdhsa_exception_fp_denorm_src 0
		.amdhsa_exception_fp_ieee_div_zero 0
		.amdhsa_exception_fp_ieee_overflow 0
		.amdhsa_exception_fp_ieee_underflow 0
		.amdhsa_exception_fp_ieee_inexact 0
		.amdhsa_exception_int_div_zero 0
	.end_amdhsa_kernel
	.section	.text._ZN2at6native12_GLOBAL__N_125multi_tensor_apply_kernelINS1_18TensorListMetadataILi1EEENS1_14UnaryOpFunctorIdLi1ELi1ELi0EEEJNS0_5Expm1IdEEEEEvT_T0_DpT1_,"axG",@progbits,_ZN2at6native12_GLOBAL__N_125multi_tensor_apply_kernelINS1_18TensorListMetadataILi1EEENS1_14UnaryOpFunctorIdLi1ELi1ELi0EEEJNS0_5Expm1IdEEEEEvT_T0_DpT1_,comdat
.Lfunc_end148:
	.size	_ZN2at6native12_GLOBAL__N_125multi_tensor_apply_kernelINS1_18TensorListMetadataILi1EEENS1_14UnaryOpFunctorIdLi1ELi1ELi0EEEJNS0_5Expm1IdEEEEEvT_T0_DpT1_, .Lfunc_end148-_ZN2at6native12_GLOBAL__N_125multi_tensor_apply_kernelINS1_18TensorListMetadataILi1EEENS1_14UnaryOpFunctorIdLi1ELi1ELi0EEEJNS0_5Expm1IdEEEEEvT_T0_DpT1_
                                        ; -- End function
	.section	.AMDGPU.csdata,"",@progbits
; Kernel info:
; codeLenInByte = 3440
; NumSgprs: 59
; NumVgprs: 52
; NumAgprs: 0
; TotalNumVgprs: 52
; ScratchSize: 0
; MemoryBound: 0
; FloatMode: 240
; IeeeMode: 1
; LDSByteSize: 0 bytes/workgroup (compile time only)
; SGPRBlocks: 7
; VGPRBlocks: 6
; NumSGPRsForWavesPerEU: 59
; NumVGPRsForWavesPerEU: 52
; AccumOffset: 52
; Occupancy: 8
; WaveLimiterHint : 0
; COMPUTE_PGM_RSRC2:SCRATCH_EN: 0
; COMPUTE_PGM_RSRC2:USER_SGPR: 6
; COMPUTE_PGM_RSRC2:TRAP_HANDLER: 0
; COMPUTE_PGM_RSRC2:TGID_X_EN: 1
; COMPUTE_PGM_RSRC2:TGID_Y_EN: 0
; COMPUTE_PGM_RSRC2:TGID_Z_EN: 0
; COMPUTE_PGM_RSRC2:TIDIG_COMP_CNT: 0
; COMPUTE_PGM_RSRC3_GFX90A:ACCUM_OFFSET: 12
; COMPUTE_PGM_RSRC3_GFX90A:TG_SPLIT: 0
	.section	.text._ZN2at6native12_GLOBAL__N_125multi_tensor_apply_kernelINS1_18TensorListMetadataILi1EEENS1_14UnaryOpFunctorIfLi1ELi1ELi0EEEJNS0_5Expm1IfEEEEEvT_T0_DpT1_,"axG",@progbits,_ZN2at6native12_GLOBAL__N_125multi_tensor_apply_kernelINS1_18TensorListMetadataILi1EEENS1_14UnaryOpFunctorIfLi1ELi1ELi0EEEJNS0_5Expm1IfEEEEEvT_T0_DpT1_,comdat
	.globl	_ZN2at6native12_GLOBAL__N_125multi_tensor_apply_kernelINS1_18TensorListMetadataILi1EEENS1_14UnaryOpFunctorIfLi1ELi1ELi0EEEJNS0_5Expm1IfEEEEEvT_T0_DpT1_ ; -- Begin function _ZN2at6native12_GLOBAL__N_125multi_tensor_apply_kernelINS1_18TensorListMetadataILi1EEENS1_14UnaryOpFunctorIfLi1ELi1ELi0EEEJNS0_5Expm1IfEEEEEvT_T0_DpT1_
	.p2align	8
	.type	_ZN2at6native12_GLOBAL__N_125multi_tensor_apply_kernelINS1_18TensorListMetadataILi1EEENS1_14UnaryOpFunctorIfLi1ELi1ELi0EEEJNS0_5Expm1IfEEEEEvT_T0_DpT1_,@function
_ZN2at6native12_GLOBAL__N_125multi_tensor_apply_kernelINS1_18TensorListMetadataILi1EEENS1_14UnaryOpFunctorIfLi1ELi1ELi0EEEJNS0_5Expm1IfEEEEEvT_T0_DpT1_: ; @_ZN2at6native12_GLOBAL__N_125multi_tensor_apply_kernelINS1_18TensorListMetadataILi1EEENS1_14UnaryOpFunctorIfLi1ELi1ELi0EEEJNS0_5Expm1IfEEEEEvT_T0_DpT1_
; %bb.0:
	v_mov_b32_e32 v1, s6
	global_load_ubyte v1, v1, s[4:5] offset:1760
	s_add_u32 s0, s4, s6
	s_mul_hi_u32 s1, s6, 3
	s_mul_i32 s6, s6, 3
	s_addc_u32 s2, s5, 0
	s_add_u32 s0, s0, s6
	s_addc_u32 s1, s2, s1
	s_load_dword s0, s[0:1], 0x820
	s_mov_b32 s7, 0
	s_waitcnt vmcnt(0)
	v_readfirstlane_b32 s2, v1
	s_lshl_b32 s1, s2, 3
	s_load_dwordx2 s[2:3], s[4:5], s1 offset:0x370
	s_load_dwordx2 s[12:13], s[4:5], s1 offset:0x0
	s_waitcnt lgkmcnt(0)
	s_ashr_i32 s1, s0, 31
	s_lshl_b64 s[14:15], s[0:1], 18
	s_lshl_b64 s[0:1], s[0:1], 16
	s_and_b32 s6, s12, 15
	s_sub_u32 s10, s2, s0
	s_subb_u32 s11, s3, s1
	s_and_b32 s0, s2, 3
	s_mov_b32 s1, s7
	s_or_b64 s[0:1], s[6:7], s[0:1]
	s_cmp_eq_u64 s[0:1], 0
	s_cbranch_scc1 .LBB149_21
; %bb.1:
	v_cmp_lt_i64_e64 s[0:1], s[10:11], 1
	s_and_b64 vcc, exec, s[0:1]
	s_cbranch_vccnz .LBB149_20
; %bb.2:
	s_load_dword s0, s[4:5], 0xd3c
	v_mov_b32_e32 v2, 0x10000
	v_mov_b32_e32 v3, 0
	v_cmp_lt_u64_e32 vcc, s[10:11], v[2:3]
	v_lshlrev_b32_e32 v1, 2, v0
	s_waitcnt lgkmcnt(0)
	s_and_b32 s3, s0, 0xffff
	s_and_b64 s[0:1], vcc, exec
	s_cselect_b32 s17, s11, 0
	s_cselect_b32 s16, s10, 0x10000
	s_lshl_b32 s6, s3, 1
	s_lshl_b32 s22, s3, 2
	s_add_u32 s7, s12, s14
	s_addc_u32 s8, s13, s15
	v_mov_b32_e32 v3, s8
	v_add_co_u32_e32 v2, vcc, s7, v1
	s_mul_i32 s0, s3, 3
	v_addc_co_u32_e32 v3, vcc, 0, v3, vcc
	v_add_co_u32_e32 v1, vcc, s0, v0
	v_addc_co_u32_e64 v8, s[0:1], 0, 0, vcc
	v_add_co_u32_e32 v9, vcc, s6, v0
	v_addc_co_u32_e64 v10, s[0:1], 0, 0, vcc
	v_add_co_u32_e32 v11, vcc, s3, v0
	v_lshlrev_b32_e32 v4, 2, v11
	s_mov_b32 s2, 0
	v_addc_co_u32_e64 v12, s[0:1], 0, 0, vcc
	v_mov_b32_e32 v5, s8
	v_add_co_u32_e32 v4, vcc, s7, v4
	s_lshl_b32 s23, s3, 4
	s_mul_i32 s24, s3, 12
	s_mov_b32 s25, s2
	s_lshl_b32 s26, s3, 3
	s_mov_b32 s27, s2
	v_addc_co_u32_e32 v5, vcc, 0, v5, vcc
	s_mov_b64 s[18:19], 0
	s_mov_b32 s28, 0x43000000
	v_mov_b32_e32 v13, 0x3c0887f9
	v_mov_b32_e32 v14, 0x3d2aaa81
	;; [unrolled: 1-line block ×3, first 2 shown]
	s_mov_b32 s29, 0x42b17217
	s_mov_b32 s30, 0xc1880000
	v_mov_b32_e32 v16, 0x7f
	v_mov_b32_e32 v17, 0x7f800000
	v_pk_mov_b32 v[6:7], s[10:11], s[10:11] op_sel:[0,1]
	v_mov_b32_e32 v18, s2
	s_branch .LBB149_4
.LBB149_3:                              ;   in Loop: Header=BB149_4 Depth=1
	s_or_b64 exec, exec, s[0:1]
	s_add_u32 s18, s18, s22
	s_waitcnt vmcnt(0)
	v_mov_b32_e32 v20, 0x10000
	s_addc_u32 s19, s19, 0
	v_mov_b32_e32 v21, 0
	v_cmp_lt_i64_e32 vcc, s[18:19], v[6:7]
	v_cmp_lt_u64_e64 s[0:1], s[18:19], v[20:21]
	s_and_b64 s[0:1], vcc, s[0:1]
	v_add_co_u32_e32 v2, vcc, s23, v2
	v_addc_co_u32_e32 v3, vcc, v3, v18, vcc
	v_add_co_u32_e32 v4, vcc, s23, v4
	v_addc_co_u32_e32 v5, vcc, v5, v18, vcc
	s_and_b64 vcc, exec, s[0:1]
	s_cbranch_vccz .LBB149_20
.LBB149_4:                              ; =>This Inner Loop Header: Depth=1
	v_mov_b32_e32 v19, s19
	v_add_co_u32_e32 v20, vcc, s18, v0
	v_addc_co_u32_e32 v21, vcc, 0, v19, vcc
	v_cmp_gt_u64_e64 s[6:7], s[16:17], v[20:21]
	v_mov_b32_e32 v22, 0
	s_and_saveexec_b64 s[0:1], s[6:7]
	s_cbranch_execz .LBB149_6
; %bb.5:                                ;   in Loop: Header=BB149_4 Depth=1
	global_load_dword v22, v[2:3], off
.LBB149_6:                              ;   in Loop: Header=BB149_4 Depth=1
	s_or_b64 exec, exec, s[0:1]
	v_mov_b32_e32 v19, s19
	v_add_co_u32_e32 v20, vcc, s18, v11
	v_addc_co_u32_e32 v21, vcc, v12, v19, vcc
	v_cmp_gt_u64_e64 s[2:3], s[16:17], v[20:21]
	v_mov_b32_e32 v21, 0
	s_and_saveexec_b64 s[0:1], s[2:3]
	s_cbranch_execz .LBB149_8
; %bb.7:                                ;   in Loop: Header=BB149_4 Depth=1
	global_load_dword v21, v[4:5], off
.LBB149_8:                              ;   in Loop: Header=BB149_4 Depth=1
	s_or_b64 exec, exec, s[0:1]
	v_mov_b32_e32 v19, s19
	v_add_co_u32_e32 v24, vcc, s18, v9
	v_addc_co_u32_e32 v25, vcc, v10, v19, vcc
	v_cmp_gt_u64_e64 s[0:1], s[16:17], v[24:25]
	v_mov_b32_e32 v19, 0
	v_mov_b32_e32 v20, 0
	s_and_saveexec_b64 s[8:9], s[0:1]
	s_cbranch_execz .LBB149_10
; %bb.9:                                ;   in Loop: Header=BB149_4 Depth=1
	v_mov_b32_e32 v20, s27
	v_add_co_u32_e32 v24, vcc, s26, v2
	v_addc_co_u32_e32 v25, vcc, v3, v20, vcc
	global_load_dword v20, v[24:25], off
.LBB149_10:                             ;   in Loop: Header=BB149_4 Depth=1
	s_or_b64 exec, exec, s[8:9]
	v_mov_b32_e32 v23, s19
	v_add_co_u32_e32 v24, vcc, s18, v1
	v_addc_co_u32_e32 v25, vcc, v8, v23, vcc
	v_cmp_gt_u64_e32 vcc, s[16:17], v[24:25]
	s_and_saveexec_b64 s[20:21], vcc
	s_cbranch_execnz .LBB149_15
; %bb.11:                               ;   in Loop: Header=BB149_4 Depth=1
	s_or_b64 exec, exec, s[20:21]
	s_and_saveexec_b64 s[8:9], s[6:7]
	s_cbranch_execnz .LBB149_16
.LBB149_12:                             ;   in Loop: Header=BB149_4 Depth=1
	s_or_b64 exec, exec, s[8:9]
	s_and_saveexec_b64 s[6:7], s[2:3]
	s_cbranch_execnz .LBB149_17
.LBB149_13:                             ;   in Loop: Header=BB149_4 Depth=1
	s_or_b64 exec, exec, s[6:7]
	s_and_saveexec_b64 s[2:3], s[0:1]
	s_cbranch_execnz .LBB149_18
.LBB149_14:                             ;   in Loop: Header=BB149_4 Depth=1
	s_or_b64 exec, exec, s[2:3]
	s_and_saveexec_b64 s[0:1], vcc
	s_cbranch_execz .LBB149_3
	s_branch .LBB149_19
.LBB149_15:                             ;   in Loop: Header=BB149_4 Depth=1
	v_mov_b32_e32 v19, s25
	v_add_co_u32_e64 v24, s[8:9], s24, v2
	v_addc_co_u32_e64 v25, s[8:9], v3, v19, s[8:9]
	global_load_dword v19, v[24:25], off
	s_or_b64 exec, exec, s[20:21]
	s_and_saveexec_b64 s[8:9], s[6:7]
	s_cbranch_execz .LBB149_12
.LBB149_16:                             ;   in Loop: Header=BB149_4 Depth=1
	s_waitcnt vmcnt(0)
	v_mul_f32_e32 v23, 0x3fb8aa3b, v22
	v_rndne_f32_e32 v23, v23
	v_mov_b32_e32 v25, v22
	v_fmac_f32_e32 v25, 0xbf317218, v23
	v_cvt_i32_f32_e32 v24, v23
	v_cmp_eq_f32_e64 s[6:7], s28, v23
	v_fmac_f32_e32 v25, 0x3102e308, v23
	v_mov_b32_e32 v23, 0x3ab69700
	v_fmac_f32_e32 v23, 0x395133b1, v25
	v_fma_f32 v23, v25, v23, v13
	v_fma_f32 v23, v25, v23, v14
	;; [unrolled: 1-line block ×3, first 2 shown]
	v_cndmask_b32_e64 v24, v24, v16, s[6:7]
	v_fma_f32 v23, v25, v23, 0.5
	v_ldexp_f32 v24, 1.0, v24
	v_mul_f32_e32 v23, v25, v23
	v_fmac_f32_e32 v25, v25, v23
	v_add_f32_e32 v23, -1.0, v24
	v_fmac_f32_e32 v23, v24, v25
	v_add_f32_e32 v24, v23, v23
	v_cndmask_b32_e64 v23, v23, v24, s[6:7]
	v_cmp_nlt_f32_e64 s[6:7], s29, v22
	v_cndmask_b32_e64 v23, v17, v23, s[6:7]
	v_cmp_ngt_f32_e64 s[6:7], s30, v22
	v_cndmask_b32_e64 v22, -1.0, v23, s[6:7]
	global_store_dword v[2:3], v22, off
	s_or_b64 exec, exec, s[8:9]
	s_and_saveexec_b64 s[6:7], s[2:3]
	s_cbranch_execz .LBB149_13
.LBB149_17:                             ;   in Loop: Header=BB149_4 Depth=1
	s_waitcnt vmcnt(0)
	v_mul_f32_e32 v22, 0x3fb8aa3b, v21
	v_rndne_f32_e32 v22, v22
	v_mov_b32_e32 v23, v21
	v_fmac_f32_e32 v23, 0xbf317218, v22
	v_fmac_f32_e32 v23, 0x3102e308, v22
	v_mov_b32_e32 v24, 0x3ab69700
	v_fmac_f32_e32 v24, 0x395133b1, v23
	v_cvt_i32_f32_e32 v25, v22
	v_fma_f32 v24, v23, v24, v13
	v_fma_f32 v24, v23, v24, v14
	;; [unrolled: 1-line block ×3, first 2 shown]
	v_cmp_eq_f32_e64 s[2:3], s28, v22
	v_fma_f32 v24, v23, v24, 0.5
	v_cndmask_b32_e64 v22, v25, v16, s[2:3]
	v_mul_f32_e32 v24, v23, v24
	v_ldexp_f32 v22, 1.0, v22
	v_fmac_f32_e32 v23, v23, v24
	v_add_f32_e32 v24, -1.0, v22
	v_fmac_f32_e32 v24, v22, v23
	v_add_f32_e32 v22, v24, v24
	v_cndmask_b32_e64 v22, v24, v22, s[2:3]
	v_cmp_nlt_f32_e64 s[2:3], s29, v21
	v_cndmask_b32_e64 v22, v17, v22, s[2:3]
	v_cmp_ngt_f32_e64 s[2:3], s30, v21
	v_cndmask_b32_e64 v21, -1.0, v22, s[2:3]
	global_store_dword v[4:5], v21, off
	s_or_b64 exec, exec, s[6:7]
	s_and_saveexec_b64 s[2:3], s[0:1]
	s_cbranch_execz .LBB149_14
.LBB149_18:                             ;   in Loop: Header=BB149_4 Depth=1
	s_waitcnt vmcnt(0)
	v_mul_f32_e32 v21, 0x3fb8aa3b, v20
	v_rndne_f32_e32 v21, v21
	v_mov_b32_e32 v22, v20
	v_fmac_f32_e32 v22, 0xbf317218, v21
	v_fmac_f32_e32 v22, 0x3102e308, v21
	v_mov_b32_e32 v23, 0x3ab69700
	v_fmac_f32_e32 v23, 0x395133b1, v22
	v_cvt_i32_f32_e32 v24, v21
	v_fma_f32 v23, v22, v23, v13
	v_fma_f32 v23, v22, v23, v14
	;; [unrolled: 1-line block ×3, first 2 shown]
	v_cmp_eq_f32_e64 s[0:1], s28, v21
	v_fma_f32 v23, v22, v23, 0.5
	v_cndmask_b32_e64 v21, v24, v16, s[0:1]
	v_mul_f32_e32 v23, v22, v23
	v_ldexp_f32 v21, 1.0, v21
	v_fmac_f32_e32 v22, v22, v23
	v_add_f32_e32 v23, -1.0, v21
	v_fmac_f32_e32 v23, v21, v22
	v_add_f32_e32 v21, v23, v23
	v_cndmask_b32_e64 v21, v23, v21, s[0:1]
	v_cmp_nlt_f32_e64 s[0:1], s29, v20
	v_cndmask_b32_e64 v21, v17, v21, s[0:1]
	v_cmp_ngt_f32_e64 s[0:1], s30, v20
	v_cndmask_b32_e64 v22, -1.0, v21, s[0:1]
	v_mov_b32_e32 v21, s27
	v_add_co_u32_e64 v20, s[0:1], s26, v2
	v_addc_co_u32_e64 v21, s[0:1], v3, v21, s[0:1]
	global_store_dword v[20:21], v22, off
	s_or_b64 exec, exec, s[2:3]
	s_and_saveexec_b64 s[0:1], vcc
	s_cbranch_execz .LBB149_3
.LBB149_19:                             ;   in Loop: Header=BB149_4 Depth=1
	s_waitcnt vmcnt(0)
	v_mul_f32_e32 v20, 0x3fb8aa3b, v19
	v_rndne_f32_e32 v20, v20
	v_mov_b32_e32 v21, v19
	v_fmac_f32_e32 v21, 0xbf317218, v20
	v_fmac_f32_e32 v21, 0x3102e308, v20
	v_mov_b32_e32 v22, 0x3ab69700
	v_fmac_f32_e32 v22, 0x395133b1, v21
	v_cvt_i32_f32_e32 v23, v20
	v_fma_f32 v22, v21, v22, v13
	v_fma_f32 v22, v21, v22, v14
	;; [unrolled: 1-line block ×3, first 2 shown]
	v_cmp_eq_f32_e32 vcc, s28, v20
	v_fma_f32 v22, v21, v22, 0.5
	v_cndmask_b32_e32 v20, v23, v16, vcc
	v_mul_f32_e32 v22, v21, v22
	v_ldexp_f32 v20, 1.0, v20
	v_fmac_f32_e32 v21, v21, v22
	v_add_f32_e32 v22, -1.0, v20
	v_fmac_f32_e32 v22, v20, v21
	v_add_f32_e32 v20, v22, v22
	v_cndmask_b32_e32 v20, v22, v20, vcc
	v_cmp_nlt_f32_e32 vcc, s29, v19
	v_cndmask_b32_e32 v20, v17, v20, vcc
	v_cmp_ngt_f32_e32 vcc, s30, v19
	v_cndmask_b32_e32 v19, -1.0, v20, vcc
	v_mov_b32_e32 v21, s25
	v_add_co_u32_e32 v20, vcc, s24, v2
	v_addc_co_u32_e32 v21, vcc, v3, v21, vcc
	global_store_dword v[20:21], v19, off
	s_branch .LBB149_3
.LBB149_20:
	s_cbranch_execz .LBB149_22
	s_branch .LBB149_25
.LBB149_21:
.LBB149_22:
	v_mov_b32_e32 v3, 0
	v_lshlrev_b32_e32 v2, 2, v0
	s_mov_b32 s0, 0
	v_cmp_gt_i64_e32 vcc, s[10:11], v[2:3]
	s_and_saveexec_b64 s[2:3], vcc
	s_cbranch_execz .LBB149_25
; %bb.23:
	s_load_dword s1, s[4:5], 0xd3c
	v_lshlrev_b32_e32 v1, 4, v0
	s_mov_b64 s[6:7], 0
	s_mov_b32 s8, 0x3fb8aa3b
	v_mov_b32_e32 v6, 0x7f
	s_waitcnt lgkmcnt(0)
	s_and_b32 s1, s1, 0xffff
	s_add_u32 s2, s12, s14
	s_addc_u32 s3, s13, s15
	v_mov_b32_e32 v2, s3
	v_add_co_u32_e32 v1, vcc, s2, v1
	v_addc_co_u32_e32 v2, vcc, 0, v2, vcc
	v_add_co_u32_e32 v4, vcc, 8, v1
	s_mov_b32 s2, 0x3ab69700
	v_addc_co_u32_e32 v5, vcc, 0, v2, vcc
	s_lshl_b32 s9, s1, 4
	v_add_lshl_u32 v2, v0, s1, 2
	s_lshl_b32 s13, s1, 2
	s_mov_b32 s12, 0x3f317218
	s_mov_b32 s14, 0xb102e308
	;; [unrolled: 1-line block ×4, first 2 shown]
	v_pk_mov_b32 v[0:1], s[2:3], s[2:3] op_sel:[0,1]
	s_mov_b32 s18, 0x3c0887f9
	s_mov_b32 s20, 0x3d2aaa81
	;; [unrolled: 1-line block ×4, first 2 shown]
	v_mov_b32_e32 v7, 0x7f800000
	s_mov_b32 s19, 0xc1880000
	s_mov_b64 s[24:25], 0xffff
	v_mov_b32_e32 v8, s0
	v_mov_b32_e32 v9, s0
.LBB149_24:                             ; =>This Inner Loop Header: Depth=1
	global_load_dwordx4 v[10:13], v[4:5], off offset:-8
	v_cmp_le_i64_e32 vcc, s[10:11], v[2:3]
	v_cmp_lt_u64_e64 s[0:1], s[24:25], v[2:3]
	s_or_b64 s[0:1], vcc, s[0:1]
	s_and_b64 s[0:1], exec, s[0:1]
	s_or_b64 s[6:7], s[0:1], s[6:7]
	s_waitcnt vmcnt(0)
	v_pk_mul_f32 v[14:15], v[10:11], s[8:9] op_sel_hi:[1,0]
	v_rndne_f32_e32 v15, v15
	v_rndne_f32_e32 v14, v14
	v_pk_mul_f32 v[16:17], v[12:13], s[8:9] op_sel_hi:[1,0]
	v_pk_fma_f32 v[18:19], v[14:15], s[12:13], v[10:11] op_sel_hi:[1,0,1] neg_lo:[1,0,0] neg_hi:[1,0,0]
	v_rndne_f32_e32 v17, v17
	v_rndne_f32_e32 v16, v16
	v_pk_fma_f32 v[18:19], v[14:15], s[14:15], v[18:19] op_sel_hi:[1,0,1] neg_lo:[1,0,0] neg_hi:[1,0,0]
	v_cvt_i32_f32_e32 v26, v14
	v_cvt_i32_f32_e32 v27, v15
	v_pk_fma_f32 v[20:21], v[16:17], s[12:13], v[12:13] op_sel_hi:[1,0,1] neg_lo:[1,0,0] neg_hi:[1,0,0]
	v_pk_fma_f32 v[22:23], v[18:19], s[16:17], v[0:1] op_sel_hi:[1,0,0]
	v_pk_fma_f32 v[20:21], v[16:17], s[14:15], v[20:21] op_sel_hi:[1,0,1] neg_lo:[1,0,0] neg_hi:[1,0,0]
	v_pk_fma_f32 v[22:23], v[18:19], v[22:23], s[18:19] op_sel_hi:[1,1,0]
	v_cvt_i32_f32_e32 v28, v16
	v_cvt_i32_f32_e32 v29, v17
	v_pk_fma_f32 v[24:25], v[20:21], s[16:17], v[0:1] op_sel_hi:[1,0,0]
	v_pk_fma_f32 v[22:23], v[18:19], v[22:23], s[20:21] op_sel_hi:[1,1,0]
	;; [unrolled: 1-line block ×3, first 2 shown]
	v_cmp_eq_f32_e32 vcc, s15, v14
	v_cmp_eq_f32_e64 s[0:1], s15, v15
	v_pk_fma_f32 v[22:23], v[18:19], v[22:23], s[22:23] op_sel_hi:[1,1,0]
	v_cndmask_b32_e32 v26, v26, v6, vcc
	v_cndmask_b32_e64 v27, v27, v6, s[0:1]
	v_pk_fma_f32 v[14:15], v[20:21], v[24:25], s[20:21] op_sel_hi:[1,1,0]
	v_pk_fma_f32 v[22:23], v[18:19], v[22:23], 0.5 op_sel_hi:[1,1,0]
	v_cmp_eq_f32_e64 s[2:3], s15, v16
	v_cmp_eq_f32_e64 s[4:5], s15, v17
	v_ldexp_f32 v16, 1.0, v26
	v_ldexp_f32 v17, 1.0, v27
	v_pk_fma_f32 v[14:15], v[20:21], v[14:15], s[22:23] op_sel_hi:[1,1,0]
	v_pk_mul_f32 v[22:23], v[18:19], v[22:23]
	v_cndmask_b32_e64 v28, v28, v6, s[2:3]
	v_cndmask_b32_e64 v25, v29, v6, s[4:5]
	v_pk_add_f32 v[26:27], -1.0, v[16:17] op_sel_hi:[0,1]
	v_pk_fma_f32 v[14:15], v[20:21], v[14:15], 0.5 op_sel_hi:[1,1,0]
	v_pk_fma_f32 v[18:19], v[18:19], v[22:23], v[18:19]
	v_ldexp_f32 v24, 1.0, v28
	v_ldexp_f32 v25, 1.0, v25
	v_pk_mul_f32 v[14:15], v[20:21], v[14:15]
	v_pk_fma_f32 v[16:17], v[16:17], v[18:19], v[26:27]
	v_pk_add_f32 v[28:29], -1.0, v[24:25] op_sel_hi:[0,1]
	v_pk_fma_f32 v[14:15], v[20:21], v[14:15], v[20:21]
	v_pk_add_f32 v[18:19], v[16:17], v[16:17]
	v_pk_fma_f32 v[14:15], v[24:25], v[14:15], v[28:29]
	v_cndmask_b32_e32 v16, v16, v18, vcc
	v_cmp_nlt_f32_e32 vcc, s17, v10
	v_pk_add_f32 v[20:21], v[14:15], v[14:15]
	v_cndmask_b32_e64 v17, v17, v19, s[0:1]
	v_cndmask_b32_e32 v16, v7, v16, vcc
	v_cmp_nlt_f32_e32 vcc, s17, v11
	v_cndmask_b32_e64 v14, v14, v20, s[2:3]
	v_cndmask_b32_e32 v17, v7, v17, vcc
	v_cmp_nlt_f32_e32 vcc, s17, v12
	;; [unrolled: 3-line block ×3, first 2 shown]
	v_cndmask_b32_e32 v15, v7, v15, vcc
	v_cmp_ngt_f32_e32 vcc, s19, v11
	v_cndmask_b32_e32 v11, -1.0, v17, vcc
	v_cmp_ngt_f32_e32 vcc, s19, v10
	v_cndmask_b32_e32 v10, -1.0, v16, vcc
	v_cmp_ngt_f32_e32 vcc, s19, v13
	v_cndmask_b32_e32 v13, -1.0, v15, vcc
	v_cmp_ngt_f32_e32 vcc, s19, v12
	v_cndmask_b32_e32 v12, -1.0, v14, vcc
	global_store_dwordx4 v[4:5], v[10:13], off offset:-8
	v_add_co_u32_e32 v4, vcc, s9, v4
	v_addc_co_u32_e32 v5, vcc, v5, v8, vcc
	v_add_co_u32_e32 v2, vcc, s13, v2
	v_addc_co_u32_e32 v3, vcc, v3, v9, vcc
	s_andn2_b64 exec, exec, s[6:7]
	s_cbranch_execnz .LBB149_24
.LBB149_25:
	s_endpgm
	.section	.rodata,"a",@progbits
	.p2align	6, 0x0
	.amdhsa_kernel _ZN2at6native12_GLOBAL__N_125multi_tensor_apply_kernelINS1_18TensorListMetadataILi1EEENS1_14UnaryOpFunctorIfLi1ELi1ELi0EEEJNS0_5Expm1IfEEEEEvT_T0_DpT1_
		.amdhsa_group_segment_fixed_size 0
		.amdhsa_private_segment_fixed_size 0
		.amdhsa_kernarg_size 3632
		.amdhsa_user_sgpr_count 6
		.amdhsa_user_sgpr_private_segment_buffer 1
		.amdhsa_user_sgpr_dispatch_ptr 0
		.amdhsa_user_sgpr_queue_ptr 0
		.amdhsa_user_sgpr_kernarg_segment_ptr 1
		.amdhsa_user_sgpr_dispatch_id 0
		.amdhsa_user_sgpr_flat_scratch_init 0
		.amdhsa_user_sgpr_kernarg_preload_length 0
		.amdhsa_user_sgpr_kernarg_preload_offset 0
		.amdhsa_user_sgpr_private_segment_size 0
		.amdhsa_uses_dynamic_stack 0
		.amdhsa_system_sgpr_private_segment_wavefront_offset 0
		.amdhsa_system_sgpr_workgroup_id_x 1
		.amdhsa_system_sgpr_workgroup_id_y 0
		.amdhsa_system_sgpr_workgroup_id_z 0
		.amdhsa_system_sgpr_workgroup_info 0
		.amdhsa_system_vgpr_workitem_id 0
		.amdhsa_next_free_vgpr 30
		.amdhsa_next_free_sgpr 31
		.amdhsa_accum_offset 32
		.amdhsa_reserve_vcc 1
		.amdhsa_reserve_flat_scratch 0
		.amdhsa_float_round_mode_32 0
		.amdhsa_float_round_mode_16_64 0
		.amdhsa_float_denorm_mode_32 3
		.amdhsa_float_denorm_mode_16_64 3
		.amdhsa_dx10_clamp 1
		.amdhsa_ieee_mode 1
		.amdhsa_fp16_overflow 0
		.amdhsa_tg_split 0
		.amdhsa_exception_fp_ieee_invalid_op 0
		.amdhsa_exception_fp_denorm_src 0
		.amdhsa_exception_fp_ieee_div_zero 0
		.amdhsa_exception_fp_ieee_overflow 0
		.amdhsa_exception_fp_ieee_underflow 0
		.amdhsa_exception_fp_ieee_inexact 0
		.amdhsa_exception_int_div_zero 0
	.end_amdhsa_kernel
	.section	.text._ZN2at6native12_GLOBAL__N_125multi_tensor_apply_kernelINS1_18TensorListMetadataILi1EEENS1_14UnaryOpFunctorIfLi1ELi1ELi0EEEJNS0_5Expm1IfEEEEEvT_T0_DpT1_,"axG",@progbits,_ZN2at6native12_GLOBAL__N_125multi_tensor_apply_kernelINS1_18TensorListMetadataILi1EEENS1_14UnaryOpFunctorIfLi1ELi1ELi0EEEJNS0_5Expm1IfEEEEEvT_T0_DpT1_,comdat
.Lfunc_end149:
	.size	_ZN2at6native12_GLOBAL__N_125multi_tensor_apply_kernelINS1_18TensorListMetadataILi1EEENS1_14UnaryOpFunctorIfLi1ELi1ELi0EEEJNS0_5Expm1IfEEEEEvT_T0_DpT1_, .Lfunc_end149-_ZN2at6native12_GLOBAL__N_125multi_tensor_apply_kernelINS1_18TensorListMetadataILi1EEENS1_14UnaryOpFunctorIfLi1ELi1ELi0EEEJNS0_5Expm1IfEEEEEvT_T0_DpT1_
                                        ; -- End function
	.section	.AMDGPU.csdata,"",@progbits
; Kernel info:
; codeLenInByte = 2208
; NumSgprs: 35
; NumVgprs: 30
; NumAgprs: 0
; TotalNumVgprs: 30
; ScratchSize: 0
; MemoryBound: 0
; FloatMode: 240
; IeeeMode: 1
; LDSByteSize: 0 bytes/workgroup (compile time only)
; SGPRBlocks: 4
; VGPRBlocks: 3
; NumSGPRsForWavesPerEU: 35
; NumVGPRsForWavesPerEU: 30
; AccumOffset: 32
; Occupancy: 8
; WaveLimiterHint : 0
; COMPUTE_PGM_RSRC2:SCRATCH_EN: 0
; COMPUTE_PGM_RSRC2:USER_SGPR: 6
; COMPUTE_PGM_RSRC2:TRAP_HANDLER: 0
; COMPUTE_PGM_RSRC2:TGID_X_EN: 1
; COMPUTE_PGM_RSRC2:TGID_Y_EN: 0
; COMPUTE_PGM_RSRC2:TGID_Z_EN: 0
; COMPUTE_PGM_RSRC2:TIDIG_COMP_CNT: 0
; COMPUTE_PGM_RSRC3_GFX90A:ACCUM_OFFSET: 7
; COMPUTE_PGM_RSRC3_GFX90A:TG_SPLIT: 0
	.section	.text._ZN2at6native12_GLOBAL__N_125multi_tensor_apply_kernelINS1_18TensorListMetadataILi1EEENS1_14UnaryOpFunctorIN3c107complexIdEELi1ELi1ELi0EEEJNS0_5Expm1IS8_EEEEEvT_T0_DpT1_,"axG",@progbits,_ZN2at6native12_GLOBAL__N_125multi_tensor_apply_kernelINS1_18TensorListMetadataILi1EEENS1_14UnaryOpFunctorIN3c107complexIdEELi1ELi1ELi0EEEJNS0_5Expm1IS8_EEEEEvT_T0_DpT1_,comdat
	.globl	_ZN2at6native12_GLOBAL__N_125multi_tensor_apply_kernelINS1_18TensorListMetadataILi1EEENS1_14UnaryOpFunctorIN3c107complexIdEELi1ELi1ELi0EEEJNS0_5Expm1IS8_EEEEEvT_T0_DpT1_ ; -- Begin function _ZN2at6native12_GLOBAL__N_125multi_tensor_apply_kernelINS1_18TensorListMetadataILi1EEENS1_14UnaryOpFunctorIN3c107complexIdEELi1ELi1ELi0EEEJNS0_5Expm1IS8_EEEEEvT_T0_DpT1_
	.p2align	8
	.type	_ZN2at6native12_GLOBAL__N_125multi_tensor_apply_kernelINS1_18TensorListMetadataILi1EEENS1_14UnaryOpFunctorIN3c107complexIdEELi1ELi1ELi0EEEJNS0_5Expm1IS8_EEEEEvT_T0_DpT1_,@function
_ZN2at6native12_GLOBAL__N_125multi_tensor_apply_kernelINS1_18TensorListMetadataILi1EEENS1_14UnaryOpFunctorIN3c107complexIdEELi1ELi1ELi0EEEJNS0_5Expm1IS8_EEEEEvT_T0_DpT1_: ; @_ZN2at6native12_GLOBAL__N_125multi_tensor_apply_kernelINS1_18TensorListMetadataILi1EEENS1_14UnaryOpFunctorIN3c107complexIdEELi1ELi1ELi0EEEJNS0_5Expm1IS8_EEEEEvT_T0_DpT1_
; %bb.0:
	v_mov_b32_e32 v1, s6
	global_load_ubyte v1, v1, s[4:5] offset:1760
	s_add_u32 s0, s4, s6
	s_mul_hi_u32 s1, s6, 3
	s_mul_i32 s6, s6, 3
	s_addc_u32 s2, s5, 0
	s_add_u32 s0, s0, s6
	s_addc_u32 s1, s2, s1
	s_load_dword s0, s[0:1], 0x820
	s_mov_b32 s7, 0
	s_waitcnt vmcnt(0)
	v_readfirstlane_b32 s1, v1
	s_lshl_b32 s1, s1, 3
	s_load_dwordx2 s[14:15], s[4:5], s1 offset:0x0
	s_load_dwordx2 s[2:3], s[4:5], s1 offset:0x370
	s_waitcnt lgkmcnt(0)
	s_ashr_i32 s1, s0, 31
	s_lshl_b64 s[16:17], s[0:1], 20
	s_add_u32 s33, s14, s16
	s_addc_u32 s88, s15, s17
	s_lshl_b64 s[0:1], s[0:1], 16
	s_and_b32 s6, s33, 63
	s_sub_u32 s94, s2, s0
	s_subb_u32 s95, s3, s1
	s_and_b32 s0, s2, 3
	s_mov_b32 s1, s7
	s_or_b64 s[0:1], s[6:7], s[0:1]
	s_cmp_eq_u64 s[0:1], 0
	s_cbranch_scc1 .LBB150_69
; %bb.1:
	v_cmp_lt_i64_e64 s[0:1], s[94:95], 1
	s_and_b64 vcc, exec, s[0:1]
	s_cbranch_vccnz .LBB150_68
; %bb.2:
	s_load_dword s0, s[4:5], 0xd3c
	v_mov_b32_e32 v2, 0x10000
	v_mov_b32_e32 v3, 0
	v_mov_b32_e32 v18, 0
	v_cmp_lt_u64_e32 vcc, s[94:95], v[2:3]
	s_waitcnt lgkmcnt(0)
	s_and_b32 s2, s0, 0xffff
	s_and_b64 s[0:1], vcc, exec
	s_mul_i32 s6, s2, 3
	v_lshlrev_b32_e32 v20, 4, v0
	v_mov_b32_e32 v21, v18
	v_add_co_u32_e32 v25, vcc, s2, v0
	v_addc_co_u32_e64 v27, s[0:1], 0, 0, vcc
	v_mad_u64_u32 v[22:23], s[0:1], s2, 48, v[20:21]
	v_add_co_u32_e32 v21, vcc, s6, v0
	v_addc_co_u32_e64 v128, s[0:1], 0, 0, vcc
	s_cselect_b32 s19, s95, 0
	s_cselect_b32 s18, s94, 0x10000
	s_lshl_b32 s0, s2, 5
	s_lshl_b32 s3, s2, 1
	v_add_co_u32_e32 v2, vcc, s0, v20
	v_addc_co_u32_e64 v1, s[0:1], 0, 0, vcc
	v_add_co_u32_e32 v129, vcc, s3, v0
	s_mov_b32 s22, 0
	s_mov_b32 s24, 0
	;; [unrolled: 1-line block ×26, first 2 shown]
	s_lshl_b32 s89, s2, 2
	s_lshl_b32 s90, s2, 6
	v_or_b32_e32 v22, 8, v22
	v_lshlrev_b32_e32 v24, 4, v25
	v_or_b32_e32 v26, 8, v2
	v_addc_co_u32_e64 v130, s[0:1], 0, 0, vcc
	s_mov_b64 s[20:21], 0
	s_mov_b32 s23, 0x41d00000
	s_mov_b32 s25, 0x7b000000
	s_movk_i32 s91, 0xff80
	s_mov_b32 s27, 0x7ff00000
	s_mov_b32 s29, 0x3ff921fb
	;; [unrolled: 1-line block ×20, first 2 shown]
	s_movk_i32 s92, 0x1f8
	s_mov_b32 s69, 0x3e21eeb6
	s_mov_b32 s71, 0xbda907db
	;; [unrolled: 1-line block ×9, first 2 shown]
	v_mov_b32_e32 v131, 0x40100000
	v_mov_b32_e32 v132, 0x3ff00000
	;; [unrolled: 1-line block ×37, first 2 shown]
	s_branch .LBB150_4
.LBB150_3:                              ;   in Loop: Header=BB150_4 Depth=1
	s_or_b64 exec, exec, s[2:3]
	s_add_u32 s20, s20, s89
	s_addc_u32 s21, s21, 0
	v_pk_mov_b32 v[2:3], s[94:95], s[94:95] op_sel:[0,1]
	v_cmp_ge_i64_e32 vcc, s[20:21], v[2:3]
	v_mov_b32_e32 v2, 0xffff
	v_mov_b32_e32 v3, 0
	v_cmp_gt_u64_e64 s[0:1], s[20:21], v[2:3]
	s_or_b64 s[0:1], vcc, s[0:1]
	s_add_u32 s33, s33, s90
	s_addc_u32 s88, s88, 0
	s_and_b64 vcc, exec, s[0:1]
	s_cbranch_vccnz .LBB150_68
.LBB150_4:                              ; =>This Inner Loop Header: Depth=1
	v_mov_b32_e32 v3, s21
	v_add_co_u32_e32 v2, vcc, s20, v0
	v_addc_co_u32_e32 v3, vcc, 0, v3, vcc
	v_pk_mov_b32 v[12:13], 0, 0
	v_cmp_gt_u64_e64 s[6:7], s[18:19], v[2:3]
	v_pk_mov_b32 v[16:17], v[12:13], v[12:13] op_sel:[0,1]
	v_pk_mov_b32 v[14:15], v[12:13], v[12:13] op_sel:[0,1]
	s_and_saveexec_b64 s[0:1], s[6:7]
	s_cbranch_execz .LBB150_6
; %bb.5:                                ;   in Loop: Header=BB150_4 Depth=1
	v_mov_b32_e32 v3, s88
	v_add_co_u32_e32 v2, vcc, s33, v20
	v_addc_co_u32_e32 v3, vcc, 0, v3, vcc
	global_load_dwordx4 v[14:17], v[2:3], off
.LBB150_6:                              ;   in Loop: Header=BB150_4 Depth=1
	s_or_b64 exec, exec, s[0:1]
	v_mov_b32_e32 v3, s21
	v_add_co_u32_e32 v2, vcc, s20, v25
	v_addc_co_u32_e32 v3, vcc, v27, v3, vcc
	v_cmp_gt_u64_e64 s[2:3], s[18:19], v[2:3]
	v_pk_mov_b32 v[10:11], v[12:13], v[12:13] op_sel:[0,1]
	s_and_saveexec_b64 s[0:1], s[2:3]
	s_cbranch_execz .LBB150_8
; %bb.7:                                ;   in Loop: Header=BB150_4 Depth=1
	v_mov_b32_e32 v3, s88
	v_add_co_u32_e32 v2, vcc, s33, v24
	v_addc_co_u32_e32 v3, vcc, 0, v3, vcc
	global_load_dwordx4 v[10:13], v[2:3], off
.LBB150_8:                              ;   in Loop: Header=BB150_4 Depth=1
	s_or_b64 exec, exec, s[0:1]
	v_mov_b32_e32 v3, s21
	v_add_co_u32_e32 v2, vcc, s20, v129
	v_addc_co_u32_e32 v3, vcc, v130, v3, vcc
	v_pk_mov_b32 v[4:5], 0, 0
	v_cmp_gt_u64_e64 s[0:1], s[18:19], v[2:3]
	v_pk_mov_b32 v[8:9], v[4:5], v[4:5] op_sel:[0,1]
	v_pk_mov_b32 v[6:7], v[4:5], v[4:5] op_sel:[0,1]
	s_and_saveexec_b64 s[8:9], s[0:1]
	s_cbranch_execz .LBB150_10
; %bb.9:                                ;   in Loop: Header=BB150_4 Depth=1
	v_mov_b32_e32 v3, s88
	v_add_co_u32_e32 v2, vcc, s33, v26
	v_addc_co_u32_e32 v3, vcc, v3, v1, vcc
	global_load_dwordx4 v[6:9], v[2:3], off offset:-8
.LBB150_10:                             ;   in Loop: Header=BB150_4 Depth=1
	s_or_b64 exec, exec, s[8:9]
	v_mov_b32_e32 v3, s21
	v_add_co_u32_e32 v2, vcc, s20, v21
	v_addc_co_u32_e32 v3, vcc, v128, v3, vcc
	v_cmp_gt_u64_e32 vcc, s[18:19], v[2:3]
	v_pk_mov_b32 v[2:3], v[4:5], v[4:5] op_sel:[0,1]
	s_and_saveexec_b64 s[10:11], vcc
	s_cbranch_execz .LBB150_12
; %bb.11:                               ;   in Loop: Header=BB150_4 Depth=1
	v_mov_b32_e32 v3, s88
	v_add_co_u32_e64 v2, s[8:9], s33, v22
	v_addc_co_u32_e64 v3, s[8:9], v3, v23, s[8:9]
	global_load_dwordx4 v[2:5], v[2:3], off offset:-8
.LBB150_12:                             ;   in Loop: Header=BB150_4 Depth=1
	s_or_b64 exec, exec, s[10:11]
	s_waitcnt vmcnt(0)
	v_mul_f64 v[64:65], v[16:17], 0.5
	v_cmp_nlt_f64_e64 s[8:9], |v[64:65]|, s[22:23]
                                        ; implicit-def: $vgpr137
                                        ; implicit-def: $vgpr66_vgpr67
                                        ; implicit-def: $vgpr68_vgpr69
	s_and_saveexec_b64 s[10:11], s[8:9]
	s_xor_b64 s[12:13], exec, s[10:11]
	s_cbranch_execz .LBB150_14
; %bb.13:                               ;   in Loop: Header=BB150_4 Depth=1
	v_and_b32_e32 v19, 0x7fffffff, v65
	v_ldexp_f64 v[70:71], |v[64:65]|, s91
	v_cmp_ge_f64_e64 s[8:9], |v[64:65]|, s[24:25]
	v_trig_preop_f64 v[66:67], |v[64:65]|, 0
	v_cndmask_b32_e64 v71, v19, v71, s[8:9]
	v_cndmask_b32_e64 v70, v64, v70, s[8:9]
	v_trig_preop_f64 v[68:69], |v[64:65]|, 1
	v_mul_f64 v[74:75], v[66:67], v[70:71]
	v_mul_f64 v[72:73], v[68:69], v[70:71]
	v_fma_f64 v[66:67], v[66:67], v[70:71], -v[74:75]
	v_add_f64 v[76:77], v[72:73], v[66:67]
	v_add_f64 v[78:79], v[74:75], v[76:77]
	v_ldexp_f64 v[80:81], v[78:79], -2
	v_fract_f64_e32 v[82:83], v[80:81]
	v_cmp_neq_f64_e64 s[8:9], |v[80:81]|, s[26:27]
	v_cndmask_b32_e64 v81, 0, v83, s[8:9]
	v_cndmask_b32_e64 v80, 0, v82, s[8:9]
	v_add_f64 v[82:83], v[76:77], -v[72:73]
	v_add_f64 v[66:67], v[66:67], -v[82:83]
	;; [unrolled: 1-line block ×4, first 2 shown]
	v_fma_f64 v[68:69], v[68:69], v[70:71], -v[72:73]
	v_trig_preop_f64 v[72:73], |v[64:65]|, 2
	v_add_f64 v[66:67], v[66:67], v[82:83]
	v_mul_f64 v[82:83], v[72:73], v[70:71]
	v_add_f64 v[84:85], v[82:83], v[68:69]
	v_add_f64 v[86:87], v[84:85], v[66:67]
	v_add_f64 v[74:75], v[78:79], -v[74:75]
	v_add_f64 v[78:79], v[86:87], -v[84:85]
	;; [unrolled: 1-line block ×5, first 2 shown]
	v_add_f64 v[66:67], v[66:67], v[78:79]
	v_add_f64 v[78:79], v[84:85], -v[82:83]
	v_add_f64 v[68:69], v[68:69], -v[78:79]
	;; [unrolled: 1-line block ×4, first 2 shown]
	v_add_f64 v[68:69], v[68:69], v[78:79]
	v_add_f64 v[74:75], v[76:77], -v[74:75]
	v_add_f64 v[66:67], v[68:69], v[66:67]
	v_fma_f64 v[68:69], v[72:73], v[70:71], -v[82:83]
	v_add_f64 v[76:77], v[74:75], v[86:87]
	v_add_f64 v[66:67], v[68:69], v[66:67]
	v_ldexp_f64 v[68:69], v[80:81], 2
	v_add_f64 v[70:71], v[76:77], v[68:69]
	v_cmp_gt_f64_e64 s[8:9], 0, v[70:71]
	v_cndmask_b32_e64 v19, 0, v131, s[8:9]
	v_add_f64 v[68:69], v[68:69], v[18:19]
	v_add_f64 v[70:71], v[76:77], v[68:69]
	v_cvt_i32_f64_e32 v19, v[70:71]
	v_cvt_f64_i32_e32 v[70:71], v19
	v_add_f64 v[68:69], v[68:69], -v[70:71]
	v_add_f64 v[74:75], v[76:77], -v[74:75]
	v_add_f64 v[70:71], v[76:77], v[68:69]
	v_add_f64 v[74:75], v[86:87], -v[74:75]
	v_add_f64 v[68:69], v[70:71], -v[68:69]
	v_cmp_le_f64_e64 s[8:9], 0.5, v[70:71]
	v_add_f64 v[66:67], v[74:75], v[66:67]
	v_add_f64 v[68:69], v[76:77], -v[68:69]
	v_addc_co_u32_e64 v137, s[10:11], 0, v19, s[8:9]
	v_cndmask_b32_e64 v19, 0, v132, s[8:9]
	v_add_f64 v[66:67], v[66:67], v[68:69]
	v_add_f64 v[68:69], v[70:71], -v[18:19]
	v_add_f64 v[70:71], v[68:69], v[66:67]
	v_add_f64 v[68:69], v[70:71], -v[68:69]
	s_mov_b32 s28, s30
	v_add_f64 v[66:67], v[66:67], -v[68:69]
	v_mul_f64 v[68:69], v[70:71], s[28:29]
	v_fma_f64 v[72:73], v[70:71], s[28:29], -v[68:69]
	s_mov_b32 s37, s35
	v_fmac_f64_e32 v[72:73], s[36:37], v[70:71]
	v_fmac_f64_e32 v[72:73], s[28:29], v[66:67]
	v_add_f64 v[66:67], v[68:69], v[72:73]
	v_add_f64 v[68:69], v[66:67], -v[68:69]
	v_add_f64 v[68:69], v[72:73], -v[68:69]
.LBB150_14:                             ;   in Loop: Header=BB150_4 Depth=1
	s_andn2_saveexec_b64 s[8:9], s[12:13]
	s_cbranch_execz .LBB150_16
; %bb.15:                               ;   in Loop: Header=BB150_4 Depth=1
	v_mul_f64 v[66:67], |v[64:65]|, s[38:39]
	v_rndne_f64_e32 v[70:71], v[66:67]
	v_fma_f64 v[66:67], v[70:71], s[30:31], |v[64:65]|
	v_mul_f64 v[72:73], v[70:71], s[40:41]
	v_add_f64 v[76:77], v[66:67], v[72:73]
	v_fma_f64 v[68:69], s[40:41], v[70:71], v[66:67]
	s_mov_b32 s34, s40
	v_add_f64 v[66:67], v[66:67], -v[76:77]
	v_fma_f64 v[74:75], s[34:35], v[70:71], v[72:73]
	v_add_f64 v[66:67], v[66:67], v[72:73]
	v_add_f64 v[72:73], v[76:77], -v[68:69]
	v_add_f64 v[66:67], v[72:73], v[66:67]
	v_add_f64 v[72:73], v[66:67], -v[74:75]
	v_fmac_f64_e32 v[72:73], s[42:43], v[70:71]
	v_add_f64 v[66:67], v[68:69], v[72:73]
	v_add_f64 v[68:69], v[66:67], -v[68:69]
	v_add_f64 v[68:69], v[72:73], -v[68:69]
	v_cvt_i32_f64_e32 v137, v[70:71]
.LBB150_16:                             ;   in Loop: Header=BB150_4 Depth=1
	s_or_b64 exec, exec, s[8:9]
	v_cmp_nlt_f64_e64 s[12:13], |v[16:17]|, s[22:23]
	v_trig_preop_f64 v[74:75], |v[16:17]|, 0
	v_trig_preop_f64 v[72:73], |v[16:17]|, 1
	v_ldexp_f64 v[76:77], |v[16:17]|, s91
	v_trig_preop_f64 v[70:71], |v[16:17]|, 2
	v_and_b32_e32 v55, 0x7fffffff, v17
                                        ; implicit-def: $vgpr139
                                        ; implicit-def: $vgpr78_vgpr79
                                        ; implicit-def: $vgpr80_vgpr81
	s_and_saveexec_b64 s[8:9], s[12:13]
	s_xor_b64 s[86:87], exec, s[8:9]
	s_cbranch_execz .LBB150_18
; %bb.17:                               ;   in Loop: Header=BB150_4 Depth=1
	v_cmp_ge_f64_e64 s[8:9], |v[16:17]|, s[24:25]
	v_cndmask_b32_e64 v79, v55, v77, s[8:9]
	v_cndmask_b32_e64 v78, v16, v76, s[8:9]
	v_mul_f64 v[82:83], v[74:75], v[78:79]
	v_mul_f64 v[80:81], v[72:73], v[78:79]
	v_fma_f64 v[84:85], v[74:75], v[78:79], -v[82:83]
	v_add_f64 v[86:87], v[80:81], v[84:85]
	v_add_f64 v[88:89], v[82:83], v[86:87]
	v_ldexp_f64 v[90:91], v[88:89], -2
	v_fract_f64_e32 v[92:93], v[90:91]
	v_cmp_neq_f64_e64 s[8:9], |v[90:91]|, s[26:27]
	v_cndmask_b32_e64 v91, 0, v93, s[8:9]
	v_cndmask_b32_e64 v90, 0, v92, s[8:9]
	v_add_f64 v[92:93], v[86:87], -v[80:81]
	v_add_f64 v[84:85], v[84:85], -v[92:93]
	v_add_f64 v[92:93], v[86:87], -v[92:93]
	v_add_f64 v[92:93], v[80:81], -v[92:93]
	v_add_f64 v[84:85], v[84:85], v[92:93]
	v_fma_f64 v[80:81], v[72:73], v[78:79], -v[80:81]
	v_mul_f64 v[92:93], v[70:71], v[78:79]
	v_add_f64 v[94:95], v[92:93], v[80:81]
	v_add_f64 v[96:97], v[94:95], v[84:85]
	v_add_f64 v[82:83], v[88:89], -v[82:83]
	v_add_f64 v[88:89], v[96:97], -v[94:95]
	;; [unrolled: 1-line block ×5, first 2 shown]
	v_add_f64 v[84:85], v[84:85], v[88:89]
	v_add_f64 v[88:89], v[94:95], -v[92:93]
	v_add_f64 v[80:81], v[80:81], -v[88:89]
	;; [unrolled: 1-line block ×5, first 2 shown]
	v_add_f64 v[86:87], v[82:83], v[96:97]
	v_add_f64 v[80:81], v[80:81], v[88:89]
	v_add_f64 v[82:83], v[86:87], -v[82:83]
	v_add_f64 v[80:81], v[80:81], v[84:85]
	v_fma_f64 v[78:79], v[70:71], v[78:79], -v[92:93]
	v_add_f64 v[82:83], v[96:97], -v[82:83]
	v_add_f64 v[78:79], v[78:79], v[80:81]
	v_ldexp_f64 v[80:81], v[90:91], 2
	v_add_f64 v[78:79], v[82:83], v[78:79]
	v_add_f64 v[82:83], v[86:87], v[80:81]
	v_cmp_gt_f64_e64 s[8:9], 0, v[82:83]
	v_cndmask_b32_e64 v19, 0, v131, s[8:9]
	v_add_f64 v[80:81], v[80:81], v[18:19]
	v_add_f64 v[82:83], v[86:87], v[80:81]
	v_cvt_i32_f64_e32 v19, v[82:83]
	v_cvt_f64_i32_e32 v[82:83], v19
	v_add_f64 v[80:81], v[80:81], -v[82:83]
	v_add_f64 v[82:83], v[86:87], v[80:81]
	v_add_f64 v[80:81], v[82:83], -v[80:81]
	v_cmp_le_f64_e64 s[8:9], 0.5, v[82:83]
	v_add_f64 v[80:81], v[86:87], -v[80:81]
	v_addc_co_u32_e64 v139, s[10:11], 0, v19, s[8:9]
	v_cndmask_b32_e64 v19, 0, v132, s[8:9]
	v_add_f64 v[78:79], v[78:79], v[80:81]
	v_add_f64 v[80:81], v[82:83], -v[18:19]
	v_add_f64 v[82:83], v[80:81], v[78:79]
	v_add_f64 v[80:81], v[82:83], -v[80:81]
	s_mov_b32 s28, s30
	v_add_f64 v[78:79], v[78:79], -v[80:81]
	v_mul_f64 v[80:81], v[82:83], s[28:29]
	v_fma_f64 v[84:85], v[82:83], s[28:29], -v[80:81]
	s_mov_b32 s37, s35
	v_fmac_f64_e32 v[84:85], s[36:37], v[82:83]
	v_fmac_f64_e32 v[84:85], s[28:29], v[78:79]
	v_add_f64 v[78:79], v[80:81], v[84:85]
	v_add_f64 v[80:81], v[78:79], -v[80:81]
	v_add_f64 v[80:81], v[84:85], -v[80:81]
	s_andn2_saveexec_b64 s[8:9], s[86:87]
	s_cbranch_execz .LBB150_20
	s_branch .LBB150_19
.LBB150_18:                             ;   in Loop: Header=BB150_4 Depth=1
	s_andn2_saveexec_b64 s[8:9], s[86:87]
	s_cbranch_execz .LBB150_20
.LBB150_19:                             ;   in Loop: Header=BB150_4 Depth=1
	v_mul_f64 v[78:79], |v[16:17]|, s[38:39]
	v_rndne_f64_e32 v[82:83], v[78:79]
	v_fma_f64 v[78:79], v[82:83], s[30:31], |v[16:17]|
	v_mul_f64 v[84:85], v[82:83], s[40:41]
	v_add_f64 v[88:89], v[78:79], v[84:85]
	v_fma_f64 v[80:81], s[40:41], v[82:83], v[78:79]
	s_mov_b32 s34, s40
	v_add_f64 v[78:79], v[78:79], -v[88:89]
	v_fma_f64 v[86:87], s[34:35], v[82:83], v[84:85]
	v_add_f64 v[78:79], v[78:79], v[84:85]
	v_add_f64 v[84:85], v[88:89], -v[80:81]
	v_add_f64 v[78:79], v[84:85], v[78:79]
	v_add_f64 v[84:85], v[78:79], -v[86:87]
	v_fmac_f64_e32 v[84:85], s[42:43], v[82:83]
	v_add_f64 v[78:79], v[80:81], v[84:85]
	v_add_f64 v[80:81], v[78:79], -v[80:81]
	v_add_f64 v[80:81], v[84:85], -v[80:81]
	v_cvt_i32_f64_e32 v139, v[82:83]
.LBB150_20:                             ;   in Loop: Header=BB150_4 Depth=1
	s_or_b64 exec, exec, s[8:9]
                                        ; implicit-def: $vgpr140
                                        ; implicit-def: $vgpr82_vgpr83
                                        ; implicit-def: $vgpr84_vgpr85
	s_and_saveexec_b64 s[8:9], s[12:13]
	s_xor_b64 s[12:13], exec, s[8:9]
	s_cbranch_execz .LBB150_22
; %bb.21:                               ;   in Loop: Header=BB150_4 Depth=1
	v_cmp_ge_f64_e64 s[8:9], |v[16:17]|, s[24:25]
	v_cndmask_b32_e64 v77, v55, v77, s[8:9]
	v_cndmask_b32_e64 v76, v16, v76, s[8:9]
	v_mul_f64 v[84:85], v[74:75], v[76:77]
	v_mul_f64 v[82:83], v[72:73], v[76:77]
	v_fma_f64 v[74:75], v[74:75], v[76:77], -v[84:85]
	v_add_f64 v[86:87], v[82:83], v[74:75]
	v_add_f64 v[88:89], v[84:85], v[86:87]
	v_ldexp_f64 v[90:91], v[88:89], -2
	v_fract_f64_e32 v[92:93], v[90:91]
	v_cmp_neq_f64_e64 s[8:9], |v[90:91]|, s[26:27]
	v_cndmask_b32_e64 v91, 0, v93, s[8:9]
	v_cndmask_b32_e64 v90, 0, v92, s[8:9]
	v_add_f64 v[92:93], v[86:87], -v[82:83]
	v_add_f64 v[74:75], v[74:75], -v[92:93]
	;; [unrolled: 1-line block ×4, first 2 shown]
	v_fma_f64 v[72:73], v[72:73], v[76:77], -v[82:83]
	v_mul_f64 v[82:83], v[70:71], v[76:77]
	v_add_f64 v[74:75], v[74:75], v[92:93]
	v_add_f64 v[92:93], v[82:83], v[72:73]
	;; [unrolled: 1-line block ×3, first 2 shown]
	v_add_f64 v[84:85], v[88:89], -v[84:85]
	v_add_f64 v[88:89], v[94:95], -v[92:93]
	;; [unrolled: 1-line block ×5, first 2 shown]
	v_add_f64 v[74:75], v[74:75], v[88:89]
	v_add_f64 v[88:89], v[92:93], -v[82:83]
	v_add_f64 v[72:73], v[72:73], -v[88:89]
	;; [unrolled: 1-line block ×4, first 2 shown]
	v_add_f64 v[72:73], v[72:73], v[88:89]
	v_add_f64 v[84:85], v[86:87], -v[84:85]
	v_add_f64 v[72:73], v[72:73], v[74:75]
	v_fma_f64 v[70:71], v[70:71], v[76:77], -v[82:83]
	v_add_f64 v[86:87], v[84:85], v[94:95]
	v_add_f64 v[70:71], v[70:71], v[72:73]
	v_ldexp_f64 v[72:73], v[90:91], 2
	v_add_f64 v[74:75], v[86:87], v[72:73]
	v_cmp_gt_f64_e64 s[8:9], 0, v[74:75]
	v_cndmask_b32_e64 v19, 0, v131, s[8:9]
	v_add_f64 v[72:73], v[72:73], v[18:19]
	v_add_f64 v[74:75], v[86:87], v[72:73]
	v_cvt_i32_f64_e32 v19, v[74:75]
	v_cvt_f64_i32_e32 v[74:75], v19
	v_add_f64 v[72:73], v[72:73], -v[74:75]
	v_add_f64 v[84:85], v[86:87], -v[84:85]
	v_add_f64 v[74:75], v[86:87], v[72:73]
	v_add_f64 v[84:85], v[94:95], -v[84:85]
	v_add_f64 v[72:73], v[74:75], -v[72:73]
	v_cmp_le_f64_e64 s[8:9], 0.5, v[74:75]
	v_add_f64 v[70:71], v[84:85], v[70:71]
	v_add_f64 v[72:73], v[86:87], -v[72:73]
	v_addc_co_u32_e64 v140, s[10:11], 0, v19, s[8:9]
	v_cndmask_b32_e64 v19, 0, v132, s[8:9]
	v_add_f64 v[70:71], v[70:71], v[72:73]
	v_add_f64 v[72:73], v[74:75], -v[18:19]
	v_add_f64 v[74:75], v[72:73], v[70:71]
	v_add_f64 v[72:73], v[74:75], -v[72:73]
	s_mov_b32 s28, s30
	v_add_f64 v[70:71], v[70:71], -v[72:73]
	v_mul_f64 v[72:73], v[74:75], s[28:29]
	v_fma_f64 v[76:77], v[74:75], s[28:29], -v[72:73]
	s_mov_b32 s37, s35
	v_fmac_f64_e32 v[76:77], s[36:37], v[74:75]
	v_fmac_f64_e32 v[76:77], s[28:29], v[70:71]
	v_add_f64 v[82:83], v[72:73], v[76:77]
	v_add_f64 v[70:71], v[82:83], -v[72:73]
	v_add_f64 v[84:85], v[76:77], -v[70:71]
	s_andn2_saveexec_b64 s[8:9], s[12:13]
	s_cbranch_execnz .LBB150_23
	s_branch .LBB150_24
.LBB150_22:                             ;   in Loop: Header=BB150_4 Depth=1
	s_andn2_saveexec_b64 s[8:9], s[12:13]
	s_cbranch_execz .LBB150_24
.LBB150_23:                             ;   in Loop: Header=BB150_4 Depth=1
	v_mul_f64 v[70:71], |v[16:17]|, s[38:39]
	v_rndne_f64_e32 v[70:71], v[70:71]
	v_fma_f64 v[72:73], v[70:71], s[30:31], |v[16:17]|
	v_mul_f64 v[76:77], v[70:71], s[40:41]
	v_add_f64 v[84:85], v[72:73], v[76:77]
	v_fma_f64 v[74:75], s[40:41], v[70:71], v[72:73]
	s_mov_b32 s34, s40
	v_add_f64 v[72:73], v[72:73], -v[84:85]
	v_fma_f64 v[82:83], s[34:35], v[70:71], v[76:77]
	v_add_f64 v[72:73], v[72:73], v[76:77]
	v_add_f64 v[76:77], v[84:85], -v[74:75]
	v_add_f64 v[72:73], v[76:77], v[72:73]
	v_add_f64 v[72:73], v[72:73], -v[82:83]
	v_fmac_f64_e32 v[72:73], s[42:43], v[70:71]
	v_add_f64 v[82:83], v[74:75], v[72:73]
	v_add_f64 v[74:75], v[82:83], -v[74:75]
	v_add_f64 v[84:85], v[72:73], -v[74:75]
	v_cvt_i32_f64_e32 v140, v[70:71]
.LBB150_24:                             ;   in Loop: Header=BB150_4 Depth=1
	s_or_b64 exec, exec, s[8:9]
	v_mul_f64 v[70:71], v[12:13], 0.5
	v_cmp_nlt_f64_e64 s[8:9], |v[70:71]|, s[22:23]
                                        ; implicit-def: $vgpr138
                                        ; implicit-def: $vgpr72_vgpr73
                                        ; implicit-def: $vgpr74_vgpr75
	s_and_saveexec_b64 s[10:11], s[8:9]
	s_xor_b64 s[12:13], exec, s[10:11]
	s_cbranch_execz .LBB150_26
; %bb.25:                               ;   in Loop: Header=BB150_4 Depth=1
	v_and_b32_e32 v19, 0x7fffffff, v71
	v_ldexp_f64 v[76:77], |v[70:71]|, s91
	v_cmp_ge_f64_e64 s[8:9], |v[70:71]|, s[24:25]
	v_trig_preop_f64 v[72:73], |v[70:71]|, 0
	v_cndmask_b32_e64 v77, v19, v77, s[8:9]
	v_cndmask_b32_e64 v76, v70, v76, s[8:9]
	v_trig_preop_f64 v[74:75], |v[70:71]|, 1
	v_mul_f64 v[88:89], v[72:73], v[76:77]
	v_mul_f64 v[86:87], v[74:75], v[76:77]
	v_fma_f64 v[72:73], v[72:73], v[76:77], -v[88:89]
	v_add_f64 v[90:91], v[86:87], v[72:73]
	v_add_f64 v[92:93], v[88:89], v[90:91]
	v_ldexp_f64 v[94:95], v[92:93], -2
	v_fract_f64_e32 v[96:97], v[94:95]
	v_cmp_neq_f64_e64 s[8:9], |v[94:95]|, s[26:27]
	v_cndmask_b32_e64 v95, 0, v97, s[8:9]
	v_cndmask_b32_e64 v94, 0, v96, s[8:9]
	v_add_f64 v[96:97], v[90:91], -v[86:87]
	v_add_f64 v[72:73], v[72:73], -v[96:97]
	;; [unrolled: 1-line block ×4, first 2 shown]
	v_fma_f64 v[74:75], v[74:75], v[76:77], -v[86:87]
	v_trig_preop_f64 v[86:87], |v[70:71]|, 2
	v_add_f64 v[72:73], v[72:73], v[96:97]
	v_mul_f64 v[96:97], v[86:87], v[76:77]
	v_add_f64 v[98:99], v[96:97], v[74:75]
	v_add_f64 v[100:101], v[98:99], v[72:73]
	v_add_f64 v[88:89], v[92:93], -v[88:89]
	v_add_f64 v[92:93], v[100:101], -v[98:99]
	;; [unrolled: 1-line block ×5, first 2 shown]
	v_add_f64 v[72:73], v[72:73], v[92:93]
	v_add_f64 v[92:93], v[98:99], -v[96:97]
	v_add_f64 v[74:75], v[74:75], -v[92:93]
	;; [unrolled: 1-line block ×4, first 2 shown]
	v_add_f64 v[74:75], v[74:75], v[92:93]
	v_add_f64 v[88:89], v[90:91], -v[88:89]
	v_add_f64 v[72:73], v[74:75], v[72:73]
	v_fma_f64 v[74:75], v[86:87], v[76:77], -v[96:97]
	v_add_f64 v[90:91], v[88:89], v[100:101]
	v_add_f64 v[72:73], v[74:75], v[72:73]
	v_ldexp_f64 v[74:75], v[94:95], 2
	v_add_f64 v[76:77], v[90:91], v[74:75]
	v_cmp_gt_f64_e64 s[8:9], 0, v[76:77]
	v_cndmask_b32_e64 v19, 0, v131, s[8:9]
	v_add_f64 v[74:75], v[74:75], v[18:19]
	v_add_f64 v[76:77], v[90:91], v[74:75]
	v_cvt_i32_f64_e32 v19, v[76:77]
	v_cvt_f64_i32_e32 v[76:77], v19
	v_add_f64 v[74:75], v[74:75], -v[76:77]
	v_add_f64 v[88:89], v[90:91], -v[88:89]
	v_add_f64 v[76:77], v[90:91], v[74:75]
	v_add_f64 v[88:89], v[100:101], -v[88:89]
	v_add_f64 v[74:75], v[76:77], -v[74:75]
	v_cmp_le_f64_e64 s[8:9], 0.5, v[76:77]
	v_add_f64 v[72:73], v[88:89], v[72:73]
	v_add_f64 v[74:75], v[90:91], -v[74:75]
	v_addc_co_u32_e64 v138, s[10:11], 0, v19, s[8:9]
	v_cndmask_b32_e64 v19, 0, v132, s[8:9]
	v_add_f64 v[72:73], v[72:73], v[74:75]
	v_add_f64 v[74:75], v[76:77], -v[18:19]
	v_add_f64 v[76:77], v[74:75], v[72:73]
	v_add_f64 v[74:75], v[76:77], -v[74:75]
	s_mov_b32 s28, s30
	v_add_f64 v[72:73], v[72:73], -v[74:75]
	v_mul_f64 v[74:75], v[76:77], s[28:29]
	v_fma_f64 v[86:87], v[76:77], s[28:29], -v[74:75]
	s_mov_b32 s37, s35
	v_fmac_f64_e32 v[86:87], s[36:37], v[76:77]
	v_fmac_f64_e32 v[86:87], s[28:29], v[72:73]
	v_add_f64 v[72:73], v[74:75], v[86:87]
	v_add_f64 v[74:75], v[72:73], -v[74:75]
	v_add_f64 v[74:75], v[86:87], -v[74:75]
.LBB150_26:                             ;   in Loop: Header=BB150_4 Depth=1
	s_andn2_saveexec_b64 s[8:9], s[12:13]
	s_cbranch_execz .LBB150_28
; %bb.27:                               ;   in Loop: Header=BB150_4 Depth=1
	v_mul_f64 v[72:73], |v[70:71]|, s[38:39]
	v_rndne_f64_e32 v[76:77], v[72:73]
	v_fma_f64 v[72:73], v[76:77], s[30:31], |v[70:71]|
	v_mul_f64 v[86:87], v[76:77], s[40:41]
	v_add_f64 v[90:91], v[72:73], v[86:87]
	v_fma_f64 v[74:75], s[40:41], v[76:77], v[72:73]
	s_mov_b32 s34, s40
	v_add_f64 v[72:73], v[72:73], -v[90:91]
	v_fma_f64 v[88:89], s[34:35], v[76:77], v[86:87]
	v_add_f64 v[72:73], v[72:73], v[86:87]
	v_add_f64 v[86:87], v[90:91], -v[74:75]
	v_add_f64 v[72:73], v[86:87], v[72:73]
	v_add_f64 v[86:87], v[72:73], -v[88:89]
	v_fmac_f64_e32 v[86:87], s[42:43], v[76:77]
	v_add_f64 v[72:73], v[74:75], v[86:87]
	v_add_f64 v[74:75], v[72:73], -v[74:75]
	v_add_f64 v[74:75], v[86:87], -v[74:75]
	v_cvt_i32_f64_e32 v138, v[76:77]
.LBB150_28:                             ;   in Loop: Header=BB150_4 Depth=1
	s_or_b64 exec, exec, s[8:9]
	v_cmp_nlt_f64_e64 s[12:13], |v[12:13]|, s[22:23]
	v_trig_preop_f64 v[88:89], |v[12:13]|, 0
	v_trig_preop_f64 v[86:87], |v[12:13]|, 1
	v_ldexp_f64 v[90:91], |v[12:13]|, s91
	v_trig_preop_f64 v[76:77], |v[12:13]|, 2
	v_and_b32_e32 v55, 0x7fffffff, v13
                                        ; implicit-def: $vgpr142
                                        ; implicit-def: $vgpr92_vgpr93
                                        ; implicit-def: $vgpr94_vgpr95
	s_and_saveexec_b64 s[8:9], s[12:13]
	s_xor_b64 s[86:87], exec, s[8:9]
	s_cbranch_execz .LBB150_30
; %bb.29:                               ;   in Loop: Header=BB150_4 Depth=1
	v_cmp_ge_f64_e64 s[8:9], |v[12:13]|, s[24:25]
	v_cndmask_b32_e64 v93, v55, v91, s[8:9]
	v_cndmask_b32_e64 v92, v12, v90, s[8:9]
	v_mul_f64 v[96:97], v[88:89], v[92:93]
	v_mul_f64 v[94:95], v[86:87], v[92:93]
	v_fma_f64 v[98:99], v[88:89], v[92:93], -v[96:97]
	v_add_f64 v[100:101], v[94:95], v[98:99]
	v_add_f64 v[102:103], v[96:97], v[100:101]
	v_ldexp_f64 v[104:105], v[102:103], -2
	v_fract_f64_e32 v[106:107], v[104:105]
	v_cmp_neq_f64_e64 s[8:9], |v[104:105]|, s[26:27]
	v_cndmask_b32_e64 v105, 0, v107, s[8:9]
	v_cndmask_b32_e64 v104, 0, v106, s[8:9]
	v_add_f64 v[106:107], v[100:101], -v[94:95]
	v_add_f64 v[98:99], v[98:99], -v[106:107]
	;; [unrolled: 1-line block ×4, first 2 shown]
	v_add_f64 v[98:99], v[98:99], v[106:107]
	v_fma_f64 v[94:95], v[86:87], v[92:93], -v[94:95]
	v_mul_f64 v[106:107], v[76:77], v[92:93]
	v_add_f64 v[108:109], v[106:107], v[94:95]
	v_add_f64 v[110:111], v[108:109], v[98:99]
	v_add_f64 v[96:97], v[102:103], -v[96:97]
	v_add_f64 v[102:103], v[110:111], -v[108:109]
	;; [unrolled: 1-line block ×5, first 2 shown]
	v_add_f64 v[98:99], v[98:99], v[102:103]
	v_add_f64 v[102:103], v[108:109], -v[106:107]
	v_add_f64 v[94:95], v[94:95], -v[102:103]
	;; [unrolled: 1-line block ×5, first 2 shown]
	v_add_f64 v[100:101], v[96:97], v[110:111]
	v_add_f64 v[94:95], v[94:95], v[102:103]
	v_add_f64 v[96:97], v[100:101], -v[96:97]
	v_add_f64 v[94:95], v[94:95], v[98:99]
	v_fma_f64 v[92:93], v[76:77], v[92:93], -v[106:107]
	v_add_f64 v[96:97], v[110:111], -v[96:97]
	v_add_f64 v[92:93], v[92:93], v[94:95]
	v_ldexp_f64 v[94:95], v[104:105], 2
	v_add_f64 v[92:93], v[96:97], v[92:93]
	v_add_f64 v[96:97], v[100:101], v[94:95]
	v_cmp_gt_f64_e64 s[8:9], 0, v[96:97]
	v_cndmask_b32_e64 v19, 0, v131, s[8:9]
	v_add_f64 v[94:95], v[94:95], v[18:19]
	v_add_f64 v[96:97], v[100:101], v[94:95]
	v_cvt_i32_f64_e32 v19, v[96:97]
	v_cvt_f64_i32_e32 v[96:97], v19
	v_add_f64 v[94:95], v[94:95], -v[96:97]
	v_add_f64 v[96:97], v[100:101], v[94:95]
	v_add_f64 v[94:95], v[96:97], -v[94:95]
	v_cmp_le_f64_e64 s[8:9], 0.5, v[96:97]
	v_add_f64 v[94:95], v[100:101], -v[94:95]
	v_addc_co_u32_e64 v142, s[10:11], 0, v19, s[8:9]
	v_cndmask_b32_e64 v19, 0, v132, s[8:9]
	v_add_f64 v[92:93], v[92:93], v[94:95]
	v_add_f64 v[94:95], v[96:97], -v[18:19]
	v_add_f64 v[96:97], v[94:95], v[92:93]
	v_add_f64 v[94:95], v[96:97], -v[94:95]
	s_mov_b32 s28, s30
	v_add_f64 v[92:93], v[92:93], -v[94:95]
	v_mul_f64 v[94:95], v[96:97], s[28:29]
	v_fma_f64 v[98:99], v[96:97], s[28:29], -v[94:95]
	s_mov_b32 s37, s35
	v_fmac_f64_e32 v[98:99], s[36:37], v[96:97]
	v_fmac_f64_e32 v[98:99], s[28:29], v[92:93]
	v_add_f64 v[92:93], v[94:95], v[98:99]
	v_add_f64 v[94:95], v[92:93], -v[94:95]
	v_add_f64 v[94:95], v[98:99], -v[94:95]
	s_andn2_saveexec_b64 s[8:9], s[86:87]
	s_cbranch_execz .LBB150_32
	s_branch .LBB150_31
.LBB150_30:                             ;   in Loop: Header=BB150_4 Depth=1
	s_andn2_saveexec_b64 s[8:9], s[86:87]
	s_cbranch_execz .LBB150_32
.LBB150_31:                             ;   in Loop: Header=BB150_4 Depth=1
	v_mul_f64 v[92:93], |v[12:13]|, s[38:39]
	v_rndne_f64_e32 v[96:97], v[92:93]
	v_fma_f64 v[92:93], v[96:97], s[30:31], |v[12:13]|
	v_mul_f64 v[98:99], v[96:97], s[40:41]
	v_add_f64 v[102:103], v[92:93], v[98:99]
	v_fma_f64 v[94:95], s[40:41], v[96:97], v[92:93]
	s_mov_b32 s34, s40
	v_add_f64 v[92:93], v[92:93], -v[102:103]
	v_fma_f64 v[100:101], s[34:35], v[96:97], v[98:99]
	v_add_f64 v[92:93], v[92:93], v[98:99]
	v_add_f64 v[98:99], v[102:103], -v[94:95]
	v_add_f64 v[92:93], v[98:99], v[92:93]
	v_add_f64 v[98:99], v[92:93], -v[100:101]
	v_fmac_f64_e32 v[98:99], s[42:43], v[96:97]
	v_add_f64 v[92:93], v[94:95], v[98:99]
	v_add_f64 v[94:95], v[92:93], -v[94:95]
	v_add_f64 v[94:95], v[98:99], -v[94:95]
	v_cvt_i32_f64_e32 v142, v[96:97]
.LBB150_32:                             ;   in Loop: Header=BB150_4 Depth=1
	s_or_b64 exec, exec, s[8:9]
                                        ; implicit-def: $vgpr143
                                        ; implicit-def: $vgpr96_vgpr97
                                        ; implicit-def: $vgpr98_vgpr99
	s_and_saveexec_b64 s[8:9], s[12:13]
	s_xor_b64 s[12:13], exec, s[8:9]
	s_cbranch_execz .LBB150_34
; %bb.33:                               ;   in Loop: Header=BB150_4 Depth=1
	v_cmp_ge_f64_e64 s[8:9], |v[12:13]|, s[24:25]
	v_cndmask_b32_e64 v91, v55, v91, s[8:9]
	v_cndmask_b32_e64 v90, v12, v90, s[8:9]
	v_mul_f64 v[98:99], v[88:89], v[90:91]
	v_mul_f64 v[96:97], v[86:87], v[90:91]
	v_fma_f64 v[88:89], v[88:89], v[90:91], -v[98:99]
	v_add_f64 v[100:101], v[96:97], v[88:89]
	v_add_f64 v[102:103], v[98:99], v[100:101]
	v_ldexp_f64 v[104:105], v[102:103], -2
	v_fract_f64_e32 v[106:107], v[104:105]
	v_cmp_neq_f64_e64 s[8:9], |v[104:105]|, s[26:27]
	v_cndmask_b32_e64 v105, 0, v107, s[8:9]
	v_cndmask_b32_e64 v104, 0, v106, s[8:9]
	v_add_f64 v[106:107], v[100:101], -v[96:97]
	v_add_f64 v[88:89], v[88:89], -v[106:107]
	;; [unrolled: 1-line block ×4, first 2 shown]
	v_fma_f64 v[86:87], v[86:87], v[90:91], -v[96:97]
	v_mul_f64 v[96:97], v[76:77], v[90:91]
	v_add_f64 v[88:89], v[88:89], v[106:107]
	v_add_f64 v[106:107], v[96:97], v[86:87]
	;; [unrolled: 1-line block ×3, first 2 shown]
	v_add_f64 v[98:99], v[102:103], -v[98:99]
	v_add_f64 v[102:103], v[108:109], -v[106:107]
	;; [unrolled: 1-line block ×5, first 2 shown]
	v_add_f64 v[88:89], v[88:89], v[102:103]
	v_add_f64 v[102:103], v[106:107], -v[96:97]
	v_add_f64 v[86:87], v[86:87], -v[102:103]
	;; [unrolled: 1-line block ×4, first 2 shown]
	v_add_f64 v[86:87], v[86:87], v[102:103]
	v_add_f64 v[98:99], v[100:101], -v[98:99]
	v_add_f64 v[86:87], v[86:87], v[88:89]
	v_fma_f64 v[76:77], v[76:77], v[90:91], -v[96:97]
	v_add_f64 v[100:101], v[98:99], v[108:109]
	v_add_f64 v[76:77], v[76:77], v[86:87]
	v_ldexp_f64 v[86:87], v[104:105], 2
	v_add_f64 v[88:89], v[100:101], v[86:87]
	v_cmp_gt_f64_e64 s[8:9], 0, v[88:89]
	v_cndmask_b32_e64 v19, 0, v131, s[8:9]
	v_add_f64 v[86:87], v[86:87], v[18:19]
	v_add_f64 v[88:89], v[100:101], v[86:87]
	v_cvt_i32_f64_e32 v19, v[88:89]
	v_cvt_f64_i32_e32 v[88:89], v19
	v_add_f64 v[86:87], v[86:87], -v[88:89]
	v_add_f64 v[98:99], v[100:101], -v[98:99]
	v_add_f64 v[88:89], v[100:101], v[86:87]
	v_add_f64 v[98:99], v[108:109], -v[98:99]
	v_add_f64 v[86:87], v[88:89], -v[86:87]
	v_cmp_le_f64_e64 s[8:9], 0.5, v[88:89]
	v_add_f64 v[76:77], v[98:99], v[76:77]
	v_add_f64 v[86:87], v[100:101], -v[86:87]
	v_addc_co_u32_e64 v143, s[10:11], 0, v19, s[8:9]
	v_cndmask_b32_e64 v19, 0, v132, s[8:9]
	v_add_f64 v[76:77], v[76:77], v[86:87]
	v_add_f64 v[86:87], v[88:89], -v[18:19]
	v_add_f64 v[88:89], v[86:87], v[76:77]
	v_add_f64 v[86:87], v[88:89], -v[86:87]
	s_mov_b32 s28, s30
	v_add_f64 v[76:77], v[76:77], -v[86:87]
	v_mul_f64 v[86:87], v[88:89], s[28:29]
	v_fma_f64 v[90:91], v[88:89], s[28:29], -v[86:87]
	s_mov_b32 s37, s35
	v_fmac_f64_e32 v[90:91], s[36:37], v[88:89]
	v_fmac_f64_e32 v[90:91], s[28:29], v[76:77]
	v_add_f64 v[96:97], v[86:87], v[90:91]
	v_add_f64 v[76:77], v[96:97], -v[86:87]
	v_add_f64 v[98:99], v[90:91], -v[76:77]
	s_andn2_saveexec_b64 s[8:9], s[12:13]
	s_cbranch_execnz .LBB150_35
	s_branch .LBB150_36
.LBB150_34:                             ;   in Loop: Header=BB150_4 Depth=1
	s_andn2_saveexec_b64 s[8:9], s[12:13]
	s_cbranch_execz .LBB150_36
.LBB150_35:                             ;   in Loop: Header=BB150_4 Depth=1
	v_mul_f64 v[76:77], |v[12:13]|, s[38:39]
	v_rndne_f64_e32 v[76:77], v[76:77]
	v_fma_f64 v[86:87], v[76:77], s[30:31], |v[12:13]|
	v_mul_f64 v[90:91], v[76:77], s[40:41]
	v_add_f64 v[98:99], v[86:87], v[90:91]
	v_fma_f64 v[88:89], s[40:41], v[76:77], v[86:87]
	s_mov_b32 s34, s40
	v_add_f64 v[86:87], v[86:87], -v[98:99]
	v_fma_f64 v[96:97], s[34:35], v[76:77], v[90:91]
	v_add_f64 v[86:87], v[86:87], v[90:91]
	v_add_f64 v[90:91], v[98:99], -v[88:89]
	v_add_f64 v[86:87], v[90:91], v[86:87]
	v_add_f64 v[86:87], v[86:87], -v[96:97]
	v_fmac_f64_e32 v[86:87], s[42:43], v[76:77]
	v_add_f64 v[96:97], v[88:89], v[86:87]
	v_add_f64 v[88:89], v[96:97], -v[88:89]
	v_add_f64 v[98:99], v[86:87], -v[88:89]
	v_cvt_i32_f64_e32 v143, v[76:77]
.LBB150_36:                             ;   in Loop: Header=BB150_4 Depth=1
	s_or_b64 exec, exec, s[8:9]
	v_mul_f64 v[76:77], v[8:9], 0.5
	v_cmp_nlt_f64_e64 s[8:9], |v[76:77]|, s[22:23]
                                        ; implicit-def: $vgpr141
                                        ; implicit-def: $vgpr86_vgpr87
                                        ; implicit-def: $vgpr88_vgpr89
	s_and_saveexec_b64 s[10:11], s[8:9]
	s_xor_b64 s[12:13], exec, s[10:11]
	s_cbranch_execz .LBB150_38
; %bb.37:                               ;   in Loop: Header=BB150_4 Depth=1
	v_and_b32_e32 v19, 0x7fffffff, v77
	v_ldexp_f64 v[90:91], |v[76:77]|, s91
	v_cmp_ge_f64_e64 s[8:9], |v[76:77]|, s[24:25]
	v_trig_preop_f64 v[86:87], |v[76:77]|, 0
	v_cndmask_b32_e64 v91, v19, v91, s[8:9]
	v_cndmask_b32_e64 v90, v76, v90, s[8:9]
	v_trig_preop_f64 v[88:89], |v[76:77]|, 1
	v_mul_f64 v[102:103], v[86:87], v[90:91]
	v_mul_f64 v[100:101], v[88:89], v[90:91]
	v_fma_f64 v[86:87], v[86:87], v[90:91], -v[102:103]
	v_add_f64 v[104:105], v[100:101], v[86:87]
	v_add_f64 v[106:107], v[102:103], v[104:105]
	v_ldexp_f64 v[108:109], v[106:107], -2
	v_fract_f64_e32 v[110:111], v[108:109]
	v_cmp_neq_f64_e64 s[8:9], |v[108:109]|, s[26:27]
	v_cndmask_b32_e64 v109, 0, v111, s[8:9]
	v_cndmask_b32_e64 v108, 0, v110, s[8:9]
	v_add_f64 v[110:111], v[104:105], -v[100:101]
	v_add_f64 v[86:87], v[86:87], -v[110:111]
	v_add_f64 v[110:111], v[104:105], -v[110:111]
	v_add_f64 v[110:111], v[100:101], -v[110:111]
	v_fma_f64 v[88:89], v[88:89], v[90:91], -v[100:101]
	v_trig_preop_f64 v[100:101], |v[76:77]|, 2
	v_add_f64 v[86:87], v[86:87], v[110:111]
	v_mul_f64 v[110:111], v[100:101], v[90:91]
	v_add_f64 v[112:113], v[110:111], v[88:89]
	v_add_f64 v[114:115], v[112:113], v[86:87]
	v_add_f64 v[102:103], v[106:107], -v[102:103]
	v_add_f64 v[106:107], v[114:115], -v[112:113]
	;; [unrolled: 1-line block ×5, first 2 shown]
	v_add_f64 v[86:87], v[86:87], v[106:107]
	v_add_f64 v[106:107], v[112:113], -v[110:111]
	v_add_f64 v[88:89], v[88:89], -v[106:107]
	v_add_f64 v[106:107], v[112:113], -v[106:107]
	v_add_f64 v[106:107], v[110:111], -v[106:107]
	v_add_f64 v[88:89], v[88:89], v[106:107]
	v_add_f64 v[102:103], v[104:105], -v[102:103]
	v_add_f64 v[86:87], v[88:89], v[86:87]
	v_fma_f64 v[88:89], v[100:101], v[90:91], -v[110:111]
	v_add_f64 v[104:105], v[102:103], v[114:115]
	v_add_f64 v[86:87], v[88:89], v[86:87]
	v_ldexp_f64 v[88:89], v[108:109], 2
	v_add_f64 v[90:91], v[104:105], v[88:89]
	v_cmp_gt_f64_e64 s[8:9], 0, v[90:91]
	v_cndmask_b32_e64 v19, 0, v131, s[8:9]
	v_add_f64 v[88:89], v[88:89], v[18:19]
	v_add_f64 v[90:91], v[104:105], v[88:89]
	v_cvt_i32_f64_e32 v19, v[90:91]
	v_cvt_f64_i32_e32 v[90:91], v19
	v_add_f64 v[88:89], v[88:89], -v[90:91]
	v_add_f64 v[102:103], v[104:105], -v[102:103]
	v_add_f64 v[90:91], v[104:105], v[88:89]
	v_add_f64 v[102:103], v[114:115], -v[102:103]
	v_add_f64 v[88:89], v[90:91], -v[88:89]
	v_cmp_le_f64_e64 s[8:9], 0.5, v[90:91]
	v_add_f64 v[86:87], v[102:103], v[86:87]
	v_add_f64 v[88:89], v[104:105], -v[88:89]
	v_addc_co_u32_e64 v141, s[10:11], 0, v19, s[8:9]
	v_cndmask_b32_e64 v19, 0, v132, s[8:9]
	v_add_f64 v[86:87], v[86:87], v[88:89]
	v_add_f64 v[88:89], v[90:91], -v[18:19]
	v_add_f64 v[90:91], v[88:89], v[86:87]
	v_add_f64 v[88:89], v[90:91], -v[88:89]
	s_mov_b32 s28, s30
	v_add_f64 v[86:87], v[86:87], -v[88:89]
	v_mul_f64 v[88:89], v[90:91], s[28:29]
	v_fma_f64 v[100:101], v[90:91], s[28:29], -v[88:89]
	s_mov_b32 s37, s35
	v_fmac_f64_e32 v[100:101], s[36:37], v[90:91]
	v_fmac_f64_e32 v[100:101], s[28:29], v[86:87]
	v_add_f64 v[86:87], v[88:89], v[100:101]
	v_add_f64 v[88:89], v[86:87], -v[88:89]
	v_add_f64 v[88:89], v[100:101], -v[88:89]
.LBB150_38:                             ;   in Loop: Header=BB150_4 Depth=1
	s_andn2_saveexec_b64 s[8:9], s[12:13]
	s_cbranch_execz .LBB150_40
; %bb.39:                               ;   in Loop: Header=BB150_4 Depth=1
	v_mul_f64 v[86:87], |v[76:77]|, s[38:39]
	v_rndne_f64_e32 v[90:91], v[86:87]
	v_fma_f64 v[86:87], v[90:91], s[30:31], |v[76:77]|
	v_mul_f64 v[100:101], v[90:91], s[40:41]
	v_add_f64 v[104:105], v[86:87], v[100:101]
	v_fma_f64 v[88:89], s[40:41], v[90:91], v[86:87]
	s_mov_b32 s34, s40
	v_add_f64 v[86:87], v[86:87], -v[104:105]
	v_fma_f64 v[102:103], s[34:35], v[90:91], v[100:101]
	v_add_f64 v[86:87], v[86:87], v[100:101]
	v_add_f64 v[100:101], v[104:105], -v[88:89]
	v_add_f64 v[86:87], v[100:101], v[86:87]
	v_add_f64 v[100:101], v[86:87], -v[102:103]
	v_fmac_f64_e32 v[100:101], s[42:43], v[90:91]
	v_add_f64 v[86:87], v[88:89], v[100:101]
	v_add_f64 v[88:89], v[86:87], -v[88:89]
	v_add_f64 v[88:89], v[100:101], -v[88:89]
	v_cvt_i32_f64_e32 v141, v[90:91]
.LBB150_40:                             ;   in Loop: Header=BB150_4 Depth=1
	s_or_b64 exec, exec, s[8:9]
	v_cmp_nlt_f64_e64 s[12:13], |v[8:9]|, s[22:23]
	v_trig_preop_f64 v[102:103], |v[8:9]|, 0
	v_trig_preop_f64 v[100:101], |v[8:9]|, 1
	v_ldexp_f64 v[112:113], |v[8:9]|, s91
	v_trig_preop_f64 v[90:91], |v[8:9]|, 2
	v_and_b32_e32 v55, 0x7fffffff, v9
                                        ; implicit-def: $vgpr145
                                        ; implicit-def: $vgpr104_vgpr105
                                        ; implicit-def: $vgpr106_vgpr107
	s_and_saveexec_b64 s[8:9], s[12:13]
	s_xor_b64 s[86:87], exec, s[8:9]
	s_cbranch_execz .LBB150_42
; %bb.41:                               ;   in Loop: Header=BB150_4 Depth=1
	v_cmp_ge_f64_e64 s[8:9], |v[8:9]|, s[24:25]
	v_cndmask_b32_e64 v105, v55, v113, s[8:9]
	v_cndmask_b32_e64 v104, v8, v112, s[8:9]
	v_mul_f64 v[108:109], v[102:103], v[104:105]
	v_mul_f64 v[106:107], v[100:101], v[104:105]
	v_fma_f64 v[110:111], v[102:103], v[104:105], -v[108:109]
	v_add_f64 v[114:115], v[106:107], v[110:111]
	v_add_f64 v[116:117], v[108:109], v[114:115]
	v_ldexp_f64 v[118:119], v[116:117], -2
	v_fract_f64_e32 v[120:121], v[118:119]
	v_cmp_neq_f64_e64 s[8:9], |v[118:119]|, s[26:27]
	v_cndmask_b32_e64 v119, 0, v121, s[8:9]
	v_cndmask_b32_e64 v118, 0, v120, s[8:9]
	v_add_f64 v[120:121], v[114:115], -v[106:107]
	v_add_f64 v[110:111], v[110:111], -v[120:121]
	;; [unrolled: 1-line block ×4, first 2 shown]
	v_add_f64 v[110:111], v[110:111], v[120:121]
	v_fma_f64 v[106:107], v[100:101], v[104:105], -v[106:107]
	v_mul_f64 v[120:121], v[90:91], v[104:105]
	v_add_f64 v[122:123], v[120:121], v[106:107]
	v_add_f64 v[124:125], v[122:123], v[110:111]
	v_add_f64 v[108:109], v[116:117], -v[108:109]
	v_add_f64 v[116:117], v[124:125], -v[122:123]
	v_add_f64 v[110:111], v[110:111], -v[116:117]
	v_add_f64 v[116:117], v[124:125], -v[116:117]
	v_add_f64 v[116:117], v[122:123], -v[116:117]
	v_add_f64 v[110:111], v[110:111], v[116:117]
	v_add_f64 v[116:117], v[122:123], -v[120:121]
	v_add_f64 v[106:107], v[106:107], -v[116:117]
	;; [unrolled: 1-line block ×5, first 2 shown]
	v_add_f64 v[114:115], v[108:109], v[124:125]
	v_add_f64 v[106:107], v[106:107], v[116:117]
	v_add_f64 v[108:109], v[114:115], -v[108:109]
	v_add_f64 v[106:107], v[106:107], v[110:111]
	v_fma_f64 v[104:105], v[90:91], v[104:105], -v[120:121]
	v_add_f64 v[108:109], v[124:125], -v[108:109]
	v_add_f64 v[104:105], v[104:105], v[106:107]
	v_ldexp_f64 v[106:107], v[118:119], 2
	v_add_f64 v[104:105], v[108:109], v[104:105]
	v_add_f64 v[108:109], v[114:115], v[106:107]
	v_cmp_gt_f64_e64 s[8:9], 0, v[108:109]
	v_cndmask_b32_e64 v19, 0, v131, s[8:9]
	v_add_f64 v[106:107], v[106:107], v[18:19]
	v_add_f64 v[108:109], v[114:115], v[106:107]
	v_cvt_i32_f64_e32 v19, v[108:109]
	v_cvt_f64_i32_e32 v[108:109], v19
	v_add_f64 v[106:107], v[106:107], -v[108:109]
	v_add_f64 v[108:109], v[114:115], v[106:107]
	v_add_f64 v[106:107], v[108:109], -v[106:107]
	v_cmp_le_f64_e64 s[8:9], 0.5, v[108:109]
	v_add_f64 v[106:107], v[114:115], -v[106:107]
	v_addc_co_u32_e64 v145, s[10:11], 0, v19, s[8:9]
	v_cndmask_b32_e64 v19, 0, v132, s[8:9]
	v_add_f64 v[104:105], v[104:105], v[106:107]
	v_add_f64 v[106:107], v[108:109], -v[18:19]
	v_add_f64 v[108:109], v[106:107], v[104:105]
	v_add_f64 v[106:107], v[108:109], -v[106:107]
	s_mov_b32 s28, s30
	v_add_f64 v[104:105], v[104:105], -v[106:107]
	v_mul_f64 v[106:107], v[108:109], s[28:29]
	v_fma_f64 v[110:111], v[108:109], s[28:29], -v[106:107]
	s_mov_b32 s37, s35
	v_fmac_f64_e32 v[110:111], s[36:37], v[108:109]
	v_fmac_f64_e32 v[110:111], s[28:29], v[104:105]
	v_add_f64 v[104:105], v[106:107], v[110:111]
	v_add_f64 v[106:107], v[104:105], -v[106:107]
	v_add_f64 v[106:107], v[110:111], -v[106:107]
	s_andn2_saveexec_b64 s[8:9], s[86:87]
	s_cbranch_execz .LBB150_44
	s_branch .LBB150_43
.LBB150_42:                             ;   in Loop: Header=BB150_4 Depth=1
	s_andn2_saveexec_b64 s[8:9], s[86:87]
	s_cbranch_execz .LBB150_44
.LBB150_43:                             ;   in Loop: Header=BB150_4 Depth=1
	v_mul_f64 v[104:105], |v[8:9]|, s[38:39]
	v_rndne_f64_e32 v[108:109], v[104:105]
	v_fma_f64 v[104:105], v[108:109], s[30:31], |v[8:9]|
	v_mul_f64 v[110:111], v[108:109], s[40:41]
	v_add_f64 v[116:117], v[104:105], v[110:111]
	v_fma_f64 v[106:107], s[40:41], v[108:109], v[104:105]
	s_mov_b32 s34, s40
	v_add_f64 v[104:105], v[104:105], -v[116:117]
	v_fma_f64 v[114:115], s[34:35], v[108:109], v[110:111]
	v_add_f64 v[104:105], v[104:105], v[110:111]
	v_add_f64 v[110:111], v[116:117], -v[106:107]
	v_add_f64 v[104:105], v[110:111], v[104:105]
	v_add_f64 v[110:111], v[104:105], -v[114:115]
	v_fmac_f64_e32 v[110:111], s[42:43], v[108:109]
	v_add_f64 v[104:105], v[106:107], v[110:111]
	v_add_f64 v[106:107], v[104:105], -v[106:107]
	v_add_f64 v[106:107], v[110:111], -v[106:107]
	v_cvt_i32_f64_e32 v145, v[108:109]
.LBB150_44:                             ;   in Loop: Header=BB150_4 Depth=1
	s_or_b64 exec, exec, s[8:9]
                                        ; implicit-def: $vgpr146
                                        ; implicit-def: $vgpr108_vgpr109
                                        ; implicit-def: $vgpr110_vgpr111
	s_and_saveexec_b64 s[8:9], s[12:13]
	s_xor_b64 s[12:13], exec, s[8:9]
	s_cbranch_execz .LBB150_46
; %bb.45:                               ;   in Loop: Header=BB150_4 Depth=1
	v_cmp_ge_f64_e64 s[8:9], |v[8:9]|, s[24:25]
	v_cndmask_b32_e64 v109, v55, v113, s[8:9]
	v_cndmask_b32_e64 v108, v8, v112, s[8:9]
	v_mul_f64 v[112:113], v[102:103], v[108:109]
	v_mul_f64 v[110:111], v[100:101], v[108:109]
	v_fma_f64 v[102:103], v[102:103], v[108:109], -v[112:113]
	v_add_f64 v[114:115], v[110:111], v[102:103]
	v_add_f64 v[116:117], v[112:113], v[114:115]
	v_ldexp_f64 v[118:119], v[116:117], -2
	v_fract_f64_e32 v[120:121], v[118:119]
	v_cmp_neq_f64_e64 s[8:9], |v[118:119]|, s[26:27]
	v_cndmask_b32_e64 v119, 0, v121, s[8:9]
	v_cndmask_b32_e64 v118, 0, v120, s[8:9]
	v_add_f64 v[120:121], v[114:115], -v[110:111]
	v_add_f64 v[102:103], v[102:103], -v[120:121]
	;; [unrolled: 1-line block ×4, first 2 shown]
	v_fma_f64 v[100:101], v[100:101], v[108:109], -v[110:111]
	v_mul_f64 v[110:111], v[90:91], v[108:109]
	v_add_f64 v[102:103], v[102:103], v[120:121]
	v_add_f64 v[120:121], v[110:111], v[100:101]
	;; [unrolled: 1-line block ×3, first 2 shown]
	v_add_f64 v[112:113], v[116:117], -v[112:113]
	v_add_f64 v[116:117], v[122:123], -v[120:121]
	;; [unrolled: 1-line block ×5, first 2 shown]
	v_add_f64 v[102:103], v[102:103], v[116:117]
	v_add_f64 v[116:117], v[120:121], -v[110:111]
	v_add_f64 v[100:101], v[100:101], -v[116:117]
	;; [unrolled: 1-line block ×4, first 2 shown]
	v_add_f64 v[100:101], v[100:101], v[116:117]
	v_add_f64 v[112:113], v[114:115], -v[112:113]
	v_add_f64 v[100:101], v[100:101], v[102:103]
	v_fma_f64 v[90:91], v[90:91], v[108:109], -v[110:111]
	v_add_f64 v[114:115], v[112:113], v[122:123]
	v_add_f64 v[90:91], v[90:91], v[100:101]
	v_ldexp_f64 v[100:101], v[118:119], 2
	v_add_f64 v[102:103], v[114:115], v[100:101]
	v_cmp_gt_f64_e64 s[8:9], 0, v[102:103]
	v_cndmask_b32_e64 v19, 0, v131, s[8:9]
	v_add_f64 v[100:101], v[100:101], v[18:19]
	v_add_f64 v[102:103], v[114:115], v[100:101]
	v_cvt_i32_f64_e32 v19, v[102:103]
	v_cvt_f64_i32_e32 v[102:103], v19
	v_add_f64 v[100:101], v[100:101], -v[102:103]
	v_add_f64 v[112:113], v[114:115], -v[112:113]
	v_add_f64 v[102:103], v[114:115], v[100:101]
	v_add_f64 v[112:113], v[122:123], -v[112:113]
	v_add_f64 v[100:101], v[102:103], -v[100:101]
	v_cmp_le_f64_e64 s[8:9], 0.5, v[102:103]
	v_add_f64 v[90:91], v[112:113], v[90:91]
	v_add_f64 v[100:101], v[114:115], -v[100:101]
	v_addc_co_u32_e64 v146, s[10:11], 0, v19, s[8:9]
	v_cndmask_b32_e64 v19, 0, v132, s[8:9]
	v_add_f64 v[90:91], v[90:91], v[100:101]
	v_add_f64 v[100:101], v[102:103], -v[18:19]
	v_add_f64 v[102:103], v[100:101], v[90:91]
	v_add_f64 v[100:101], v[102:103], -v[100:101]
	s_mov_b32 s28, s30
	v_add_f64 v[90:91], v[90:91], -v[100:101]
	v_mul_f64 v[100:101], v[102:103], s[28:29]
	v_fma_f64 v[110:111], v[102:103], s[28:29], -v[100:101]
	s_mov_b32 s37, s35
	v_fmac_f64_e32 v[110:111], s[36:37], v[102:103]
	v_fmac_f64_e32 v[110:111], s[28:29], v[90:91]
	v_add_f64 v[108:109], v[100:101], v[110:111]
	v_add_f64 v[90:91], v[108:109], -v[100:101]
	v_add_f64 v[110:111], v[110:111], -v[90:91]
	s_andn2_saveexec_b64 s[8:9], s[12:13]
	s_cbranch_execnz .LBB150_47
	s_branch .LBB150_48
.LBB150_46:                             ;   in Loop: Header=BB150_4 Depth=1
	s_andn2_saveexec_b64 s[8:9], s[12:13]
	s_cbranch_execz .LBB150_48
.LBB150_47:                             ;   in Loop: Header=BB150_4 Depth=1
	v_mul_f64 v[90:91], |v[8:9]|, s[38:39]
	v_rndne_f64_e32 v[90:91], v[90:91]
	v_fma_f64 v[100:101], v[90:91], s[30:31], |v[8:9]|
	v_mul_f64 v[108:109], v[90:91], s[40:41]
	v_add_f64 v[112:113], v[100:101], v[108:109]
	v_fma_f64 v[102:103], s[40:41], v[90:91], v[100:101]
	s_mov_b32 s34, s40
	v_add_f64 v[100:101], v[100:101], -v[112:113]
	v_fma_f64 v[110:111], s[34:35], v[90:91], v[108:109]
	v_add_f64 v[100:101], v[100:101], v[108:109]
	v_add_f64 v[108:109], v[112:113], -v[102:103]
	v_add_f64 v[100:101], v[108:109], v[100:101]
	v_add_f64 v[100:101], v[100:101], -v[110:111]
	v_fmac_f64_e32 v[100:101], s[42:43], v[90:91]
	v_add_f64 v[108:109], v[102:103], v[100:101]
	v_add_f64 v[102:103], v[108:109], -v[102:103]
	v_add_f64 v[110:111], v[100:101], -v[102:103]
	v_cvt_i32_f64_e32 v146, v[90:91]
.LBB150_48:                             ;   in Loop: Header=BB150_4 Depth=1
	s_or_b64 exec, exec, s[8:9]
	v_mul_f64 v[90:91], v[4:5], 0.5
	v_cmp_nlt_f64_e64 s[8:9], |v[90:91]|, s[22:23]
                                        ; implicit-def: $vgpr144
                                        ; implicit-def: $vgpr100_vgpr101
                                        ; implicit-def: $vgpr102_vgpr103
	s_and_saveexec_b64 s[10:11], s[8:9]
	s_xor_b64 s[12:13], exec, s[10:11]
	s_cbranch_execz .LBB150_50
; %bb.49:                               ;   in Loop: Header=BB150_4 Depth=1
	v_and_b32_e32 v19, 0x7fffffff, v91
	v_ldexp_f64 v[112:113], |v[90:91]|, s91
	v_cmp_ge_f64_e64 s[8:9], |v[90:91]|, s[24:25]
	v_trig_preop_f64 v[100:101], |v[90:91]|, 0
	v_cndmask_b32_e64 v113, v19, v113, s[8:9]
	v_cndmask_b32_e64 v112, v90, v112, s[8:9]
	v_trig_preop_f64 v[102:103], |v[90:91]|, 1
	v_mul_f64 v[116:117], v[100:101], v[112:113]
	v_mul_f64 v[114:115], v[102:103], v[112:113]
	v_fma_f64 v[100:101], v[100:101], v[112:113], -v[116:117]
	v_add_f64 v[118:119], v[114:115], v[100:101]
	v_add_f64 v[120:121], v[116:117], v[118:119]
	v_ldexp_f64 v[122:123], v[120:121], -2
	v_fract_f64_e32 v[124:125], v[122:123]
	v_cmp_neq_f64_e64 s[8:9], |v[122:123]|, s[26:27]
	v_cndmask_b32_e64 v123, 0, v125, s[8:9]
	v_cndmask_b32_e64 v122, 0, v124, s[8:9]
	v_add_f64 v[124:125], v[118:119], -v[114:115]
	v_add_f64 v[100:101], v[100:101], -v[124:125]
	;; [unrolled: 1-line block ×4, first 2 shown]
	v_fma_f64 v[102:103], v[102:103], v[112:113], -v[114:115]
	v_trig_preop_f64 v[114:115], |v[90:91]|, 2
	v_add_f64 v[100:101], v[100:101], v[124:125]
	v_mul_f64 v[124:125], v[114:115], v[112:113]
	v_add_f64 v[126:127], v[124:125], v[102:103]
	v_add_f64 v[148:149], v[126:127], v[100:101]
	v_add_f64 v[116:117], v[120:121], -v[116:117]
	v_add_f64 v[120:121], v[148:149], -v[126:127]
	;; [unrolled: 1-line block ×5, first 2 shown]
	v_add_f64 v[100:101], v[100:101], v[120:121]
	v_add_f64 v[120:121], v[126:127], -v[124:125]
	v_add_f64 v[102:103], v[102:103], -v[120:121]
	;; [unrolled: 1-line block ×4, first 2 shown]
	v_add_f64 v[102:103], v[102:103], v[120:121]
	v_add_f64 v[116:117], v[118:119], -v[116:117]
	v_add_f64 v[100:101], v[102:103], v[100:101]
	v_fma_f64 v[102:103], v[114:115], v[112:113], -v[124:125]
	v_add_f64 v[118:119], v[116:117], v[148:149]
	v_add_f64 v[100:101], v[102:103], v[100:101]
	v_ldexp_f64 v[102:103], v[122:123], 2
	v_add_f64 v[112:113], v[118:119], v[102:103]
	v_cmp_gt_f64_e64 s[8:9], 0, v[112:113]
	v_cndmask_b32_e64 v19, 0, v131, s[8:9]
	v_add_f64 v[102:103], v[102:103], v[18:19]
	v_add_f64 v[112:113], v[118:119], v[102:103]
	v_cvt_i32_f64_e32 v19, v[112:113]
	v_cvt_f64_i32_e32 v[112:113], v19
	v_add_f64 v[102:103], v[102:103], -v[112:113]
	v_add_f64 v[116:117], v[118:119], -v[116:117]
	v_add_f64 v[112:113], v[118:119], v[102:103]
	v_add_f64 v[116:117], v[148:149], -v[116:117]
	v_add_f64 v[102:103], v[112:113], -v[102:103]
	v_cmp_le_f64_e64 s[8:9], 0.5, v[112:113]
	v_add_f64 v[100:101], v[116:117], v[100:101]
	v_add_f64 v[102:103], v[118:119], -v[102:103]
	v_addc_co_u32_e64 v144, s[10:11], 0, v19, s[8:9]
	v_cndmask_b32_e64 v19, 0, v132, s[8:9]
	v_add_f64 v[100:101], v[100:101], v[102:103]
	v_add_f64 v[102:103], v[112:113], -v[18:19]
	v_add_f64 v[112:113], v[102:103], v[100:101]
	v_add_f64 v[102:103], v[112:113], -v[102:103]
	s_mov_b32 s28, s30
	v_add_f64 v[100:101], v[100:101], -v[102:103]
	v_mul_f64 v[102:103], v[112:113], s[28:29]
	v_fma_f64 v[114:115], v[112:113], s[28:29], -v[102:103]
	s_mov_b32 s37, s35
	v_fmac_f64_e32 v[114:115], s[36:37], v[112:113]
	v_fmac_f64_e32 v[114:115], s[28:29], v[100:101]
	v_add_f64 v[100:101], v[102:103], v[114:115]
	v_add_f64 v[102:103], v[100:101], -v[102:103]
	v_add_f64 v[102:103], v[114:115], -v[102:103]
.LBB150_50:                             ;   in Loop: Header=BB150_4 Depth=1
	s_andn2_saveexec_b64 s[8:9], s[12:13]
	s_cbranch_execz .LBB150_52
; %bb.51:                               ;   in Loop: Header=BB150_4 Depth=1
	v_mul_f64 v[100:101], |v[90:91]|, s[38:39]
	v_rndne_f64_e32 v[112:113], v[100:101]
	v_fma_f64 v[100:101], v[112:113], s[30:31], |v[90:91]|
	v_mul_f64 v[114:115], v[112:113], s[40:41]
	v_add_f64 v[118:119], v[100:101], v[114:115]
	v_fma_f64 v[102:103], s[40:41], v[112:113], v[100:101]
	s_mov_b32 s34, s40
	v_add_f64 v[100:101], v[100:101], -v[118:119]
	v_fma_f64 v[116:117], s[34:35], v[112:113], v[114:115]
	v_add_f64 v[100:101], v[100:101], v[114:115]
	v_add_f64 v[114:115], v[118:119], -v[102:103]
	v_add_f64 v[100:101], v[114:115], v[100:101]
	v_add_f64 v[114:115], v[100:101], -v[116:117]
	v_fmac_f64_e32 v[114:115], s[42:43], v[112:113]
	v_add_f64 v[100:101], v[102:103], v[114:115]
	v_add_f64 v[102:103], v[100:101], -v[102:103]
	v_add_f64 v[102:103], v[114:115], -v[102:103]
	v_cvt_i32_f64_e32 v144, v[112:113]
.LBB150_52:                             ;   in Loop: Header=BB150_4 Depth=1
	s_or_b64 exec, exec, s[8:9]
	v_cmp_nlt_f64_e64 s[12:13], |v[4:5]|, s[22:23]
	v_trig_preop_f64 v[124:125], |v[4:5]|, 0
	v_trig_preop_f64 v[122:123], |v[4:5]|, 1
	v_ldexp_f64 v[126:127], |v[4:5]|, s91
	v_trig_preop_f64 v[120:121], |v[4:5]|, 2
	v_and_b32_e32 v55, 0x7fffffff, v5
                                        ; implicit-def: $vgpr147
                                        ; implicit-def: $vgpr112_vgpr113
                                        ; implicit-def: $vgpr114_vgpr115
	s_and_saveexec_b64 s[8:9], s[12:13]
	s_xor_b64 s[86:87], exec, s[8:9]
	s_cbranch_execz .LBB150_54
; %bb.53:                               ;   in Loop: Header=BB150_4 Depth=1
	v_cmp_ge_f64_e64 s[8:9], |v[4:5]|, s[24:25]
	v_cndmask_b32_e64 v113, v55, v127, s[8:9]
	v_cndmask_b32_e64 v112, v4, v126, s[8:9]
	v_mul_f64 v[116:117], v[124:125], v[112:113]
	v_mul_f64 v[114:115], v[122:123], v[112:113]
	v_fma_f64 v[118:119], v[124:125], v[112:113], -v[116:117]
	v_add_f64 v[148:149], v[114:115], v[118:119]
	v_add_f64 v[150:151], v[116:117], v[148:149]
	v_ldexp_f64 v[152:153], v[150:151], -2
	v_fract_f64_e32 v[154:155], v[152:153]
	v_cmp_neq_f64_e64 s[8:9], |v[152:153]|, s[26:27]
	v_cndmask_b32_e64 v153, 0, v155, s[8:9]
	v_cndmask_b32_e64 v152, 0, v154, s[8:9]
	v_add_f64 v[154:155], v[148:149], -v[114:115]
	v_add_f64 v[118:119], v[118:119], -v[154:155]
	v_add_f64 v[154:155], v[148:149], -v[154:155]
	v_add_f64 v[154:155], v[114:115], -v[154:155]
	v_add_f64 v[118:119], v[118:119], v[154:155]
	v_fma_f64 v[114:115], v[122:123], v[112:113], -v[114:115]
	v_mul_f64 v[154:155], v[120:121], v[112:113]
	v_add_f64 v[156:157], v[154:155], v[114:115]
	v_add_f64 v[158:159], v[156:157], v[118:119]
	v_add_f64 v[116:117], v[150:151], -v[116:117]
	v_add_f64 v[150:151], v[158:159], -v[156:157]
	;; [unrolled: 1-line block ×5, first 2 shown]
	v_add_f64 v[118:119], v[118:119], v[150:151]
	v_add_f64 v[150:151], v[156:157], -v[154:155]
	v_add_f64 v[114:115], v[114:115], -v[150:151]
	;; [unrolled: 1-line block ×5, first 2 shown]
	v_add_f64 v[148:149], v[116:117], v[158:159]
	v_add_f64 v[114:115], v[114:115], v[150:151]
	v_add_f64 v[116:117], v[148:149], -v[116:117]
	v_add_f64 v[114:115], v[114:115], v[118:119]
	v_fma_f64 v[112:113], v[120:121], v[112:113], -v[154:155]
	v_add_f64 v[116:117], v[158:159], -v[116:117]
	v_add_f64 v[112:113], v[112:113], v[114:115]
	v_ldexp_f64 v[114:115], v[152:153], 2
	v_add_f64 v[112:113], v[116:117], v[112:113]
	v_add_f64 v[116:117], v[148:149], v[114:115]
	v_cmp_gt_f64_e64 s[8:9], 0, v[116:117]
	v_cndmask_b32_e64 v19, 0, v131, s[8:9]
	v_add_f64 v[114:115], v[114:115], v[18:19]
	v_add_f64 v[116:117], v[148:149], v[114:115]
	v_cvt_i32_f64_e32 v19, v[116:117]
	v_cvt_f64_i32_e32 v[116:117], v19
	v_add_f64 v[114:115], v[114:115], -v[116:117]
	v_add_f64 v[116:117], v[148:149], v[114:115]
	v_add_f64 v[114:115], v[116:117], -v[114:115]
	v_cmp_le_f64_e64 s[8:9], 0.5, v[116:117]
	v_add_f64 v[114:115], v[148:149], -v[114:115]
	v_addc_co_u32_e64 v147, s[10:11], 0, v19, s[8:9]
	v_cndmask_b32_e64 v19, 0, v132, s[8:9]
	v_add_f64 v[112:113], v[112:113], v[114:115]
	v_add_f64 v[114:115], v[116:117], -v[18:19]
	v_add_f64 v[116:117], v[114:115], v[112:113]
	v_add_f64 v[114:115], v[116:117], -v[114:115]
	s_mov_b32 s28, s30
	v_add_f64 v[112:113], v[112:113], -v[114:115]
	v_mul_f64 v[114:115], v[116:117], s[28:29]
	v_fma_f64 v[118:119], v[116:117], s[28:29], -v[114:115]
	s_mov_b32 s37, s35
	v_fmac_f64_e32 v[118:119], s[36:37], v[116:117]
	v_fmac_f64_e32 v[118:119], s[28:29], v[112:113]
	v_add_f64 v[112:113], v[114:115], v[118:119]
	v_add_f64 v[114:115], v[112:113], -v[114:115]
	v_add_f64 v[114:115], v[118:119], -v[114:115]
	s_andn2_saveexec_b64 s[8:9], s[86:87]
	s_cbranch_execz .LBB150_56
	s_branch .LBB150_55
.LBB150_54:                             ;   in Loop: Header=BB150_4 Depth=1
	s_andn2_saveexec_b64 s[8:9], s[86:87]
	s_cbranch_execz .LBB150_56
.LBB150_55:                             ;   in Loop: Header=BB150_4 Depth=1
	v_mul_f64 v[112:113], |v[4:5]|, s[38:39]
	v_rndne_f64_e32 v[116:117], v[112:113]
	v_fma_f64 v[112:113], v[116:117], s[30:31], |v[4:5]|
	v_mul_f64 v[118:119], v[116:117], s[40:41]
	v_add_f64 v[150:151], v[112:113], v[118:119]
	v_fma_f64 v[114:115], s[40:41], v[116:117], v[112:113]
	s_mov_b32 s34, s40
	v_add_f64 v[112:113], v[112:113], -v[150:151]
	v_fma_f64 v[148:149], s[34:35], v[116:117], v[118:119]
	v_add_f64 v[112:113], v[112:113], v[118:119]
	v_add_f64 v[118:119], v[150:151], -v[114:115]
	v_add_f64 v[112:113], v[118:119], v[112:113]
	v_add_f64 v[118:119], v[112:113], -v[148:149]
	v_fmac_f64_e32 v[118:119], s[42:43], v[116:117]
	v_add_f64 v[112:113], v[114:115], v[118:119]
	v_add_f64 v[114:115], v[112:113], -v[114:115]
	v_add_f64 v[114:115], v[118:119], -v[114:115]
	v_cvt_i32_f64_e32 v147, v[116:117]
.LBB150_56:                             ;   in Loop: Header=BB150_4 Depth=1
	s_or_b64 exec, exec, s[8:9]
                                        ; implicit-def: $vgpr148
                                        ; implicit-def: $vgpr116_vgpr117
                                        ; implicit-def: $vgpr118_vgpr119
	s_and_saveexec_b64 s[8:9], s[12:13]
	s_xor_b64 s[12:13], exec, s[8:9]
	s_cbranch_execz .LBB150_62
; %bb.57:                               ;   in Loop: Header=BB150_4 Depth=1
	v_cmp_ge_f64_e64 s[8:9], |v[4:5]|, s[24:25]
	v_cndmask_b32_e64 v117, v55, v127, s[8:9]
	v_cndmask_b32_e64 v116, v4, v126, s[8:9]
	v_mul_f64 v[126:127], v[124:125], v[116:117]
	v_mul_f64 v[118:119], v[122:123], v[116:117]
	v_fma_f64 v[124:125], v[124:125], v[116:117], -v[126:127]
	v_add_f64 v[148:149], v[118:119], v[124:125]
	v_add_f64 v[150:151], v[126:127], v[148:149]
	v_ldexp_f64 v[152:153], v[150:151], -2
	v_fract_f64_e32 v[154:155], v[152:153]
	v_cmp_neq_f64_e64 s[8:9], |v[152:153]|, s[26:27]
	v_cndmask_b32_e64 v153, 0, v155, s[8:9]
	v_cndmask_b32_e64 v152, 0, v154, s[8:9]
	v_add_f64 v[154:155], v[148:149], -v[118:119]
	v_add_f64 v[124:125], v[124:125], -v[154:155]
	;; [unrolled: 1-line block ×4, first 2 shown]
	v_fma_f64 v[118:119], v[122:123], v[116:117], -v[118:119]
	v_mul_f64 v[122:123], v[120:121], v[116:117]
	v_add_f64 v[124:125], v[124:125], v[154:155]
	v_add_f64 v[154:155], v[122:123], v[118:119]
	;; [unrolled: 1-line block ×3, first 2 shown]
	v_add_f64 v[126:127], v[150:151], -v[126:127]
	v_add_f64 v[150:151], v[156:157], -v[154:155]
	;; [unrolled: 1-line block ×5, first 2 shown]
	v_add_f64 v[124:125], v[124:125], v[150:151]
	v_add_f64 v[150:151], v[154:155], -v[122:123]
	v_add_f64 v[118:119], v[118:119], -v[150:151]
	v_add_f64 v[150:151], v[154:155], -v[150:151]
	v_add_f64 v[150:151], v[122:123], -v[150:151]
	v_add_f64 v[118:119], v[118:119], v[150:151]
	v_add_f64 v[126:127], v[148:149], -v[126:127]
	v_add_f64 v[118:119], v[118:119], v[124:125]
	v_fma_f64 v[116:117], v[120:121], v[116:117], -v[122:123]
	v_add_f64 v[148:149], v[126:127], v[156:157]
	v_add_f64 v[116:117], v[116:117], v[118:119]
	v_ldexp_f64 v[118:119], v[152:153], 2
	v_add_f64 v[120:121], v[148:149], v[118:119]
	v_cmp_gt_f64_e64 s[8:9], 0, v[120:121]
	v_cndmask_b32_e64 v19, 0, v131, s[8:9]
	v_add_f64 v[118:119], v[118:119], v[18:19]
	v_add_f64 v[120:121], v[148:149], v[118:119]
	v_cvt_i32_f64_e32 v19, v[120:121]
	v_cvt_f64_i32_e32 v[120:121], v19
	v_add_f64 v[118:119], v[118:119], -v[120:121]
	v_add_f64 v[126:127], v[148:149], -v[126:127]
	v_add_f64 v[120:121], v[148:149], v[118:119]
	v_add_f64 v[126:127], v[156:157], -v[126:127]
	v_add_f64 v[118:119], v[120:121], -v[118:119]
	v_cmp_le_f64_e64 s[8:9], 0.5, v[120:121]
	v_add_f64 v[116:117], v[126:127], v[116:117]
	v_add_f64 v[118:119], v[148:149], -v[118:119]
	v_addc_co_u32_e64 v148, s[10:11], 0, v19, s[8:9]
	v_cndmask_b32_e64 v19, 0, v132, s[8:9]
	v_add_f64 v[116:117], v[116:117], v[118:119]
	v_add_f64 v[118:119], v[120:121], -v[18:19]
	v_add_f64 v[120:121], v[118:119], v[116:117]
	v_add_f64 v[118:119], v[120:121], -v[118:119]
	s_mov_b32 s28, s30
	v_add_f64 v[116:117], v[116:117], -v[118:119]
	v_mul_f64 v[118:119], v[120:121], s[28:29]
	v_fma_f64 v[122:123], v[120:121], s[28:29], -v[118:119]
	s_mov_b32 s37, s35
	v_fmac_f64_e32 v[122:123], s[36:37], v[120:121]
	v_fmac_f64_e32 v[122:123], s[28:29], v[116:117]
	v_add_f64 v[116:117], v[118:119], v[122:123]
	v_add_f64 v[118:119], v[116:117], -v[118:119]
	v_add_f64 v[118:119], v[122:123], -v[118:119]
	s_andn2_saveexec_b64 s[8:9], s[12:13]
	s_cbranch_execnz .LBB150_63
.LBB150_58:                             ;   in Loop: Header=BB150_4 Depth=1
	s_or_b64 exec, exec, s[8:9]
	s_and_saveexec_b64 s[8:9], s[6:7]
	s_xor_b64 s[10:11], exec, s[8:9]
	s_cbranch_execz .LBB150_64
.LBB150_59:                             ;   in Loop: Header=BB150_4 Depth=1
	v_mul_f64 v[120:121], v[14:15], s[44:45]
	v_rndne_f64_e32 v[120:121], v[120:121]
	v_fma_f64 v[122:123], s[46:47], v[120:121], v[14:15]
	v_fmac_f64_e32 v[122:123], s[48:49], v[120:121]
	v_pk_mov_b32 v[124:125], v[28:29], v[28:29] op_sel:[0,1]
	v_fmac_f64_e32 v[124:125], s[50:51], v[122:123]
	v_pk_mov_b32 v[126:127], v[30:31], v[30:31] op_sel:[0,1]
	;; [unrolled: 2-line block ×9, first 2 shown]
	v_fmac_f64_e32 v[124:125], v[122:123], v[126:127]
	v_fma_f64 v[124:125], v[122:123], v[124:125], 1.0
	v_fma_f64 v[124:125], v[122:123], v[124:125], 1.0
	v_cvt_i32_f64_e32 v19, v[120:121]
	v_pk_mov_b32 v[126:127], v[46:47], v[46:47] op_sel:[0,1]
	v_ldexp_f64 v[124:125], v[124:125], v19
	v_cmp_nlt_f64_e64 s[6:7], s[56:57], v[14:15]
	v_fmac_f64_e32 v[126:127], s[60:61], v[122:123]
	v_pk_mov_b32 v[150:151], v[48:49], v[48:49] op_sel:[0,1]
	v_cndmask_b32_e64 v55, v133, v125, s[6:7]
	v_cmp_ngt_f64_e64 s[8:9], s[58:59], v[14:15]
	v_fmac_f64_e32 v[150:151], v[122:123], v[126:127]
	v_pk_mov_b32 v[126:127], v[50:51], v[50:51] op_sel:[0,1]
	v_cndmask_b32_e64 v125, 0, v55, s[8:9]
	v_fmac_f64_e32 v[126:127], v[122:123], v[150:151]
	v_pk_mov_b32 v[150:151], v[52:53], v[52:53] op_sel:[0,1]
	v_mov_b32_e32 v55, v35
	v_fmac_f64_e32 v[150:151], v[122:123], v[126:127]
	v_pk_mov_b32 v[126:127], v[54:55], v[54:55] op_sel:[0,1]
	v_mov_b32_e32 v57, v37
	;; [unrolled: 3-line block ×5, first 2 shown]
	s_and_b64 s[6:7], s[8:9], s[6:7]
	v_fmac_f64_e32 v[150:151], v[122:123], v[126:127]
	v_pk_mov_b32 v[126:127], v[62:63], v[62:63] op_sel:[0,1]
	v_cndmask_b32_e64 v124, 0, v124, s[6:7]
	v_cmp_eq_f64_e64 s[6:7], s[56:57], v[120:121]
	v_fmac_f64_e32 v[126:127], v[122:123], v[150:151]
	v_cndmask_b32_e64 v19, v19, v134, s[6:7]
	v_fma_f64 v[126:127], v[122:123], v[126:127], 0.5
	v_ldexp_f64 v[120:121], 1.0, v19
	v_mul_f64 v[126:127], v[122:123], v[126:127]
	v_fmac_f64_e32 v[122:123], v[122:123], v[126:127]
	v_add_f64 v[126:127], v[120:121], -1.0
	v_fmac_f64_e32 v[126:127], v[120:121], v[122:123]
	v_add_f64 v[120:121], v[126:127], v[126:127]
	v_cndmask_b32_e64 v19, v126, v120, s[6:7]
	v_cndmask_b32_e64 v55, v127, v121, s[6:7]
	v_mul_f64 v[120:121], v[78:79], v[78:79]
	v_pk_mov_b32 v[152:153], s[68:69], s[68:69] op_sel:[0,1]
	v_mul_f64 v[122:123], v[120:121], 0.5
	v_fma_f64 v[154:155], s[70:71], v[120:121], v[152:153]
	v_add_f64 v[126:127], -v[122:123], 1.0
	v_fma_f64 v[154:155], v[120:121], v[154:155], s[72:73]
	v_fma_f64 v[154:155], v[120:121], v[154:155], s[62:63]
	v_add_f64 v[156:157], -v[126:127], 1.0
	v_fma_f64 v[154:155], v[120:121], v[154:155], s[74:75]
	v_add_f64 v[122:123], v[156:157], -v[122:123]
	v_mul_f64 v[150:151], v[120:121], v[120:121]
	v_fma_f64 v[154:155], v[120:121], v[154:155], s[54:55]
	v_fma_f64 v[122:123], v[78:79], -v[80:81], v[122:123]
	v_fmac_f64_e32 v[122:123], v[150:151], v[154:155]
	v_pk_mov_b32 v[150:151], s[76:77], s[76:77] op_sel:[0,1]
	v_fma_f64 v[154:155], s[78:79], v[120:121], v[150:151]
	v_fma_f64 v[154:155], v[120:121], v[154:155], s[80:81]
	;; [unrolled: 1-line block ×3, first 2 shown]
	v_add_f64 v[122:123], v[126:127], v[122:123]
	v_mul_f64 v[126:127], v[78:79], -v[120:121]
	v_fma_f64 v[154:155], v[120:121], v[154:155], s[52:53]
	v_mul_f64 v[156:157], v[80:81], 0.5
	s_mov_b32 s64, s46
	v_fmac_f64_e32 v[156:157], v[126:127], v[154:155]
	v_cmp_nlt_f64_e64 s[6:7], s[64:65], v[14:15]
	v_cmp_ngt_f64_e64 s[8:9], s[66:67], v[14:15]
	v_fma_f64 v[80:81], v[120:121], v[156:157], -v[80:81]
	s_mov_b32 s84, s54
	v_cndmask_b32_e64 v55, v133, v55, s[6:7]
	s_and_b64 s[6:7], s[8:9], s[6:7]
	v_fmac_f64_e32 v[80:81], s[84:85], v[126:127]
	v_cndmask_b32_e64 v14, 0, v19, s[6:7]
	v_and_b32_e32 v19, 1, v139
	v_add_f64 v[78:79], v[78:79], -v[80:81]
	v_cndmask_b32_e64 v15, v135, v55, s[8:9]
	v_xor_b32_e32 v55, 0x80000000, v79
	v_cmp_eq_u32_e64 s[6:7], 0, v19
	v_mul_f64 v[80:81], v[66:67], v[66:67]
	v_cndmask_b32_e64 v19, v78, v122, s[6:7]
	v_cndmask_b32_e64 v55, v55, v123, s[6:7]
	v_fma_f64 v[122:123], s[78:79], v[80:81], v[150:151]
	v_fma_f64 v[122:123], v[80:81], v[122:123], s[80:81]
	;; [unrolled: 1-line block ×3, first 2 shown]
	v_mul_f64 v[120:121], v[66:67], -v[80:81]
	v_fma_f64 v[122:123], v[80:81], v[122:123], s[52:53]
	v_mul_f64 v[126:127], v[68:69], 0.5
	v_fmac_f64_e32 v[126:127], v[120:121], v[122:123]
	v_fma_f64 v[122:123], v[80:81], v[126:127], -v[68:69]
	v_fma_f64 v[156:157], s[70:71], v[80:81], v[152:153]
	v_fmac_f64_e32 v[122:123], s[84:85], v[120:121]
	v_fma_f64 v[156:157], v[80:81], v[156:157], s[72:73]
	v_add_f64 v[120:121], v[66:67], -v[122:123]
	v_mul_f64 v[122:123], v[80:81], 0.5
	v_fma_f64 v[156:157], v[80:81], v[156:157], s[62:63]
	v_add_f64 v[126:127], -v[122:123], 1.0
	v_fma_f64 v[156:157], v[80:81], v[156:157], s[74:75]
	v_lshlrev_b32_e32 v57, 30, v139
	v_mul_f64 v[154:155], v[80:81], v[80:81]
	v_fma_f64 v[80:81], v[80:81], v[156:157], s[54:55]
	v_add_f64 v[156:157], -v[126:127], 1.0
	v_and_b32_e32 v57, 0x80000000, v57
	v_add_f64 v[122:123], v[156:157], -v[122:123]
	v_xor_b32_e32 v55, v55, v57
	v_cmp_class_f64_e64 s[6:7], v[16:17], s92
	v_fma_f64 v[66:67], v[66:67], -v[68:69], v[122:123]
	v_cndmask_b32_e64 v79, v136, v55, s[6:7]
	v_and_b32_e32 v16, 1, v137
	v_fmac_f64_e32 v[66:67], v[154:155], v[80:81]
	v_lshlrev_b32_e32 v55, 30, v137
	v_add_f64 v[66:67], v[126:127], v[66:67]
	v_cmp_eq_u32_e64 s[8:9], 0, v16
	v_xor_b32_e32 v55, v55, v65
	v_cndmask_b32_e64 v78, 0, v19, s[6:7]
	v_cndmask_b32_e64 v19, v67, v121, s[8:9]
	v_and_b32_e32 v55, 0x80000000, v55
	v_cndmask_b32_e64 v16, v66, v120, s[8:9]
	v_xor_b32_e32 v19, v19, v55
	v_cmp_class_f64_e64 s[8:9], v[64:65], s92
	v_cndmask_b32_e64 v64, 0, v16, s[8:9]
	v_cndmask_b32_e64 v65, v136, v19, s[8:9]
	v_add_f64 v[66:67], v[64:65], v[64:65]
	v_mul_f64 v[64:65], v[66:67], v[64:65]
	v_fma_f64 v[14:15], v[14:15], v[78:79], -v[64:65]
	v_mul_f64 v[64:65], v[82:83], v[82:83]
	v_mul_f64 v[66:67], v[64:65], 0.5
	v_fmac_f64_e32 v[152:153], s[70:71], v[64:65]
	v_add_f64 v[68:69], -v[66:67], 1.0
	v_fma_f64 v[80:81], v[64:65], v[152:153], s[72:73]
	v_add_f64 v[78:79], -v[68:69], 1.0
	v_fma_f64 v[80:81], v[64:65], v[80:81], s[62:63]
	v_add_f64 v[66:67], v[78:79], -v[66:67]
	v_fma_f64 v[80:81], v[64:65], v[80:81], s[74:75]
	v_mul_f64 v[78:79], v[64:65], v[64:65]
	v_fma_f64 v[80:81], v[64:65], v[80:81], s[54:55]
	v_fma_f64 v[66:67], v[82:83], -v[84:85], v[66:67]
	v_fmac_f64_e32 v[66:67], v[78:79], v[80:81]
	v_fmac_f64_e32 v[150:151], s[78:79], v[64:65]
	v_add_f64 v[66:67], v[68:69], v[66:67]
	v_fma_f64 v[68:69], v[64:65], v[150:151], s[80:81]
	v_fma_f64 v[68:69], v[64:65], v[68:69], s[82:83]
	;; [unrolled: 1-line block ×3, first 2 shown]
	v_mul_f64 v[78:79], v[82:83], -v[64:65]
	v_mul_f64 v[80:81], v[84:85], 0.5
	v_fmac_f64_e32 v[80:81], v[78:79], v[68:69]
	v_fma_f64 v[64:65], v[64:65], v[80:81], -v[84:85]
	v_fmac_f64_e32 v[64:65], s[84:85], v[78:79]
	v_and_b32_e32 v16, 1, v140
	v_lshlrev_b32_e32 v55, 30, v140
	v_add_f64 v[64:65], v[82:83], -v[64:65]
	v_cmp_eq_u32_e64 s[8:9], 0, v16
	v_xor_b32_e32 v17, v55, v17
	v_cndmask_b32_e64 v19, v67, v65, s[8:9]
	v_and_b32_e32 v17, 0x80000000, v17
	v_cndmask_b32_e64 v16, v66, v64, s[8:9]
	v_xor_b32_e32 v17, v19, v17
	v_cndmask_b32_e64 v16, 0, v16, s[6:7]
	v_cndmask_b32_e64 v17, v136, v17, s[6:7]
	v_mov_b32_e32 v19, s88
	v_add_co_u32_e64 v64, s[6:7], s33, v20
	v_mul_f64 v[16:17], v[124:125], v[16:17]
	v_addc_co_u32_e64 v65, s[6:7], 0, v19, s[6:7]
	global_store_dwordx4 v[64:65], v[14:17], off
	s_or_b64 exec, exec, s[10:11]
	s_and_saveexec_b64 s[8:9], s[2:3]
	s_cbranch_execnz .LBB150_65
.LBB150_60:                             ;   in Loop: Header=BB150_4 Depth=1
	s_or_b64 exec, exec, s[8:9]
	s_and_saveexec_b64 s[6:7], s[0:1]
	s_cbranch_execz .LBB150_66
.LBB150_61:                             ;   in Loop: Header=BB150_4 Depth=1
	v_mul_f64 v[10:11], v[6:7], s[44:45]
	v_rndne_f64_e32 v[10:11], v[10:11]
	v_fma_f64 v[12:13], s[46:47], v[10:11], v[6:7]
	v_fmac_f64_e32 v[12:13], s[48:49], v[10:11]
	v_pk_mov_b32 v[14:15], v[28:29], v[28:29] op_sel:[0,1]
	v_fmac_f64_e32 v[14:15], s[50:51], v[12:13]
	v_pk_mov_b32 v[16:17], v[30:31], v[30:31] op_sel:[0,1]
	;; [unrolled: 2-line block ×9, first 2 shown]
	v_fmac_f64_e32 v[14:15], v[12:13], v[16:17]
	v_fma_f64 v[14:15], v[12:13], v[14:15], 1.0
	v_fma_f64 v[14:15], v[12:13], v[14:15], 1.0
	v_cvt_i32_f64_e32 v16, v[10:11]
	v_ldexp_f64 v[14:15], v[14:15], v16
	v_cmp_nlt_f64_e64 s[0:1], s[56:57], v[6:7]
	v_cmp_ngt_f64_e64 s[2:3], s[58:59], v[6:7]
	v_cndmask_b32_e64 v15, v133, v15, s[0:1]
	s_and_b64 s[0:1], s[2:3], s[0:1]
	v_cndmask_b32_e64 v14, 0, v14, s[0:1]
	v_cmp_eq_f64_e64 s[0:1], s[56:57], v[10:11]
	v_cndmask_b32_e64 v10, v16, v134, s[0:1]
	v_pk_mov_b32 v[16:17], v[46:47], v[46:47] op_sel:[0,1]
	v_fmac_f64_e32 v[16:17], s[60:61], v[12:13]
	v_pk_mov_b32 v[64:65], v[48:49], v[48:49] op_sel:[0,1]
	v_fmac_f64_e32 v[64:65], v[12:13], v[16:17]
	;; [unrolled: 2-line block ×3, first 2 shown]
	v_pk_mov_b32 v[64:65], v[52:53], v[52:53] op_sel:[0,1]
	v_mov_b32_e32 v55, v35
	v_fmac_f64_e32 v[64:65], v[12:13], v[16:17]
	v_pk_mov_b32 v[16:17], v[54:55], v[54:55] op_sel:[0,1]
	v_mov_b32_e32 v57, v37
	v_fmac_f64_e32 v[16:17], v[12:13], v[64:65]
	;; [unrolled: 3-line block ×5, first 2 shown]
	v_pk_mov_b32 v[16:17], v[62:63], v[62:63] op_sel:[0,1]
	v_fmac_f64_e32 v[16:17], v[12:13], v[64:65]
	v_fma_f64 v[16:17], v[12:13], v[16:17], 0.5
	v_ldexp_f64 v[10:11], 1.0, v10
	v_mul_f64 v[16:17], v[12:13], v[16:17]
	v_fmac_f64_e32 v[12:13], v[12:13], v[16:17]
	v_add_f64 v[16:17], v[10:11], -1.0
	v_fmac_f64_e32 v[16:17], v[10:11], v[12:13]
	v_add_f64 v[10:11], v[16:17], v[16:17]
	s_mov_b32 s64, s46
	v_cndmask_b32_e64 v15, 0, v15, s[2:3]
	v_cndmask_b32_e64 v10, v16, v10, s[0:1]
	;; [unrolled: 1-line block ×3, first 2 shown]
	v_cmp_nlt_f64_e64 s[0:1], s[64:65], v[6:7]
	v_cmp_ngt_f64_e64 s[2:3], s[66:67], v[6:7]
	v_cndmask_b32_e64 v11, v133, v11, s[0:1]
	s_and_b64 s[0:1], s[2:3], s[0:1]
	v_cndmask_b32_e64 v7, v135, v11, s[2:3]
	v_cndmask_b32_e64 v6, 0, v10, s[0:1]
	v_mul_f64 v[10:11], v[104:105], v[104:105]
	v_pk_mov_b32 v[66:67], s[68:69], s[68:69] op_sel:[0,1]
	v_mul_f64 v[12:13], v[10:11], 0.5
	v_fma_f64 v[68:69], s[70:71], v[10:11], v[66:67]
	v_add_f64 v[16:17], -v[12:13], 1.0
	v_fma_f64 v[68:69], v[10:11], v[68:69], s[72:73]
	v_fma_f64 v[68:69], v[10:11], v[68:69], s[62:63]
	v_add_f64 v[70:71], -v[16:17], 1.0
	v_fma_f64 v[68:69], v[10:11], v[68:69], s[74:75]
	v_add_f64 v[12:13], v[70:71], -v[12:13]
	v_mul_f64 v[64:65], v[10:11], v[10:11]
	v_fma_f64 v[68:69], v[10:11], v[68:69], s[54:55]
	v_fma_f64 v[12:13], v[104:105], -v[106:107], v[12:13]
	v_fmac_f64_e32 v[12:13], v[64:65], v[68:69]
	v_pk_mov_b32 v[64:65], s[76:77], s[76:77] op_sel:[0,1]
	v_fma_f64 v[68:69], s[78:79], v[10:11], v[64:65]
	v_fma_f64 v[68:69], v[10:11], v[68:69], s[80:81]
	v_fma_f64 v[68:69], v[10:11], v[68:69], s[82:83]
	v_add_f64 v[12:13], v[16:17], v[12:13]
	v_mul_f64 v[16:17], v[104:105], -v[10:11]
	v_fma_f64 v[68:69], v[10:11], v[68:69], s[52:53]
	v_mul_f64 v[70:71], v[106:107], 0.5
	v_fmac_f64_e32 v[70:71], v[16:17], v[68:69]
	v_fma_f64 v[10:11], v[10:11], v[70:71], -v[106:107]
	s_mov_b32 s84, s54
	v_and_b32_e32 v19, 1, v145
	v_fmac_f64_e32 v[10:11], s[84:85], v[16:17]
	v_add_f64 v[10:11], v[104:105], -v[10:11]
	v_cmp_eq_u32_e64 s[0:1], 0, v19
	v_xor_b32_e32 v11, 0x80000000, v11
	v_cndmask_b32_e64 v10, v10, v12, s[0:1]
	v_lshlrev_b32_e32 v12, 30, v145
	v_cndmask_b32_e64 v11, v11, v13, s[0:1]
	v_and_b32_e32 v12, 0x80000000, v12
	v_xor_b32_e32 v11, v11, v12
	v_mul_f64 v[12:13], v[86:87], v[86:87]
	v_fma_f64 v[68:69], s[78:79], v[12:13], v[64:65]
	v_fma_f64 v[68:69], v[12:13], v[68:69], s[80:81]
	;; [unrolled: 1-line block ×3, first 2 shown]
	v_mul_f64 v[16:17], v[86:87], -v[12:13]
	v_fma_f64 v[68:69], v[12:13], v[68:69], s[52:53]
	v_mul_f64 v[70:71], v[88:89], 0.5
	v_fmac_f64_e32 v[70:71], v[16:17], v[68:69]
	v_fma_f64 v[68:69], v[12:13], v[70:71], -v[88:89]
	v_fma_f64 v[74:75], s[70:71], v[12:13], v[66:67]
	v_fmac_f64_e32 v[68:69], s[84:85], v[16:17]
	v_fma_f64 v[74:75], v[12:13], v[74:75], s[72:73]
	v_add_f64 v[16:17], v[86:87], -v[68:69]
	v_mul_f64 v[68:69], v[12:13], 0.5
	v_fma_f64 v[74:75], v[12:13], v[74:75], s[62:63]
	v_add_f64 v[70:71], -v[68:69], 1.0
	v_fma_f64 v[74:75], v[12:13], v[74:75], s[74:75]
	v_mul_f64 v[72:73], v[12:13], v[12:13]
	v_fma_f64 v[12:13], v[12:13], v[74:75], s[54:55]
	v_add_f64 v[74:75], -v[70:71], 1.0
	v_add_f64 v[68:69], v[74:75], -v[68:69]
	v_fma_f64 v[68:69], v[86:87], -v[88:89], v[68:69]
	v_cmp_class_f64_e64 s[0:1], v[8:9], s92
	v_and_b32_e32 v8, 1, v141
	v_fmac_f64_e32 v[68:69], v[72:73], v[12:13]
	v_add_f64 v[12:13], v[70:71], v[68:69]
	v_cmp_eq_u32_e64 s[2:3], 0, v8
	v_cndmask_b32_e64 v8, v12, v16, s[2:3]
	v_cndmask_b32_e64 v12, v13, v17, s[2:3]
	v_lshlrev_b32_e32 v13, 30, v141
	v_xor_b32_e32 v13, v13, v77
	v_and_b32_e32 v13, 0x80000000, v13
	v_xor_b32_e32 v13, v12, v13
	v_cmp_class_f64_e64 s[2:3], v[76:77], s92
	v_cndmask_b32_e64 v12, 0, v8, s[2:3]
	v_cndmask_b32_e64 v13, v136, v13, s[2:3]
	v_add_f64 v[16:17], v[12:13], v[12:13]
	v_cndmask_b32_e64 v10, 0, v10, s[0:1]
	v_cndmask_b32_e64 v11, v136, v11, s[0:1]
	v_mul_f64 v[12:13], v[16:17], v[12:13]
	v_fma_f64 v[6:7], v[6:7], v[10:11], -v[12:13]
	v_mul_f64 v[10:11], v[108:109], v[108:109]
	v_mul_f64 v[12:13], v[10:11], 0.5
	v_fmac_f64_e32 v[66:67], s[70:71], v[10:11]
	v_add_f64 v[16:17], -v[12:13], 1.0
	v_fma_f64 v[66:67], v[10:11], v[66:67], s[72:73]
	v_add_f64 v[68:69], -v[16:17], 1.0
	v_fma_f64 v[66:67], v[10:11], v[66:67], s[62:63]
	v_add_f64 v[12:13], v[68:69], -v[12:13]
	v_fma_f64 v[66:67], v[10:11], v[66:67], s[74:75]
	v_mul_f64 v[68:69], v[10:11], v[10:11]
	v_fma_f64 v[66:67], v[10:11], v[66:67], s[54:55]
	v_fma_f64 v[12:13], v[108:109], -v[110:111], v[12:13]
	v_fmac_f64_e32 v[12:13], v[68:69], v[66:67]
	v_fmac_f64_e32 v[64:65], s[78:79], v[10:11]
	v_add_f64 v[12:13], v[16:17], v[12:13]
	v_fma_f64 v[16:17], v[10:11], v[64:65], s[80:81]
	v_fma_f64 v[16:17], v[10:11], v[16:17], s[82:83]
	;; [unrolled: 1-line block ×3, first 2 shown]
	v_mul_f64 v[64:65], v[108:109], -v[10:11]
	v_mul_f64 v[66:67], v[110:111], 0.5
	v_fmac_f64_e32 v[66:67], v[64:65], v[16:17]
	v_fma_f64 v[10:11], v[10:11], v[66:67], -v[110:111]
	v_fmac_f64_e32 v[10:11], s[84:85], v[64:65]
	v_and_b32_e32 v8, 1, v146
	v_add_f64 v[10:11], v[108:109], -v[10:11]
	v_cmp_eq_u32_e64 s[2:3], 0, v8
	v_cndmask_b32_e64 v8, v12, v10, s[2:3]
	v_cndmask_b32_e64 v10, v13, v11, s[2:3]
	v_lshlrev_b32_e32 v11, 30, v146
	v_xor_b32_e32 v9, v11, v9
	v_and_b32_e32 v9, 0x80000000, v9
	v_xor_b32_e32 v9, v10, v9
	v_cndmask_b32_e64 v8, 0, v8, s[0:1]
	v_cndmask_b32_e64 v9, v136, v9, s[0:1]
	v_mov_b32_e32 v11, s88
	v_add_co_u32_e64 v10, s[0:1], s33, v26
	v_mul_f64 v[8:9], v[14:15], v[8:9]
	v_addc_co_u32_e64 v11, s[0:1], v11, v1, s[0:1]
	global_store_dwordx4 v[10:11], v[6:9], off offset:-8
	s_or_b64 exec, exec, s[6:7]
	s_and_saveexec_b64 s[2:3], vcc
	s_cbranch_execz .LBB150_3
	s_branch .LBB150_67
.LBB150_62:                             ;   in Loop: Header=BB150_4 Depth=1
	s_andn2_saveexec_b64 s[8:9], s[12:13]
	s_cbranch_execz .LBB150_58
.LBB150_63:                             ;   in Loop: Header=BB150_4 Depth=1
	v_mul_f64 v[116:117], |v[4:5]|, s[38:39]
	v_rndne_f64_e32 v[120:121], v[116:117]
	v_fma_f64 v[116:117], v[120:121], s[30:31], |v[4:5]|
	v_mul_f64 v[122:123], v[120:121], s[40:41]
	v_add_f64 v[126:127], v[116:117], v[122:123]
	v_fma_f64 v[118:119], s[40:41], v[120:121], v[116:117]
	s_mov_b32 s34, s40
	v_add_f64 v[116:117], v[116:117], -v[126:127]
	v_fma_f64 v[124:125], s[34:35], v[120:121], v[122:123]
	v_add_f64 v[116:117], v[116:117], v[122:123]
	v_add_f64 v[122:123], v[126:127], -v[118:119]
	v_add_f64 v[116:117], v[122:123], v[116:117]
	v_add_f64 v[122:123], v[116:117], -v[124:125]
	v_fmac_f64_e32 v[122:123], s[42:43], v[120:121]
	v_add_f64 v[116:117], v[118:119], v[122:123]
	v_add_f64 v[118:119], v[116:117], -v[118:119]
	v_add_f64 v[118:119], v[122:123], -v[118:119]
	v_cvt_i32_f64_e32 v148, v[120:121]
	s_or_b64 exec, exec, s[8:9]
	s_and_saveexec_b64 s[8:9], s[6:7]
	s_xor_b64 s[10:11], exec, s[8:9]
	s_cbranch_execnz .LBB150_59
.LBB150_64:                             ;   in Loop: Header=BB150_4 Depth=1
	s_or_b64 exec, exec, s[10:11]
	s_and_saveexec_b64 s[8:9], s[2:3]
	s_cbranch_execz .LBB150_60
.LBB150_65:                             ;   in Loop: Header=BB150_4 Depth=1
	v_mul_f64 v[14:15], v[10:11], s[44:45]
	v_rndne_f64_e32 v[14:15], v[14:15]
	v_fma_f64 v[16:17], s[46:47], v[14:15], v[10:11]
	v_fmac_f64_e32 v[16:17], s[48:49], v[14:15]
	v_pk_mov_b32 v[64:65], v[28:29], v[28:29] op_sel:[0,1]
	v_fmac_f64_e32 v[64:65], s[50:51], v[16:17]
	v_pk_mov_b32 v[66:67], v[30:31], v[30:31] op_sel:[0,1]
	;; [unrolled: 2-line block ×9, first 2 shown]
	v_fmac_f64_e32 v[64:65], v[16:17], v[66:67]
	v_fma_f64 v[64:65], v[16:17], v[64:65], 1.0
	v_fma_f64 v[64:65], v[16:17], v[64:65], 1.0
	v_cvt_i32_f64_e32 v19, v[14:15]
	v_pk_mov_b32 v[66:67], v[46:47], v[46:47] op_sel:[0,1]
	v_ldexp_f64 v[64:65], v[64:65], v19
	v_cmp_nlt_f64_e64 s[2:3], s[56:57], v[10:11]
	v_fmac_f64_e32 v[66:67], s[60:61], v[16:17]
	v_pk_mov_b32 v[68:69], v[48:49], v[48:49] op_sel:[0,1]
	v_cndmask_b32_e64 v55, v133, v65, s[2:3]
	v_cmp_ngt_f64_e64 s[6:7], s[58:59], v[10:11]
	v_fmac_f64_e32 v[68:69], v[16:17], v[66:67]
	v_pk_mov_b32 v[66:67], v[50:51], v[50:51] op_sel:[0,1]
	v_cndmask_b32_e64 v65, 0, v55, s[6:7]
	v_fmac_f64_e32 v[66:67], v[16:17], v[68:69]
	v_pk_mov_b32 v[68:69], v[52:53], v[52:53] op_sel:[0,1]
	v_mov_b32_e32 v55, v35
	v_fmac_f64_e32 v[68:69], v[16:17], v[66:67]
	v_pk_mov_b32 v[66:67], v[54:55], v[54:55] op_sel:[0,1]
	v_mov_b32_e32 v57, v37
	;; [unrolled: 3-line block ×5, first 2 shown]
	s_and_b64 s[2:3], s[6:7], s[2:3]
	v_fmac_f64_e32 v[68:69], v[16:17], v[66:67]
	v_pk_mov_b32 v[66:67], v[62:63], v[62:63] op_sel:[0,1]
	v_cndmask_b32_e64 v64, 0, v64, s[2:3]
	v_cmp_eq_f64_e64 s[2:3], s[56:57], v[14:15]
	v_fmac_f64_e32 v[66:67], v[16:17], v[68:69]
	v_cndmask_b32_e64 v14, v19, v134, s[2:3]
	v_fma_f64 v[66:67], v[16:17], v[66:67], 0.5
	v_ldexp_f64 v[14:15], 1.0, v14
	v_mul_f64 v[66:67], v[16:17], v[66:67]
	v_fmac_f64_e32 v[16:17], v[16:17], v[66:67]
	v_add_f64 v[66:67], v[14:15], -1.0
	v_fmac_f64_e32 v[66:67], v[14:15], v[16:17]
	v_add_f64 v[14:15], v[66:67], v[66:67]
	s_mov_b32 s64, s46
	v_cndmask_b32_e64 v14, v66, v14, s[2:3]
	v_cndmask_b32_e64 v15, v67, v15, s[2:3]
	v_cmp_nlt_f64_e64 s[2:3], s[64:65], v[10:11]
	v_cmp_ngt_f64_e64 s[6:7], s[66:67], v[10:11]
	v_cndmask_b32_e64 v15, v133, v15, s[2:3]
	s_and_b64 s[2:3], s[6:7], s[2:3]
	v_cndmask_b32_e64 v11, v135, v15, s[6:7]
	v_cndmask_b32_e64 v10, 0, v14, s[2:3]
	v_mul_f64 v[14:15], v[92:93], v[92:93]
	v_pk_mov_b32 v[78:79], s[68:69], s[68:69] op_sel:[0,1]
	v_mul_f64 v[16:17], v[14:15], 0.5
	v_fma_f64 v[80:81], s[70:71], v[14:15], v[78:79]
	v_add_f64 v[66:67], -v[16:17], 1.0
	v_fma_f64 v[80:81], v[14:15], v[80:81], s[72:73]
	v_fma_f64 v[80:81], v[14:15], v[80:81], s[62:63]
	v_add_f64 v[82:83], -v[66:67], 1.0
	v_fma_f64 v[80:81], v[14:15], v[80:81], s[74:75]
	v_add_f64 v[16:17], v[82:83], -v[16:17]
	v_mul_f64 v[68:69], v[14:15], v[14:15]
	v_fma_f64 v[80:81], v[14:15], v[80:81], s[54:55]
	v_fma_f64 v[16:17], v[92:93], -v[94:95], v[16:17]
	v_fmac_f64_e32 v[16:17], v[68:69], v[80:81]
	v_pk_mov_b32 v[68:69], s[76:77], s[76:77] op_sel:[0,1]
	v_fma_f64 v[80:81], s[78:79], v[14:15], v[68:69]
	v_fma_f64 v[80:81], v[14:15], v[80:81], s[80:81]
	;; [unrolled: 1-line block ×3, first 2 shown]
	v_add_f64 v[16:17], v[66:67], v[16:17]
	v_mul_f64 v[66:67], v[92:93], -v[14:15]
	v_fma_f64 v[80:81], v[14:15], v[80:81], s[52:53]
	v_mul_f64 v[82:83], v[94:95], 0.5
	v_fmac_f64_e32 v[82:83], v[66:67], v[80:81]
	v_fma_f64 v[14:15], v[14:15], v[82:83], -v[94:95]
	s_mov_b32 s84, s54
	v_and_b32_e32 v19, 1, v142
	v_fmac_f64_e32 v[14:15], s[84:85], v[66:67]
	v_add_f64 v[14:15], v[92:93], -v[14:15]
	v_cmp_eq_u32_e64 s[2:3], 0, v19
	v_xor_b32_e32 v15, 0x80000000, v15
	v_cndmask_b32_e64 v14, v14, v16, s[2:3]
	v_lshlrev_b32_e32 v16, 30, v142
	v_cndmask_b32_e64 v15, v15, v17, s[2:3]
	v_and_b32_e32 v16, 0x80000000, v16
	v_xor_b32_e32 v15, v15, v16
	v_mul_f64 v[16:17], v[72:73], v[72:73]
	v_fma_f64 v[80:81], s[78:79], v[16:17], v[68:69]
	v_fma_f64 v[80:81], v[16:17], v[80:81], s[80:81]
	;; [unrolled: 1-line block ×3, first 2 shown]
	v_mul_f64 v[66:67], v[72:73], -v[16:17]
	v_fma_f64 v[80:81], v[16:17], v[80:81], s[52:53]
	v_mul_f64 v[82:83], v[74:75], 0.5
	v_fmac_f64_e32 v[82:83], v[66:67], v[80:81]
	v_fma_f64 v[80:81], v[16:17], v[82:83], -v[74:75]
	v_fma_f64 v[92:93], s[70:71], v[16:17], v[78:79]
	v_fmac_f64_e32 v[80:81], s[84:85], v[66:67]
	v_fma_f64 v[92:93], v[16:17], v[92:93], s[72:73]
	v_add_f64 v[66:67], v[72:73], -v[80:81]
	v_mul_f64 v[80:81], v[16:17], 0.5
	v_fma_f64 v[92:93], v[16:17], v[92:93], s[62:63]
	v_add_f64 v[82:83], -v[80:81], 1.0
	v_fma_f64 v[92:93], v[16:17], v[92:93], s[74:75]
	v_mul_f64 v[84:85], v[16:17], v[16:17]
	v_fma_f64 v[16:17], v[16:17], v[92:93], s[54:55]
	v_add_f64 v[92:93], -v[82:83], 1.0
	v_add_f64 v[80:81], v[92:93], -v[80:81]
	v_fma_f64 v[72:73], v[72:73], -v[74:75], v[80:81]
	v_cmp_class_f64_e64 s[2:3], v[12:13], s92
	v_and_b32_e32 v12, 1, v138
	v_fmac_f64_e32 v[72:73], v[84:85], v[16:17]
	v_add_f64 v[16:17], v[82:83], v[72:73]
	v_cmp_eq_u32_e64 s[6:7], 0, v12
	v_cndmask_b32_e64 v12, v16, v66, s[6:7]
	v_cndmask_b32_e64 v16, v17, v67, s[6:7]
	v_lshlrev_b32_e32 v17, 30, v138
	v_xor_b32_e32 v17, v17, v71
	v_and_b32_e32 v17, 0x80000000, v17
	v_xor_b32_e32 v17, v16, v17
	v_cmp_class_f64_e64 s[6:7], v[70:71], s92
	v_cndmask_b32_e64 v16, 0, v12, s[6:7]
	v_cndmask_b32_e64 v17, v136, v17, s[6:7]
	v_add_f64 v[66:67], v[16:17], v[16:17]
	v_cndmask_b32_e64 v14, 0, v14, s[2:3]
	v_cndmask_b32_e64 v15, v136, v15, s[2:3]
	v_mul_f64 v[16:17], v[66:67], v[16:17]
	v_fma_f64 v[10:11], v[10:11], v[14:15], -v[16:17]
	v_mul_f64 v[14:15], v[96:97], v[96:97]
	v_mul_f64 v[16:17], v[14:15], 0.5
	v_fmac_f64_e32 v[78:79], s[70:71], v[14:15]
	v_add_f64 v[66:67], -v[16:17], 1.0
	v_fma_f64 v[72:73], v[14:15], v[78:79], s[72:73]
	v_add_f64 v[70:71], -v[66:67], 1.0
	v_fma_f64 v[72:73], v[14:15], v[72:73], s[62:63]
	v_add_f64 v[16:17], v[70:71], -v[16:17]
	v_fma_f64 v[72:73], v[14:15], v[72:73], s[74:75]
	v_mul_f64 v[70:71], v[14:15], v[14:15]
	v_fma_f64 v[72:73], v[14:15], v[72:73], s[54:55]
	v_fma_f64 v[16:17], v[96:97], -v[98:99], v[16:17]
	v_fmac_f64_e32 v[16:17], v[70:71], v[72:73]
	v_fmac_f64_e32 v[68:69], s[78:79], v[14:15]
	v_add_f64 v[16:17], v[66:67], v[16:17]
	v_fma_f64 v[66:67], v[14:15], v[68:69], s[80:81]
	v_fma_f64 v[66:67], v[14:15], v[66:67], s[82:83]
	;; [unrolled: 1-line block ×3, first 2 shown]
	v_mul_f64 v[68:69], v[96:97], -v[14:15]
	v_mul_f64 v[70:71], v[98:99], 0.5
	v_fmac_f64_e32 v[70:71], v[68:69], v[66:67]
	v_fma_f64 v[14:15], v[14:15], v[70:71], -v[98:99]
	v_fmac_f64_e32 v[14:15], s[84:85], v[68:69]
	v_and_b32_e32 v12, 1, v143
	v_add_f64 v[14:15], v[96:97], -v[14:15]
	v_cmp_eq_u32_e64 s[6:7], 0, v12
	v_cndmask_b32_e64 v12, v16, v14, s[6:7]
	v_cndmask_b32_e64 v14, v17, v15, s[6:7]
	v_lshlrev_b32_e32 v15, 30, v143
	v_xor_b32_e32 v13, v15, v13
	v_and_b32_e32 v13, 0x80000000, v13
	v_xor_b32_e32 v13, v14, v13
	v_cndmask_b32_e64 v12, 0, v12, s[2:3]
	v_cndmask_b32_e64 v13, v136, v13, s[2:3]
	v_mov_b32_e32 v15, s88
	v_add_co_u32_e64 v14, s[2:3], s33, v24
	v_mul_f64 v[12:13], v[64:65], v[12:13]
	v_addc_co_u32_e64 v15, s[2:3], 0, v15, s[2:3]
	global_store_dwordx4 v[14:15], v[10:13], off
	s_or_b64 exec, exec, s[8:9]
	s_and_saveexec_b64 s[6:7], s[0:1]
	s_cbranch_execnz .LBB150_61
.LBB150_66:                             ;   in Loop: Header=BB150_4 Depth=1
	s_or_b64 exec, exec, s[6:7]
	s_and_saveexec_b64 s[2:3], vcc
	s_cbranch_execz .LBB150_3
.LBB150_67:                             ;   in Loop: Header=BB150_4 Depth=1
	v_mul_f64 v[6:7], v[2:3], s[44:45]
	v_rndne_f64_e32 v[6:7], v[6:7]
	v_fma_f64 v[8:9], s[46:47], v[6:7], v[2:3]
	v_fmac_f64_e32 v[8:9], s[48:49], v[6:7]
	v_pk_mov_b32 v[10:11], v[28:29], v[28:29] op_sel:[0,1]
	v_fmac_f64_e32 v[10:11], s[50:51], v[8:9]
	v_pk_mov_b32 v[12:13], v[30:31], v[30:31] op_sel:[0,1]
	;; [unrolled: 2-line block ×9, first 2 shown]
	v_fmac_f64_e32 v[10:11], v[8:9], v[12:13]
	v_fma_f64 v[10:11], v[8:9], v[10:11], 1.0
	v_fma_f64 v[10:11], v[8:9], v[10:11], 1.0
	v_cvt_i32_f64_e32 v12, v[6:7]
	v_ldexp_f64 v[10:11], v[10:11], v12
	v_cmp_nlt_f64_e32 vcc, s[56:57], v[2:3]
	v_cmp_ngt_f64_e64 s[0:1], s[58:59], v[2:3]
	v_cndmask_b32_e32 v11, v133, v11, vcc
	s_and_b64 vcc, s[0:1], vcc
	v_cndmask_b32_e32 v10, 0, v10, vcc
	v_cmp_eq_f64_e32 vcc, s[56:57], v[6:7]
	v_cndmask_b32_e32 v6, v12, v134, vcc
	v_pk_mov_b32 v[12:13], v[46:47], v[46:47] op_sel:[0,1]
	v_fmac_f64_e32 v[12:13], s[60:61], v[8:9]
	v_pk_mov_b32 v[14:15], v[48:49], v[48:49] op_sel:[0,1]
	v_fmac_f64_e32 v[14:15], v[8:9], v[12:13]
	;; [unrolled: 2-line block ×3, first 2 shown]
	v_pk_mov_b32 v[14:15], v[52:53], v[52:53] op_sel:[0,1]
	v_mov_b32_e32 v55, v35
	v_fmac_f64_e32 v[14:15], v[8:9], v[12:13]
	v_pk_mov_b32 v[12:13], v[54:55], v[54:55] op_sel:[0,1]
	v_mov_b32_e32 v57, v37
	v_fmac_f64_e32 v[12:13], v[8:9], v[14:15]
	;; [unrolled: 3-line block ×5, first 2 shown]
	v_pk_mov_b32 v[12:13], v[62:63], v[62:63] op_sel:[0,1]
	v_fmac_f64_e32 v[12:13], v[8:9], v[14:15]
	v_fma_f64 v[12:13], v[8:9], v[12:13], 0.5
	v_ldexp_f64 v[6:7], 1.0, v6
	v_mul_f64 v[12:13], v[8:9], v[12:13]
	v_fmac_f64_e32 v[8:9], v[8:9], v[12:13]
	v_add_f64 v[12:13], v[6:7], -1.0
	v_fmac_f64_e32 v[12:13], v[6:7], v[8:9]
	v_add_f64 v[6:7], v[12:13], v[12:13]
	s_mov_b32 s64, s46
	v_cndmask_b32_e64 v11, 0, v11, s[0:1]
	v_cndmask_b32_e32 v6, v12, v6, vcc
	v_cndmask_b32_e32 v7, v13, v7, vcc
	v_cmp_nlt_f64_e32 vcc, s[64:65], v[2:3]
	v_cmp_ngt_f64_e64 s[0:1], s[66:67], v[2:3]
	v_cndmask_b32_e32 v7, v133, v7, vcc
	s_and_b64 vcc, s[0:1], vcc
	v_cndmask_b32_e64 v3, v135, v7, s[0:1]
	v_cndmask_b32_e32 v2, 0, v6, vcc
	v_mul_f64 v[6:7], v[112:113], v[112:113]
	v_pk_mov_b32 v[16:17], s[68:69], s[68:69] op_sel:[0,1]
	v_mul_f64 v[8:9], v[6:7], 0.5
	v_fma_f64 v[64:65], s[70:71], v[6:7], v[16:17]
	v_add_f64 v[12:13], -v[8:9], 1.0
	v_fma_f64 v[64:65], v[6:7], v[64:65], s[72:73]
	v_fma_f64 v[64:65], v[6:7], v[64:65], s[62:63]
	v_add_f64 v[66:67], -v[12:13], 1.0
	v_fma_f64 v[64:65], v[6:7], v[64:65], s[74:75]
	v_add_f64 v[8:9], v[66:67], -v[8:9]
	v_mul_f64 v[14:15], v[6:7], v[6:7]
	v_fma_f64 v[64:65], v[6:7], v[64:65], s[54:55]
	v_fma_f64 v[8:9], v[112:113], -v[114:115], v[8:9]
	v_fmac_f64_e32 v[8:9], v[14:15], v[64:65]
	v_pk_mov_b32 v[14:15], s[76:77], s[76:77] op_sel:[0,1]
	v_fma_f64 v[64:65], s[78:79], v[6:7], v[14:15]
	v_fma_f64 v[64:65], v[6:7], v[64:65], s[80:81]
	;; [unrolled: 1-line block ×3, first 2 shown]
	v_add_f64 v[8:9], v[12:13], v[8:9]
	v_mul_f64 v[12:13], v[112:113], -v[6:7]
	v_fma_f64 v[64:65], v[6:7], v[64:65], s[52:53]
	v_mul_f64 v[66:67], v[114:115], 0.5
	v_fmac_f64_e32 v[66:67], v[12:13], v[64:65]
	v_fma_f64 v[6:7], v[6:7], v[66:67], -v[114:115]
	s_mov_b32 s84, s54
	v_and_b32_e32 v19, 1, v147
	v_fmac_f64_e32 v[6:7], s[84:85], v[12:13]
	v_add_f64 v[6:7], v[112:113], -v[6:7]
	v_cmp_eq_u32_e32 vcc, 0, v19
	v_xor_b32_e32 v7, 0x80000000, v7
	v_cndmask_b32_e32 v6, v6, v8, vcc
	v_lshlrev_b32_e32 v8, 30, v147
	v_cndmask_b32_e32 v7, v7, v9, vcc
	v_and_b32_e32 v8, 0x80000000, v8
	v_xor_b32_e32 v7, v7, v8
	v_mul_f64 v[8:9], v[100:101], v[100:101]
	v_fma_f64 v[64:65], s[78:79], v[8:9], v[14:15]
	v_fma_f64 v[64:65], v[8:9], v[64:65], s[80:81]
	;; [unrolled: 1-line block ×3, first 2 shown]
	v_mul_f64 v[12:13], v[100:101], -v[8:9]
	v_fma_f64 v[64:65], v[8:9], v[64:65], s[52:53]
	v_mul_f64 v[66:67], v[102:103], 0.5
	v_fmac_f64_e32 v[66:67], v[12:13], v[64:65]
	v_fma_f64 v[64:65], v[8:9], v[66:67], -v[102:103]
	v_fma_f64 v[70:71], s[70:71], v[8:9], v[16:17]
	v_fmac_f64_e32 v[64:65], s[84:85], v[12:13]
	v_fma_f64 v[70:71], v[8:9], v[70:71], s[72:73]
	v_add_f64 v[12:13], v[100:101], -v[64:65]
	v_mul_f64 v[64:65], v[8:9], 0.5
	v_fma_f64 v[70:71], v[8:9], v[70:71], s[62:63]
	v_add_f64 v[66:67], -v[64:65], 1.0
	v_fma_f64 v[70:71], v[8:9], v[70:71], s[74:75]
	v_mul_f64 v[68:69], v[8:9], v[8:9]
	v_fma_f64 v[8:9], v[8:9], v[70:71], s[54:55]
	v_add_f64 v[70:71], -v[66:67], 1.0
	v_add_f64 v[64:65], v[70:71], -v[64:65]
	v_fma_f64 v[64:65], v[100:101], -v[102:103], v[64:65]
	v_cmp_class_f64_e64 vcc, v[4:5], s92
	v_and_b32_e32 v4, 1, v144
	v_fmac_f64_e32 v[64:65], v[68:69], v[8:9]
	v_add_f64 v[8:9], v[66:67], v[64:65]
	v_cmp_eq_u32_e64 s[0:1], 0, v4
	v_cndmask_b32_e64 v4, v8, v12, s[0:1]
	v_cndmask_b32_e64 v8, v9, v13, s[0:1]
	v_lshlrev_b32_e32 v9, 30, v144
	v_xor_b32_e32 v9, v9, v91
	v_and_b32_e32 v9, 0x80000000, v9
	v_xor_b32_e32 v9, v8, v9
	v_cmp_class_f64_e64 s[0:1], v[90:91], s92
	v_cndmask_b32_e64 v8, 0, v4, s[0:1]
	v_cndmask_b32_e64 v9, v136, v9, s[0:1]
	v_add_f64 v[12:13], v[8:9], v[8:9]
	v_cndmask_b32_e32 v6, 0, v6, vcc
	v_cndmask_b32_e32 v7, v136, v7, vcc
	v_mul_f64 v[8:9], v[12:13], v[8:9]
	v_fma_f64 v[2:3], v[2:3], v[6:7], -v[8:9]
	v_mul_f64 v[6:7], v[116:117], v[116:117]
	v_mul_f64 v[8:9], v[6:7], 0.5
	v_fmac_f64_e32 v[16:17], s[70:71], v[6:7]
	v_add_f64 v[12:13], -v[8:9], 1.0
	v_fma_f64 v[16:17], v[6:7], v[16:17], s[72:73]
	v_add_f64 v[64:65], -v[12:13], 1.0
	v_fma_f64 v[16:17], v[6:7], v[16:17], s[62:63]
	v_add_f64 v[8:9], v[64:65], -v[8:9]
	v_fma_f64 v[16:17], v[6:7], v[16:17], s[74:75]
	v_mul_f64 v[64:65], v[6:7], v[6:7]
	v_fma_f64 v[16:17], v[6:7], v[16:17], s[54:55]
	v_fma_f64 v[8:9], v[116:117], -v[118:119], v[8:9]
	v_fmac_f64_e32 v[8:9], v[64:65], v[16:17]
	v_fmac_f64_e32 v[14:15], s[78:79], v[6:7]
	v_add_f64 v[8:9], v[12:13], v[8:9]
	v_fma_f64 v[12:13], v[6:7], v[14:15], s[80:81]
	v_fma_f64 v[12:13], v[6:7], v[12:13], s[82:83]
	v_fma_f64 v[12:13], v[6:7], v[12:13], s[52:53]
	v_mul_f64 v[14:15], v[116:117], -v[6:7]
	v_mul_f64 v[16:17], v[118:119], 0.5
	v_fmac_f64_e32 v[16:17], v[14:15], v[12:13]
	v_fma_f64 v[6:7], v[6:7], v[16:17], -v[118:119]
	v_fmac_f64_e32 v[6:7], s[84:85], v[14:15]
	v_and_b32_e32 v4, 1, v148
	v_add_f64 v[6:7], v[116:117], -v[6:7]
	v_cmp_eq_u32_e64 s[0:1], 0, v4
	v_cndmask_b32_e64 v4, v8, v6, s[0:1]
	v_cndmask_b32_e64 v6, v9, v7, s[0:1]
	v_lshlrev_b32_e32 v7, 30, v148
	v_xor_b32_e32 v5, v7, v5
	v_and_b32_e32 v5, 0x80000000, v5
	v_xor_b32_e32 v5, v6, v5
	v_cndmask_b32_e32 v4, 0, v4, vcc
	v_cndmask_b32_e32 v5, v136, v5, vcc
	v_mov_b32_e32 v7, s88
	v_add_co_u32_e32 v6, vcc, s33, v22
	v_mul_f64 v[4:5], v[10:11], v[4:5]
	v_addc_co_u32_e32 v7, vcc, v7, v23, vcc
	global_store_dwordx4 v[6:7], v[2:5], off offset:-8
	s_branch .LBB150_3
.LBB150_68:
	s_cbranch_execz .LBB150_70
	s_branch .LBB150_121
.LBB150_69:
.LBB150_70:
	v_mov_b32_e32 v16, 0
	v_lshlrev_b32_e32 v2, 2, v0
	v_mov_b32_e32 v3, v16
                                        ; implicit-def: $vgpr160 : SGPR spill to VGPR lane
	s_mov_b32 s37, 0
	v_writelane_b32 v160, s94, 0
	v_cmp_gt_i64_e32 vcc, s[94:95], v[2:3]
	v_writelane_b32 v160, s95, 1
	s_and_saveexec_b64 s[0:1], vcc
	s_cbranch_execz .LBB150_121
; %bb.71:
	s_load_dword s0, s[4:5], 0xd3c
	v_lshlrev_b32_e32 v1, 6, v0
	s_mov_b32 s68, 0xfefa39ef
	s_mov_b32 s58, 0x14761f6e
	;; [unrolled: 1-line block ×3, first 2 shown]
	s_waitcnt lgkmcnt(0)
	s_and_b32 s0, s0, 0xffff
	s_lshl_b32 s1, s0, 2
	v_writelane_b32 v160, s1, 2
	s_add_u32 s1, s14, s16
	s_addc_u32 s2, s15, s17
	s_mov_b32 s74, 0x11122322
	s_mov_b32 s72, 0x555502a1
	;; [unrolled: 1-line block ×4, first 2 shown]
	v_add_lshl_u32 v18, v0, s0, 2
	v_mov_b32_e32 v0, s2
	v_add_co_u32_e32 v20, vcc, s1, v1
	s_lshl_b32 s0, s0, 6
	s_mov_b32 s4, 0
	s_mov_b32 s8, 0
	;; [unrolled: 1-line block ×37, first 2 shown]
	v_mov_b32_e32 v19, v16
	v_addc_co_u32_e32 v21, vcc, 0, v0, vcc
	v_writelane_b32 v160, s0, 3
	s_mov_b64 s[2:3], 0
	s_mov_b32 s5, 0x41d00000
	s_movk_i32 s33, 0xff80
	s_mov_b32 s9, 0x7ff00000
	s_mov_b32 s11, 0x3ff921fb
	;; [unrolled: 1-line block ×17, first 2 shown]
	s_movk_i32 s36, 0x1f8
	s_mov_b32 s70, 0x19f4ec90
	s_mov_b32 s72, 0x55555555
	;; [unrolled: 1-line block ×3, first 2 shown]
	v_mov_b32_e32 v88, 0x40100000
	v_mov_b32_e32 v89, 0x3ff00000
	;; [unrolled: 1-line block ×6, first 2 shown]
	s_mov_b32 s91, 0xbda907db
	s_mov_b32 s93, 0xbe927e4f
	;; [unrolled: 1-line block ×23, first 2 shown]
	v_writelane_b32 v160, s37, 4
	s_branch .LBB150_73
.LBB150_72:                             ;   in Loop: Header=BB150_73 Depth=1
	s_or_b64 exec, exec, s[0:1]
	s_mov_b32 s26, 0x652b82fe
	s_mov_b32 s27, 0x3ff71547
	v_mul_f64 v[68:69], v[12:13], s[26:27]
	v_rndne_f64_e32 v[78:79], v[68:69]
	s_mov_b32 s30, 0x3b39803f
	s_mov_b32 s0, 0xfca7ab0c
	v_fma_f64 v[82:83], s[42:43], v[78:79], v[12:13]
	s_mov_b32 s31, 0xbc7abc9e
	s_mov_b32 s1, 0x3e928af3
	v_fmac_f64_e32 v[82:83], s[30:31], v[78:79]
	v_pk_mov_b32 v[84:85], s[0:1], s[0:1] op_sel:[0,1]
	v_fma_f64 v[68:69], s[38:39], v[82:83], v[84:85]
	v_fma_f64 v[68:69], v[82:83], v[68:69], s[40:41]
	;; [unrolled: 1-line block ×9, first 2 shown]
	v_fma_f64 v[68:69], v[82:83], v[68:69], 1.0
	v_fma_f64 v[68:69], v[82:83], v[68:69], 1.0
	v_cvt_i32_f64_e32 v17, v[78:79]
	v_ldexp_f64 v[68:69], v[68:69], v17
	v_cmp_nlt_f64_e32 vcc, s[54:55], v[12:13]
	v_cndmask_b32_e32 v69, v90, v69, vcc
	v_cmp_ngt_f64_e64 s[0:1], s[80:81], v[12:13]
	v_cndmask_b32_e64 v69, 0, v69, s[0:1]
	s_and_b64 vcc, s[0:1], vcc
	s_mov_b32 s0, 0x2a1b768b
	s_mov_b32 s1, 0x3e5af4eb
	v_pk_mov_b32 v[86:87], s[0:1], s[0:1] op_sel:[0,1]
	v_fma_f64 v[106:107], s[82:83], v[82:83], v[86:87]
	v_fma_f64 v[106:107], v[82:83], v[106:107], s[84:85]
	;; [unrolled: 1-line block ×8, first 2 shown]
	v_cndmask_b32_e32 v68, 0, v68, vcc
	v_cmp_eq_f64_e32 vcc, s[54:55], v[78:79]
	v_fma_f64 v[106:107], v[82:83], v[106:107], s[66:67]
	v_cndmask_b32_e32 v17, v17, v91, vcc
	v_fma_f64 v[106:107], v[82:83], v[106:107], 0.5
	v_ldexp_f64 v[78:79], 1.0, v17
	v_mul_f64 v[106:107], v[82:83], v[106:107]
	v_fmac_f64_e32 v[82:83], v[82:83], v[106:107]
	v_add_f64 v[106:107], v[78:79], -1.0
	v_fmac_f64_e32 v[106:107], v[78:79], v[82:83]
	v_add_f64 v[78:79], v[106:107], v[106:107]
	v_cndmask_b32_e32 v17, v106, v78, vcc
	v_cndmask_b32_e32 v78, v107, v79, vcc
	v_cmp_nlt_f64_e32 vcc, s[68:69], v[12:13]
	v_cndmask_b32_e32 v78, v90, v78, vcc
	v_cmp_ngt_f64_e64 s[0:1], s[6:7], v[12:13]
	v_cndmask_b32_e64 v13, v92, v78, s[0:1]
	s_and_b64 vcc, s[0:1], vcc
	s_mov_b32 s0, 0x9037ab78
	s_mov_b32 s1, 0x3e21eeb6
	v_mul_f64 v[106:107], v[72:73], v[72:73]
	v_pk_mov_b32 v[78:79], s[0:1], s[0:1] op_sel:[0,1]
	v_mul_f64 v[82:83], v[106:107], 0.5
	v_fma_f64 v[112:113], s[90:91], v[106:107], v[78:79]
	v_add_f64 v[108:109], -v[82:83], 1.0
	v_fma_f64 v[112:113], v[106:107], v[112:113], s[92:93]
	v_fma_f64 v[112:113], v[106:107], v[112:113], s[70:71]
	v_add_f64 v[114:115], -v[108:109], 1.0
	v_fma_f64 v[112:113], v[106:107], v[112:113], s[94:95]
	v_add_f64 v[82:83], v[114:115], -v[82:83]
	v_mul_f64 v[110:111], v[106:107], v[106:107]
	v_fma_f64 v[112:113], v[106:107], v[112:113], s[72:73]
	v_fma_f64 v[82:83], v[72:73], -v[74:75], v[82:83]
	s_mov_b32 s0, 0xb42fdfa7
	v_fmac_f64_e32 v[82:83], v[110:111], v[112:113]
	s_mov_b32 s1, 0xbe5ae600
	v_add_f64 v[108:109], v[108:109], v[82:83]
	v_pk_mov_b32 v[82:83], s[0:1], s[0:1] op_sel:[0,1]
	v_fma_f64 v[112:113], s[88:89], v[106:107], v[82:83]
	v_fma_f64 v[112:113], v[106:107], v[112:113], s[78:79]
	v_fma_f64 v[112:113], v[106:107], v[112:113], s[12:13]
	v_mul_f64 v[110:111], v[72:73], -v[106:107]
	v_fma_f64 v[112:113], v[106:107], v[112:113], s[74:75]
	v_mul_f64 v[114:115], v[74:75], 0.5
	v_fmac_f64_e32 v[114:115], v[110:111], v[112:113]
	v_fma_f64 v[74:75], v[106:107], v[114:115], -v[74:75]
	v_fmac_f64_e32 v[74:75], s[34:35], v[110:111]
	v_cndmask_b32_e32 v12, 0, v17, vcc
	v_and_b32_e32 v17, 1, v104
	v_add_f64 v[72:73], v[72:73], -v[74:75]
	v_xor_b32_e32 v73, 0x80000000, v73
	v_cmp_eq_u32_e32 vcc, 0, v17
	v_cndmask_b32_e32 v17, v72, v108, vcc
	v_cndmask_b32_e32 v114, v73, v109, vcc
	v_mul_f64 v[72:73], v[58:59], v[58:59]
	v_fma_f64 v[106:107], s[88:89], v[72:73], v[82:83]
	v_fma_f64 v[106:107], v[72:73], v[106:107], s[78:79]
	;; [unrolled: 1-line block ×3, first 2 shown]
	v_mul_f64 v[74:75], v[58:59], -v[72:73]
	v_fma_f64 v[106:107], v[72:73], v[106:107], s[74:75]
	v_mul_f64 v[108:109], v[60:61], 0.5
	v_fmac_f64_e32 v[108:109], v[74:75], v[106:107]
	v_fma_f64 v[106:107], v[72:73], v[108:109], -v[60:61]
	v_fma_f64 v[112:113], s[90:91], v[72:73], v[78:79]
	v_fmac_f64_e32 v[106:107], s[34:35], v[74:75]
	v_fma_f64 v[112:113], v[72:73], v[112:113], s[92:93]
	v_add_f64 v[74:75], v[58:59], -v[106:107]
	v_mul_f64 v[106:107], v[72:73], 0.5
	v_fma_f64 v[112:113], v[72:73], v[112:113], s[70:71]
	v_add_f64 v[108:109], -v[106:107], 1.0
	v_fma_f64 v[112:113], v[72:73], v[112:113], s[94:95]
	v_mul_f64 v[110:111], v[72:73], v[72:73]
	v_fma_f64 v[72:73], v[72:73], v[112:113], s[72:73]
	v_add_f64 v[112:113], -v[108:109], 1.0
	v_add_f64 v[106:107], v[112:113], -v[106:107]
	v_fma_f64 v[58:59], v[58:59], -v[60:61], v[106:107]
	v_and_b32_e32 v115, 1, v102
	v_fmac_f64_e32 v[58:59], v[110:111], v[72:73]
	v_lshlrev_b32_e32 v60, 30, v102
	v_add_f64 v[58:59], v[108:109], v[58:59]
	v_cmp_eq_u32_e32 vcc, 0, v115
	v_xor_b32_e32 v60, v60, v57
	v_cndmask_b32_e32 v59, v59, v75, vcc
	v_and_b32_e32 v60, 0x80000000, v60
	v_cndmask_b32_e32 v58, v58, v74, vcc
	v_xor_b32_e32 v59, v59, v60
	v_cmp_class_f64_e64 vcc, v[56:57], s36
	v_cndmask_b32_e32 v56, 0, v58, vcc
	v_cndmask_b32_e32 v57, v93, v59, vcc
	v_mul_f64 v[58:59], v[76:77], v[76:77]
	v_mul_f64 v[60:61], v[58:59], 0.5
	v_fma_f64 v[106:107], s[90:91], v[58:59], v[78:79]
	v_add_f64 v[72:73], -v[60:61], 1.0
	v_fma_f64 v[106:107], v[58:59], v[106:107], s[92:93]
	v_add_f64 v[74:75], -v[72:73], 1.0
	v_fma_f64 v[106:107], v[58:59], v[106:107], s[70:71]
	v_add_f64 v[60:61], v[74:75], -v[60:61]
	v_fma_f64 v[106:107], v[58:59], v[106:107], s[94:95]
	v_mul_f64 v[74:75], v[58:59], v[58:59]
	v_fma_f64 v[106:107], v[58:59], v[106:107], s[72:73]
	v_fma_f64 v[60:61], v[76:77], -v[80:81], v[60:61]
	v_fmac_f64_e32 v[60:61], v[74:75], v[106:107]
	v_add_f64 v[60:61], v[72:73], v[60:61]
	v_fma_f64 v[72:73], s[88:89], v[58:59], v[82:83]
	v_fma_f64 v[72:73], v[58:59], v[72:73], s[78:79]
	v_fma_f64 v[72:73], v[58:59], v[72:73], s[12:13]
	v_fma_f64 v[72:73], v[58:59], v[72:73], s[74:75]
	v_mul_f64 v[74:75], v[76:77], -v[58:59]
	v_mul_f64 v[106:107], v[80:81], 0.5
	v_fmac_f64_e32 v[106:107], v[74:75], v[72:73]
	v_fma_f64 v[58:59], v[58:59], v[106:107], -v[80:81]
	v_fmac_f64_e32 v[58:59], s[34:35], v[74:75]
	v_and_b32_e32 v72, 1, v105
	v_add_f64 v[58:59], v[76:77], -v[58:59]
	v_cmp_eq_u32_e32 vcc, 0, v72
	v_cndmask_b32_e32 v60, v60, v58, vcc
	v_cndmask_b32_e32 v61, v61, v59, vcc
	v_cmp_class_f64_e64 vcc, v[14:15], s36
	v_lshlrev_b32_e32 v14, 30, v105
	v_xor_b32_e32 v14, v14, v15
	v_and_b32_e32 v14, 0x80000000, v14
	v_xor_b32_e32 v15, v61, v14
	v_cndmask_b32_e32 v14, 0, v60, vcc
	v_mul_f64 v[60:61], v[8:9], s[26:27]
	v_rndne_f64_e32 v[72:73], v[60:61]
	v_fma_f64 v[74:75], s[42:43], v[72:73], v[8:9]
	v_fmac_f64_e32 v[74:75], s[30:31], v[72:73]
	v_fma_f64 v[60:61], s[38:39], v[74:75], v[84:85]
	v_fma_f64 v[60:61], v[74:75], v[60:61], s[40:41]
	;; [unrolled: 1-line block ×11, first 2 shown]
	v_lshlrev_b32_e32 v58, 30, v104
	v_fma_f64 v[60:61], v[74:75], v[60:61], s[28:29]
	v_fma_f64 v[76:77], v[74:75], v[76:77], s[76:77]
	v_and_b32_e32 v58, 0x80000000, v58
	v_fma_f64 v[60:61], v[74:75], v[60:61], 1.0
	v_fma_f64 v[76:77], v[74:75], v[76:77], s[58:59]
	v_xor_b32_e32 v59, v114, v58
	v_cndmask_b32_e32 v58, 0, v17, vcc
	v_fma_f64 v[60:61], v[74:75], v[60:61], 1.0
	v_cvt_i32_f64_e32 v17, v[72:73]
	v_fma_f64 v[76:77], v[74:75], v[76:77], s[60:61]
	v_cndmask_b32_e32 v59, v93, v59, vcc
	v_cndmask_b32_e32 v15, v93, v15, vcc
	v_ldexp_f64 v[60:61], v[60:61], v17
	v_cmp_nlt_f64_e32 vcc, s[54:55], v[8:9]
	v_cmp_ngt_f64_e64 s[0:1], s[80:81], v[8:9]
	v_fma_f64 v[76:77], v[74:75], v[76:77], s[62:63]
	v_cndmask_b32_e32 v61, v90, v61, vcc
	s_and_b64 vcc, s[0:1], vcc
	v_fma_f64 v[76:77], v[74:75], v[76:77], s[64:65]
	v_cndmask_b32_e32 v60, 0, v60, vcc
	v_cmp_eq_f64_e32 vcc, s[54:55], v[72:73]
	v_fma_f64 v[76:77], v[74:75], v[76:77], s[66:67]
	v_cndmask_b32_e32 v17, v17, v91, vcc
	v_fma_f64 v[76:77], v[74:75], v[76:77], 0.5
	v_ldexp_f64 v[72:73], 1.0, v17
	v_mul_f64 v[76:77], v[74:75], v[76:77]
	v_fmac_f64_e32 v[74:75], v[74:75], v[76:77]
	v_add_f64 v[76:77], v[72:73], -1.0
	v_fmac_f64_e32 v[76:77], v[72:73], v[74:75]
	v_add_f64 v[72:73], v[76:77], v[76:77]
	v_cndmask_b32_e32 v17, v76, v72, vcc
	v_cndmask_b32_e32 v72, v77, v73, vcc
	v_cmp_nlt_f64_e32 vcc, s[68:69], v[8:9]
	v_cndmask_b32_e64 v61, 0, v61, s[0:1]
	v_cndmask_b32_e32 v72, v90, v72, vcc
	v_cmp_ngt_f64_e64 s[0:1], s[6:7], v[8:9]
	v_cndmask_b32_e64 v9, v92, v72, s[0:1]
	v_mul_f64 v[72:73], v[42:43], v[42:43]
	v_mul_f64 v[74:75], v[72:73], 0.5
	v_fma_f64 v[104:105], s[90:91], v[72:73], v[78:79]
	v_add_f64 v[76:77], -v[74:75], 1.0
	v_fma_f64 v[104:105], v[72:73], v[104:105], s[92:93]
	v_fma_f64 v[104:105], v[72:73], v[104:105], s[70:71]
	v_add_f64 v[106:107], -v[76:77], 1.0
	v_fma_f64 v[104:105], v[72:73], v[104:105], s[94:95]
	v_add_f64 v[74:75], v[106:107], -v[74:75]
	v_mul_f64 v[80:81], v[72:73], v[72:73]
	v_fma_f64 v[104:105], v[72:73], v[104:105], s[72:73]
	v_fma_f64 v[74:75], v[42:43], -v[44:45], v[74:75]
	v_fmac_f64_e32 v[74:75], v[80:81], v[104:105]
	v_fma_f64 v[80:81], s[88:89], v[72:73], v[82:83]
	v_fma_f64 v[80:81], v[72:73], v[80:81], s[78:79]
	;; [unrolled: 1-line block ×3, first 2 shown]
	v_add_f64 v[74:75], v[76:77], v[74:75]
	v_mul_f64 v[76:77], v[42:43], -v[72:73]
	v_fma_f64 v[80:81], v[72:73], v[80:81], s[74:75]
	v_mul_f64 v[104:105], v[44:45], 0.5
	v_fmac_f64_e32 v[104:105], v[76:77], v[80:81]
	v_fma_f64 v[44:45], v[72:73], v[104:105], -v[44:45]
	s_and_b64 vcc, s[0:1], vcc
	v_fmac_f64_e32 v[44:45], s[34:35], v[76:77]
	v_cndmask_b32_e32 v8, 0, v17, vcc
	v_and_b32_e32 v17, 1, v98
	v_add_f64 v[42:43], v[42:43], -v[44:45]
	v_xor_b32_e32 v43, 0x80000000, v43
	v_cmp_eq_u32_e32 vcc, 0, v17
	v_cndmask_b32_e32 v17, v42, v74, vcc
	v_cndmask_b32_e32 v102, v43, v75, vcc
	v_mul_f64 v[42:43], v[38:39], v[38:39]
	v_fma_f64 v[72:73], s[88:89], v[42:43], v[82:83]
	v_fma_f64 v[72:73], v[42:43], v[72:73], s[78:79]
	;; [unrolled: 1-line block ×3, first 2 shown]
	v_mul_f64 v[44:45], v[38:39], -v[42:43]
	v_fma_f64 v[72:73], v[42:43], v[72:73], s[74:75]
	v_mul_f64 v[74:75], v[40:41], 0.5
	v_fmac_f64_e32 v[74:75], v[44:45], v[72:73]
	v_fma_f64 v[72:73], v[42:43], v[74:75], -v[40:41]
	v_fma_f64 v[80:81], s[90:91], v[42:43], v[78:79]
	v_fmac_f64_e32 v[72:73], s[34:35], v[44:45]
	v_fma_f64 v[80:81], v[42:43], v[80:81], s[92:93]
	v_add_f64 v[44:45], v[38:39], -v[72:73]
	v_mul_f64 v[72:73], v[42:43], 0.5
	v_fma_f64 v[80:81], v[42:43], v[80:81], s[70:71]
	v_add_f64 v[74:75], -v[72:73], 1.0
	v_fma_f64 v[80:81], v[42:43], v[80:81], s[94:95]
	v_mul_f64 v[76:77], v[42:43], v[42:43]
	v_fma_f64 v[42:43], v[42:43], v[80:81], s[72:73]
	v_add_f64 v[80:81], -v[74:75], 1.0
	v_add_f64 v[72:73], v[80:81], -v[72:73]
	v_fma_f64 v[38:39], v[38:39], -v[40:41], v[72:73]
	v_and_b32_e32 v104, 1, v97
	v_fmac_f64_e32 v[38:39], v[76:77], v[42:43]
	v_lshlrev_b32_e32 v40, 30, v97
	v_add_f64 v[38:39], v[74:75], v[38:39]
	v_cmp_eq_u32_e32 vcc, 0, v104
	v_xor_b32_e32 v40, v40, v37
	v_cndmask_b32_e32 v39, v39, v45, vcc
	v_and_b32_e32 v40, 0x80000000, v40
	v_cndmask_b32_e32 v38, v38, v44, vcc
	v_xor_b32_e32 v39, v39, v40
	v_cmp_class_f64_e64 vcc, v[36:37], s36
	v_cndmask_b32_e32 v36, 0, v38, vcc
	v_cndmask_b32_e32 v37, v93, v39, vcc
	v_mul_f64 v[38:39], v[46:47], v[46:47]
	v_mul_f64 v[40:41], v[38:39], 0.5
	v_fma_f64 v[72:73], s[90:91], v[38:39], v[78:79]
	v_add_f64 v[42:43], -v[40:41], 1.0
	v_fma_f64 v[72:73], v[38:39], v[72:73], s[92:93]
	v_add_f64 v[44:45], -v[42:43], 1.0
	v_fma_f64 v[72:73], v[38:39], v[72:73], s[70:71]
	v_add_f64 v[40:41], v[44:45], -v[40:41]
	v_fma_f64 v[72:73], v[38:39], v[72:73], s[94:95]
	v_mul_f64 v[44:45], v[38:39], v[38:39]
	v_fma_f64 v[72:73], v[38:39], v[72:73], s[72:73]
	v_fma_f64 v[40:41], v[46:47], -v[48:49], v[40:41]
	v_fmac_f64_e32 v[40:41], v[44:45], v[72:73]
	v_add_f64 v[40:41], v[42:43], v[40:41]
	v_fma_f64 v[42:43], s[88:89], v[38:39], v[82:83]
	v_fma_f64 v[42:43], v[38:39], v[42:43], s[78:79]
	;; [unrolled: 1-line block ×4, first 2 shown]
	v_mul_f64 v[44:45], v[46:47], -v[38:39]
	v_mul_f64 v[72:73], v[48:49], 0.5
	v_fmac_f64_e32 v[72:73], v[44:45], v[42:43]
	v_fma_f64 v[38:39], v[38:39], v[72:73], -v[48:49]
	v_fmac_f64_e32 v[38:39], s[34:35], v[44:45]
	v_and_b32_e32 v42, 1, v99
	v_add_f64 v[38:39], v[46:47], -v[38:39]
	v_cmp_eq_u32_e32 vcc, 0, v42
	v_cndmask_b32_e32 v40, v40, v38, vcc
	v_cndmask_b32_e32 v41, v41, v39, vcc
	v_cmp_class_f64_e64 vcc, v[10:11], s36
	v_lshlrev_b32_e32 v10, 30, v99
	v_xor_b32_e32 v10, v10, v11
	v_and_b32_e32 v10, 0x80000000, v10
	v_xor_b32_e32 v11, v41, v10
	v_cndmask_b32_e32 v10, 0, v40, vcc
	v_mul_f64 v[40:41], v[4:5], s[26:27]
	v_rndne_f64_e32 v[42:43], v[40:41]
	v_fma_f64 v[44:45], s[42:43], v[42:43], v[4:5]
	v_fmac_f64_e32 v[44:45], s[30:31], v[42:43]
	v_fma_f64 v[40:41], s[38:39], v[44:45], v[84:85]
	v_fma_f64 v[40:41], v[44:45], v[40:41], s[40:41]
	;; [unrolled: 1-line block ×11, first 2 shown]
	v_lshlrev_b32_e32 v38, 30, v98
	v_fma_f64 v[40:41], v[44:45], v[40:41], s[28:29]
	v_fma_f64 v[46:47], v[44:45], v[46:47], s[76:77]
	v_and_b32_e32 v38, 0x80000000, v38
	v_fma_f64 v[40:41], v[44:45], v[40:41], 1.0
	v_fma_f64 v[46:47], v[44:45], v[46:47], s[58:59]
	v_xor_b32_e32 v39, v102, v38
	v_cndmask_b32_e32 v38, 0, v17, vcc
	v_fma_f64 v[40:41], v[44:45], v[40:41], 1.0
	v_cvt_i32_f64_e32 v17, v[42:43]
	v_fma_f64 v[46:47], v[44:45], v[46:47], s[60:61]
	v_cndmask_b32_e32 v39, v93, v39, vcc
	v_cndmask_b32_e32 v11, v93, v11, vcc
	v_ldexp_f64 v[40:41], v[40:41], v17
	v_cmp_nlt_f64_e32 vcc, s[54:55], v[4:5]
	v_cmp_ngt_f64_e64 s[0:1], s[80:81], v[4:5]
	v_fma_f64 v[46:47], v[44:45], v[46:47], s[62:63]
	v_cndmask_b32_e32 v41, v90, v41, vcc
	s_and_b64 vcc, s[0:1], vcc
	v_fma_f64 v[46:47], v[44:45], v[46:47], s[64:65]
	v_cndmask_b32_e32 v40, 0, v40, vcc
	v_cmp_eq_f64_e32 vcc, s[54:55], v[42:43]
	v_fma_f64 v[46:47], v[44:45], v[46:47], s[66:67]
	v_cndmask_b32_e32 v17, v17, v91, vcc
	v_fma_f64 v[46:47], v[44:45], v[46:47], 0.5
	v_ldexp_f64 v[42:43], 1.0, v17
	v_mul_f64 v[46:47], v[44:45], v[46:47]
	v_fmac_f64_e32 v[44:45], v[44:45], v[46:47]
	v_add_f64 v[46:47], v[42:43], -1.0
	v_fmac_f64_e32 v[46:47], v[42:43], v[44:45]
	v_add_f64 v[42:43], v[46:47], v[46:47]
	v_cndmask_b32_e32 v17, v46, v42, vcc
	v_cndmask_b32_e32 v42, v47, v43, vcc
	v_cmp_nlt_f64_e32 vcc, s[68:69], v[4:5]
	v_cndmask_b32_e64 v41, 0, v41, s[0:1]
	v_cndmask_b32_e32 v42, v90, v42, vcc
	v_cmp_ngt_f64_e64 s[0:1], s[6:7], v[4:5]
	v_cndmask_b32_e64 v5, v92, v42, s[0:1]
	v_mul_f64 v[42:43], v[28:29], v[28:29]
	v_mul_f64 v[44:45], v[42:43], 0.5
	v_fma_f64 v[72:73], s[90:91], v[42:43], v[78:79]
	v_add_f64 v[46:47], -v[44:45], 1.0
	v_fma_f64 v[72:73], v[42:43], v[72:73], s[92:93]
	v_fma_f64 v[72:73], v[42:43], v[72:73], s[70:71]
	v_add_f64 v[74:75], -v[46:47], 1.0
	v_fma_f64 v[72:73], v[42:43], v[72:73], s[94:95]
	v_add_f64 v[44:45], v[74:75], -v[44:45]
	v_mul_f64 v[48:49], v[42:43], v[42:43]
	v_fma_f64 v[72:73], v[42:43], v[72:73], s[72:73]
	v_fma_f64 v[44:45], v[28:29], -v[30:31], v[44:45]
	v_fmac_f64_e32 v[44:45], v[48:49], v[72:73]
	v_fma_f64 v[48:49], s[88:89], v[42:43], v[82:83]
	v_fma_f64 v[48:49], v[42:43], v[48:49], s[78:79]
	;; [unrolled: 1-line block ×3, first 2 shown]
	v_add_f64 v[44:45], v[46:47], v[44:45]
	v_mul_f64 v[46:47], v[28:29], -v[42:43]
	v_fma_f64 v[48:49], v[42:43], v[48:49], s[74:75]
	v_mul_f64 v[72:73], v[30:31], 0.5
	v_fmac_f64_e32 v[72:73], v[46:47], v[48:49]
	v_fma_f64 v[30:31], v[42:43], v[72:73], -v[30:31]
	s_and_b64 vcc, s[0:1], vcc
	v_fmac_f64_e32 v[30:31], s[34:35], v[46:47]
	v_cndmask_b32_e32 v4, 0, v17, vcc
	v_and_b32_e32 v17, 1, v95
	v_add_f64 v[28:29], v[28:29], -v[30:31]
	v_xor_b32_e32 v29, 0x80000000, v29
	v_cmp_eq_u32_e32 vcc, 0, v17
	v_cndmask_b32_e32 v17, v28, v44, vcc
	v_cndmask_b32_e32 v72, v29, v45, vcc
	v_mul_f64 v[28:29], v[24:25], v[24:25]
	v_fma_f64 v[42:43], s[88:89], v[28:29], v[82:83]
	v_fma_f64 v[42:43], v[28:29], v[42:43], s[78:79]
	;; [unrolled: 1-line block ×3, first 2 shown]
	v_mul_f64 v[30:31], v[24:25], -v[28:29]
	v_fma_f64 v[42:43], v[28:29], v[42:43], s[74:75]
	v_mul_f64 v[44:45], v[26:27], 0.5
	v_fmac_f64_e32 v[44:45], v[30:31], v[42:43]
	v_fma_f64 v[42:43], v[28:29], v[44:45], -v[26:27]
	v_fma_f64 v[48:49], s[90:91], v[28:29], v[78:79]
	v_fmac_f64_e32 v[42:43], s[34:35], v[30:31]
	v_fma_f64 v[48:49], v[28:29], v[48:49], s[92:93]
	v_add_f64 v[30:31], v[24:25], -v[42:43]
	v_mul_f64 v[42:43], v[28:29], 0.5
	v_fma_f64 v[48:49], v[28:29], v[48:49], s[70:71]
	v_add_f64 v[44:45], -v[42:43], 1.0
	v_fma_f64 v[48:49], v[28:29], v[48:49], s[94:95]
	v_mul_f64 v[46:47], v[28:29], v[28:29]
	v_fma_f64 v[28:29], v[28:29], v[48:49], s[72:73]
	v_add_f64 v[48:49], -v[44:45], 1.0
	v_add_f64 v[42:43], v[48:49], -v[42:43]
	v_fma_f64 v[24:25], v[24:25], -v[26:27], v[42:43]
	v_and_b32_e32 v73, 1, v94
	v_fmac_f64_e32 v[24:25], v[46:47], v[28:29]
	v_lshlrev_b32_e32 v26, 30, v94
	v_add_f64 v[24:25], v[44:45], v[24:25]
	v_cmp_eq_u32_e32 vcc, 0, v73
	v_xor_b32_e32 v26, v26, v23
	v_cndmask_b32_e32 v25, v25, v31, vcc
	v_and_b32_e32 v26, 0x80000000, v26
	v_cndmask_b32_e32 v24, v24, v30, vcc
	v_xor_b32_e32 v25, v25, v26
	v_cmp_class_f64_e64 vcc, v[22:23], s36
	v_cndmask_b32_e32 v22, 0, v24, vcc
	v_cndmask_b32_e32 v23, v93, v25, vcc
	v_mul_f64 v[24:25], v[32:33], v[32:33]
	v_mul_f64 v[26:27], v[24:25], 0.5
	v_fma_f64 v[42:43], s[90:91], v[24:25], v[78:79]
	v_add_f64 v[28:29], -v[26:27], 1.0
	v_fma_f64 v[42:43], v[24:25], v[42:43], s[92:93]
	v_add_f64 v[30:31], -v[28:29], 1.0
	v_fma_f64 v[42:43], v[24:25], v[42:43], s[70:71]
	v_add_f64 v[26:27], v[30:31], -v[26:27]
	v_fma_f64 v[42:43], v[24:25], v[42:43], s[94:95]
	v_mul_f64 v[30:31], v[24:25], v[24:25]
	v_fma_f64 v[42:43], v[24:25], v[42:43], s[72:73]
	v_fma_f64 v[26:27], v[32:33], -v[34:35], v[26:27]
	v_fmac_f64_e32 v[26:27], v[30:31], v[42:43]
	v_add_f64 v[26:27], v[28:29], v[26:27]
	v_fma_f64 v[28:29], s[88:89], v[24:25], v[82:83]
	v_fma_f64 v[28:29], v[24:25], v[28:29], s[78:79]
	;; [unrolled: 1-line block ×4, first 2 shown]
	v_mul_f64 v[30:31], v[32:33], -v[24:25]
	v_mul_f64 v[42:43], v[34:35], 0.5
	v_fmac_f64_e32 v[42:43], v[30:31], v[28:29]
	v_fma_f64 v[24:25], v[24:25], v[42:43], -v[34:35]
	v_fmac_f64_e32 v[24:25], s[34:35], v[30:31]
	v_and_b32_e32 v28, 1, v96
	v_add_f64 v[24:25], v[32:33], -v[24:25]
	v_cmp_eq_u32_e32 vcc, 0, v28
	v_cndmask_b32_e32 v26, v26, v24, vcc
	v_cndmask_b32_e32 v27, v27, v25, vcc
	v_cmp_class_f64_e64 vcc, v[6:7], s36
	v_lshlrev_b32_e32 v6, 30, v96
	v_xor_b32_e32 v6, v6, v7
	v_and_b32_e32 v6, 0x80000000, v6
	v_xor_b32_e32 v7, v27, v6
	v_cndmask_b32_e32 v6, 0, v26, vcc
	v_mul_f64 v[26:27], v[0:1], s[26:27]
	v_rndne_f64_e32 v[26:27], v[26:27]
	v_fma_f64 v[28:29], s[42:43], v[26:27], v[0:1]
	v_fmac_f64_e32 v[28:29], s[30:31], v[26:27]
	v_fma_f64 v[30:31], s[38:39], v[28:29], v[84:85]
	v_fma_f64 v[30:31], v[28:29], v[30:31], s[40:41]
	;; [unrolled: 1-line block ×11, first 2 shown]
	v_lshlrev_b32_e32 v24, 30, v95
	v_fma_f64 v[30:31], v[28:29], v[30:31], s[28:29]
	v_fma_f64 v[32:33], v[28:29], v[32:33], s[76:77]
	v_and_b32_e32 v24, 0x80000000, v24
	v_fma_f64 v[30:31], v[28:29], v[30:31], 1.0
	v_fma_f64 v[32:33], v[28:29], v[32:33], s[58:59]
	v_xor_b32_e32 v25, v72, v24
	v_cndmask_b32_e32 v24, 0, v17, vcc
	v_fma_f64 v[30:31], v[28:29], v[30:31], 1.0
	v_cvt_i32_f64_e32 v17, v[26:27]
	v_fma_f64 v[32:33], v[28:29], v[32:33], s[60:61]
	v_cndmask_b32_e32 v25, v93, v25, vcc
	v_cndmask_b32_e32 v7, v93, v7, vcc
	v_ldexp_f64 v[30:31], v[30:31], v17
	v_cmp_nlt_f64_e32 vcc, s[54:55], v[0:1]
	v_cmp_ngt_f64_e64 s[0:1], s[80:81], v[0:1]
	v_fma_f64 v[32:33], v[28:29], v[32:33], s[62:63]
	v_cndmask_b32_e32 v31, v90, v31, vcc
	s_and_b64 vcc, s[0:1], vcc
	v_fma_f64 v[32:33], v[28:29], v[32:33], s[64:65]
	v_cndmask_b32_e32 v30, 0, v30, vcc
	v_cmp_eq_f64_e32 vcc, s[54:55], v[26:27]
	v_fma_f64 v[32:33], v[28:29], v[32:33], s[66:67]
	v_cndmask_b32_e32 v17, v17, v91, vcc
	v_fma_f64 v[32:33], v[28:29], v[32:33], 0.5
	v_ldexp_f64 v[26:27], 1.0, v17
	v_mul_f64 v[32:33], v[28:29], v[32:33]
	v_fmac_f64_e32 v[28:29], v[28:29], v[32:33]
	v_add_f64 v[32:33], v[26:27], -1.0
	v_fmac_f64_e32 v[32:33], v[26:27], v[28:29]
	v_add_f64 v[26:27], v[32:33], v[32:33]
	v_cndmask_b32_e64 v31, 0, v31, s[0:1]
	v_cndmask_b32_e32 v17, v32, v26, vcc
	v_cndmask_b32_e32 v26, v33, v27, vcc
	v_cmp_nlt_f64_e32 vcc, s[68:69], v[0:1]
	v_cmp_ngt_f64_e64 s[0:1], s[6:7], v[0:1]
	v_mul_f64 v[0:1], v[62:63], v[62:63]
	v_mul_f64 v[28:29], v[0:1], 0.5
	v_fma_f64 v[42:43], s[90:91], v[0:1], v[78:79]
	v_add_f64 v[32:33], -v[28:29], 1.0
	v_fma_f64 v[42:43], v[0:1], v[42:43], s[92:93]
	v_fma_f64 v[42:43], v[0:1], v[42:43], s[70:71]
	v_add_f64 v[44:45], -v[32:33], 1.0
	v_fma_f64 v[42:43], v[0:1], v[42:43], s[94:95]
	v_add_f64 v[28:29], v[44:45], -v[28:29]
	v_mul_f64 v[34:35], v[0:1], v[0:1]
	v_fma_f64 v[42:43], v[0:1], v[42:43], s[72:73]
	v_fma_f64 v[28:29], v[62:63], -v[64:65], v[28:29]
	v_fmac_f64_e32 v[28:29], v[34:35], v[42:43]
	v_fma_f64 v[34:35], s[88:89], v[0:1], v[82:83]
	v_fma_f64 v[34:35], v[0:1], v[34:35], s[78:79]
	;; [unrolled: 1-line block ×3, first 2 shown]
	v_add_f64 v[28:29], v[32:33], v[28:29]
	v_mul_f64 v[32:33], v[62:63], -v[0:1]
	v_fma_f64 v[34:35], v[0:1], v[34:35], s[74:75]
	v_mul_f64 v[42:43], v[64:65], 0.5
	v_fmac_f64_e32 v[42:43], v[32:33], v[34:35]
	v_fma_f64 v[0:1], v[0:1], v[42:43], -v[64:65]
	v_cndmask_b32_e32 v26, v90, v26, vcc
	s_and_b64 vcc, s[0:1], vcc
	v_fmac_f64_e32 v[0:1], s[34:35], v[32:33]
	v_cndmask_b32_e64 v27, v92, v26, s[0:1]
	v_cndmask_b32_e32 v26, 0, v17, vcc
	v_and_b32_e32 v17, 1, v101
	v_add_f64 v[0:1], v[62:63], -v[0:1]
	v_xor_b32_e32 v1, 0x80000000, v1
	v_cmp_eq_u32_e32 vcc, 0, v17
	v_cndmask_b32_e32 v17, v0, v28, vcc
	v_cndmask_b32_e32 v46, v1, v29, vcc
	v_mul_f64 v[0:1], v[52:53], v[52:53]
	v_fma_f64 v[32:33], s[88:89], v[0:1], v[82:83]
	v_fma_f64 v[32:33], v[0:1], v[32:33], s[78:79]
	;; [unrolled: 1-line block ×3, first 2 shown]
	v_mul_f64 v[28:29], v[52:53], -v[0:1]
	v_fma_f64 v[32:33], v[0:1], v[32:33], s[74:75]
	v_mul_f64 v[34:35], v[54:55], 0.5
	v_fmac_f64_e32 v[34:35], v[28:29], v[32:33]
	v_fma_f64 v[32:33], v[0:1], v[34:35], -v[54:55]
	v_fma_f64 v[44:45], s[90:91], v[0:1], v[78:79]
	v_fmac_f64_e32 v[32:33], s[34:35], v[28:29]
	v_fma_f64 v[44:45], v[0:1], v[44:45], s[92:93]
	v_add_f64 v[28:29], v[52:53], -v[32:33]
	v_mul_f64 v[32:33], v[0:1], 0.5
	v_fma_f64 v[44:45], v[0:1], v[44:45], s[70:71]
	v_add_f64 v[34:35], -v[32:33], 1.0
	v_fma_f64 v[44:45], v[0:1], v[44:45], s[94:95]
	v_mul_f64 v[42:43], v[0:1], v[0:1]
	v_fma_f64 v[0:1], v[0:1], v[44:45], s[72:73]
	v_add_f64 v[44:45], -v[34:35], 1.0
	v_add_f64 v[32:33], v[44:45], -v[32:33]
	v_fma_f64 v[32:33], v[52:53], -v[54:55], v[32:33]
	v_and_b32_e32 v47, 1, v100
	v_fmac_f64_e32 v[32:33], v[42:43], v[0:1]
	v_add_f64 v[0:1], v[34:35], v[32:33]
	v_cmp_eq_u32_e32 vcc, 0, v47
	v_cndmask_b32_e32 v0, v0, v28, vcc
	v_lshlrev_b32_e32 v28, 30, v100
	v_xor_b32_e32 v28, v28, v51
	v_cndmask_b32_e32 v1, v1, v29, vcc
	v_and_b32_e32 v28, 0x80000000, v28
	v_xor_b32_e32 v1, v1, v28
	v_cmp_class_f64_e64 vcc, v[50:51], s36
	v_cndmask_b32_e32 v28, 0, v0, vcc
	v_cndmask_b32_e32 v29, v93, v1, vcc
	v_mul_f64 v[0:1], v[66:67], v[66:67]
	v_mul_f64 v[32:33], v[0:1], 0.5
	v_fma_f64 v[44:45], s[90:91], v[0:1], v[78:79]
	v_add_f64 v[34:35], -v[32:33], 1.0
	v_fma_f64 v[44:45], v[0:1], v[44:45], s[92:93]
	v_add_f64 v[42:43], -v[34:35], 1.0
	v_fma_f64 v[44:45], v[0:1], v[44:45], s[70:71]
	v_add_f64 v[32:33], v[42:43], -v[32:33]
	v_fma_f64 v[44:45], v[0:1], v[44:45], s[94:95]
	v_mul_f64 v[42:43], v[0:1], v[0:1]
	v_fma_f64 v[44:45], v[0:1], v[44:45], s[72:73]
	v_fma_f64 v[32:33], v[66:67], -v[70:71], v[32:33]
	v_fmac_f64_e32 v[32:33], v[42:43], v[44:45]
	v_add_f64 v[32:33], v[34:35], v[32:33]
	v_fma_f64 v[34:35], s[88:89], v[0:1], v[82:83]
	v_fma_f64 v[34:35], v[0:1], v[34:35], s[78:79]
	;; [unrolled: 1-line block ×4, first 2 shown]
	v_mul_f64 v[42:43], v[66:67], -v[0:1]
	v_mul_f64 v[44:45], v[70:71], 0.5
	v_fmac_f64_e32 v[44:45], v[42:43], v[34:35]
	v_fma_f64 v[0:1], v[0:1], v[44:45], -v[70:71]
	v_fmac_f64_e32 v[0:1], s[34:35], v[42:43]
	v_and_b32_e32 v34, 1, v103
	v_add_f64 v[0:1], v[66:67], -v[0:1]
	v_cmp_eq_u32_e32 vcc, 0, v34
	v_cndmask_b32_e32 v0, v32, v0, vcc
	v_cndmask_b32_e32 v1, v33, v1, vcc
	v_cmp_class_f64_e64 vcc, v[2:3], s36
	v_lshlrev_b32_e32 v2, 30, v103
	v_lshlrev_b32_e32 v32, 30, v101
	v_xor_b32_e32 v2, v2, v3
	v_and_b32_e32 v32, 0x80000000, v32
	v_and_b32_e32 v2, 0x80000000, v2
	v_readlane_b32 s0, v160, 0
	v_xor_b32_e32 v33, v46, v32
	v_xor_b32_e32 v1, v1, v2
	v_readlane_b32 s1, v160, 1
	v_cndmask_b32_e32 v32, 0, v17, vcc
	v_cndmask_b32_e32 v33, v93, v33, vcc
	;; [unrolled: 1-line block ×4, first 2 shown]
	v_cmp_le_i64_e32 vcc, s[0:1], v[18:19]
	s_mov_b64 s[0:1], 0xffff
	v_cmp_lt_u64_e64 s[0:1], s[0:1], v[18:19]
	v_readlane_b32 s10, v160, 2
	s_or_b64 s[0:1], vcc, s[0:1]
	v_mov_b32_e32 v0, s37
	v_add_co_u32_e32 v18, vcc, s10, v18
	v_addc_co_u32_e32 v19, vcc, v19, v0, vcc
	v_add_f64 v[0:1], v[56:57], v[56:57]
	v_mul_f64 v[0:1], v[0:1], v[56:57]
	v_fma_f64 v[0:1], v[12:13], v[58:59], -v[0:1]
	v_add_f64 v[12:13], v[36:37], v[36:37]
	v_mul_f64 v[12:13], v[12:13], v[36:37]
	v_fma_f64 v[8:9], v[8:9], v[38:39], -v[12:13]
	v_add_f64 v[12:13], v[22:23], v[22:23]
	v_mul_f64 v[12:13], v[12:13], v[22:23]
	s_and_b64 s[0:1], exec, s[0:1]
	v_fma_f64 v[4:5], v[4:5], v[24:25], -v[12:13]
	v_add_f64 v[12:13], v[28:29], v[28:29]
	s_or_b64 s[2:3], s[0:1], s[2:3]
	v_mul_f64 v[6:7], v[40:41], v[6:7]
	v_mul_f64 v[12:13], v[12:13], v[28:29]
	v_readlane_b32 s0, v160, 4
	v_mul_f64 v[2:3], v[68:69], v[14:15]
	v_mul_f64 v[10:11], v[60:61], v[10:11]
	v_fma_f64 v[12:13], v[26:27], v[32:33], -v[12:13]
	v_mul_f64 v[14:15], v[30:31], v[34:35]
	global_store_dwordx4 v[20:21], v[4:7], off
	global_store_dwordx4 v[20:21], v[8:11], off offset:16
	global_store_dwordx4 v[20:21], v[0:3], off offset:32
	;; [unrolled: 1-line block ×3, first 2 shown]
	v_mov_b32_e32 v0, s0
	v_readlane_b32 s0, v160, 3
	v_add_co_u32_e32 v20, vcc, s0, v20
	v_addc_co_u32_e32 v21, vcc, v21, v0, vcc
	s_andn2_b64 exec, exec, s[2:3]
	s_cbranch_execz .LBB150_121
.LBB150_73:                             ; =>This Inner Loop Header: Depth=1
	global_load_dwordx4 v[8:11], v[20:21], off offset:16
	global_load_dwordx4 v[4:7], v[20:21], off
	global_load_dwordx4 v[0:3], v[20:21], off offset:48
	global_load_dwordx4 v[12:15], v[20:21], off offset:32
                                        ; implicit-def: $vgpr94
                                        ; implicit-def: $vgpr24_vgpr25
                                        ; implicit-def: $vgpr26_vgpr27
	s_waitcnt vmcnt(2)
	v_mul_f64 v[22:23], v[6:7], 0.5
	v_cmp_nlt_f64_e64 s[0:1], |v[22:23]|, s[4:5]
	s_and_saveexec_b64 s[26:27], s[0:1]
	s_xor_b64 s[26:27], exec, s[26:27]
	s_cbranch_execz .LBB150_75
; %bb.74:                               ;   in Loop: Header=BB150_73 Depth=1
	s_mov_b32 s0, 0
	s_mov_b32 s1, 0x7b000000
	v_and_b32_e32 v17, 0x7fffffff, v23
	v_ldexp_f64 v[28:29], |v[22:23]|, s33
	v_cmp_ge_f64_e64 vcc, |v[22:23]|, s[0:1]
	v_trig_preop_f64 v[24:25], |v[22:23]|, 0
	v_cndmask_b32_e32 v29, v17, v29, vcc
	v_cndmask_b32_e32 v28, v22, v28, vcc
	v_trig_preop_f64 v[26:27], |v[22:23]|, 1
	v_mul_f64 v[32:33], v[24:25], v[28:29]
	v_mul_f64 v[30:31], v[26:27], v[28:29]
	v_fma_f64 v[24:25], v[24:25], v[28:29], -v[32:33]
	v_add_f64 v[34:35], v[30:31], v[24:25]
	v_add_f64 v[36:37], v[32:33], v[34:35]
	v_ldexp_f64 v[38:39], v[36:37], -2
	v_fract_f64_e32 v[40:41], v[38:39]
	v_cmp_neq_f64_e64 vcc, |v[38:39]|, s[8:9]
	v_cndmask_b32_e32 v39, 0, v41, vcc
	v_cndmask_b32_e32 v38, 0, v40, vcc
	v_add_f64 v[40:41], v[34:35], -v[30:31]
	v_add_f64 v[24:25], v[24:25], -v[40:41]
	;; [unrolled: 1-line block ×4, first 2 shown]
	v_fma_f64 v[26:27], v[26:27], v[28:29], -v[30:31]
	v_trig_preop_f64 v[30:31], |v[22:23]|, 2
	v_add_f64 v[24:25], v[24:25], v[40:41]
	v_mul_f64 v[40:41], v[30:31], v[28:29]
	v_add_f64 v[42:43], v[40:41], v[26:27]
	v_add_f64 v[44:45], v[42:43], v[24:25]
	v_add_f64 v[32:33], v[36:37], -v[32:33]
	v_add_f64 v[36:37], v[44:45], -v[42:43]
	;; [unrolled: 1-line block ×5, first 2 shown]
	v_add_f64 v[24:25], v[24:25], v[36:37]
	v_add_f64 v[36:37], v[42:43], -v[40:41]
	v_add_f64 v[26:27], v[26:27], -v[36:37]
	;; [unrolled: 1-line block ×4, first 2 shown]
	v_add_f64 v[26:27], v[26:27], v[36:37]
	v_add_f64 v[32:33], v[34:35], -v[32:33]
	v_add_f64 v[24:25], v[26:27], v[24:25]
	v_fma_f64 v[26:27], v[30:31], v[28:29], -v[40:41]
	v_add_f64 v[34:35], v[32:33], v[44:45]
	v_add_f64 v[24:25], v[26:27], v[24:25]
	v_ldexp_f64 v[26:27], v[38:39], 2
	v_add_f64 v[28:29], v[34:35], v[26:27]
	v_cmp_gt_f64_e32 vcc, 0, v[28:29]
	v_cndmask_b32_e32 v17, 0, v88, vcc
	v_add_f64 v[26:27], v[26:27], v[16:17]
	v_add_f64 v[28:29], v[34:35], v[26:27]
	v_cvt_i32_f64_e32 v17, v[28:29]
	v_cvt_f64_i32_e32 v[28:29], v17
	v_add_f64 v[26:27], v[26:27], -v[28:29]
	v_add_f64 v[32:33], v[34:35], -v[32:33]
	v_add_f64 v[28:29], v[34:35], v[26:27]
	v_add_f64 v[32:33], v[44:45], -v[32:33]
	v_add_f64 v[26:27], v[28:29], -v[26:27]
	v_cmp_le_f64_e32 vcc, 0.5, v[28:29]
	v_add_f64 v[24:25], v[32:33], v[24:25]
	v_add_f64 v[26:27], v[34:35], -v[26:27]
	v_addc_co_u32_e64 v94, s[0:1], 0, v17, vcc
	v_cndmask_b32_e32 v17, 0, v89, vcc
	v_add_f64 v[24:25], v[24:25], v[26:27]
	v_add_f64 v[26:27], v[28:29], -v[16:17]
	v_add_f64 v[28:29], v[26:27], v[24:25]
	v_add_f64 v[26:27], v[28:29], -v[26:27]
	s_mov_b32 s10, s14
	v_add_f64 v[24:25], v[24:25], -v[26:27]
	v_mul_f64 v[26:27], v[28:29], s[10:11]
	v_fma_f64 v[30:31], v[28:29], s[10:11], -v[26:27]
	s_mov_b32 s19, s17
	v_fmac_f64_e32 v[30:31], s[18:19], v[28:29]
	v_fmac_f64_e32 v[30:31], s[10:11], v[24:25]
	v_add_f64 v[24:25], v[26:27], v[30:31]
	v_add_f64 v[26:27], v[24:25], -v[26:27]
	v_add_f64 v[26:27], v[30:31], -v[26:27]
.LBB150_75:                             ;   in Loop: Header=BB150_73 Depth=1
	s_andn2_saveexec_b64 s[0:1], s[26:27]
	s_cbranch_execz .LBB150_77
; %bb.76:                               ;   in Loop: Header=BB150_73 Depth=1
	v_mul_f64 v[24:25], |v[22:23]|, s[20:21]
	v_rndne_f64_e32 v[28:29], v[24:25]
	v_fma_f64 v[24:25], v[28:29], s[14:15], |v[22:23]|
	v_mul_f64 v[30:31], v[28:29], s[22:23]
	v_add_f64 v[34:35], v[24:25], v[30:31]
	v_fma_f64 v[26:27], s[22:23], v[28:29], v[24:25]
	s_mov_b32 s16, s22
	v_add_f64 v[24:25], v[24:25], -v[34:35]
	v_fma_f64 v[32:33], s[16:17], v[28:29], v[30:31]
	v_add_f64 v[24:25], v[24:25], v[30:31]
	v_add_f64 v[30:31], v[34:35], -v[26:27]
	v_add_f64 v[24:25], v[30:31], v[24:25]
	v_add_f64 v[30:31], v[24:25], -v[32:33]
	v_fmac_f64_e32 v[30:31], s[24:25], v[28:29]
	v_add_f64 v[24:25], v[26:27], v[30:31]
	v_add_f64 v[26:27], v[24:25], -v[26:27]
	v_add_f64 v[26:27], v[30:31], -v[26:27]
	v_cvt_i32_f64_e32 v94, v[28:29]
.LBB150_77:                             ;   in Loop: Header=BB150_73 Depth=1
	s_or_b64 exec, exec, s[0:1]
	v_cmp_nlt_f64_e64 s[26:27], |v[6:7]|, s[4:5]
                                        ; implicit-def: $vgpr95
                                        ; implicit-def: $vgpr28_vgpr29
                                        ; implicit-def: $vgpr30_vgpr31
	s_and_saveexec_b64 s[0:1], s[26:27]
	s_xor_b64 s[30:31], exec, s[0:1]
	s_cbranch_execz .LBB150_79
; %bb.78:                               ;   in Loop: Header=BB150_73 Depth=1
	s_mov_b32 s0, 0
	s_mov_b32 s1, 0x7b000000
	v_and_b32_e32 v17, 0x7fffffff, v7
	v_ldexp_f64 v[32:33], |v[6:7]|, s33
	v_cmp_ge_f64_e64 vcc, |v[6:7]|, s[0:1]
	v_trig_preop_f64 v[28:29], |v[6:7]|, 0
	v_cndmask_b32_e32 v33, v17, v33, vcc
	v_cndmask_b32_e32 v32, v6, v32, vcc
	v_trig_preop_f64 v[30:31], |v[6:7]|, 1
	v_mul_f64 v[36:37], v[28:29], v[32:33]
	v_mul_f64 v[34:35], v[30:31], v[32:33]
	v_fma_f64 v[28:29], v[28:29], v[32:33], -v[36:37]
	v_add_f64 v[38:39], v[34:35], v[28:29]
	v_add_f64 v[40:41], v[36:37], v[38:39]
	v_ldexp_f64 v[42:43], v[40:41], -2
	v_fract_f64_e32 v[44:45], v[42:43]
	v_cmp_neq_f64_e64 vcc, |v[42:43]|, s[8:9]
	v_cndmask_b32_e32 v43, 0, v45, vcc
	v_cndmask_b32_e32 v42, 0, v44, vcc
	v_add_f64 v[44:45], v[38:39], -v[34:35]
	v_add_f64 v[28:29], v[28:29], -v[44:45]
	;; [unrolled: 1-line block ×4, first 2 shown]
	v_fma_f64 v[30:31], v[30:31], v[32:33], -v[34:35]
	v_trig_preop_f64 v[34:35], |v[6:7]|, 2
	v_add_f64 v[28:29], v[28:29], v[44:45]
	v_mul_f64 v[44:45], v[34:35], v[32:33]
	v_add_f64 v[46:47], v[44:45], v[30:31]
	v_add_f64 v[48:49], v[46:47], v[28:29]
	v_add_f64 v[36:37], v[40:41], -v[36:37]
	v_add_f64 v[40:41], v[48:49], -v[46:47]
	;; [unrolled: 1-line block ×5, first 2 shown]
	v_add_f64 v[28:29], v[28:29], v[40:41]
	v_add_f64 v[40:41], v[46:47], -v[44:45]
	v_add_f64 v[30:31], v[30:31], -v[40:41]
	;; [unrolled: 1-line block ×4, first 2 shown]
	v_add_f64 v[30:31], v[30:31], v[40:41]
	v_add_f64 v[36:37], v[38:39], -v[36:37]
	v_add_f64 v[28:29], v[30:31], v[28:29]
	v_fma_f64 v[30:31], v[34:35], v[32:33], -v[44:45]
	v_add_f64 v[38:39], v[36:37], v[48:49]
	v_add_f64 v[28:29], v[30:31], v[28:29]
	v_ldexp_f64 v[30:31], v[42:43], 2
	v_add_f64 v[32:33], v[38:39], v[30:31]
	v_cmp_gt_f64_e32 vcc, 0, v[32:33]
	v_cndmask_b32_e32 v17, 0, v88, vcc
	v_add_f64 v[30:31], v[30:31], v[16:17]
	v_add_f64 v[32:33], v[38:39], v[30:31]
	v_cvt_i32_f64_e32 v17, v[32:33]
	v_cvt_f64_i32_e32 v[32:33], v17
	v_add_f64 v[30:31], v[30:31], -v[32:33]
	v_add_f64 v[36:37], v[38:39], -v[36:37]
	v_add_f64 v[32:33], v[38:39], v[30:31]
	v_add_f64 v[36:37], v[48:49], -v[36:37]
	v_add_f64 v[30:31], v[32:33], -v[30:31]
	v_cmp_le_f64_e32 vcc, 0.5, v[32:33]
	v_add_f64 v[28:29], v[36:37], v[28:29]
	v_add_f64 v[30:31], v[38:39], -v[30:31]
	v_addc_co_u32_e64 v95, s[0:1], 0, v17, vcc
	v_cndmask_b32_e32 v17, 0, v89, vcc
	v_add_f64 v[28:29], v[28:29], v[30:31]
	v_add_f64 v[30:31], v[32:33], -v[16:17]
	v_add_f64 v[32:33], v[30:31], v[28:29]
	v_add_f64 v[30:31], v[32:33], -v[30:31]
	s_mov_b32 s10, s14
	v_add_f64 v[28:29], v[28:29], -v[30:31]
	v_mul_f64 v[30:31], v[32:33], s[10:11]
	v_fma_f64 v[34:35], v[32:33], s[10:11], -v[30:31]
	s_mov_b32 s19, s17
	v_fmac_f64_e32 v[34:35], s[18:19], v[32:33]
	v_fmac_f64_e32 v[34:35], s[10:11], v[28:29]
	v_add_f64 v[28:29], v[30:31], v[34:35]
	v_add_f64 v[30:31], v[28:29], -v[30:31]
	v_add_f64 v[30:31], v[34:35], -v[30:31]
	s_andn2_saveexec_b64 s[0:1], s[30:31]
	s_cbranch_execz .LBB150_81
	s_branch .LBB150_80
.LBB150_79:                             ;   in Loop: Header=BB150_73 Depth=1
	s_andn2_saveexec_b64 s[0:1], s[30:31]
	s_cbranch_execz .LBB150_81
.LBB150_80:                             ;   in Loop: Header=BB150_73 Depth=1
	v_mul_f64 v[28:29], |v[6:7]|, s[20:21]
	v_rndne_f64_e32 v[32:33], v[28:29]
	v_fma_f64 v[28:29], v[32:33], s[14:15], |v[6:7]|
	v_mul_f64 v[34:35], v[32:33], s[22:23]
	v_add_f64 v[38:39], v[28:29], v[34:35]
	v_fma_f64 v[30:31], s[22:23], v[32:33], v[28:29]
	s_mov_b32 s16, s22
	v_add_f64 v[28:29], v[28:29], -v[38:39]
	v_fma_f64 v[36:37], s[16:17], v[32:33], v[34:35]
	v_add_f64 v[28:29], v[28:29], v[34:35]
	v_add_f64 v[34:35], v[38:39], -v[30:31]
	v_add_f64 v[28:29], v[34:35], v[28:29]
	v_add_f64 v[34:35], v[28:29], -v[36:37]
	v_fmac_f64_e32 v[34:35], s[24:25], v[32:33]
	v_add_f64 v[28:29], v[30:31], v[34:35]
	v_add_f64 v[30:31], v[28:29], -v[30:31]
	v_add_f64 v[30:31], v[34:35], -v[30:31]
	v_cvt_i32_f64_e32 v95, v[32:33]
.LBB150_81:                             ;   in Loop: Header=BB150_73 Depth=1
	s_or_b64 exec, exec, s[0:1]
                                        ; implicit-def: $vgpr96
                                        ; implicit-def: $vgpr32_vgpr33
                                        ; implicit-def: $vgpr34_vgpr35
	s_and_saveexec_b64 s[0:1], s[26:27]
	s_xor_b64 s[26:27], exec, s[0:1]
	s_cbranch_execz .LBB150_83
; %bb.82:                               ;   in Loop: Header=BB150_73 Depth=1
	s_mov_b32 s0, 0
	s_mov_b32 s1, 0x7b000000
	v_and_b32_e32 v17, 0x7fffffff, v7
	v_ldexp_f64 v[36:37], |v[6:7]|, s33
	v_cmp_ge_f64_e64 vcc, |v[6:7]|, s[0:1]
	v_trig_preop_f64 v[32:33], |v[6:7]|, 0
	v_cndmask_b32_e32 v37, v17, v37, vcc
	v_cndmask_b32_e32 v36, v6, v36, vcc
	v_trig_preop_f64 v[34:35], |v[6:7]|, 1
	v_mul_f64 v[40:41], v[32:33], v[36:37]
	v_mul_f64 v[38:39], v[34:35], v[36:37]
	v_fma_f64 v[32:33], v[32:33], v[36:37], -v[40:41]
	v_add_f64 v[42:43], v[38:39], v[32:33]
	v_add_f64 v[44:45], v[40:41], v[42:43]
	v_ldexp_f64 v[46:47], v[44:45], -2
	v_fract_f64_e32 v[48:49], v[46:47]
	v_cmp_neq_f64_e64 vcc, |v[46:47]|, s[8:9]
	v_cndmask_b32_e32 v47, 0, v49, vcc
	v_cndmask_b32_e32 v46, 0, v48, vcc
	v_add_f64 v[48:49], v[42:43], -v[38:39]
	v_add_f64 v[32:33], v[32:33], -v[48:49]
	;; [unrolled: 1-line block ×4, first 2 shown]
	v_fma_f64 v[34:35], v[34:35], v[36:37], -v[38:39]
	v_trig_preop_f64 v[38:39], |v[6:7]|, 2
	v_add_f64 v[32:33], v[32:33], v[48:49]
	v_mul_f64 v[48:49], v[38:39], v[36:37]
	v_add_f64 v[50:51], v[48:49], v[34:35]
	v_add_f64 v[52:53], v[50:51], v[32:33]
	v_add_f64 v[40:41], v[44:45], -v[40:41]
	v_add_f64 v[44:45], v[52:53], -v[50:51]
	v_add_f64 v[32:33], v[32:33], -v[44:45]
	v_add_f64 v[44:45], v[52:53], -v[44:45]
	v_add_f64 v[44:45], v[50:51], -v[44:45]
	v_add_f64 v[32:33], v[32:33], v[44:45]
	v_add_f64 v[44:45], v[50:51], -v[48:49]
	v_add_f64 v[34:35], v[34:35], -v[44:45]
	;; [unrolled: 1-line block ×4, first 2 shown]
	v_add_f64 v[34:35], v[34:35], v[44:45]
	v_add_f64 v[40:41], v[42:43], -v[40:41]
	v_add_f64 v[32:33], v[34:35], v[32:33]
	v_fma_f64 v[34:35], v[38:39], v[36:37], -v[48:49]
	v_add_f64 v[42:43], v[40:41], v[52:53]
	v_add_f64 v[32:33], v[34:35], v[32:33]
	v_ldexp_f64 v[34:35], v[46:47], 2
	v_add_f64 v[36:37], v[42:43], v[34:35]
	v_cmp_gt_f64_e32 vcc, 0, v[36:37]
	v_cndmask_b32_e32 v17, 0, v88, vcc
	v_add_f64 v[34:35], v[34:35], v[16:17]
	v_add_f64 v[36:37], v[42:43], v[34:35]
	v_cvt_i32_f64_e32 v17, v[36:37]
	v_cvt_f64_i32_e32 v[36:37], v17
	v_add_f64 v[34:35], v[34:35], -v[36:37]
	v_add_f64 v[40:41], v[42:43], -v[40:41]
	v_add_f64 v[36:37], v[42:43], v[34:35]
	v_add_f64 v[40:41], v[52:53], -v[40:41]
	v_add_f64 v[34:35], v[36:37], -v[34:35]
	v_cmp_le_f64_e32 vcc, 0.5, v[36:37]
	v_add_f64 v[32:33], v[40:41], v[32:33]
	v_add_f64 v[34:35], v[42:43], -v[34:35]
	v_addc_co_u32_e64 v96, s[0:1], 0, v17, vcc
	v_cndmask_b32_e32 v17, 0, v89, vcc
	v_add_f64 v[32:33], v[32:33], v[34:35]
	v_add_f64 v[34:35], v[36:37], -v[16:17]
	v_add_f64 v[36:37], v[34:35], v[32:33]
	v_add_f64 v[34:35], v[36:37], -v[34:35]
	s_mov_b32 s10, s14
	v_add_f64 v[32:33], v[32:33], -v[34:35]
	v_mul_f64 v[34:35], v[36:37], s[10:11]
	v_fma_f64 v[38:39], v[36:37], s[10:11], -v[34:35]
	s_mov_b32 s19, s17
	v_fmac_f64_e32 v[38:39], s[18:19], v[36:37]
	v_fmac_f64_e32 v[38:39], s[10:11], v[32:33]
	v_add_f64 v[32:33], v[34:35], v[38:39]
	v_add_f64 v[34:35], v[32:33], -v[34:35]
	v_add_f64 v[34:35], v[38:39], -v[34:35]
	s_andn2_saveexec_b64 s[0:1], s[26:27]
	s_cbranch_execnz .LBB150_84
	s_branch .LBB150_85
.LBB150_83:                             ;   in Loop: Header=BB150_73 Depth=1
	s_andn2_saveexec_b64 s[0:1], s[26:27]
	s_cbranch_execz .LBB150_85
.LBB150_84:                             ;   in Loop: Header=BB150_73 Depth=1
	v_mul_f64 v[32:33], |v[6:7]|, s[20:21]
	v_rndne_f64_e32 v[36:37], v[32:33]
	v_fma_f64 v[32:33], v[36:37], s[14:15], |v[6:7]|
	v_mul_f64 v[38:39], v[36:37], s[22:23]
	v_add_f64 v[42:43], v[32:33], v[38:39]
	v_fma_f64 v[34:35], s[22:23], v[36:37], v[32:33]
	s_mov_b32 s16, s22
	v_add_f64 v[32:33], v[32:33], -v[42:43]
	v_fma_f64 v[40:41], s[16:17], v[36:37], v[38:39]
	v_add_f64 v[32:33], v[32:33], v[38:39]
	v_add_f64 v[38:39], v[42:43], -v[34:35]
	v_add_f64 v[32:33], v[38:39], v[32:33]
	v_add_f64 v[38:39], v[32:33], -v[40:41]
	v_fmac_f64_e32 v[38:39], s[24:25], v[36:37]
	v_add_f64 v[32:33], v[34:35], v[38:39]
	v_add_f64 v[34:35], v[32:33], -v[34:35]
	v_add_f64 v[34:35], v[38:39], -v[34:35]
	v_cvt_i32_f64_e32 v96, v[36:37]
.LBB150_85:                             ;   in Loop: Header=BB150_73 Depth=1
	s_or_b64 exec, exec, s[0:1]
	v_mul_f64 v[36:37], v[10:11], 0.5
	v_cmp_nlt_f64_e64 s[0:1], |v[36:37]|, s[4:5]
                                        ; implicit-def: $vgpr97
                                        ; implicit-def: $vgpr38_vgpr39
                                        ; implicit-def: $vgpr40_vgpr41
	s_and_saveexec_b64 s[26:27], s[0:1]
	s_xor_b64 s[26:27], exec, s[26:27]
	s_cbranch_execz .LBB150_87
; %bb.86:                               ;   in Loop: Header=BB150_73 Depth=1
	s_mov_b32 s0, 0
	s_mov_b32 s1, 0x7b000000
	v_and_b32_e32 v17, 0x7fffffff, v37
	v_ldexp_f64 v[42:43], |v[36:37]|, s33
	v_cmp_ge_f64_e64 vcc, |v[36:37]|, s[0:1]
	v_trig_preop_f64 v[38:39], |v[36:37]|, 0
	v_cndmask_b32_e32 v43, v17, v43, vcc
	v_cndmask_b32_e32 v42, v36, v42, vcc
	v_trig_preop_f64 v[40:41], |v[36:37]|, 1
	v_mul_f64 v[46:47], v[38:39], v[42:43]
	v_mul_f64 v[44:45], v[40:41], v[42:43]
	v_fma_f64 v[38:39], v[38:39], v[42:43], -v[46:47]
	v_add_f64 v[48:49], v[44:45], v[38:39]
	v_add_f64 v[50:51], v[46:47], v[48:49]
	v_ldexp_f64 v[52:53], v[50:51], -2
	v_fract_f64_e32 v[54:55], v[52:53]
	v_cmp_neq_f64_e64 vcc, |v[52:53]|, s[8:9]
	v_cndmask_b32_e32 v53, 0, v55, vcc
	v_cndmask_b32_e32 v52, 0, v54, vcc
	v_add_f64 v[54:55], v[48:49], -v[44:45]
	v_add_f64 v[38:39], v[38:39], -v[54:55]
	;; [unrolled: 1-line block ×4, first 2 shown]
	v_fma_f64 v[40:41], v[40:41], v[42:43], -v[44:45]
	v_trig_preop_f64 v[44:45], |v[36:37]|, 2
	v_add_f64 v[38:39], v[38:39], v[54:55]
	v_mul_f64 v[54:55], v[44:45], v[42:43]
	v_add_f64 v[56:57], v[54:55], v[40:41]
	v_add_f64 v[58:59], v[56:57], v[38:39]
	v_add_f64 v[46:47], v[50:51], -v[46:47]
	v_add_f64 v[50:51], v[58:59], -v[56:57]
	;; [unrolled: 1-line block ×5, first 2 shown]
	v_add_f64 v[38:39], v[38:39], v[50:51]
	v_add_f64 v[50:51], v[56:57], -v[54:55]
	v_add_f64 v[40:41], v[40:41], -v[50:51]
	;; [unrolled: 1-line block ×4, first 2 shown]
	v_add_f64 v[40:41], v[40:41], v[50:51]
	v_add_f64 v[46:47], v[48:49], -v[46:47]
	v_add_f64 v[38:39], v[40:41], v[38:39]
	v_fma_f64 v[40:41], v[44:45], v[42:43], -v[54:55]
	v_add_f64 v[48:49], v[46:47], v[58:59]
	v_add_f64 v[38:39], v[40:41], v[38:39]
	v_ldexp_f64 v[40:41], v[52:53], 2
	v_add_f64 v[42:43], v[48:49], v[40:41]
	v_cmp_gt_f64_e32 vcc, 0, v[42:43]
	v_cndmask_b32_e32 v17, 0, v88, vcc
	v_add_f64 v[40:41], v[40:41], v[16:17]
	v_add_f64 v[42:43], v[48:49], v[40:41]
	v_cvt_i32_f64_e32 v17, v[42:43]
	v_cvt_f64_i32_e32 v[42:43], v17
	v_add_f64 v[40:41], v[40:41], -v[42:43]
	v_add_f64 v[46:47], v[48:49], -v[46:47]
	v_add_f64 v[42:43], v[48:49], v[40:41]
	v_add_f64 v[46:47], v[58:59], -v[46:47]
	v_add_f64 v[40:41], v[42:43], -v[40:41]
	v_cmp_le_f64_e32 vcc, 0.5, v[42:43]
	v_add_f64 v[38:39], v[46:47], v[38:39]
	v_add_f64 v[40:41], v[48:49], -v[40:41]
	v_addc_co_u32_e64 v97, s[0:1], 0, v17, vcc
	v_cndmask_b32_e32 v17, 0, v89, vcc
	v_add_f64 v[38:39], v[38:39], v[40:41]
	v_add_f64 v[40:41], v[42:43], -v[16:17]
	v_add_f64 v[42:43], v[40:41], v[38:39]
	v_add_f64 v[40:41], v[42:43], -v[40:41]
	s_mov_b32 s10, s14
	v_add_f64 v[38:39], v[38:39], -v[40:41]
	v_mul_f64 v[40:41], v[42:43], s[10:11]
	v_fma_f64 v[44:45], v[42:43], s[10:11], -v[40:41]
	s_mov_b32 s19, s17
	v_fmac_f64_e32 v[44:45], s[18:19], v[42:43]
	v_fmac_f64_e32 v[44:45], s[10:11], v[38:39]
	v_add_f64 v[38:39], v[40:41], v[44:45]
	v_add_f64 v[40:41], v[38:39], -v[40:41]
	v_add_f64 v[40:41], v[44:45], -v[40:41]
.LBB150_87:                             ;   in Loop: Header=BB150_73 Depth=1
	s_andn2_saveexec_b64 s[0:1], s[26:27]
	s_cbranch_execz .LBB150_89
; %bb.88:                               ;   in Loop: Header=BB150_73 Depth=1
	v_mul_f64 v[38:39], |v[36:37]|, s[20:21]
	v_rndne_f64_e32 v[42:43], v[38:39]
	v_fma_f64 v[38:39], v[42:43], s[14:15], |v[36:37]|
	v_mul_f64 v[44:45], v[42:43], s[22:23]
	v_add_f64 v[48:49], v[38:39], v[44:45]
	v_fma_f64 v[40:41], s[22:23], v[42:43], v[38:39]
	s_mov_b32 s16, s22
	v_add_f64 v[38:39], v[38:39], -v[48:49]
	v_fma_f64 v[46:47], s[16:17], v[42:43], v[44:45]
	v_add_f64 v[38:39], v[38:39], v[44:45]
	v_add_f64 v[44:45], v[48:49], -v[40:41]
	v_add_f64 v[38:39], v[44:45], v[38:39]
	v_add_f64 v[44:45], v[38:39], -v[46:47]
	v_fmac_f64_e32 v[44:45], s[24:25], v[42:43]
	v_add_f64 v[38:39], v[40:41], v[44:45]
	v_add_f64 v[40:41], v[38:39], -v[40:41]
	v_add_f64 v[40:41], v[44:45], -v[40:41]
	v_cvt_i32_f64_e32 v97, v[42:43]
.LBB150_89:                             ;   in Loop: Header=BB150_73 Depth=1
	s_or_b64 exec, exec, s[0:1]
	v_cmp_nlt_f64_e64 s[26:27], |v[10:11]|, s[4:5]
                                        ; implicit-def: $vgpr98
                                        ; implicit-def: $vgpr42_vgpr43
                                        ; implicit-def: $vgpr44_vgpr45
	s_and_saveexec_b64 s[0:1], s[26:27]
	s_xor_b64 s[30:31], exec, s[0:1]
	s_cbranch_execz .LBB150_91
; %bb.90:                               ;   in Loop: Header=BB150_73 Depth=1
	s_mov_b32 s0, 0
	s_mov_b32 s1, 0x7b000000
	v_and_b32_e32 v17, 0x7fffffff, v11
	v_ldexp_f64 v[46:47], |v[10:11]|, s33
	v_cmp_ge_f64_e64 vcc, |v[10:11]|, s[0:1]
	v_trig_preop_f64 v[42:43], |v[10:11]|, 0
	v_cndmask_b32_e32 v47, v17, v47, vcc
	v_cndmask_b32_e32 v46, v10, v46, vcc
	v_trig_preop_f64 v[44:45], |v[10:11]|, 1
	v_mul_f64 v[50:51], v[42:43], v[46:47]
	v_mul_f64 v[48:49], v[44:45], v[46:47]
	v_fma_f64 v[42:43], v[42:43], v[46:47], -v[50:51]
	v_add_f64 v[52:53], v[48:49], v[42:43]
	v_add_f64 v[54:55], v[50:51], v[52:53]
	v_ldexp_f64 v[56:57], v[54:55], -2
	v_fract_f64_e32 v[58:59], v[56:57]
	v_cmp_neq_f64_e64 vcc, |v[56:57]|, s[8:9]
	v_cndmask_b32_e32 v57, 0, v59, vcc
	v_cndmask_b32_e32 v56, 0, v58, vcc
	v_add_f64 v[58:59], v[52:53], -v[48:49]
	v_add_f64 v[42:43], v[42:43], -v[58:59]
	;; [unrolled: 1-line block ×4, first 2 shown]
	v_fma_f64 v[44:45], v[44:45], v[46:47], -v[48:49]
	v_trig_preop_f64 v[48:49], |v[10:11]|, 2
	v_add_f64 v[42:43], v[42:43], v[58:59]
	v_mul_f64 v[58:59], v[48:49], v[46:47]
	v_add_f64 v[60:61], v[58:59], v[44:45]
	v_add_f64 v[62:63], v[60:61], v[42:43]
	v_add_f64 v[50:51], v[54:55], -v[50:51]
	v_add_f64 v[54:55], v[62:63], -v[60:61]
	;; [unrolled: 1-line block ×5, first 2 shown]
	v_add_f64 v[42:43], v[42:43], v[54:55]
	v_add_f64 v[54:55], v[60:61], -v[58:59]
	v_add_f64 v[44:45], v[44:45], -v[54:55]
	v_add_f64 v[54:55], v[60:61], -v[54:55]
	v_add_f64 v[54:55], v[58:59], -v[54:55]
	v_add_f64 v[44:45], v[44:45], v[54:55]
	v_add_f64 v[50:51], v[52:53], -v[50:51]
	v_add_f64 v[42:43], v[44:45], v[42:43]
	v_fma_f64 v[44:45], v[48:49], v[46:47], -v[58:59]
	v_add_f64 v[52:53], v[50:51], v[62:63]
	v_add_f64 v[42:43], v[44:45], v[42:43]
	v_ldexp_f64 v[44:45], v[56:57], 2
	v_add_f64 v[46:47], v[52:53], v[44:45]
	v_cmp_gt_f64_e32 vcc, 0, v[46:47]
	v_cndmask_b32_e32 v17, 0, v88, vcc
	v_add_f64 v[44:45], v[44:45], v[16:17]
	v_add_f64 v[46:47], v[52:53], v[44:45]
	v_cvt_i32_f64_e32 v17, v[46:47]
	v_cvt_f64_i32_e32 v[46:47], v17
	v_add_f64 v[44:45], v[44:45], -v[46:47]
	v_add_f64 v[50:51], v[52:53], -v[50:51]
	v_add_f64 v[46:47], v[52:53], v[44:45]
	v_add_f64 v[50:51], v[62:63], -v[50:51]
	v_add_f64 v[44:45], v[46:47], -v[44:45]
	v_cmp_le_f64_e32 vcc, 0.5, v[46:47]
	v_add_f64 v[42:43], v[50:51], v[42:43]
	v_add_f64 v[44:45], v[52:53], -v[44:45]
	v_addc_co_u32_e64 v98, s[0:1], 0, v17, vcc
	v_cndmask_b32_e32 v17, 0, v89, vcc
	v_add_f64 v[42:43], v[42:43], v[44:45]
	v_add_f64 v[44:45], v[46:47], -v[16:17]
	v_add_f64 v[46:47], v[44:45], v[42:43]
	v_add_f64 v[44:45], v[46:47], -v[44:45]
	s_mov_b32 s10, s14
	v_add_f64 v[42:43], v[42:43], -v[44:45]
	v_mul_f64 v[44:45], v[46:47], s[10:11]
	v_fma_f64 v[48:49], v[46:47], s[10:11], -v[44:45]
	s_mov_b32 s19, s17
	v_fmac_f64_e32 v[48:49], s[18:19], v[46:47]
	v_fmac_f64_e32 v[48:49], s[10:11], v[42:43]
	v_add_f64 v[42:43], v[44:45], v[48:49]
	v_add_f64 v[44:45], v[42:43], -v[44:45]
	v_add_f64 v[44:45], v[48:49], -v[44:45]
	s_andn2_saveexec_b64 s[0:1], s[30:31]
	s_cbranch_execz .LBB150_93
	s_branch .LBB150_92
.LBB150_91:                             ;   in Loop: Header=BB150_73 Depth=1
	s_andn2_saveexec_b64 s[0:1], s[30:31]
	s_cbranch_execz .LBB150_93
.LBB150_92:                             ;   in Loop: Header=BB150_73 Depth=1
	v_mul_f64 v[42:43], |v[10:11]|, s[20:21]
	v_rndne_f64_e32 v[46:47], v[42:43]
	v_fma_f64 v[42:43], v[46:47], s[14:15], |v[10:11]|
	v_mul_f64 v[48:49], v[46:47], s[22:23]
	v_add_f64 v[52:53], v[42:43], v[48:49]
	v_fma_f64 v[44:45], s[22:23], v[46:47], v[42:43]
	s_mov_b32 s16, s22
	v_add_f64 v[42:43], v[42:43], -v[52:53]
	v_fma_f64 v[50:51], s[16:17], v[46:47], v[48:49]
	v_add_f64 v[42:43], v[42:43], v[48:49]
	v_add_f64 v[48:49], v[52:53], -v[44:45]
	v_add_f64 v[42:43], v[48:49], v[42:43]
	v_add_f64 v[48:49], v[42:43], -v[50:51]
	v_fmac_f64_e32 v[48:49], s[24:25], v[46:47]
	v_add_f64 v[42:43], v[44:45], v[48:49]
	v_add_f64 v[44:45], v[42:43], -v[44:45]
	v_add_f64 v[44:45], v[48:49], -v[44:45]
	v_cvt_i32_f64_e32 v98, v[46:47]
.LBB150_93:                             ;   in Loop: Header=BB150_73 Depth=1
	s_or_b64 exec, exec, s[0:1]
                                        ; implicit-def: $vgpr99
                                        ; implicit-def: $vgpr46_vgpr47
                                        ; implicit-def: $vgpr48_vgpr49
	s_and_saveexec_b64 s[0:1], s[26:27]
	s_xor_b64 s[26:27], exec, s[0:1]
	s_cbranch_execz .LBB150_95
; %bb.94:                               ;   in Loop: Header=BB150_73 Depth=1
	s_mov_b32 s0, 0
	s_mov_b32 s1, 0x7b000000
	v_and_b32_e32 v17, 0x7fffffff, v11
	v_ldexp_f64 v[50:51], |v[10:11]|, s33
	v_cmp_ge_f64_e64 vcc, |v[10:11]|, s[0:1]
	v_trig_preop_f64 v[46:47], |v[10:11]|, 0
	v_cndmask_b32_e32 v51, v17, v51, vcc
	v_cndmask_b32_e32 v50, v10, v50, vcc
	v_trig_preop_f64 v[48:49], |v[10:11]|, 1
	v_mul_f64 v[54:55], v[46:47], v[50:51]
	v_mul_f64 v[52:53], v[48:49], v[50:51]
	v_fma_f64 v[46:47], v[46:47], v[50:51], -v[54:55]
	v_add_f64 v[56:57], v[52:53], v[46:47]
	v_add_f64 v[58:59], v[54:55], v[56:57]
	v_ldexp_f64 v[60:61], v[58:59], -2
	v_fract_f64_e32 v[62:63], v[60:61]
	v_cmp_neq_f64_e64 vcc, |v[60:61]|, s[8:9]
	v_cndmask_b32_e32 v61, 0, v63, vcc
	v_cndmask_b32_e32 v60, 0, v62, vcc
	v_add_f64 v[62:63], v[56:57], -v[52:53]
	v_add_f64 v[46:47], v[46:47], -v[62:63]
	;; [unrolled: 1-line block ×4, first 2 shown]
	v_fma_f64 v[48:49], v[48:49], v[50:51], -v[52:53]
	v_trig_preop_f64 v[52:53], |v[10:11]|, 2
	v_add_f64 v[46:47], v[46:47], v[62:63]
	v_mul_f64 v[62:63], v[52:53], v[50:51]
	v_add_f64 v[64:65], v[62:63], v[48:49]
	v_add_f64 v[66:67], v[64:65], v[46:47]
	v_add_f64 v[54:55], v[58:59], -v[54:55]
	v_add_f64 v[58:59], v[66:67], -v[64:65]
	;; [unrolled: 1-line block ×5, first 2 shown]
	v_add_f64 v[46:47], v[46:47], v[58:59]
	v_add_f64 v[58:59], v[64:65], -v[62:63]
	v_add_f64 v[48:49], v[48:49], -v[58:59]
	;; [unrolled: 1-line block ×4, first 2 shown]
	v_add_f64 v[48:49], v[48:49], v[58:59]
	v_add_f64 v[54:55], v[56:57], -v[54:55]
	v_add_f64 v[46:47], v[48:49], v[46:47]
	v_fma_f64 v[48:49], v[52:53], v[50:51], -v[62:63]
	v_add_f64 v[56:57], v[54:55], v[66:67]
	v_add_f64 v[46:47], v[48:49], v[46:47]
	v_ldexp_f64 v[48:49], v[60:61], 2
	v_add_f64 v[50:51], v[56:57], v[48:49]
	v_cmp_gt_f64_e32 vcc, 0, v[50:51]
	v_cndmask_b32_e32 v17, 0, v88, vcc
	v_add_f64 v[48:49], v[48:49], v[16:17]
	v_add_f64 v[50:51], v[56:57], v[48:49]
	v_cvt_i32_f64_e32 v17, v[50:51]
	v_cvt_f64_i32_e32 v[50:51], v17
	v_add_f64 v[48:49], v[48:49], -v[50:51]
	v_add_f64 v[54:55], v[56:57], -v[54:55]
	v_add_f64 v[50:51], v[56:57], v[48:49]
	v_add_f64 v[54:55], v[66:67], -v[54:55]
	v_add_f64 v[48:49], v[50:51], -v[48:49]
	v_cmp_le_f64_e32 vcc, 0.5, v[50:51]
	v_add_f64 v[46:47], v[54:55], v[46:47]
	v_add_f64 v[48:49], v[56:57], -v[48:49]
	v_addc_co_u32_e64 v99, s[0:1], 0, v17, vcc
	v_cndmask_b32_e32 v17, 0, v89, vcc
	v_add_f64 v[46:47], v[46:47], v[48:49]
	v_add_f64 v[48:49], v[50:51], -v[16:17]
	v_add_f64 v[50:51], v[48:49], v[46:47]
	v_add_f64 v[48:49], v[50:51], -v[48:49]
	s_mov_b32 s10, s14
	v_add_f64 v[46:47], v[46:47], -v[48:49]
	v_mul_f64 v[48:49], v[50:51], s[10:11]
	v_fma_f64 v[52:53], v[50:51], s[10:11], -v[48:49]
	s_mov_b32 s19, s17
	v_fmac_f64_e32 v[52:53], s[18:19], v[50:51]
	v_fmac_f64_e32 v[52:53], s[10:11], v[46:47]
	v_add_f64 v[46:47], v[48:49], v[52:53]
	v_add_f64 v[48:49], v[46:47], -v[48:49]
	v_add_f64 v[48:49], v[52:53], -v[48:49]
	s_andn2_saveexec_b64 s[0:1], s[26:27]
	s_cbranch_execnz .LBB150_96
	s_branch .LBB150_97
.LBB150_95:                             ;   in Loop: Header=BB150_73 Depth=1
	s_andn2_saveexec_b64 s[0:1], s[26:27]
	s_cbranch_execz .LBB150_97
.LBB150_96:                             ;   in Loop: Header=BB150_73 Depth=1
	v_mul_f64 v[46:47], |v[10:11]|, s[20:21]
	v_rndne_f64_e32 v[50:51], v[46:47]
	v_fma_f64 v[46:47], v[50:51], s[14:15], |v[10:11]|
	v_mul_f64 v[52:53], v[50:51], s[22:23]
	v_add_f64 v[56:57], v[46:47], v[52:53]
	v_fma_f64 v[48:49], s[22:23], v[50:51], v[46:47]
	s_mov_b32 s16, s22
	v_add_f64 v[46:47], v[46:47], -v[56:57]
	v_fma_f64 v[54:55], s[16:17], v[50:51], v[52:53]
	v_add_f64 v[46:47], v[46:47], v[52:53]
	v_add_f64 v[52:53], v[56:57], -v[48:49]
	v_add_f64 v[46:47], v[52:53], v[46:47]
	v_add_f64 v[52:53], v[46:47], -v[54:55]
	v_fmac_f64_e32 v[52:53], s[24:25], v[50:51]
	v_add_f64 v[46:47], v[48:49], v[52:53]
	v_add_f64 v[48:49], v[46:47], -v[48:49]
	v_add_f64 v[48:49], v[52:53], -v[48:49]
	v_cvt_i32_f64_e32 v99, v[50:51]
.LBB150_97:                             ;   in Loop: Header=BB150_73 Depth=1
	s_or_b64 exec, exec, s[0:1]
	s_waitcnt vmcnt(0)
	v_mul_f64 v[56:57], v[14:15], 0.5
	v_cmp_nlt_f64_e64 s[0:1], |v[56:57]|, s[4:5]
                                        ; implicit-def: $vgpr102
                                        ; implicit-def: $vgpr58_vgpr59
                                        ; implicit-def: $vgpr60_vgpr61
	s_and_saveexec_b64 s[26:27], s[0:1]
	s_xor_b64 s[26:27], exec, s[26:27]
	s_cbranch_execz .LBB150_99
; %bb.98:                               ;   in Loop: Header=BB150_73 Depth=1
	s_mov_b32 s0, 0
	s_mov_b32 s1, 0x7b000000
	v_and_b32_e32 v17, 0x7fffffff, v57
	v_ldexp_f64 v[54:55], |v[56:57]|, s33
	v_cmp_ge_f64_e64 vcc, |v[56:57]|, s[0:1]
	v_trig_preop_f64 v[50:51], |v[56:57]|, 0
	v_cndmask_b32_e32 v55, v17, v55, vcc
	v_cndmask_b32_e32 v54, v56, v54, vcc
	v_trig_preop_f64 v[52:53], |v[56:57]|, 1
	v_mul_f64 v[60:61], v[50:51], v[54:55]
	v_mul_f64 v[58:59], v[52:53], v[54:55]
	v_fma_f64 v[50:51], v[50:51], v[54:55], -v[60:61]
	v_add_f64 v[62:63], v[58:59], v[50:51]
	v_add_f64 v[64:65], v[60:61], v[62:63]
	v_ldexp_f64 v[66:67], v[64:65], -2
	v_fract_f64_e32 v[68:69], v[66:67]
	v_cmp_neq_f64_e64 vcc, |v[66:67]|, s[8:9]
	v_cndmask_b32_e32 v67, 0, v69, vcc
	v_cndmask_b32_e32 v66, 0, v68, vcc
	v_add_f64 v[68:69], v[62:63], -v[58:59]
	v_add_f64 v[50:51], v[50:51], -v[68:69]
	;; [unrolled: 1-line block ×4, first 2 shown]
	v_fma_f64 v[52:53], v[52:53], v[54:55], -v[58:59]
	v_trig_preop_f64 v[58:59], |v[56:57]|, 2
	v_add_f64 v[50:51], v[50:51], v[68:69]
	v_mul_f64 v[68:69], v[58:59], v[54:55]
	v_add_f64 v[70:71], v[68:69], v[52:53]
	v_add_f64 v[72:73], v[70:71], v[50:51]
	v_add_f64 v[60:61], v[64:65], -v[60:61]
	v_add_f64 v[64:65], v[72:73], -v[70:71]
	;; [unrolled: 1-line block ×5, first 2 shown]
	v_add_f64 v[50:51], v[50:51], v[64:65]
	v_add_f64 v[64:65], v[70:71], -v[68:69]
	v_add_f64 v[52:53], v[52:53], -v[64:65]
	v_add_f64 v[64:65], v[70:71], -v[64:65]
	v_add_f64 v[64:65], v[68:69], -v[64:65]
	v_add_f64 v[52:53], v[52:53], v[64:65]
	v_add_f64 v[60:61], v[62:63], -v[60:61]
	v_add_f64 v[50:51], v[52:53], v[50:51]
	v_fma_f64 v[52:53], v[58:59], v[54:55], -v[68:69]
	v_add_f64 v[62:63], v[60:61], v[72:73]
	v_add_f64 v[50:51], v[52:53], v[50:51]
	v_ldexp_f64 v[52:53], v[66:67], 2
	v_add_f64 v[54:55], v[62:63], v[52:53]
	v_cmp_gt_f64_e32 vcc, 0, v[54:55]
	v_cndmask_b32_e32 v17, 0, v88, vcc
	v_add_f64 v[52:53], v[52:53], v[16:17]
	v_add_f64 v[54:55], v[62:63], v[52:53]
	v_cvt_i32_f64_e32 v17, v[54:55]
	v_cvt_f64_i32_e32 v[54:55], v17
	v_add_f64 v[52:53], v[52:53], -v[54:55]
	v_add_f64 v[60:61], v[62:63], -v[60:61]
	v_add_f64 v[54:55], v[62:63], v[52:53]
	v_add_f64 v[60:61], v[72:73], -v[60:61]
	v_add_f64 v[52:53], v[54:55], -v[52:53]
	v_cmp_le_f64_e32 vcc, 0.5, v[54:55]
	v_add_f64 v[50:51], v[60:61], v[50:51]
	v_add_f64 v[52:53], v[62:63], -v[52:53]
	v_addc_co_u32_e64 v102, s[0:1], 0, v17, vcc
	v_cndmask_b32_e32 v17, 0, v89, vcc
	v_add_f64 v[50:51], v[50:51], v[52:53]
	v_add_f64 v[52:53], v[54:55], -v[16:17]
	v_add_f64 v[54:55], v[52:53], v[50:51]
	v_add_f64 v[52:53], v[54:55], -v[52:53]
	s_mov_b32 s10, s14
	v_add_f64 v[50:51], v[50:51], -v[52:53]
	v_mul_f64 v[52:53], v[54:55], s[10:11]
	v_fma_f64 v[60:61], v[54:55], s[10:11], -v[52:53]
	s_mov_b32 s19, s17
	v_fmac_f64_e32 v[60:61], s[18:19], v[54:55]
	v_fmac_f64_e32 v[60:61], s[10:11], v[50:51]
	v_add_f64 v[58:59], v[52:53], v[60:61]
	v_add_f64 v[50:51], v[58:59], -v[52:53]
	v_add_f64 v[60:61], v[60:61], -v[50:51]
.LBB150_99:                             ;   in Loop: Header=BB150_73 Depth=1
	s_andn2_saveexec_b64 s[0:1], s[26:27]
	s_cbranch_execz .LBB150_101
; %bb.100:                              ;   in Loop: Header=BB150_73 Depth=1
	v_mul_f64 v[50:51], |v[56:57]|, s[20:21]
	v_rndne_f64_e32 v[50:51], v[50:51]
	v_fma_f64 v[52:53], v[50:51], s[14:15], |v[56:57]|
	v_mul_f64 v[58:59], v[50:51], s[22:23]
	v_add_f64 v[62:63], v[52:53], v[58:59]
	v_fma_f64 v[54:55], s[22:23], v[50:51], v[52:53]
	s_mov_b32 s16, s22
	v_add_f64 v[52:53], v[52:53], -v[62:63]
	v_fma_f64 v[60:61], s[16:17], v[50:51], v[58:59]
	v_add_f64 v[52:53], v[52:53], v[58:59]
	v_add_f64 v[58:59], v[62:63], -v[54:55]
	v_add_f64 v[52:53], v[58:59], v[52:53]
	v_add_f64 v[52:53], v[52:53], -v[60:61]
	v_fmac_f64_e32 v[52:53], s[24:25], v[50:51]
	v_add_f64 v[58:59], v[54:55], v[52:53]
	v_add_f64 v[54:55], v[58:59], -v[54:55]
	v_add_f64 v[60:61], v[52:53], -v[54:55]
	v_cvt_i32_f64_e32 v102, v[50:51]
.LBB150_101:                            ;   in Loop: Header=BB150_73 Depth=1
	s_or_b64 exec, exec, s[0:1]
	v_cmp_nlt_f64_e64 s[26:27], |v[14:15]|, s[4:5]
                                        ; implicit-def: $vgpr104
                                        ; implicit-def: $vgpr72_vgpr73
                                        ; implicit-def: $vgpr74_vgpr75
	s_and_saveexec_b64 s[0:1], s[26:27]
	s_xor_b64 s[30:31], exec, s[0:1]
	s_cbranch_execz .LBB150_103
; %bb.102:                              ;   in Loop: Header=BB150_73 Depth=1
	s_mov_b32 s0, 0
	s_mov_b32 s1, 0x7b000000
	v_and_b32_e32 v17, 0x7fffffff, v15
	v_ldexp_f64 v[54:55], |v[14:15]|, s33
	v_cmp_ge_f64_e64 vcc, |v[14:15]|, s[0:1]
	v_trig_preop_f64 v[50:51], |v[14:15]|, 0
	v_cndmask_b32_e32 v55, v17, v55, vcc
	v_cndmask_b32_e32 v54, v14, v54, vcc
	v_trig_preop_f64 v[52:53], |v[14:15]|, 1
	v_mul_f64 v[64:65], v[50:51], v[54:55]
	v_mul_f64 v[62:63], v[52:53], v[54:55]
	v_fma_f64 v[50:51], v[50:51], v[54:55], -v[64:65]
	v_add_f64 v[66:67], v[62:63], v[50:51]
	v_add_f64 v[68:69], v[64:65], v[66:67]
	v_ldexp_f64 v[70:71], v[68:69], -2
	v_fract_f64_e32 v[72:73], v[70:71]
	v_cmp_neq_f64_e64 vcc, |v[70:71]|, s[8:9]
	v_cndmask_b32_e32 v71, 0, v73, vcc
	v_cndmask_b32_e32 v70, 0, v72, vcc
	v_add_f64 v[72:73], v[66:67], -v[62:63]
	v_add_f64 v[50:51], v[50:51], -v[72:73]
	;; [unrolled: 1-line block ×4, first 2 shown]
	v_fma_f64 v[52:53], v[52:53], v[54:55], -v[62:63]
	v_trig_preop_f64 v[62:63], |v[14:15]|, 2
	v_add_f64 v[50:51], v[50:51], v[72:73]
	v_mul_f64 v[72:73], v[62:63], v[54:55]
	v_add_f64 v[74:75], v[72:73], v[52:53]
	v_add_f64 v[76:77], v[74:75], v[50:51]
	v_add_f64 v[64:65], v[68:69], -v[64:65]
	v_add_f64 v[68:69], v[76:77], -v[74:75]
	;; [unrolled: 1-line block ×5, first 2 shown]
	v_add_f64 v[50:51], v[50:51], v[68:69]
	v_add_f64 v[68:69], v[74:75], -v[72:73]
	v_add_f64 v[52:53], v[52:53], -v[68:69]
	;; [unrolled: 1-line block ×4, first 2 shown]
	v_add_f64 v[52:53], v[52:53], v[68:69]
	v_add_f64 v[64:65], v[66:67], -v[64:65]
	v_add_f64 v[50:51], v[52:53], v[50:51]
	v_fma_f64 v[52:53], v[62:63], v[54:55], -v[72:73]
	v_add_f64 v[66:67], v[64:65], v[76:77]
	v_add_f64 v[50:51], v[52:53], v[50:51]
	v_ldexp_f64 v[52:53], v[70:71], 2
	v_add_f64 v[54:55], v[66:67], v[52:53]
	v_cmp_gt_f64_e32 vcc, 0, v[54:55]
	v_cndmask_b32_e32 v17, 0, v88, vcc
	v_add_f64 v[52:53], v[52:53], v[16:17]
	v_add_f64 v[54:55], v[66:67], v[52:53]
	v_cvt_i32_f64_e32 v17, v[54:55]
	v_cvt_f64_i32_e32 v[54:55], v17
	v_add_f64 v[52:53], v[52:53], -v[54:55]
	v_add_f64 v[64:65], v[66:67], -v[64:65]
	v_add_f64 v[54:55], v[66:67], v[52:53]
	v_add_f64 v[64:65], v[76:77], -v[64:65]
	v_add_f64 v[52:53], v[54:55], -v[52:53]
	v_cmp_le_f64_e32 vcc, 0.5, v[54:55]
	v_add_f64 v[50:51], v[64:65], v[50:51]
	v_add_f64 v[52:53], v[66:67], -v[52:53]
	v_addc_co_u32_e64 v104, s[0:1], 0, v17, vcc
	v_cndmask_b32_e32 v17, 0, v89, vcc
	v_add_f64 v[50:51], v[50:51], v[52:53]
	v_add_f64 v[52:53], v[54:55], -v[16:17]
	v_add_f64 v[54:55], v[52:53], v[50:51]
	v_add_f64 v[52:53], v[54:55], -v[52:53]
	s_mov_b32 s10, s14
	v_add_f64 v[50:51], v[50:51], -v[52:53]
	v_mul_f64 v[52:53], v[54:55], s[10:11]
	v_fma_f64 v[62:63], v[54:55], s[10:11], -v[52:53]
	s_mov_b32 s19, s17
	v_fmac_f64_e32 v[62:63], s[18:19], v[54:55]
	v_fmac_f64_e32 v[62:63], s[10:11], v[50:51]
	v_add_f64 v[72:73], v[52:53], v[62:63]
	v_add_f64 v[50:51], v[72:73], -v[52:53]
	v_add_f64 v[74:75], v[62:63], -v[50:51]
	s_andn2_saveexec_b64 s[0:1], s[30:31]
	s_cbranch_execz .LBB150_105
	s_branch .LBB150_104
.LBB150_103:                            ;   in Loop: Header=BB150_73 Depth=1
	s_andn2_saveexec_b64 s[0:1], s[30:31]
	s_cbranch_execz .LBB150_105
.LBB150_104:                            ;   in Loop: Header=BB150_73 Depth=1
	v_mul_f64 v[50:51], |v[14:15]|, s[20:21]
	v_rndne_f64_e32 v[50:51], v[50:51]
	v_fma_f64 v[52:53], v[50:51], s[14:15], |v[14:15]|
	v_mul_f64 v[62:63], v[50:51], s[22:23]
	v_add_f64 v[66:67], v[52:53], v[62:63]
	v_fma_f64 v[54:55], s[22:23], v[50:51], v[52:53]
	s_mov_b32 s16, s22
	v_add_f64 v[52:53], v[52:53], -v[66:67]
	v_fma_f64 v[64:65], s[16:17], v[50:51], v[62:63]
	v_add_f64 v[52:53], v[52:53], v[62:63]
	v_add_f64 v[62:63], v[66:67], -v[54:55]
	v_add_f64 v[52:53], v[62:63], v[52:53]
	v_add_f64 v[52:53], v[52:53], -v[64:65]
	v_fmac_f64_e32 v[52:53], s[24:25], v[50:51]
	v_add_f64 v[72:73], v[54:55], v[52:53]
	v_add_f64 v[54:55], v[72:73], -v[54:55]
	v_add_f64 v[74:75], v[52:53], -v[54:55]
	v_cvt_i32_f64_e32 v104, v[50:51]
.LBB150_105:                            ;   in Loop: Header=BB150_73 Depth=1
	s_or_b64 exec, exec, s[0:1]
                                        ; implicit-def: $vgpr105
                                        ; implicit-def: $vgpr76_vgpr77
                                        ; implicit-def: $vgpr80_vgpr81
	s_and_saveexec_b64 s[0:1], s[26:27]
	s_xor_b64 s[26:27], exec, s[0:1]
	s_cbranch_execz .LBB150_107
; %bb.106:                              ;   in Loop: Header=BB150_73 Depth=1
	s_mov_b32 s0, 0
	s_mov_b32 s1, 0x7b000000
	v_and_b32_e32 v17, 0x7fffffff, v15
	v_ldexp_f64 v[54:55], |v[14:15]|, s33
	v_cmp_ge_f64_e64 vcc, |v[14:15]|, s[0:1]
	v_trig_preop_f64 v[50:51], |v[14:15]|, 0
	v_cndmask_b32_e32 v55, v17, v55, vcc
	v_cndmask_b32_e32 v54, v14, v54, vcc
	v_trig_preop_f64 v[52:53], |v[14:15]|, 1
	v_mul_f64 v[64:65], v[50:51], v[54:55]
	v_mul_f64 v[62:63], v[52:53], v[54:55]
	v_fma_f64 v[50:51], v[50:51], v[54:55], -v[64:65]
	v_add_f64 v[66:67], v[62:63], v[50:51]
	v_add_f64 v[68:69], v[64:65], v[66:67]
	v_ldexp_f64 v[70:71], v[68:69], -2
	v_fract_f64_e32 v[76:77], v[70:71]
	v_cmp_neq_f64_e64 vcc, |v[70:71]|, s[8:9]
	v_cndmask_b32_e32 v71, 0, v77, vcc
	v_cndmask_b32_e32 v70, 0, v76, vcc
	v_add_f64 v[76:77], v[66:67], -v[62:63]
	v_add_f64 v[50:51], v[50:51], -v[76:77]
	;; [unrolled: 1-line block ×4, first 2 shown]
	v_fma_f64 v[52:53], v[52:53], v[54:55], -v[62:63]
	v_trig_preop_f64 v[62:63], |v[14:15]|, 2
	v_add_f64 v[50:51], v[50:51], v[76:77]
	v_mul_f64 v[76:77], v[62:63], v[54:55]
	v_add_f64 v[78:79], v[76:77], v[52:53]
	v_add_f64 v[80:81], v[78:79], v[50:51]
	v_add_f64 v[64:65], v[68:69], -v[64:65]
	v_add_f64 v[68:69], v[80:81], -v[78:79]
	;; [unrolled: 1-line block ×5, first 2 shown]
	v_add_f64 v[50:51], v[50:51], v[68:69]
	v_add_f64 v[68:69], v[78:79], -v[76:77]
	v_add_f64 v[52:53], v[52:53], -v[68:69]
	v_add_f64 v[68:69], v[78:79], -v[68:69]
	v_add_f64 v[68:69], v[76:77], -v[68:69]
	v_add_f64 v[52:53], v[52:53], v[68:69]
	v_add_f64 v[64:65], v[66:67], -v[64:65]
	v_add_f64 v[50:51], v[52:53], v[50:51]
	v_fma_f64 v[52:53], v[62:63], v[54:55], -v[76:77]
	v_add_f64 v[66:67], v[64:65], v[80:81]
	v_add_f64 v[50:51], v[52:53], v[50:51]
	v_ldexp_f64 v[52:53], v[70:71], 2
	v_add_f64 v[54:55], v[66:67], v[52:53]
	v_cmp_gt_f64_e32 vcc, 0, v[54:55]
	v_cndmask_b32_e32 v17, 0, v88, vcc
	v_add_f64 v[52:53], v[52:53], v[16:17]
	v_add_f64 v[54:55], v[66:67], v[52:53]
	v_cvt_i32_f64_e32 v17, v[54:55]
	v_cvt_f64_i32_e32 v[54:55], v17
	v_add_f64 v[52:53], v[52:53], -v[54:55]
	v_add_f64 v[64:65], v[66:67], -v[64:65]
	v_add_f64 v[54:55], v[66:67], v[52:53]
	v_add_f64 v[64:65], v[80:81], -v[64:65]
	v_add_f64 v[52:53], v[54:55], -v[52:53]
	v_cmp_le_f64_e32 vcc, 0.5, v[54:55]
	v_add_f64 v[50:51], v[64:65], v[50:51]
	v_add_f64 v[52:53], v[66:67], -v[52:53]
	v_addc_co_u32_e64 v105, s[0:1], 0, v17, vcc
	v_cndmask_b32_e32 v17, 0, v89, vcc
	v_add_f64 v[50:51], v[50:51], v[52:53]
	v_add_f64 v[52:53], v[54:55], -v[16:17]
	v_add_f64 v[54:55], v[52:53], v[50:51]
	v_add_f64 v[52:53], v[54:55], -v[52:53]
	s_mov_b32 s10, s14
	v_add_f64 v[50:51], v[50:51], -v[52:53]
	v_mul_f64 v[52:53], v[54:55], s[10:11]
	v_fma_f64 v[62:63], v[54:55], s[10:11], -v[52:53]
	s_mov_b32 s19, s17
	v_fmac_f64_e32 v[62:63], s[18:19], v[54:55]
	v_fmac_f64_e32 v[62:63], s[10:11], v[50:51]
	v_add_f64 v[76:77], v[52:53], v[62:63]
	v_add_f64 v[50:51], v[76:77], -v[52:53]
	v_add_f64 v[80:81], v[62:63], -v[50:51]
	s_andn2_saveexec_b64 s[0:1], s[26:27]
	s_cbranch_execnz .LBB150_108
	s_branch .LBB150_109
.LBB150_107:                            ;   in Loop: Header=BB150_73 Depth=1
	s_andn2_saveexec_b64 s[0:1], s[26:27]
	s_cbranch_execz .LBB150_109
.LBB150_108:                            ;   in Loop: Header=BB150_73 Depth=1
	v_mul_f64 v[50:51], |v[14:15]|, s[20:21]
	v_rndne_f64_e32 v[50:51], v[50:51]
	v_fma_f64 v[52:53], v[50:51], s[14:15], |v[14:15]|
	v_mul_f64 v[62:63], v[50:51], s[22:23]
	v_add_f64 v[66:67], v[52:53], v[62:63]
	v_fma_f64 v[54:55], s[22:23], v[50:51], v[52:53]
	s_mov_b32 s16, s22
	v_add_f64 v[52:53], v[52:53], -v[66:67]
	v_fma_f64 v[64:65], s[16:17], v[50:51], v[62:63]
	v_add_f64 v[52:53], v[52:53], v[62:63]
	v_add_f64 v[62:63], v[66:67], -v[54:55]
	v_add_f64 v[52:53], v[62:63], v[52:53]
	v_add_f64 v[52:53], v[52:53], -v[64:65]
	v_fmac_f64_e32 v[52:53], s[24:25], v[50:51]
	v_add_f64 v[76:77], v[54:55], v[52:53]
	v_add_f64 v[54:55], v[76:77], -v[54:55]
	v_add_f64 v[80:81], v[52:53], -v[54:55]
	v_cvt_i32_f64_e32 v105, v[50:51]
.LBB150_109:                            ;   in Loop: Header=BB150_73 Depth=1
	s_or_b64 exec, exec, s[0:1]
	v_mul_f64 v[50:51], v[2:3], 0.5
	v_cmp_nlt_f64_e64 s[0:1], |v[50:51]|, s[4:5]
                                        ; implicit-def: $vgpr100
                                        ; implicit-def: $vgpr52_vgpr53
                                        ; implicit-def: $vgpr54_vgpr55
	s_and_saveexec_b64 s[26:27], s[0:1]
	s_xor_b64 s[26:27], exec, s[26:27]
	s_cbranch_execz .LBB150_111
; %bb.110:                              ;   in Loop: Header=BB150_73 Depth=1
	s_mov_b32 s0, 0
	s_mov_b32 s1, 0x7b000000
	v_and_b32_e32 v17, 0x7fffffff, v51
	v_ldexp_f64 v[62:63], |v[50:51]|, s33
	v_cmp_ge_f64_e64 vcc, |v[50:51]|, s[0:1]
	v_trig_preop_f64 v[52:53], |v[50:51]|, 0
	v_cndmask_b32_e32 v63, v17, v63, vcc
	v_cndmask_b32_e32 v62, v50, v62, vcc
	v_trig_preop_f64 v[54:55], |v[50:51]|, 1
	v_mul_f64 v[66:67], v[52:53], v[62:63]
	v_mul_f64 v[64:65], v[54:55], v[62:63]
	v_fma_f64 v[52:53], v[52:53], v[62:63], -v[66:67]
	v_add_f64 v[68:69], v[64:65], v[52:53]
	v_add_f64 v[70:71], v[66:67], v[68:69]
	v_ldexp_f64 v[78:79], v[70:71], -2
	v_fract_f64_e32 v[82:83], v[78:79]
	v_cmp_neq_f64_e64 vcc, |v[78:79]|, s[8:9]
	v_cndmask_b32_e32 v79, 0, v83, vcc
	v_cndmask_b32_e32 v78, 0, v82, vcc
	v_add_f64 v[82:83], v[68:69], -v[64:65]
	v_add_f64 v[52:53], v[52:53], -v[82:83]
	;; [unrolled: 1-line block ×4, first 2 shown]
	v_fma_f64 v[54:55], v[54:55], v[62:63], -v[64:65]
	v_trig_preop_f64 v[64:65], |v[50:51]|, 2
	v_add_f64 v[52:53], v[52:53], v[82:83]
	v_mul_f64 v[82:83], v[64:65], v[62:63]
	v_add_f64 v[84:85], v[82:83], v[54:55]
	v_add_f64 v[86:87], v[84:85], v[52:53]
	v_add_f64 v[66:67], v[70:71], -v[66:67]
	v_add_f64 v[70:71], v[86:87], -v[84:85]
	;; [unrolled: 1-line block ×5, first 2 shown]
	v_add_f64 v[52:53], v[52:53], v[70:71]
	v_add_f64 v[70:71], v[84:85], -v[82:83]
	v_add_f64 v[54:55], v[54:55], -v[70:71]
	;; [unrolled: 1-line block ×4, first 2 shown]
	v_add_f64 v[54:55], v[54:55], v[70:71]
	v_add_f64 v[66:67], v[68:69], -v[66:67]
	v_add_f64 v[52:53], v[54:55], v[52:53]
	v_fma_f64 v[54:55], v[64:65], v[62:63], -v[82:83]
	v_add_f64 v[68:69], v[66:67], v[86:87]
	v_add_f64 v[52:53], v[54:55], v[52:53]
	v_ldexp_f64 v[54:55], v[78:79], 2
	v_add_f64 v[62:63], v[68:69], v[54:55]
	v_cmp_gt_f64_e32 vcc, 0, v[62:63]
	v_cndmask_b32_e32 v17, 0, v88, vcc
	v_add_f64 v[54:55], v[54:55], v[16:17]
	v_add_f64 v[62:63], v[68:69], v[54:55]
	v_cvt_i32_f64_e32 v17, v[62:63]
	v_cvt_f64_i32_e32 v[62:63], v17
	v_add_f64 v[54:55], v[54:55], -v[62:63]
	v_add_f64 v[66:67], v[68:69], -v[66:67]
	v_add_f64 v[62:63], v[68:69], v[54:55]
	v_add_f64 v[66:67], v[86:87], -v[66:67]
	v_add_f64 v[54:55], v[62:63], -v[54:55]
	v_cmp_le_f64_e32 vcc, 0.5, v[62:63]
	v_add_f64 v[52:53], v[66:67], v[52:53]
	v_add_f64 v[54:55], v[68:69], -v[54:55]
	v_addc_co_u32_e64 v100, s[0:1], 0, v17, vcc
	v_cndmask_b32_e32 v17, 0, v89, vcc
	v_add_f64 v[52:53], v[52:53], v[54:55]
	v_add_f64 v[54:55], v[62:63], -v[16:17]
	v_add_f64 v[62:63], v[54:55], v[52:53]
	v_add_f64 v[54:55], v[62:63], -v[54:55]
	s_mov_b32 s10, s14
	v_add_f64 v[52:53], v[52:53], -v[54:55]
	v_mul_f64 v[54:55], v[62:63], s[10:11]
	v_fma_f64 v[64:65], v[62:63], s[10:11], -v[54:55]
	s_mov_b32 s19, s17
	v_fmac_f64_e32 v[64:65], s[18:19], v[62:63]
	v_fmac_f64_e32 v[64:65], s[10:11], v[52:53]
	v_add_f64 v[52:53], v[54:55], v[64:65]
	v_add_f64 v[54:55], v[52:53], -v[54:55]
	v_add_f64 v[54:55], v[64:65], -v[54:55]
.LBB150_111:                            ;   in Loop: Header=BB150_73 Depth=1
	s_andn2_saveexec_b64 s[0:1], s[26:27]
	s_cbranch_execz .LBB150_113
; %bb.112:                              ;   in Loop: Header=BB150_73 Depth=1
	v_mul_f64 v[52:53], |v[50:51]|, s[20:21]
	v_rndne_f64_e32 v[62:63], v[52:53]
	v_fma_f64 v[52:53], v[62:63], s[14:15], |v[50:51]|
	v_mul_f64 v[64:65], v[62:63], s[22:23]
	v_add_f64 v[68:69], v[52:53], v[64:65]
	v_fma_f64 v[54:55], s[22:23], v[62:63], v[52:53]
	s_mov_b32 s16, s22
	v_add_f64 v[52:53], v[52:53], -v[68:69]
	v_fma_f64 v[66:67], s[16:17], v[62:63], v[64:65]
	v_add_f64 v[52:53], v[52:53], v[64:65]
	v_add_f64 v[64:65], v[68:69], -v[54:55]
	v_add_f64 v[52:53], v[64:65], v[52:53]
	v_add_f64 v[64:65], v[52:53], -v[66:67]
	v_fmac_f64_e32 v[64:65], s[24:25], v[62:63]
	v_add_f64 v[52:53], v[54:55], v[64:65]
	v_add_f64 v[54:55], v[52:53], -v[54:55]
	v_add_f64 v[54:55], v[64:65], -v[54:55]
	v_cvt_i32_f64_e32 v100, v[62:63]
.LBB150_113:                            ;   in Loop: Header=BB150_73 Depth=1
	s_or_b64 exec, exec, s[0:1]
	v_cmp_nlt_f64_e64 s[26:27], |v[2:3]|, s[4:5]
                                        ; implicit-def: $vgpr101
                                        ; implicit-def: $vgpr62_vgpr63
                                        ; implicit-def: $vgpr64_vgpr65
	s_and_saveexec_b64 s[0:1], s[26:27]
	s_xor_b64 s[30:31], exec, s[0:1]
	s_cbranch_execz .LBB150_115
; %bb.114:                              ;   in Loop: Header=BB150_73 Depth=1
	s_mov_b32 s0, 0
	s_mov_b32 s1, 0x7b000000
	v_and_b32_e32 v17, 0x7fffffff, v3
	v_ldexp_f64 v[66:67], |v[2:3]|, s33
	v_cmp_ge_f64_e64 vcc, |v[2:3]|, s[0:1]
	v_trig_preop_f64 v[62:63], |v[2:3]|, 0
	v_cndmask_b32_e32 v67, v17, v67, vcc
	v_cndmask_b32_e32 v66, v2, v66, vcc
	v_trig_preop_f64 v[64:65], |v[2:3]|, 1
	v_mul_f64 v[70:71], v[62:63], v[66:67]
	v_mul_f64 v[68:69], v[64:65], v[66:67]
	v_fma_f64 v[62:63], v[62:63], v[66:67], -v[70:71]
	v_add_f64 v[78:79], v[68:69], v[62:63]
	v_add_f64 v[82:83], v[70:71], v[78:79]
	v_ldexp_f64 v[84:85], v[82:83], -2
	v_fract_f64_e32 v[86:87], v[84:85]
	v_cmp_neq_f64_e64 vcc, |v[84:85]|, s[8:9]
	v_cndmask_b32_e32 v85, 0, v87, vcc
	v_cndmask_b32_e32 v84, 0, v86, vcc
	v_add_f64 v[86:87], v[78:79], -v[68:69]
	v_add_f64 v[62:63], v[62:63], -v[86:87]
	;; [unrolled: 1-line block ×4, first 2 shown]
	v_fma_f64 v[64:65], v[64:65], v[66:67], -v[68:69]
	v_trig_preop_f64 v[68:69], |v[2:3]|, 2
	v_add_f64 v[62:63], v[62:63], v[86:87]
	v_mul_f64 v[86:87], v[68:69], v[66:67]
	v_add_f64 v[106:107], v[86:87], v[64:65]
	v_add_f64 v[108:109], v[106:107], v[62:63]
	v_add_f64 v[70:71], v[82:83], -v[70:71]
	v_add_f64 v[82:83], v[108:109], -v[106:107]
	;; [unrolled: 1-line block ×5, first 2 shown]
	v_add_f64 v[62:63], v[62:63], v[82:83]
	v_add_f64 v[82:83], v[106:107], -v[86:87]
	v_add_f64 v[64:65], v[64:65], -v[82:83]
	;; [unrolled: 1-line block ×4, first 2 shown]
	v_add_f64 v[64:65], v[64:65], v[82:83]
	v_add_f64 v[70:71], v[78:79], -v[70:71]
	v_add_f64 v[62:63], v[64:65], v[62:63]
	v_fma_f64 v[64:65], v[68:69], v[66:67], -v[86:87]
	v_add_f64 v[78:79], v[70:71], v[108:109]
	v_add_f64 v[62:63], v[64:65], v[62:63]
	v_ldexp_f64 v[64:65], v[84:85], 2
	v_add_f64 v[66:67], v[78:79], v[64:65]
	v_cmp_gt_f64_e32 vcc, 0, v[66:67]
	v_cndmask_b32_e32 v17, 0, v88, vcc
	v_add_f64 v[64:65], v[64:65], v[16:17]
	v_add_f64 v[66:67], v[78:79], v[64:65]
	v_cvt_i32_f64_e32 v17, v[66:67]
	v_cvt_f64_i32_e32 v[66:67], v17
	v_add_f64 v[64:65], v[64:65], -v[66:67]
	v_add_f64 v[70:71], v[78:79], -v[70:71]
	v_add_f64 v[66:67], v[78:79], v[64:65]
	v_add_f64 v[70:71], v[108:109], -v[70:71]
	v_add_f64 v[64:65], v[66:67], -v[64:65]
	v_cmp_le_f64_e32 vcc, 0.5, v[66:67]
	v_add_f64 v[62:63], v[70:71], v[62:63]
	v_add_f64 v[64:65], v[78:79], -v[64:65]
	v_addc_co_u32_e64 v101, s[0:1], 0, v17, vcc
	v_cndmask_b32_e32 v17, 0, v89, vcc
	v_add_f64 v[62:63], v[62:63], v[64:65]
	v_add_f64 v[64:65], v[66:67], -v[16:17]
	v_add_f64 v[66:67], v[64:65], v[62:63]
	v_add_f64 v[64:65], v[66:67], -v[64:65]
	s_mov_b32 s10, s14
	v_add_f64 v[62:63], v[62:63], -v[64:65]
	v_mul_f64 v[64:65], v[66:67], s[10:11]
	v_fma_f64 v[68:69], v[66:67], s[10:11], -v[64:65]
	s_mov_b32 s19, s17
	v_fmac_f64_e32 v[68:69], s[18:19], v[66:67]
	v_fmac_f64_e32 v[68:69], s[10:11], v[62:63]
	v_add_f64 v[62:63], v[64:65], v[68:69]
	v_add_f64 v[64:65], v[62:63], -v[64:65]
	v_add_f64 v[64:65], v[68:69], -v[64:65]
	s_andn2_saveexec_b64 s[0:1], s[30:31]
	s_cbranch_execz .LBB150_117
	s_branch .LBB150_116
.LBB150_115:                            ;   in Loop: Header=BB150_73 Depth=1
	s_andn2_saveexec_b64 s[0:1], s[30:31]
	s_cbranch_execz .LBB150_117
.LBB150_116:                            ;   in Loop: Header=BB150_73 Depth=1
	v_mul_f64 v[62:63], |v[2:3]|, s[20:21]
	v_rndne_f64_e32 v[66:67], v[62:63]
	v_fma_f64 v[62:63], v[66:67], s[14:15], |v[2:3]|
	v_mul_f64 v[68:69], v[66:67], s[22:23]
	v_add_f64 v[78:79], v[62:63], v[68:69]
	v_fma_f64 v[64:65], s[22:23], v[66:67], v[62:63]
	s_mov_b32 s16, s22
	v_add_f64 v[62:63], v[62:63], -v[78:79]
	v_fma_f64 v[70:71], s[16:17], v[66:67], v[68:69]
	v_add_f64 v[62:63], v[62:63], v[68:69]
	v_add_f64 v[68:69], v[78:79], -v[64:65]
	v_add_f64 v[62:63], v[68:69], v[62:63]
	v_add_f64 v[68:69], v[62:63], -v[70:71]
	v_fmac_f64_e32 v[68:69], s[24:25], v[66:67]
	v_add_f64 v[62:63], v[64:65], v[68:69]
	v_add_f64 v[64:65], v[62:63], -v[64:65]
	v_add_f64 v[64:65], v[68:69], -v[64:65]
	v_cvt_i32_f64_e32 v101, v[66:67]
.LBB150_117:                            ;   in Loop: Header=BB150_73 Depth=1
	s_or_b64 exec, exec, s[0:1]
                                        ; implicit-def: $vgpr103
                                        ; implicit-def: $vgpr66_vgpr67
                                        ; implicit-def: $vgpr70_vgpr71
	s_and_saveexec_b64 s[0:1], s[26:27]
	s_xor_b64 s[26:27], exec, s[0:1]
	s_cbranch_execz .LBB150_119
; %bb.118:                              ;   in Loop: Header=BB150_73 Depth=1
	s_mov_b32 s0, 0
	s_mov_b32 s1, 0x7b000000
	v_and_b32_e32 v17, 0x7fffffff, v3
	v_ldexp_f64 v[70:71], |v[2:3]|, s33
	v_cmp_ge_f64_e64 vcc, |v[2:3]|, s[0:1]
	v_trig_preop_f64 v[66:67], |v[2:3]|, 0
	v_cndmask_b32_e32 v71, v17, v71, vcc
	v_cndmask_b32_e32 v70, v2, v70, vcc
	v_trig_preop_f64 v[68:69], |v[2:3]|, 1
	v_mul_f64 v[82:83], v[66:67], v[70:71]
	v_mul_f64 v[78:79], v[68:69], v[70:71]
	v_fma_f64 v[66:67], v[66:67], v[70:71], -v[82:83]
	v_add_f64 v[84:85], v[78:79], v[66:67]
	v_add_f64 v[86:87], v[82:83], v[84:85]
	v_ldexp_f64 v[106:107], v[86:87], -2
	v_fract_f64_e32 v[108:109], v[106:107]
	v_cmp_neq_f64_e64 vcc, |v[106:107]|, s[8:9]
	v_cndmask_b32_e32 v107, 0, v109, vcc
	v_cndmask_b32_e32 v106, 0, v108, vcc
	v_add_f64 v[108:109], v[84:85], -v[78:79]
	v_add_f64 v[66:67], v[66:67], -v[108:109]
	;; [unrolled: 1-line block ×4, first 2 shown]
	v_fma_f64 v[68:69], v[68:69], v[70:71], -v[78:79]
	v_trig_preop_f64 v[78:79], |v[2:3]|, 2
	v_add_f64 v[66:67], v[66:67], v[108:109]
	v_mul_f64 v[108:109], v[78:79], v[70:71]
	v_add_f64 v[110:111], v[108:109], v[68:69]
	v_add_f64 v[112:113], v[110:111], v[66:67]
	v_add_f64 v[82:83], v[86:87], -v[82:83]
	v_add_f64 v[86:87], v[112:113], -v[110:111]
	;; [unrolled: 1-line block ×5, first 2 shown]
	v_add_f64 v[66:67], v[66:67], v[86:87]
	v_add_f64 v[86:87], v[110:111], -v[108:109]
	v_add_f64 v[68:69], v[68:69], -v[86:87]
	;; [unrolled: 1-line block ×4, first 2 shown]
	v_add_f64 v[68:69], v[68:69], v[86:87]
	v_add_f64 v[82:83], v[84:85], -v[82:83]
	v_add_f64 v[66:67], v[68:69], v[66:67]
	v_fma_f64 v[68:69], v[78:79], v[70:71], -v[108:109]
	v_add_f64 v[84:85], v[82:83], v[112:113]
	v_add_f64 v[66:67], v[68:69], v[66:67]
	v_ldexp_f64 v[68:69], v[106:107], 2
	v_add_f64 v[70:71], v[84:85], v[68:69]
	v_cmp_gt_f64_e32 vcc, 0, v[70:71]
	v_cndmask_b32_e32 v17, 0, v88, vcc
	v_add_f64 v[68:69], v[68:69], v[16:17]
	v_add_f64 v[70:71], v[84:85], v[68:69]
	v_cvt_i32_f64_e32 v17, v[70:71]
	v_cvt_f64_i32_e32 v[70:71], v17
	v_add_f64 v[68:69], v[68:69], -v[70:71]
	v_add_f64 v[82:83], v[84:85], -v[82:83]
	v_add_f64 v[70:71], v[84:85], v[68:69]
	v_add_f64 v[82:83], v[112:113], -v[82:83]
	v_add_f64 v[68:69], v[70:71], -v[68:69]
	v_cmp_le_f64_e32 vcc, 0.5, v[70:71]
	v_add_f64 v[66:67], v[82:83], v[66:67]
	v_add_f64 v[68:69], v[84:85], -v[68:69]
	v_addc_co_u32_e64 v103, s[0:1], 0, v17, vcc
	v_cndmask_b32_e32 v17, 0, v89, vcc
	v_add_f64 v[66:67], v[66:67], v[68:69]
	v_add_f64 v[68:69], v[70:71], -v[16:17]
	v_add_f64 v[70:71], v[68:69], v[66:67]
	v_add_f64 v[68:69], v[70:71], -v[68:69]
	s_mov_b32 s10, s14
	v_add_f64 v[66:67], v[66:67], -v[68:69]
	v_mul_f64 v[68:69], v[70:71], s[10:11]
	v_fma_f64 v[78:79], v[70:71], s[10:11], -v[68:69]
	s_mov_b32 s19, s17
	v_fmac_f64_e32 v[78:79], s[18:19], v[70:71]
	v_fmac_f64_e32 v[78:79], s[10:11], v[66:67]
	v_add_f64 v[66:67], v[68:69], v[78:79]
	v_add_f64 v[68:69], v[66:67], -v[68:69]
	v_add_f64 v[70:71], v[78:79], -v[68:69]
	s_andn2_saveexec_b64 s[0:1], s[26:27]
	s_cbranch_execz .LBB150_72
	s_branch .LBB150_120
.LBB150_119:                            ;   in Loop: Header=BB150_73 Depth=1
	s_andn2_saveexec_b64 s[0:1], s[26:27]
	s_cbranch_execz .LBB150_72
.LBB150_120:                            ;   in Loop: Header=BB150_73 Depth=1
	v_mul_f64 v[66:67], |v[2:3]|, s[20:21]
	v_rndne_f64_e32 v[68:69], v[66:67]
	v_fma_f64 v[66:67], v[68:69], s[14:15], |v[2:3]|
	v_mul_f64 v[78:79], v[68:69], s[22:23]
	v_add_f64 v[84:85], v[66:67], v[78:79]
	v_fma_f64 v[70:71], s[22:23], v[68:69], v[66:67]
	s_mov_b32 s16, s22
	v_add_f64 v[66:67], v[66:67], -v[84:85]
	v_fma_f64 v[82:83], s[16:17], v[68:69], v[78:79]
	v_add_f64 v[66:67], v[66:67], v[78:79]
	v_add_f64 v[78:79], v[84:85], -v[70:71]
	v_add_f64 v[66:67], v[78:79], v[66:67]
	v_add_f64 v[78:79], v[66:67], -v[82:83]
	v_fmac_f64_e32 v[78:79], s[24:25], v[68:69]
	v_add_f64 v[66:67], v[70:71], v[78:79]
	v_add_f64 v[70:71], v[66:67], -v[70:71]
	v_add_f64 v[70:71], v[78:79], -v[70:71]
	v_cvt_i32_f64_e32 v103, v[68:69]
	s_branch .LBB150_72
.LBB150_121:
	s_endpgm
	.section	.rodata,"a",@progbits
	.p2align	6, 0x0
	.amdhsa_kernel _ZN2at6native12_GLOBAL__N_125multi_tensor_apply_kernelINS1_18TensorListMetadataILi1EEENS1_14UnaryOpFunctorIN3c107complexIdEELi1ELi1ELi0EEEJNS0_5Expm1IS8_EEEEEvT_T0_DpT1_
		.amdhsa_group_segment_fixed_size 0
		.amdhsa_private_segment_fixed_size 0
		.amdhsa_kernarg_size 3632
		.amdhsa_user_sgpr_count 6
		.amdhsa_user_sgpr_private_segment_buffer 1
		.amdhsa_user_sgpr_dispatch_ptr 0
		.amdhsa_user_sgpr_queue_ptr 0
		.amdhsa_user_sgpr_kernarg_segment_ptr 1
		.amdhsa_user_sgpr_dispatch_id 0
		.amdhsa_user_sgpr_flat_scratch_init 0
		.amdhsa_user_sgpr_kernarg_preload_length 0
		.amdhsa_user_sgpr_kernarg_preload_offset 0
		.amdhsa_user_sgpr_private_segment_size 0
		.amdhsa_uses_dynamic_stack 0
		.amdhsa_system_sgpr_private_segment_wavefront_offset 0
		.amdhsa_system_sgpr_workgroup_id_x 1
		.amdhsa_system_sgpr_workgroup_id_y 0
		.amdhsa_system_sgpr_workgroup_id_z 0
		.amdhsa_system_sgpr_workgroup_info 0
		.amdhsa_system_vgpr_workitem_id 0
		.amdhsa_next_free_vgpr 161
		.amdhsa_next_free_sgpr 96
		.amdhsa_accum_offset 164
		.amdhsa_reserve_vcc 1
		.amdhsa_reserve_flat_scratch 0
		.amdhsa_float_round_mode_32 0
		.amdhsa_float_round_mode_16_64 0
		.amdhsa_float_denorm_mode_32 3
		.amdhsa_float_denorm_mode_16_64 3
		.amdhsa_dx10_clamp 1
		.amdhsa_ieee_mode 1
		.amdhsa_fp16_overflow 0
		.amdhsa_tg_split 0
		.amdhsa_exception_fp_ieee_invalid_op 0
		.amdhsa_exception_fp_denorm_src 0
		.amdhsa_exception_fp_ieee_div_zero 0
		.amdhsa_exception_fp_ieee_overflow 0
		.amdhsa_exception_fp_ieee_underflow 0
		.amdhsa_exception_fp_ieee_inexact 0
		.amdhsa_exception_int_div_zero 0
	.end_amdhsa_kernel
	.section	.text._ZN2at6native12_GLOBAL__N_125multi_tensor_apply_kernelINS1_18TensorListMetadataILi1EEENS1_14UnaryOpFunctorIN3c107complexIdEELi1ELi1ELi0EEEJNS0_5Expm1IS8_EEEEEvT_T0_DpT1_,"axG",@progbits,_ZN2at6native12_GLOBAL__N_125multi_tensor_apply_kernelINS1_18TensorListMetadataILi1EEENS1_14UnaryOpFunctorIN3c107complexIdEELi1ELi1ELi0EEEJNS0_5Expm1IS8_EEEEEvT_T0_DpT1_,comdat
.Lfunc_end150:
	.size	_ZN2at6native12_GLOBAL__N_125multi_tensor_apply_kernelINS1_18TensorListMetadataILi1EEENS1_14UnaryOpFunctorIN3c107complexIdEELi1ELi1ELi0EEEJNS0_5Expm1IS8_EEEEEvT_T0_DpT1_, .Lfunc_end150-_ZN2at6native12_GLOBAL__N_125multi_tensor_apply_kernelINS1_18TensorListMetadataILi1EEENS1_14UnaryOpFunctorIN3c107complexIdEELi1ELi1ELi0EEEJNS0_5Expm1IS8_EEEEEvT_T0_DpT1_
                                        ; -- End function
	.section	.AMDGPU.csdata,"",@progbits
; Kernel info:
; codeLenInByte = 29288
; NumSgprs: 100
; NumVgprs: 161
; NumAgprs: 0
; TotalNumVgprs: 161
; ScratchSize: 0
; MemoryBound: 1
; FloatMode: 240
; IeeeMode: 1
; LDSByteSize: 0 bytes/workgroup (compile time only)
; SGPRBlocks: 12
; VGPRBlocks: 20
; NumSGPRsForWavesPerEU: 100
; NumVGPRsForWavesPerEU: 161
; AccumOffset: 164
; Occupancy: 3
; WaveLimiterHint : 0
; COMPUTE_PGM_RSRC2:SCRATCH_EN: 0
; COMPUTE_PGM_RSRC2:USER_SGPR: 6
; COMPUTE_PGM_RSRC2:TRAP_HANDLER: 0
; COMPUTE_PGM_RSRC2:TGID_X_EN: 1
; COMPUTE_PGM_RSRC2:TGID_Y_EN: 0
; COMPUTE_PGM_RSRC2:TGID_Z_EN: 0
; COMPUTE_PGM_RSRC2:TIDIG_COMP_CNT: 0
; COMPUTE_PGM_RSRC3_GFX90A:ACCUM_OFFSET: 40
; COMPUTE_PGM_RSRC3_GFX90A:TG_SPLIT: 0
	.section	.text._ZN2at6native12_GLOBAL__N_125multi_tensor_apply_kernelINS1_18TensorListMetadataILi1EEENS1_14UnaryOpFunctorIN3c107complexIfEELi1ELi1ELi0EEEJNS0_5Expm1IS8_EEEEEvT_T0_DpT1_,"axG",@progbits,_ZN2at6native12_GLOBAL__N_125multi_tensor_apply_kernelINS1_18TensorListMetadataILi1EEENS1_14UnaryOpFunctorIN3c107complexIfEELi1ELi1ELi0EEEJNS0_5Expm1IS8_EEEEEvT_T0_DpT1_,comdat
	.globl	_ZN2at6native12_GLOBAL__N_125multi_tensor_apply_kernelINS1_18TensorListMetadataILi1EEENS1_14UnaryOpFunctorIN3c107complexIfEELi1ELi1ELi0EEEJNS0_5Expm1IS8_EEEEEvT_T0_DpT1_ ; -- Begin function _ZN2at6native12_GLOBAL__N_125multi_tensor_apply_kernelINS1_18TensorListMetadataILi1EEENS1_14UnaryOpFunctorIN3c107complexIfEELi1ELi1ELi0EEEJNS0_5Expm1IS8_EEEEEvT_T0_DpT1_
	.p2align	8
	.type	_ZN2at6native12_GLOBAL__N_125multi_tensor_apply_kernelINS1_18TensorListMetadataILi1EEENS1_14UnaryOpFunctorIN3c107complexIfEELi1ELi1ELi0EEEJNS0_5Expm1IS8_EEEEEvT_T0_DpT1_,@function
_ZN2at6native12_GLOBAL__N_125multi_tensor_apply_kernelINS1_18TensorListMetadataILi1EEENS1_14UnaryOpFunctorIN3c107complexIfEELi1ELi1ELi0EEEJNS0_5Expm1IS8_EEEEEvT_T0_DpT1_: ; @_ZN2at6native12_GLOBAL__N_125multi_tensor_apply_kernelINS1_18TensorListMetadataILi1EEENS1_14UnaryOpFunctorIN3c107complexIfEELi1ELi1ELi0EEEJNS0_5Expm1IS8_EEEEEvT_T0_DpT1_
; %bb.0:
	v_mov_b32_e32 v1, s6
	global_load_ubyte v1, v1, s[4:5] offset:1760
	s_add_u32 s0, s4, s6
	s_mul_hi_u32 s1, s6, 3
	s_mul_i32 s6, s6, 3
	s_addc_u32 s2, s5, 0
	s_add_u32 s0, s0, s6
	s_addc_u32 s1, s2, s1
	s_load_dword s0, s[0:1], 0x820
	s_mov_b32 s7, 0
	s_waitcnt vmcnt(0)
	v_readfirstlane_b32 s1, v1
	s_lshl_b32 s1, s1, 3
	s_load_dwordx2 s[18:19], s[4:5], s1 offset:0x0
	s_load_dwordx2 s[2:3], s[4:5], s1 offset:0x370
	s_waitcnt lgkmcnt(0)
	s_ashr_i32 s1, s0, 31
	s_lshl_b64 s[20:21], s[0:1], 19
	s_add_u32 s30, s18, s20
	s_addc_u32 s31, s19, s21
	s_lshl_b64 s[0:1], s[0:1], 16
	s_and_b32 s6, s30, 31
	s_sub_u32 s16, s2, s0
	s_subb_u32 s17, s3, s1
	s_and_b32 s0, s2, 3
	s_mov_b32 s1, s7
	s_or_b64 s[0:1], s[6:7], s[0:1]
	s_cmp_eq_u64 s[0:1], 0
	s_cbranch_scc1 .LBB151_69
; %bb.1:
	v_cmp_lt_i64_e64 s[0:1], s[16:17], 1
	s_and_b64 vcc, exec, s[0:1]
	s_cbranch_vccnz .LBB151_68
; %bb.2:
	s_load_dword s0, s[4:5], 0xd3c
	v_mov_b32_e32 v4, 0x10000
	v_mov_b32_e32 v5, 0
	v_mov_b32_e32 v3, 0
	v_cmp_lt_u64_e32 vcc, s[16:17], v[4:5]
	s_waitcnt lgkmcnt(0)
	s_and_b32 s2, s0, 0xffff
	s_mul_i32 s6, s2, 3
	s_and_b64 s[0:1], vcc, exec
	v_lshlrev_b32_e32 v4, 3, v0
	v_mov_b32_e32 v5, v3
	v_add_co_u32_e32 v1, vcc, s6, v0
	v_mad_u64_u32 v[6:7], s[0:1], s2, 24, v[4:5]
	v_addc_co_u32_e64 v5, s[0:1], 0, 0, vcc
	s_cselect_b32 s23, s17, 0
	s_cselect_b32 s22, s16, 0x10000
	s_lshl_b32 s0, s2, 4
	s_lshl_b32 s3, s2, 1
	v_add_co_u32_e32 v9, vcc, s0, v4
	v_addc_co_u32_e64 v18, s[0:1], 0, 0, vcc
	v_add_co_u32_e32 v19, vcc, s3, v0
	v_addc_co_u32_e64 v20, s[0:1], 0, 0, vcc
	v_add_co_u32_e32 v21, vcc, s2, v0
	s_lshl_b32 s33, s2, 2
	s_lshl_b32 s34, s2, 5
	v_addc_co_u32_e64 v22, s[0:1], 0, 0, vcc
	v_lshlrev_b32_e32 v8, 3, v21
	s_mov_b64 s[24:25], 0
	s_brev_b32 s35, 18
	s_mov_b32 s36, 0xfe5163ab
	s_mov_b32 s37, 0x3c439041
	;; [unrolled: 1-line block ×14, first 2 shown]
	v_mov_b32_e32 v23, 0x3c0887f9
	v_mov_b32_e32 v24, 0x3d2aaa81
	;; [unrolled: 1-line block ×3, first 2 shown]
	s_mov_b32 s50, 0x42b17217
	s_mov_b32 s51, 0xc1880000
	s_movk_i32 s52, 0x1f8
	v_mov_b32_e32 v26, 0x3d2aabf7
	v_mov_b32_e32 v27, 0xbf000004
	;; [unrolled: 1-line block ×3, first 2 shown]
	v_not_b32_e32 v29, 63
	v_not_b32_e32 v30, 31
	v_mov_b32_e32 v31, 0x7f800000
	v_mov_b32_e32 v32, 0x7f
	v_mov_b32_e32 v33, 0x7fc00000
	s_branch .LBB151_4
.LBB151_3:                              ;   in Loop: Header=BB151_4 Depth=1
	s_or_b64 exec, exec, s[2:3]
	s_add_u32 s24, s24, s33
	s_addc_u32 s25, s25, 0
	v_pk_mov_b32 v[10:11], s[16:17], s[16:17] op_sel:[0,1]
	v_cmp_ge_i64_e32 vcc, s[24:25], v[10:11]
	v_mov_b32_e32 v10, 0xffff
	v_mov_b32_e32 v11, 0
	v_cmp_gt_u64_e64 s[0:1], s[24:25], v[10:11]
	s_or_b64 s[0:1], vcc, s[0:1]
	s_add_u32 s30, s30, s34
	s_addc_u32 s31, s31, 0
	s_and_b64 vcc, exec, s[0:1]
	s_cbranch_vccnz .LBB151_68
.LBB151_4:                              ; =>This Inner Loop Header: Depth=1
	v_mov_b32_e32 v2, s25
	v_add_co_u32_e32 v10, vcc, s24, v0
	v_addc_co_u32_e32 v11, vcc, 0, v2, vcc
	v_cmp_gt_u64_e64 s[6:7], s[22:23], v[10:11]
	v_mov_b32_e32 v16, 0
	v_mov_b32_e32 v17, 0
	s_and_saveexec_b64 s[0:1], s[6:7]
	s_cbranch_execz .LBB151_6
; %bb.5:                                ;   in Loop: Header=BB151_4 Depth=1
	v_mov_b32_e32 v2, s31
	v_add_co_u32_e32 v10, vcc, s30, v4
	v_addc_co_u32_e32 v11, vcc, 0, v2, vcc
	global_load_dwordx2 v[16:17], v[10:11], off
.LBB151_6:                              ;   in Loop: Header=BB151_4 Depth=1
	s_or_b64 exec, exec, s[0:1]
	v_mov_b32_e32 v2, s25
	v_add_co_u32_e32 v10, vcc, s24, v21
	v_addc_co_u32_e32 v11, vcc, v22, v2, vcc
	v_cmp_gt_u64_e64 s[2:3], s[22:23], v[10:11]
	v_mov_b32_e32 v12, 0
	v_mov_b32_e32 v14, 0
	;; [unrolled: 1-line block ×3, first 2 shown]
	s_and_saveexec_b64 s[0:1], s[2:3]
	s_cbranch_execz .LBB151_8
; %bb.7:                                ;   in Loop: Header=BB151_4 Depth=1
	v_mov_b32_e32 v2, s31
	v_add_co_u32_e32 v10, vcc, s30, v8
	v_addc_co_u32_e32 v11, vcc, 0, v2, vcc
	global_load_dwordx2 v[14:15], v[10:11], off
.LBB151_8:                              ;   in Loop: Header=BB151_4 Depth=1
	s_or_b64 exec, exec, s[0:1]
	v_mov_b32_e32 v2, s25
	v_add_co_u32_e32 v10, vcc, s24, v19
	v_addc_co_u32_e32 v11, vcc, v20, v2, vcc
	v_cmp_gt_u64_e64 s[0:1], s[22:23], v[10:11]
	v_mov_b32_e32 v13, 0
	s_and_saveexec_b64 s[8:9], s[0:1]
	s_cbranch_execz .LBB151_10
; %bb.9:                                ;   in Loop: Header=BB151_4 Depth=1
	v_mov_b32_e32 v2, s31
	v_add_co_u32_e32 v10, vcc, s30, v9
	v_addc_co_u32_e32 v11, vcc, v2, v18, vcc
	global_load_dwordx2 v[12:13], v[10:11], off
.LBB151_10:                             ;   in Loop: Header=BB151_4 Depth=1
	s_or_b64 exec, exec, s[8:9]
	v_mov_b32_e32 v2, s25
	v_add_co_u32_e32 v10, vcc, s24, v1
	v_addc_co_u32_e32 v11, vcc, v5, v2, vcc
	v_cmp_gt_u64_e32 vcc, s[22:23], v[10:11]
	v_mov_b32_e32 v10, 0
	v_mov_b32_e32 v11, 0
	s_and_saveexec_b64 s[10:11], vcc
	s_cbranch_execz .LBB151_12
; %bb.11:                               ;   in Loop: Header=BB151_4 Depth=1
	v_mov_b32_e32 v2, s31
	v_add_co_u32_e64 v10, s[8:9], s30, v6
	v_addc_co_u32_e64 v11, s[8:9], v2, v7, s[8:9]
	global_load_dwordx2 v[10:11], v[10:11], off
.LBB151_12:                             ;   in Loop: Header=BB151_4 Depth=1
	s_or_b64 exec, exec, s[10:11]
	s_waitcnt vmcnt(0)
	v_mul_f32_e32 v34, 0.5, v17
	v_and_b32_e32 v35, 0x7fffffff, v34
	v_cmp_nlt_f32_e64 s[8:9], |v34|, s35
                                        ; implicit-def: $vgpr37
                                        ; implicit-def: $vgpr36
	s_and_saveexec_b64 s[10:11], s[8:9]
	s_xor_b64 s[26:27], exec, s[10:11]
	s_cbranch_execz .LBB151_14
; %bb.13:                               ;   in Loop: Header=BB151_4 Depth=1
	v_lshrrev_b32_e32 v2, 23, v35
	v_add_u32_e32 v2, 0xffffff88, v2
	v_cmp_lt_u32_e64 s[8:9], 63, v2
	v_cndmask_b32_e64 v36, 0, v29, s[8:9]
	v_add_u32_e32 v2, v36, v2
	v_cmp_lt_u32_e64 s[10:11], 31, v2
	v_cndmask_b32_e64 v36, 0, v30, s[10:11]
	;; [unrolled: 3-line block ×3, first 2 shown]
	v_add_u32_e32 v50, v36, v2
	v_and_b32_e32 v2, 0x7fffff, v35
	v_or_b32_e32 v48, 0x800000, v2
	v_mad_u64_u32 v[36:37], s[14:15], v48, s36, 0
	v_mov_b32_e32 v2, v37
	v_mad_u64_u32 v[38:39], s[14:15], v48, s37, v[2:3]
	v_mov_b32_e32 v2, v39
	;; [unrolled: 2-line block ×6, first 2 shown]
	v_mad_u64_u32 v[48:49], s[14:15], v48, s42, v[2:3]
	v_cndmask_b32_e64 v37, v46, v42, s[8:9]
	v_cndmask_b32_e64 v2, v48, v44, s[8:9]
	;; [unrolled: 1-line block ×10, first 2 shown]
	v_sub_u32_e32 v43, 32, v50
	v_cndmask_b32_e64 v41, v41, v38, s[10:11]
	v_alignbit_b32 v44, v2, v39, v43
	v_cmp_eq_u32_e64 s[14:15], 0, v50
	v_cndmask_b32_e64 v37, v37, v41, s[12:13]
	v_cndmask_b32_e64 v36, v40, v36, s[8:9]
	;; [unrolled: 1-line block ×3, first 2 shown]
	v_alignbit_b32 v42, v39, v37, v43
	v_cndmask_b32_e64 v36, v38, v36, s[10:11]
	v_cndmask_b32_e64 v39, v42, v39, s[14:15]
	v_bfe_u32 v45, v2, 29, 1
	v_cndmask_b32_e64 v36, v41, v36, s[12:13]
	v_alignbit_b32 v42, v2, v39, 30
	v_sub_u32_e32 v46, 0, v45
	v_alignbit_b32 v38, v37, v36, v43
	v_xor_b32_e32 v47, v42, v46
	v_cndmask_b32_e64 v37, v38, v37, s[14:15]
	v_alignbit_b32 v38, v39, v37, 30
	v_ffbh_u32_e32 v39, v47
	v_add_u32_e32 v39, 1, v39
	v_cmp_ne_u32_e64 s[8:9], v42, v46
	v_cndmask_b32_e64 v39, 33, v39, s[8:9]
	v_alignbit_b32 v36, v37, v36, 30
	v_xor_b32_e32 v38, v38, v46
	v_sub_u32_e32 v40, 32, v39
	v_xor_b32_e32 v36, v36, v46
	v_alignbit_b32 v41, v47, v38, v40
	v_alignbit_b32 v36, v38, v36, v40
	;; [unrolled: 1-line block ×3, first 2 shown]
	v_ffbh_u32_e32 v38, v37
	v_min_u32_e32 v38, 32, v38
	v_lshrrev_b32_e32 v44, 29, v2
	v_sub_u32_e32 v40, 31, v38
	v_alignbit_b32 v36, v37, v36, v40
	v_lshlrev_b32_e32 v37, 31, v44
	v_or_b32_e32 v40, 0x33800000, v37
	v_add_lshl_u32 v38, v38, v39, 23
	v_lshrrev_b32_e32 v36, 9, v36
	v_sub_u32_e32 v38, v40, v38
	v_or_b32_e32 v36, v38, v36
	v_alignbit_b32 v38, v39, v41, 9
	v_or_b32_e32 v37, v38, v37
	v_xor_b32_e32 v37, 1.0, v37
	v_mul_f32_e32 v38, 0x3fc90fda, v37
	v_fma_f32 v39, v37, s43, -v38
	v_fmac_f32_e32 v39, 0x33a22168, v37
	v_fmac_f32_e32 v39, 0x3fc90fda, v36
	v_lshrrev_b32_e32 v2, 30, v2
	v_add_f32_e32 v36, v38, v39
	v_add_u32_e32 v37, v45, v2
.LBB151_14:                             ;   in Loop: Header=BB151_4 Depth=1
	s_andn2_saveexec_b64 s[8:9], s[26:27]
; %bb.15:                               ;   in Loop: Header=BB151_4 Depth=1
	v_mul_f32_e64 v2, |v34|, s44
	v_rndne_f32_e32 v2, v2
	v_cvt_i32_f32_e32 v37, v2
	v_fma_f32 v36, v2, s45, |v34|
	v_fmac_f32_e32 v36, 0xb3a22168, v2
	v_fmac_f32_e32 v36, 0xa7c234c4, v2
; %bb.16:                               ;   in Loop: Header=BB151_4 Depth=1
	s_or_b64 exec, exec, s[8:9]
	v_and_b32_e32 v38, 0x7fffffff, v17
	v_lshrrev_b32_e32 v2, 23, v38
	v_and_b32_e32 v39, 0x7fffff, v38
	v_cmp_nlt_f32_e64 s[26:27], |v17|, s35
	v_add_u32_e32 v42, 0xffffff88, v2
	v_or_b32_e32 v41, 0x800000, v39
                                        ; implicit-def: $vgpr40
                                        ; implicit-def: $vgpr39
	s_and_saveexec_b64 s[8:9], s[26:27]
	s_xor_b64 s[28:29], exec, s[8:9]
	s_cbranch_execz .LBB151_18
; %bb.17:                               ;   in Loop: Header=BB151_4 Depth=1
	v_cmp_lt_u32_e64 s[8:9], 63, v42
	v_cndmask_b32_e64 v2, 0, v29, s[8:9]
	v_add_u32_e32 v2, v2, v42
	v_cmp_lt_u32_e64 s[10:11], 31, v2
	v_cndmask_b32_e64 v39, 0, v30, s[10:11]
	v_add_u32_e32 v2, v39, v2
	v_cmp_lt_u32_e64 s[12:13], 31, v2
	v_cndmask_b32_e64 v39, 0, v30, s[12:13]
	v_mad_u64_u32 v[44:45], s[14:15], v41, s36, 0
	v_add_u32_e32 v39, v39, v2
	v_mov_b32_e32 v2, v45
	v_mad_u64_u32 v[46:47], s[14:15], v41, s37, v[2:3]
	v_mov_b32_e32 v2, v47
	v_mad_u64_u32 v[48:49], s[14:15], v41, s38, v[2:3]
	;; [unrolled: 2-line block ×6, first 2 shown]
	v_cndmask_b32_e64 v40, v54, v50, s[8:9]
	v_cndmask_b32_e64 v2, v56, v52, s[8:9]
	;; [unrolled: 1-line block ×7, first 2 shown]
	v_sub_u32_e32 v47, 32, v39
	v_cmp_eq_u32_e64 s[14:15], 0, v39
	v_cndmask_b32_e64 v39, v50, v46, s[8:9]
	v_cndmask_b32_e64 v2, v2, v43, s[12:13]
	;; [unrolled: 1-line block ×4, first 2 shown]
	v_alignbit_b32 v49, v2, v43, v47
	v_cndmask_b32_e64 v40, v40, v45, s[12:13]
	v_cndmask_b32_e64 v2, v49, v2, s[14:15]
	v_alignbit_b32 v46, v43, v40, v47
	v_cndmask_b32_e64 v44, v48, v44, s[8:9]
	v_cndmask_b32_e64 v43, v46, v43, s[14:15]
	v_bfe_u32 v50, v2, 29, 1
	v_cndmask_b32_e64 v39, v39, v44, s[10:11]
	v_alignbit_b32 v46, v2, v43, 30
	v_sub_u32_e32 v51, 0, v50
	v_cndmask_b32_e64 v39, v45, v39, s[12:13]
	v_xor_b32_e32 v52, v46, v51
	v_alignbit_b32 v44, v40, v39, v47
	v_cndmask_b32_e64 v40, v44, v40, s[14:15]
	v_ffbh_u32_e32 v44, v52
	v_add_u32_e32 v44, 1, v44
	v_cmp_ne_u32_e64 s[8:9], v46, v51
	v_alignbit_b32 v43, v43, v40, 30
	v_cndmask_b32_e64 v44, 33, v44, s[8:9]
	v_alignbit_b32 v39, v40, v39, 30
	v_xor_b32_e32 v43, v43, v51
	v_sub_u32_e32 v45, 32, v44
	v_xor_b32_e32 v39, v39, v51
	v_alignbit_b32 v46, v52, v43, v45
	v_alignbit_b32 v39, v43, v39, v45
	;; [unrolled: 1-line block ×3, first 2 shown]
	v_ffbh_u32_e32 v43, v40
	v_min_u32_e32 v43, 32, v43
	v_lshrrev_b32_e32 v49, 29, v2
	v_sub_u32_e32 v45, 31, v43
	v_alignbit_b32 v39, v40, v39, v45
	v_lshlrev_b32_e32 v40, 31, v49
	v_or_b32_e32 v45, 0x33800000, v40
	v_add_lshl_u32 v43, v43, v44, 23
	v_lshrrev_b32_e32 v39, 9, v39
	v_sub_u32_e32 v43, v45, v43
	v_or_b32_e32 v39, v43, v39
	v_alignbit_b32 v43, v44, v46, 9
	v_or_b32_e32 v40, v43, v40
	v_xor_b32_e32 v40, 1.0, v40
	v_mul_f32_e32 v43, 0x3fc90fda, v40
	v_fma_f32 v44, v40, s43, -v43
	v_fmac_f32_e32 v44, 0x33a22168, v40
	v_fmac_f32_e32 v44, 0x3fc90fda, v39
	v_lshrrev_b32_e32 v2, 30, v2
	v_add_f32_e32 v39, v43, v44
	v_add_u32_e32 v40, v50, v2
.LBB151_18:                             ;   in Loop: Header=BB151_4 Depth=1
	s_or_saveexec_b64 s[8:9], s[28:29]
	v_mul_f32_e64 v2, |v17|, s44
	v_rndne_f32_e32 v2, v2
	s_xor_b64 exec, exec, s[8:9]
; %bb.19:                               ;   in Loop: Header=BB151_4 Depth=1
	v_cvt_i32_f32_e32 v40, v2
	v_fma_f32 v39, v2, s45, |v17|
	v_fmac_f32_e32 v39, 0xb3a22168, v2
	v_fmac_f32_e32 v39, 0xa7c234c4, v2
; %bb.20:                               ;   in Loop: Header=BB151_4 Depth=1
	s_or_b64 exec, exec, s[8:9]
                                        ; implicit-def: $vgpr43
                                        ; implicit-def: $vgpr44
	s_and_saveexec_b64 s[8:9], s[26:27]
	s_xor_b64 s[26:27], exec, s[8:9]
	s_cbranch_execz .LBB151_22
; %bb.21:                               ;   in Loop: Header=BB151_4 Depth=1
	v_cmp_lt_u32_e64 s[8:9], 63, v42
	v_cndmask_b32_e64 v2, 0, v29, s[8:9]
	v_add_u32_e32 v2, v2, v42
	v_cmp_lt_u32_e64 s[10:11], 31, v2
	v_cndmask_b32_e64 v42, 0, v30, s[10:11]
	v_add_u32_e32 v2, v42, v2
	;; [unrolled: 3-line block ×3, first 2 shown]
	v_mad_u64_u32 v[42:43], s[14:15], v41, s36, 0
	v_mov_b32_e32 v2, v43
	v_mad_u64_u32 v[44:45], s[14:15], v41, s37, v[2:3]
	v_mov_b32_e32 v2, v45
	v_mad_u64_u32 v[46:47], s[14:15], v41, s38, v[2:3]
	v_mov_b32_e32 v2, v47
	v_mad_u64_u32 v[48:49], s[14:15], v41, s39, v[2:3]
	v_mov_b32_e32 v2, v49
	v_mad_u64_u32 v[50:51], s[14:15], v41, s40, v[2:3]
	v_mov_b32_e32 v2, v51
	v_mad_u64_u32 v[52:53], s[14:15], v41, s41, v[2:3]
	v_mov_b32_e32 v2, v53
	v_mad_u64_u32 v[54:55], s[14:15], v41, s42, v[2:3]
	v_cndmask_b32_e64 v43, v52, v48, s[8:9]
	v_cndmask_b32_e64 v2, v54, v50, s[8:9]
	;; [unrolled: 1-line block ×10, first 2 shown]
	v_sub_u32_e32 v47, 32, v56
	v_cndmask_b32_e64 v45, v45, v44, s[10:11]
	v_alignbit_b32 v49, v2, v41, v47
	v_cmp_eq_u32_e64 s[14:15], 0, v56
	v_cndmask_b32_e64 v43, v43, v45, s[12:13]
	v_cndmask_b32_e64 v2, v49, v2, s[14:15]
	v_alignbit_b32 v48, v41, v43, v47
	v_cndmask_b32_e64 v42, v46, v42, s[8:9]
	v_cndmask_b32_e64 v41, v48, v41, s[14:15]
	v_bfe_u32 v50, v2, 29, 1
	v_cndmask_b32_e64 v42, v44, v42, s[10:11]
	v_alignbit_b32 v48, v2, v41, 30
	v_sub_u32_e32 v51, 0, v50
	v_cndmask_b32_e64 v42, v45, v42, s[12:13]
	v_xor_b32_e32 v52, v48, v51
	v_alignbit_b32 v44, v43, v42, v47
	v_cndmask_b32_e64 v43, v44, v43, s[14:15]
	v_ffbh_u32_e32 v44, v52
	v_add_u32_e32 v44, 1, v44
	v_cmp_ne_u32_e64 s[8:9], v48, v51
	v_alignbit_b32 v41, v41, v43, 30
	v_cndmask_b32_e64 v44, 33, v44, s[8:9]
	v_alignbit_b32 v42, v43, v42, 30
	v_xor_b32_e32 v41, v41, v51
	v_sub_u32_e32 v45, 32, v44
	v_xor_b32_e32 v42, v42, v51
	v_alignbit_b32 v46, v52, v41, v45
	v_alignbit_b32 v41, v41, v42, v45
	;; [unrolled: 1-line block ×3, first 2 shown]
	v_ffbh_u32_e32 v43, v42
	v_min_u32_e32 v43, 32, v43
	v_lshrrev_b32_e32 v49, 29, v2
	v_sub_u32_e32 v45, 31, v43
	v_alignbit_b32 v41, v42, v41, v45
	v_lshlrev_b32_e32 v42, 31, v49
	v_or_b32_e32 v45, 0x33800000, v42
	v_add_lshl_u32 v43, v43, v44, 23
	v_lshrrev_b32_e32 v41, 9, v41
	v_sub_u32_e32 v43, v45, v43
	v_or_b32_e32 v41, v43, v41
	v_alignbit_b32 v43, v44, v46, 9
	v_or_b32_e32 v42, v43, v42
	v_xor_b32_e32 v42, 1.0, v42
	v_mul_f32_e32 v43, 0x3fc90fda, v42
	v_fma_f32 v44, v42, s43, -v43
	v_fmac_f32_e32 v44, 0x33a22168, v42
	v_fmac_f32_e32 v44, 0x3fc90fda, v41
	v_lshrrev_b32_e32 v2, 30, v2
	v_add_f32_e32 v44, v43, v44
	v_add_u32_e32 v43, v50, v2
                                        ; implicit-def: $vgpr2
	s_andn2_saveexec_b64 s[8:9], s[26:27]
	s_cbranch_execnz .LBB151_23
	s_branch .LBB151_24
.LBB151_22:                             ;   in Loop: Header=BB151_4 Depth=1
	s_andn2_saveexec_b64 s[8:9], s[26:27]
.LBB151_23:                             ;   in Loop: Header=BB151_4 Depth=1
	v_cvt_i32_f32_e32 v43, v2
	v_fma_f32 v44, v2, s45, |v17|
	v_fmac_f32_e32 v44, 0xb3a22168, v2
	v_fmac_f32_e32 v44, 0xa7c234c4, v2
.LBB151_24:                             ;   in Loop: Header=BB151_4 Depth=1
	s_or_b64 exec, exec, s[8:9]
	v_mul_f32_e32 v41, 0.5, v15
	v_and_b32_e32 v42, 0x7fffffff, v41
	v_cmp_nlt_f32_e64 s[8:9], |v41|, s35
                                        ; implicit-def: $vgpr46
                                        ; implicit-def: $vgpr45
	s_and_saveexec_b64 s[10:11], s[8:9]
	s_xor_b64 s[26:27], exec, s[10:11]
	s_cbranch_execz .LBB151_26
; %bb.25:                               ;   in Loop: Header=BB151_4 Depth=1
	v_lshrrev_b32_e32 v2, 23, v42
	v_add_u32_e32 v2, 0xffffff88, v2
	v_cmp_lt_u32_e64 s[8:9], 63, v2
	v_cndmask_b32_e64 v45, 0, v29, s[8:9]
	v_add_u32_e32 v2, v45, v2
	v_cmp_lt_u32_e64 s[10:11], 31, v2
	v_cndmask_b32_e64 v45, 0, v30, s[10:11]
	;; [unrolled: 3-line block ×3, first 2 shown]
	v_add_u32_e32 v45, v45, v2
	v_and_b32_e32 v2, 0x7fffff, v42
	v_or_b32_e32 v58, 0x800000, v2
	v_mad_u64_u32 v[46:47], s[14:15], v58, s36, 0
	v_mov_b32_e32 v2, v47
	v_mad_u64_u32 v[48:49], s[14:15], v58, s37, v[2:3]
	v_mov_b32_e32 v2, v49
	;; [unrolled: 2-line block ×6, first 2 shown]
	v_mad_u64_u32 v[58:59], s[14:15], v58, s42, v[2:3]
	v_cndmask_b32_e64 v47, v56, v52, s[8:9]
	v_cndmask_b32_e64 v2, v58, v54, s[8:9]
	;; [unrolled: 1-line block ×7, first 2 shown]
	v_sub_u32_e32 v53, 32, v45
	v_cmp_eq_u32_e64 s[14:15], 0, v45
	v_cndmask_b32_e64 v45, v52, v48, s[8:9]
	v_cndmask_b32_e64 v2, v2, v49, s[12:13]
	;; [unrolled: 1-line block ×4, first 2 shown]
	v_alignbit_b32 v54, v2, v49, v53
	v_cndmask_b32_e64 v47, v47, v48, s[12:13]
	v_cndmask_b32_e64 v2, v54, v2, s[14:15]
	v_alignbit_b32 v51, v49, v47, v53
	v_cndmask_b32_e64 v49, v51, v49, s[14:15]
	v_bfe_u32 v54, v2, 29, 1
	v_cndmask_b32_e64 v46, v50, v46, s[8:9]
	v_alignbit_b32 v51, v2, v49, 30
	v_sub_u32_e32 v55, 0, v54
	v_cndmask_b32_e64 v45, v45, v46, s[10:11]
	v_xor_b32_e32 v56, v51, v55
	v_cndmask_b32_e64 v45, v48, v45, s[12:13]
	v_alignbit_b32 v46, v47, v45, v53
	v_ffbh_u32_e32 v48, v56
	v_cndmask_b32_e64 v46, v46, v47, s[14:15]
	v_add_u32_e32 v48, 1, v48
	v_cmp_ne_u32_e64 s[8:9], v51, v55
	v_alignbit_b32 v47, v49, v46, 30
	v_cndmask_b32_e64 v48, 33, v48, s[8:9]
	v_alignbit_b32 v45, v46, v45, 30
	v_xor_b32_e32 v47, v47, v55
	v_sub_u32_e32 v49, 32, v48
	v_xor_b32_e32 v45, v45, v55
	v_alignbit_b32 v50, v56, v47, v49
	v_alignbit_b32 v45, v47, v45, v49
	;; [unrolled: 1-line block ×3, first 2 shown]
	v_ffbh_u32_e32 v47, v46
	v_min_u32_e32 v47, 32, v47
	v_lshrrev_b32_e32 v52, 29, v2
	v_sub_u32_e32 v49, 31, v47
	v_alignbit_b32 v45, v46, v45, v49
	v_lshlrev_b32_e32 v46, 31, v52
	v_or_b32_e32 v49, 0x33800000, v46
	v_add_lshl_u32 v47, v47, v48, 23
	v_lshrrev_b32_e32 v45, 9, v45
	v_sub_u32_e32 v47, v49, v47
	v_or_b32_e32 v45, v47, v45
	v_alignbit_b32 v47, v48, v50, 9
	v_or_b32_e32 v46, v47, v46
	v_xor_b32_e32 v46, 1.0, v46
	v_mul_f32_e32 v47, 0x3fc90fda, v46
	v_fma_f32 v48, v46, s43, -v47
	v_fmac_f32_e32 v48, 0x33a22168, v46
	v_fmac_f32_e32 v48, 0x3fc90fda, v45
	v_lshrrev_b32_e32 v2, 30, v2
	v_add_f32_e32 v45, v47, v48
	v_add_u32_e32 v46, v54, v2
.LBB151_26:                             ;   in Loop: Header=BB151_4 Depth=1
	s_andn2_saveexec_b64 s[8:9], s[26:27]
; %bb.27:                               ;   in Loop: Header=BB151_4 Depth=1
	v_mul_f32_e64 v2, |v41|, s44
	v_rndne_f32_e32 v2, v2
	v_cvt_i32_f32_e32 v46, v2
	v_fma_f32 v45, v2, s45, |v41|
	v_fmac_f32_e32 v45, 0xb3a22168, v2
	v_fmac_f32_e32 v45, 0xa7c234c4, v2
; %bb.28:                               ;   in Loop: Header=BB151_4 Depth=1
	s_or_b64 exec, exec, s[8:9]
	v_and_b32_e32 v47, 0x7fffffff, v15
	v_lshrrev_b32_e32 v2, 23, v47
	v_and_b32_e32 v48, 0x7fffff, v47
	v_cmp_nlt_f32_e64 s[26:27], |v15|, s35
	v_add_u32_e32 v51, 0xffffff88, v2
	v_or_b32_e32 v50, 0x800000, v48
                                        ; implicit-def: $vgpr49
                                        ; implicit-def: $vgpr48
	s_and_saveexec_b64 s[8:9], s[26:27]
	s_xor_b64 s[28:29], exec, s[8:9]
	s_cbranch_execz .LBB151_30
; %bb.29:                               ;   in Loop: Header=BB151_4 Depth=1
	v_cmp_lt_u32_e64 s[8:9], 63, v51
	v_cndmask_b32_e64 v2, 0, v29, s[8:9]
	v_add_u32_e32 v2, v2, v51
	v_cmp_lt_u32_e64 s[10:11], 31, v2
	v_cndmask_b32_e64 v48, 0, v30, s[10:11]
	v_add_u32_e32 v2, v48, v2
	;; [unrolled: 3-line block ×3, first 2 shown]
	v_mad_u64_u32 v[48:49], s[14:15], v50, s36, 0
	v_mov_b32_e32 v2, v49
	v_mad_u64_u32 v[52:53], s[14:15], v50, s37, v[2:3]
	v_mov_b32_e32 v2, v53
	;; [unrolled: 2-line block ×6, first 2 shown]
	v_mad_u64_u32 v[62:63], s[14:15], v50, s42, v[2:3]
	v_cndmask_b32_e64 v49, v60, v56, s[8:9]
	v_cndmask_b32_e64 v2, v62, v58, s[8:9]
	;; [unrolled: 1-line block ×10, first 2 shown]
	v_sub_u32_e32 v57, 32, v64
	v_cndmask_b32_e64 v55, v55, v52, s[10:11]
	v_alignbit_b32 v58, v2, v53, v57
	v_cmp_eq_u32_e64 s[14:15], 0, v64
	v_cndmask_b32_e64 v49, v49, v55, s[12:13]
	v_cndmask_b32_e64 v48, v54, v48, s[8:9]
	;; [unrolled: 1-line block ×3, first 2 shown]
	v_alignbit_b32 v56, v53, v49, v57
	v_cndmask_b32_e64 v48, v52, v48, s[10:11]
	v_cndmask_b32_e64 v53, v56, v53, s[14:15]
	v_bfe_u32 v59, v2, 29, 1
	v_cndmask_b32_e64 v48, v55, v48, s[12:13]
	v_alignbit_b32 v56, v2, v53, 30
	v_sub_u32_e32 v60, 0, v59
	v_alignbit_b32 v52, v49, v48, v57
	v_xor_b32_e32 v61, v56, v60
	v_cndmask_b32_e64 v49, v52, v49, s[14:15]
	v_alignbit_b32 v52, v53, v49, 30
	v_ffbh_u32_e32 v53, v61
	v_add_u32_e32 v53, 1, v53
	v_cmp_ne_u32_e64 s[8:9], v56, v60
	v_cndmask_b32_e64 v53, 33, v53, s[8:9]
	v_alignbit_b32 v48, v49, v48, 30
	v_xor_b32_e32 v52, v52, v60
	v_sub_u32_e32 v54, 32, v53
	v_xor_b32_e32 v48, v48, v60
	v_alignbit_b32 v55, v61, v52, v54
	v_alignbit_b32 v48, v52, v48, v54
	;; [unrolled: 1-line block ×3, first 2 shown]
	v_ffbh_u32_e32 v52, v49
	v_min_u32_e32 v52, 32, v52
	v_lshrrev_b32_e32 v58, 29, v2
	v_sub_u32_e32 v54, 31, v52
	v_alignbit_b32 v48, v49, v48, v54
	v_lshlrev_b32_e32 v49, 31, v58
	v_or_b32_e32 v54, 0x33800000, v49
	v_add_lshl_u32 v52, v52, v53, 23
	v_lshrrev_b32_e32 v48, 9, v48
	v_sub_u32_e32 v52, v54, v52
	v_or_b32_e32 v48, v52, v48
	v_alignbit_b32 v52, v53, v55, 9
	v_or_b32_e32 v49, v52, v49
	v_xor_b32_e32 v49, 1.0, v49
	v_mul_f32_e32 v52, 0x3fc90fda, v49
	v_fma_f32 v53, v49, s43, -v52
	v_fmac_f32_e32 v53, 0x33a22168, v49
	v_fmac_f32_e32 v53, 0x3fc90fda, v48
	v_lshrrev_b32_e32 v2, 30, v2
	v_add_f32_e32 v48, v52, v53
	v_add_u32_e32 v49, v59, v2
.LBB151_30:                             ;   in Loop: Header=BB151_4 Depth=1
	s_or_saveexec_b64 s[8:9], s[28:29]
	v_mul_f32_e64 v2, |v15|, s44
	v_rndne_f32_e32 v2, v2
	s_xor_b64 exec, exec, s[8:9]
; %bb.31:                               ;   in Loop: Header=BB151_4 Depth=1
	v_cvt_i32_f32_e32 v49, v2
	v_fma_f32 v48, v2, s45, |v15|
	v_fmac_f32_e32 v48, 0xb3a22168, v2
	v_fmac_f32_e32 v48, 0xa7c234c4, v2
; %bb.32:                               ;   in Loop: Header=BB151_4 Depth=1
	s_or_b64 exec, exec, s[8:9]
                                        ; implicit-def: $vgpr52
                                        ; implicit-def: $vgpr53
	s_and_saveexec_b64 s[8:9], s[26:27]
	s_xor_b64 s[26:27], exec, s[8:9]
	s_cbranch_execz .LBB151_34
; %bb.33:                               ;   in Loop: Header=BB151_4 Depth=1
	v_cmp_lt_u32_e64 s[8:9], 63, v51
	v_cndmask_b32_e64 v2, 0, v29, s[8:9]
	v_add_u32_e32 v2, v2, v51
	v_cmp_lt_u32_e64 s[10:11], 31, v2
	v_cndmask_b32_e64 v51, 0, v30, s[10:11]
	v_add_u32_e32 v2, v51, v2
	v_cmp_lt_u32_e64 s[12:13], 31, v2
	v_cndmask_b32_e64 v51, 0, v30, s[12:13]
	v_mad_u64_u32 v[52:53], s[14:15], v50, s36, 0
	v_add_u32_e32 v64, v51, v2
	v_mov_b32_e32 v2, v53
	v_mad_u64_u32 v[54:55], s[14:15], v50, s37, v[2:3]
	v_mov_b32_e32 v2, v55
	v_mad_u64_u32 v[56:57], s[14:15], v50, s38, v[2:3]
	;; [unrolled: 2-line block ×6, first 2 shown]
	v_cndmask_b32_e64 v53, v62, v58, s[8:9]
	v_cndmask_b32_e64 v2, v50, v60, s[8:9]
	;; [unrolled: 1-line block ×10, first 2 shown]
	v_sub_u32_e32 v55, 32, v64
	v_cndmask_b32_e64 v51, v51, v54, s[10:11]
	v_alignbit_b32 v57, v2, v50, v55
	v_cmp_eq_u32_e64 s[14:15], 0, v64
	v_cndmask_b32_e64 v53, v53, v51, s[12:13]
	v_cndmask_b32_e64 v2, v57, v2, s[14:15]
	v_alignbit_b32 v57, v50, v53, v55
	v_cndmask_b32_e64 v52, v56, v52, s[8:9]
	v_cndmask_b32_e64 v50, v57, v50, s[14:15]
	v_bfe_u32 v59, v2, 29, 1
	v_cndmask_b32_e64 v52, v54, v52, s[10:11]
	v_alignbit_b32 v57, v2, v50, 30
	v_sub_u32_e32 v60, 0, v59
	v_cndmask_b32_e64 v51, v51, v52, s[12:13]
	v_xor_b32_e32 v61, v57, v60
	v_alignbit_b32 v52, v53, v51, v55
	v_cndmask_b32_e64 v52, v52, v53, s[14:15]
	v_ffbh_u32_e32 v53, v61
	v_add_u32_e32 v53, 1, v53
	v_cmp_ne_u32_e64 s[8:9], v57, v60
	v_alignbit_b32 v50, v50, v52, 30
	v_cndmask_b32_e64 v53, 33, v53, s[8:9]
	v_alignbit_b32 v51, v52, v51, 30
	v_xor_b32_e32 v50, v50, v60
	v_sub_u32_e32 v54, 32, v53
	v_xor_b32_e32 v51, v51, v60
	v_alignbit_b32 v55, v61, v50, v54
	v_alignbit_b32 v50, v50, v51, v54
	;; [unrolled: 1-line block ×3, first 2 shown]
	v_ffbh_u32_e32 v52, v51
	v_min_u32_e32 v52, 32, v52
	v_lshrrev_b32_e32 v58, 29, v2
	v_sub_u32_e32 v54, 31, v52
	v_alignbit_b32 v50, v51, v50, v54
	v_lshlrev_b32_e32 v51, 31, v58
	v_or_b32_e32 v54, 0x33800000, v51
	v_add_lshl_u32 v52, v52, v53, 23
	v_lshrrev_b32_e32 v50, 9, v50
	v_sub_u32_e32 v52, v54, v52
	v_or_b32_e32 v50, v52, v50
	v_alignbit_b32 v52, v53, v55, 9
	v_or_b32_e32 v51, v52, v51
	v_xor_b32_e32 v51, 1.0, v51
	v_mul_f32_e32 v52, 0x3fc90fda, v51
	v_fma_f32 v53, v51, s43, -v52
	v_fmac_f32_e32 v53, 0x33a22168, v51
	v_fmac_f32_e32 v53, 0x3fc90fda, v50
	v_lshrrev_b32_e32 v2, 30, v2
	v_add_f32_e32 v53, v52, v53
	v_add_u32_e32 v52, v59, v2
                                        ; implicit-def: $vgpr2
	s_andn2_saveexec_b64 s[8:9], s[26:27]
	s_cbranch_execnz .LBB151_35
	s_branch .LBB151_36
.LBB151_34:                             ;   in Loop: Header=BB151_4 Depth=1
	s_andn2_saveexec_b64 s[8:9], s[26:27]
.LBB151_35:                             ;   in Loop: Header=BB151_4 Depth=1
	v_cvt_i32_f32_e32 v52, v2
	v_fma_f32 v53, v2, s45, |v15|
	v_fmac_f32_e32 v53, 0xb3a22168, v2
	v_fmac_f32_e32 v53, 0xa7c234c4, v2
.LBB151_36:                             ;   in Loop: Header=BB151_4 Depth=1
	s_or_b64 exec, exec, s[8:9]
	v_mul_f32_e32 v50, 0.5, v13
	v_and_b32_e32 v51, 0x7fffffff, v50
	v_cmp_nlt_f32_e64 s[8:9], |v50|, s35
                                        ; implicit-def: $vgpr55
                                        ; implicit-def: $vgpr54
	s_and_saveexec_b64 s[10:11], s[8:9]
	s_xor_b64 s[26:27], exec, s[10:11]
	s_cbranch_execz .LBB151_38
; %bb.37:                               ;   in Loop: Header=BB151_4 Depth=1
	v_lshrrev_b32_e32 v2, 23, v51
	v_add_u32_e32 v2, 0xffffff88, v2
	v_cmp_lt_u32_e64 s[8:9], 63, v2
	v_cndmask_b32_e64 v54, 0, v29, s[8:9]
	v_add_u32_e32 v2, v54, v2
	v_cmp_lt_u32_e64 s[10:11], 31, v2
	v_cndmask_b32_e64 v54, 0, v30, s[10:11]
	;; [unrolled: 3-line block ×3, first 2 shown]
	v_add_u32_e32 v68, v54, v2
	v_and_b32_e32 v2, 0x7fffff, v51
	v_or_b32_e32 v66, 0x800000, v2
	v_mad_u64_u32 v[54:55], s[14:15], v66, s36, 0
	v_mov_b32_e32 v2, v55
	v_mad_u64_u32 v[56:57], s[14:15], v66, s37, v[2:3]
	v_mov_b32_e32 v2, v57
	;; [unrolled: 2-line block ×6, first 2 shown]
	v_mad_u64_u32 v[66:67], s[14:15], v66, s42, v[2:3]
	v_cndmask_b32_e64 v55, v64, v60, s[8:9]
	v_cndmask_b32_e64 v2, v66, v62, s[8:9]
	;; [unrolled: 1-line block ×10, first 2 shown]
	v_sub_u32_e32 v61, 32, v68
	v_cndmask_b32_e64 v59, v59, v56, s[10:11]
	v_alignbit_b32 v62, v2, v57, v61
	v_cmp_eq_u32_e64 s[14:15], 0, v68
	v_cndmask_b32_e64 v55, v55, v59, s[12:13]
	v_cndmask_b32_e64 v54, v58, v54, s[8:9]
	;; [unrolled: 1-line block ×3, first 2 shown]
	v_alignbit_b32 v60, v57, v55, v61
	v_cndmask_b32_e64 v54, v56, v54, s[10:11]
	v_cndmask_b32_e64 v57, v60, v57, s[14:15]
	v_bfe_u32 v63, v2, 29, 1
	v_cndmask_b32_e64 v54, v59, v54, s[12:13]
	v_alignbit_b32 v60, v2, v57, 30
	v_sub_u32_e32 v64, 0, v63
	v_alignbit_b32 v56, v55, v54, v61
	v_xor_b32_e32 v65, v60, v64
	v_cndmask_b32_e64 v55, v56, v55, s[14:15]
	v_alignbit_b32 v56, v57, v55, 30
	v_ffbh_u32_e32 v57, v65
	v_add_u32_e32 v57, 1, v57
	v_cmp_ne_u32_e64 s[8:9], v60, v64
	v_cndmask_b32_e64 v57, 33, v57, s[8:9]
	v_alignbit_b32 v54, v55, v54, 30
	v_xor_b32_e32 v56, v56, v64
	v_sub_u32_e32 v58, 32, v57
	v_xor_b32_e32 v54, v54, v64
	v_alignbit_b32 v59, v65, v56, v58
	v_alignbit_b32 v54, v56, v54, v58
	;; [unrolled: 1-line block ×3, first 2 shown]
	v_ffbh_u32_e32 v56, v55
	v_min_u32_e32 v56, 32, v56
	v_lshrrev_b32_e32 v62, 29, v2
	v_sub_u32_e32 v58, 31, v56
	v_alignbit_b32 v54, v55, v54, v58
	v_lshlrev_b32_e32 v55, 31, v62
	v_or_b32_e32 v58, 0x33800000, v55
	v_add_lshl_u32 v56, v56, v57, 23
	v_lshrrev_b32_e32 v54, 9, v54
	v_sub_u32_e32 v56, v58, v56
	v_or_b32_e32 v54, v56, v54
	v_alignbit_b32 v56, v57, v59, 9
	v_or_b32_e32 v55, v56, v55
	v_xor_b32_e32 v55, 1.0, v55
	v_mul_f32_e32 v56, 0x3fc90fda, v55
	v_fma_f32 v57, v55, s43, -v56
	v_fmac_f32_e32 v57, 0x33a22168, v55
	v_fmac_f32_e32 v57, 0x3fc90fda, v54
	v_lshrrev_b32_e32 v2, 30, v2
	v_add_f32_e32 v54, v56, v57
	v_add_u32_e32 v55, v63, v2
.LBB151_38:                             ;   in Loop: Header=BB151_4 Depth=1
	s_andn2_saveexec_b64 s[8:9], s[26:27]
; %bb.39:                               ;   in Loop: Header=BB151_4 Depth=1
	v_mul_f32_e64 v2, |v50|, s44
	v_rndne_f32_e32 v2, v2
	v_cvt_i32_f32_e32 v55, v2
	v_fma_f32 v54, v2, s45, |v50|
	v_fmac_f32_e32 v54, 0xb3a22168, v2
	v_fmac_f32_e32 v54, 0xa7c234c4, v2
; %bb.40:                               ;   in Loop: Header=BB151_4 Depth=1
	s_or_b64 exec, exec, s[8:9]
	v_and_b32_e32 v56, 0x7fffffff, v13
	v_lshrrev_b32_e32 v2, 23, v56
	v_and_b32_e32 v57, 0x7fffff, v56
	v_cmp_nlt_f32_e64 s[26:27], |v13|, s35
	v_add_u32_e32 v60, 0xffffff88, v2
	v_or_b32_e32 v59, 0x800000, v57
                                        ; implicit-def: $vgpr58
                                        ; implicit-def: $vgpr57
	s_and_saveexec_b64 s[8:9], s[26:27]
	s_xor_b64 s[28:29], exec, s[8:9]
	s_cbranch_execz .LBB151_42
; %bb.41:                               ;   in Loop: Header=BB151_4 Depth=1
	v_cmp_lt_u32_e64 s[8:9], 63, v60
	v_cndmask_b32_e64 v2, 0, v29, s[8:9]
	v_add_u32_e32 v2, v2, v60
	v_cmp_lt_u32_e64 s[10:11], 31, v2
	v_cndmask_b32_e64 v57, 0, v30, s[10:11]
	v_add_u32_e32 v2, v57, v2
	v_cmp_lt_u32_e64 s[12:13], 31, v2
	v_cndmask_b32_e64 v57, 0, v30, s[12:13]
	v_mad_u64_u32 v[62:63], s[14:15], v59, s36, 0
	v_add_u32_e32 v57, v57, v2
	v_mov_b32_e32 v2, v63
	v_mad_u64_u32 v[64:65], s[14:15], v59, s37, v[2:3]
	v_mov_b32_e32 v2, v65
	v_mad_u64_u32 v[66:67], s[14:15], v59, s38, v[2:3]
	;; [unrolled: 2-line block ×6, first 2 shown]
	v_cndmask_b32_e64 v58, v72, v68, s[8:9]
	v_cndmask_b32_e64 v2, v74, v70, s[8:9]
	;; [unrolled: 1-line block ×7, first 2 shown]
	v_sub_u32_e32 v65, 32, v57
	v_cmp_eq_u32_e64 s[14:15], 0, v57
	v_cndmask_b32_e64 v57, v68, v64, s[8:9]
	v_cndmask_b32_e64 v2, v2, v61, s[12:13]
	;; [unrolled: 1-line block ×4, first 2 shown]
	v_alignbit_b32 v67, v2, v61, v65
	v_cndmask_b32_e64 v58, v58, v63, s[12:13]
	v_cndmask_b32_e64 v2, v67, v2, s[14:15]
	v_alignbit_b32 v64, v61, v58, v65
	v_cndmask_b32_e64 v62, v66, v62, s[8:9]
	v_cndmask_b32_e64 v61, v64, v61, s[14:15]
	v_bfe_u32 v68, v2, 29, 1
	v_cndmask_b32_e64 v57, v57, v62, s[10:11]
	v_alignbit_b32 v64, v2, v61, 30
	v_sub_u32_e32 v69, 0, v68
	v_cndmask_b32_e64 v57, v63, v57, s[12:13]
	v_xor_b32_e32 v70, v64, v69
	v_alignbit_b32 v62, v58, v57, v65
	v_cndmask_b32_e64 v58, v62, v58, s[14:15]
	v_ffbh_u32_e32 v62, v70
	v_add_u32_e32 v62, 1, v62
	v_cmp_ne_u32_e64 s[8:9], v64, v69
	v_alignbit_b32 v61, v61, v58, 30
	v_cndmask_b32_e64 v62, 33, v62, s[8:9]
	v_alignbit_b32 v57, v58, v57, 30
	v_xor_b32_e32 v61, v61, v69
	v_sub_u32_e32 v63, 32, v62
	v_xor_b32_e32 v57, v57, v69
	v_alignbit_b32 v64, v70, v61, v63
	v_alignbit_b32 v57, v61, v57, v63
	;; [unrolled: 1-line block ×3, first 2 shown]
	v_ffbh_u32_e32 v61, v58
	v_min_u32_e32 v61, 32, v61
	v_lshrrev_b32_e32 v67, 29, v2
	v_sub_u32_e32 v63, 31, v61
	v_alignbit_b32 v57, v58, v57, v63
	v_lshlrev_b32_e32 v58, 31, v67
	v_or_b32_e32 v63, 0x33800000, v58
	v_add_lshl_u32 v61, v61, v62, 23
	v_lshrrev_b32_e32 v57, 9, v57
	v_sub_u32_e32 v61, v63, v61
	v_or_b32_e32 v57, v61, v57
	v_alignbit_b32 v61, v62, v64, 9
	v_or_b32_e32 v58, v61, v58
	v_xor_b32_e32 v58, 1.0, v58
	v_mul_f32_e32 v61, 0x3fc90fda, v58
	v_fma_f32 v62, v58, s43, -v61
	v_fmac_f32_e32 v62, 0x33a22168, v58
	v_fmac_f32_e32 v62, 0x3fc90fda, v57
	v_lshrrev_b32_e32 v2, 30, v2
	v_add_f32_e32 v57, v61, v62
	v_add_u32_e32 v58, v68, v2
.LBB151_42:                             ;   in Loop: Header=BB151_4 Depth=1
	s_or_saveexec_b64 s[8:9], s[28:29]
	v_mul_f32_e64 v2, |v13|, s44
	v_rndne_f32_e32 v2, v2
	s_xor_b64 exec, exec, s[8:9]
; %bb.43:                               ;   in Loop: Header=BB151_4 Depth=1
	v_cvt_i32_f32_e32 v58, v2
	v_fma_f32 v57, v2, s45, |v13|
	v_fmac_f32_e32 v57, 0xb3a22168, v2
	v_fmac_f32_e32 v57, 0xa7c234c4, v2
; %bb.44:                               ;   in Loop: Header=BB151_4 Depth=1
	s_or_b64 exec, exec, s[8:9]
                                        ; implicit-def: $vgpr61
                                        ; implicit-def: $vgpr62
	s_and_saveexec_b64 s[8:9], s[26:27]
	s_xor_b64 s[26:27], exec, s[8:9]
	s_cbranch_execz .LBB151_46
; %bb.45:                               ;   in Loop: Header=BB151_4 Depth=1
	v_cmp_lt_u32_e64 s[8:9], 63, v60
	v_cndmask_b32_e64 v2, 0, v29, s[8:9]
	v_add_u32_e32 v2, v2, v60
	v_cmp_lt_u32_e64 s[10:11], 31, v2
	v_cndmask_b32_e64 v60, 0, v30, s[10:11]
	v_add_u32_e32 v2, v60, v2
	;; [unrolled: 3-line block ×3, first 2 shown]
	v_mad_u64_u32 v[60:61], s[14:15], v59, s36, 0
	v_mov_b32_e32 v2, v61
	v_mad_u64_u32 v[62:63], s[14:15], v59, s37, v[2:3]
	v_mov_b32_e32 v2, v63
	;; [unrolled: 2-line block ×6, first 2 shown]
	v_mad_u64_u32 v[72:73], s[14:15], v59, s42, v[2:3]
	v_cndmask_b32_e64 v61, v70, v66, s[8:9]
	v_cndmask_b32_e64 v2, v72, v68, s[8:9]
	;; [unrolled: 1-line block ×10, first 2 shown]
	v_sub_u32_e32 v65, 32, v74
	v_cndmask_b32_e64 v63, v63, v62, s[10:11]
	v_alignbit_b32 v67, v2, v59, v65
	v_cmp_eq_u32_e64 s[14:15], 0, v74
	v_cndmask_b32_e64 v61, v61, v63, s[12:13]
	v_cndmask_b32_e64 v2, v67, v2, s[14:15]
	v_alignbit_b32 v66, v59, v61, v65
	v_cndmask_b32_e64 v60, v64, v60, s[8:9]
	v_cndmask_b32_e64 v59, v66, v59, s[14:15]
	v_bfe_u32 v68, v2, 29, 1
	v_cndmask_b32_e64 v60, v62, v60, s[10:11]
	v_alignbit_b32 v66, v2, v59, 30
	v_sub_u32_e32 v69, 0, v68
	v_cndmask_b32_e64 v60, v63, v60, s[12:13]
	v_xor_b32_e32 v70, v66, v69
	v_alignbit_b32 v62, v61, v60, v65
	v_cndmask_b32_e64 v61, v62, v61, s[14:15]
	v_ffbh_u32_e32 v62, v70
	v_add_u32_e32 v62, 1, v62
	v_cmp_ne_u32_e64 s[8:9], v66, v69
	v_alignbit_b32 v59, v59, v61, 30
	v_cndmask_b32_e64 v62, 33, v62, s[8:9]
	v_alignbit_b32 v60, v61, v60, 30
	v_xor_b32_e32 v59, v59, v69
	v_sub_u32_e32 v63, 32, v62
	v_xor_b32_e32 v60, v60, v69
	v_alignbit_b32 v64, v70, v59, v63
	v_alignbit_b32 v59, v59, v60, v63
	;; [unrolled: 1-line block ×3, first 2 shown]
	v_ffbh_u32_e32 v61, v60
	v_min_u32_e32 v61, 32, v61
	v_lshrrev_b32_e32 v67, 29, v2
	v_sub_u32_e32 v63, 31, v61
	v_alignbit_b32 v59, v60, v59, v63
	v_lshlrev_b32_e32 v60, 31, v67
	v_or_b32_e32 v63, 0x33800000, v60
	v_add_lshl_u32 v61, v61, v62, 23
	v_lshrrev_b32_e32 v59, 9, v59
	v_sub_u32_e32 v61, v63, v61
	v_or_b32_e32 v59, v61, v59
	v_alignbit_b32 v61, v62, v64, 9
	v_or_b32_e32 v60, v61, v60
	v_xor_b32_e32 v60, 1.0, v60
	v_mul_f32_e32 v61, 0x3fc90fda, v60
	v_fma_f32 v62, v60, s43, -v61
	v_fmac_f32_e32 v62, 0x33a22168, v60
	v_fmac_f32_e32 v62, 0x3fc90fda, v59
	v_lshrrev_b32_e32 v2, 30, v2
	v_add_f32_e32 v62, v61, v62
	v_add_u32_e32 v61, v68, v2
                                        ; implicit-def: $vgpr2
	s_andn2_saveexec_b64 s[8:9], s[26:27]
	s_cbranch_execnz .LBB151_47
	s_branch .LBB151_48
.LBB151_46:                             ;   in Loop: Header=BB151_4 Depth=1
	s_andn2_saveexec_b64 s[8:9], s[26:27]
.LBB151_47:                             ;   in Loop: Header=BB151_4 Depth=1
	v_cvt_i32_f32_e32 v61, v2
	v_fma_f32 v62, v2, s45, |v13|
	v_fmac_f32_e32 v62, 0xb3a22168, v2
	v_fmac_f32_e32 v62, 0xa7c234c4, v2
.LBB151_48:                             ;   in Loop: Header=BB151_4 Depth=1
	s_or_b64 exec, exec, s[8:9]
	v_mul_f32_e32 v59, 0.5, v11
	v_and_b32_e32 v60, 0x7fffffff, v59
	v_cmp_nlt_f32_e64 s[8:9], |v59|, s35
                                        ; implicit-def: $vgpr64
                                        ; implicit-def: $vgpr63
	s_and_saveexec_b64 s[10:11], s[8:9]
	s_xor_b64 s[26:27], exec, s[10:11]
	s_cbranch_execz .LBB151_50
; %bb.49:                               ;   in Loop: Header=BB151_4 Depth=1
	v_lshrrev_b32_e32 v2, 23, v60
	v_add_u32_e32 v2, 0xffffff88, v2
	v_cmp_lt_u32_e64 s[8:9], 63, v2
	v_cndmask_b32_e64 v63, 0, v29, s[8:9]
	v_add_u32_e32 v2, v63, v2
	v_cmp_lt_u32_e64 s[10:11], 31, v2
	v_cndmask_b32_e64 v63, 0, v30, s[10:11]
	;; [unrolled: 3-line block ×3, first 2 shown]
	v_add_u32_e32 v63, v63, v2
	v_and_b32_e32 v2, 0x7fffff, v60
	v_or_b32_e32 v76, 0x800000, v2
	v_mad_u64_u32 v[64:65], s[14:15], v76, s36, 0
	v_mov_b32_e32 v2, v65
	v_mad_u64_u32 v[66:67], s[14:15], v76, s37, v[2:3]
	v_mov_b32_e32 v2, v67
	;; [unrolled: 2-line block ×6, first 2 shown]
	v_mad_u64_u32 v[76:77], s[14:15], v76, s42, v[2:3]
	v_cndmask_b32_e64 v65, v74, v70, s[8:9]
	v_cndmask_b32_e64 v2, v76, v72, s[8:9]
	;; [unrolled: 1-line block ×7, first 2 shown]
	v_sub_u32_e32 v71, 32, v63
	v_cmp_eq_u32_e64 s[14:15], 0, v63
	v_cndmask_b32_e64 v63, v70, v66, s[8:9]
	v_cndmask_b32_e64 v2, v2, v67, s[12:13]
	;; [unrolled: 1-line block ×4, first 2 shown]
	v_alignbit_b32 v72, v2, v67, v71
	v_cndmask_b32_e64 v65, v65, v66, s[12:13]
	v_cndmask_b32_e64 v2, v72, v2, s[14:15]
	v_alignbit_b32 v69, v67, v65, v71
	v_cndmask_b32_e64 v67, v69, v67, s[14:15]
	v_bfe_u32 v72, v2, 29, 1
	v_cndmask_b32_e64 v64, v68, v64, s[8:9]
	v_alignbit_b32 v69, v2, v67, 30
	v_sub_u32_e32 v73, 0, v72
	v_cndmask_b32_e64 v63, v63, v64, s[10:11]
	v_xor_b32_e32 v74, v69, v73
	v_cndmask_b32_e64 v63, v66, v63, s[12:13]
	v_alignbit_b32 v64, v65, v63, v71
	v_ffbh_u32_e32 v66, v74
	v_cndmask_b32_e64 v64, v64, v65, s[14:15]
	v_add_u32_e32 v66, 1, v66
	v_cmp_ne_u32_e64 s[8:9], v69, v73
	v_alignbit_b32 v65, v67, v64, 30
	v_cndmask_b32_e64 v66, 33, v66, s[8:9]
	v_alignbit_b32 v63, v64, v63, 30
	v_xor_b32_e32 v65, v65, v73
	v_sub_u32_e32 v67, 32, v66
	v_xor_b32_e32 v63, v63, v73
	v_alignbit_b32 v68, v74, v65, v67
	v_alignbit_b32 v63, v65, v63, v67
	;; [unrolled: 1-line block ×3, first 2 shown]
	v_ffbh_u32_e32 v65, v64
	v_min_u32_e32 v65, 32, v65
	v_lshrrev_b32_e32 v70, 29, v2
	v_sub_u32_e32 v67, 31, v65
	v_alignbit_b32 v63, v64, v63, v67
	v_lshlrev_b32_e32 v64, 31, v70
	v_or_b32_e32 v67, 0x33800000, v64
	v_add_lshl_u32 v65, v65, v66, 23
	v_lshrrev_b32_e32 v63, 9, v63
	v_sub_u32_e32 v65, v67, v65
	v_or_b32_e32 v63, v65, v63
	v_alignbit_b32 v65, v66, v68, 9
	v_or_b32_e32 v64, v65, v64
	v_xor_b32_e32 v64, 1.0, v64
	v_mul_f32_e32 v65, 0x3fc90fda, v64
	v_fma_f32 v66, v64, s43, -v65
	v_fmac_f32_e32 v66, 0x33a22168, v64
	v_fmac_f32_e32 v66, 0x3fc90fda, v63
	v_lshrrev_b32_e32 v2, 30, v2
	v_add_f32_e32 v63, v65, v66
	v_add_u32_e32 v64, v72, v2
.LBB151_50:                             ;   in Loop: Header=BB151_4 Depth=1
	s_andn2_saveexec_b64 s[8:9], s[26:27]
; %bb.51:                               ;   in Loop: Header=BB151_4 Depth=1
	v_mul_f32_e64 v2, |v59|, s44
	v_rndne_f32_e32 v2, v2
	v_cvt_i32_f32_e32 v64, v2
	v_fma_f32 v63, v2, s45, |v59|
	v_fmac_f32_e32 v63, 0xb3a22168, v2
	v_fmac_f32_e32 v63, 0xa7c234c4, v2
; %bb.52:                               ;   in Loop: Header=BB151_4 Depth=1
	s_or_b64 exec, exec, s[8:9]
	v_and_b32_e32 v65, 0x7fffffff, v11
	v_lshrrev_b32_e32 v2, 23, v65
	v_and_b32_e32 v66, 0x7fffff, v65
	v_cmp_nlt_f32_e64 s[26:27], |v11|, s35
	v_add_u32_e32 v70, 0xffffff88, v2
	v_or_b32_e32 v69, 0x800000, v66
                                        ; implicit-def: $vgpr67
                                        ; implicit-def: $vgpr66
	s_and_saveexec_b64 s[8:9], s[26:27]
	s_xor_b64 s[28:29], exec, s[8:9]
	s_cbranch_execz .LBB151_54
; %bb.53:                               ;   in Loop: Header=BB151_4 Depth=1
	v_cmp_lt_u32_e64 s[8:9], 63, v70
	v_cndmask_b32_e64 v2, 0, v29, s[8:9]
	v_add_u32_e32 v2, v2, v70
	v_cmp_lt_u32_e64 s[10:11], 31, v2
	v_cndmask_b32_e64 v66, 0, v30, s[10:11]
	v_add_u32_e32 v2, v66, v2
	;; [unrolled: 3-line block ×3, first 2 shown]
	v_mad_u64_u32 v[66:67], s[14:15], v69, s36, 0
	v_mov_b32_e32 v2, v67
	v_mad_u64_u32 v[72:73], s[14:15], v69, s37, v[2:3]
	v_mov_b32_e32 v2, v73
	;; [unrolled: 2-line block ×6, first 2 shown]
	v_mad_u64_u32 v[82:83], s[14:15], v69, s42, v[2:3]
	v_cndmask_b32_e64 v67, v80, v76, s[8:9]
	v_cndmask_b32_e64 v2, v82, v78, s[8:9]
	;; [unrolled: 1-line block ×7, first 2 shown]
	v_sub_u32_e32 v75, 32, v68
	v_cmp_eq_u32_e64 s[14:15], 0, v68
	v_cndmask_b32_e64 v68, v76, v72, s[8:9]
	v_cndmask_b32_e64 v2, v2, v71, s[12:13]
	;; [unrolled: 1-line block ×4, first 2 shown]
	v_alignbit_b32 v77, v2, v71, v75
	v_cndmask_b32_e64 v67, v67, v72, s[12:13]
	v_cndmask_b32_e64 v66, v74, v66, s[8:9]
	;; [unrolled: 1-line block ×3, first 2 shown]
	v_alignbit_b32 v73, v71, v67, v75
	v_cndmask_b32_e64 v66, v68, v66, s[10:11]
	v_cndmask_b32_e64 v71, v73, v71, s[14:15]
	v_bfe_u32 v77, v2, 29, 1
	v_cndmask_b32_e64 v66, v72, v66, s[12:13]
	v_alignbit_b32 v73, v2, v71, 30
	v_sub_u32_e32 v78, 0, v77
	v_alignbit_b32 v68, v67, v66, v75
	v_xor_b32_e32 v79, v73, v78
	v_cndmask_b32_e64 v67, v68, v67, s[14:15]
	v_alignbit_b32 v68, v71, v67, 30
	v_ffbh_u32_e32 v71, v79
	v_add_u32_e32 v71, 1, v71
	v_cmp_ne_u32_e64 s[8:9], v73, v78
	v_cndmask_b32_e64 v71, 33, v71, s[8:9]
	v_alignbit_b32 v66, v67, v66, 30
	v_xor_b32_e32 v68, v68, v78
	v_sub_u32_e32 v72, 32, v71
	v_xor_b32_e32 v66, v66, v78
	v_alignbit_b32 v73, v79, v68, v72
	v_alignbit_b32 v66, v68, v66, v72
	v_alignbit_b32 v67, v73, v66, 9
	v_ffbh_u32_e32 v68, v67
	v_min_u32_e32 v68, 32, v68
	v_lshrrev_b32_e32 v76, 29, v2
	v_sub_u32_e32 v72, 31, v68
	v_alignbit_b32 v66, v67, v66, v72
	v_lshlrev_b32_e32 v67, 31, v76
	v_or_b32_e32 v72, 0x33800000, v67
	v_add_lshl_u32 v68, v68, v71, 23
	v_lshrrev_b32_e32 v66, 9, v66
	v_sub_u32_e32 v68, v72, v68
	v_or_b32_e32 v66, v68, v66
	v_alignbit_b32 v68, v71, v73, 9
	v_or_b32_e32 v67, v68, v67
	v_xor_b32_e32 v67, 1.0, v67
	v_mul_f32_e32 v68, 0x3fc90fda, v67
	v_fma_f32 v71, v67, s43, -v68
	v_fmac_f32_e32 v71, 0x33a22168, v67
	v_fmac_f32_e32 v71, 0x3fc90fda, v66
	v_lshrrev_b32_e32 v2, 30, v2
	v_add_f32_e32 v66, v68, v71
	v_add_u32_e32 v67, v77, v2
.LBB151_54:                             ;   in Loop: Header=BB151_4 Depth=1
	s_or_saveexec_b64 s[8:9], s[28:29]
	v_mul_f32_e64 v2, |v11|, s44
	v_rndne_f32_e32 v71, v2
	s_xor_b64 exec, exec, s[8:9]
; %bb.55:                               ;   in Loop: Header=BB151_4 Depth=1
	v_cvt_i32_f32_e32 v67, v71
	v_fma_f32 v66, v71, s45, |v11|
	v_fmac_f32_e32 v66, 0xb3a22168, v71
	v_fmac_f32_e32 v66, 0xa7c234c4, v71
; %bb.56:                               ;   in Loop: Header=BB151_4 Depth=1
	s_or_b64 exec, exec, s[8:9]
                                        ; implicit-def: $vgpr2
                                        ; implicit-def: $vgpr68
	s_and_saveexec_b64 s[8:9], s[26:27]
	s_xor_b64 s[26:27], exec, s[8:9]
	s_cbranch_execz .LBB151_62
; %bb.57:                               ;   in Loop: Header=BB151_4 Depth=1
	v_cmp_lt_u32_e64 s[8:9], 63, v70
	v_cndmask_b32_e64 v2, 0, v29, s[8:9]
	v_add_u32_e32 v2, v2, v70
	v_cmp_lt_u32_e64 s[10:11], 31, v2
	v_cndmask_b32_e64 v68, 0, v30, s[10:11]
	v_add_u32_e32 v2, v68, v2
	v_cmp_lt_u32_e64 s[12:13], 31, v2
	v_cndmask_b32_e64 v68, 0, v30, s[12:13]
	v_mad_u64_u32 v[70:71], s[14:15], v69, s36, 0
	v_add_u32_e32 v82, v68, v2
	v_mov_b32_e32 v2, v71
	v_mad_u64_u32 v[72:73], s[14:15], v69, s37, v[2:3]
	v_mov_b32_e32 v2, v73
	v_mad_u64_u32 v[74:75], s[14:15], v69, s38, v[2:3]
	;; [unrolled: 2-line block ×6, first 2 shown]
	v_cndmask_b32_e64 v71, v80, v76, s[8:9]
	v_cndmask_b32_e64 v2, v68, v78, s[8:9]
	;; [unrolled: 1-line block ×10, first 2 shown]
	v_sub_u32_e32 v73, 32, v82
	v_cndmask_b32_e64 v69, v69, v72, s[10:11]
	v_alignbit_b32 v75, v2, v68, v73
	v_cmp_eq_u32_e64 s[14:15], 0, v82
	v_cndmask_b32_e64 v71, v71, v69, s[12:13]
	v_cndmask_b32_e64 v2, v75, v2, s[14:15]
	v_alignbit_b32 v75, v68, v71, v73
	v_cndmask_b32_e64 v70, v74, v70, s[8:9]
	v_cndmask_b32_e64 v68, v75, v68, s[14:15]
	v_bfe_u32 v77, v2, 29, 1
	v_cndmask_b32_e64 v70, v72, v70, s[10:11]
	v_alignbit_b32 v75, v2, v68, 30
	v_sub_u32_e32 v78, 0, v77
	v_cndmask_b32_e64 v69, v69, v70, s[12:13]
	v_xor_b32_e32 v79, v75, v78
	v_alignbit_b32 v70, v71, v69, v73
	v_cndmask_b32_e64 v70, v70, v71, s[14:15]
	v_ffbh_u32_e32 v71, v79
	v_add_u32_e32 v71, 1, v71
	v_cmp_ne_u32_e64 s[8:9], v75, v78
	v_alignbit_b32 v68, v68, v70, 30
	v_cndmask_b32_e64 v71, 33, v71, s[8:9]
	v_alignbit_b32 v69, v70, v69, 30
	v_xor_b32_e32 v68, v68, v78
	v_sub_u32_e32 v72, 32, v71
	v_xor_b32_e32 v69, v69, v78
	v_alignbit_b32 v73, v79, v68, v72
	v_alignbit_b32 v68, v68, v69, v72
	;; [unrolled: 1-line block ×3, first 2 shown]
	v_ffbh_u32_e32 v70, v69
	v_min_u32_e32 v70, 32, v70
	v_lshrrev_b32_e32 v76, 29, v2
	v_sub_u32_e32 v72, 31, v70
	v_alignbit_b32 v68, v69, v68, v72
	v_lshlrev_b32_e32 v69, 31, v76
	v_or_b32_e32 v72, 0x33800000, v69
	v_add_lshl_u32 v70, v70, v71, 23
	v_lshrrev_b32_e32 v68, 9, v68
	v_sub_u32_e32 v70, v72, v70
	v_or_b32_e32 v68, v70, v68
	v_alignbit_b32 v70, v71, v73, 9
	v_or_b32_e32 v69, v70, v69
	v_xor_b32_e32 v69, 1.0, v69
	v_mul_f32_e32 v70, 0x3fc90fda, v69
	v_fma_f32 v71, v69, s43, -v70
	v_fmac_f32_e32 v71, 0x33a22168, v69
	v_fmac_f32_e32 v71, 0x3fc90fda, v68
	v_lshrrev_b32_e32 v2, 30, v2
	v_add_f32_e32 v68, v70, v71
	v_add_u32_e32 v2, v77, v2
                                        ; implicit-def: $vgpr71
	s_andn2_saveexec_b64 s[8:9], s[26:27]
	s_cbranch_execnz .LBB151_63
.LBB151_58:                             ;   in Loop: Header=BB151_4 Depth=1
	s_or_b64 exec, exec, s[8:9]
	s_and_saveexec_b64 s[8:9], s[6:7]
	s_xor_b64 s[10:11], exec, s[8:9]
	s_cbranch_execz .LBB151_64
.LBB151_59:                             ;   in Loop: Header=BB151_4 Depth=1
	v_mul_f32_e32 v69, 0x3fb8aa3b, v16
	v_rndne_f32_e32 v70, v69
	v_sub_f32_e32 v71, v69, v70
	v_fma_f32 v69, v16, s46, -v69
	v_fmac_f32_e32 v69, 0x32a5705f, v16
	v_add_f32_e32 v69, v71, v69
	v_cvt_i32_f32_e32 v71, v70
	v_exp_f32_e32 v69, v69
	v_cmp_ngt_f32_e64 s[6:7], s47, v16
	v_mov_b32_e32 v72, v16
	v_fmac_f32_e32 v72, 0xbf317218, v70
	v_ldexp_f32 v69, v69, v71
	v_cndmask_b32_e64 v69, 0, v69, s[6:7]
	v_cmp_nlt_f32_e64 s[6:7], s48, v16
	v_cndmask_b32_e64 v69, v31, v69, s[6:7]
	v_cmp_eq_f32_e64 s[6:7], s49, v70
	v_fmac_f32_e32 v72, 0x3102e308, v70
	v_mov_b32_e32 v70, 0x3ab69700
	v_fmac_f32_e32 v70, 0x395133b1, v72
	v_fma_f32 v70, v72, v70, v23
	v_fma_f32 v70, v72, v70, v24
	;; [unrolled: 1-line block ×3, first 2 shown]
	v_cndmask_b32_e64 v71, v71, v32, s[6:7]
	v_fma_f32 v70, v72, v70, 0.5
	v_ldexp_f32 v71, 1.0, v71
	v_mul_f32_e32 v70, v72, v70
	v_fmac_f32_e32 v72, v72, v70
	v_add_f32_e32 v70, -1.0, v71
	v_fmac_f32_e32 v70, v71, v72
	v_add_f32_e32 v71, v70, v70
	v_cndmask_b32_e64 v70, v70, v71, s[6:7]
	v_mul_f32_e32 v71, v39, v39
	v_mov_b32_e32 v72, 0xbab64f3b
	v_fmac_f32_e32 v72, 0x37d75334, v71
	v_mov_b32_e32 v73, 0x3c0881c4
	v_cmp_nlt_f32_e64 s[6:7], s50, v16
	v_fma_f32 v72, v71, v72, v26
	v_fmac_f32_e32 v73, 0xb94c1982, v71
	v_cndmask_b32_e64 v70, v31, v70, s[6:7]
	v_cmp_ngt_f32_e64 s[6:7], s51, v16
	v_fma_f32 v72, v71, v72, v27
	v_fma_f32 v73, v71, v73, v28
	v_cndmask_b32_e64 v16, -1.0, v70, s[6:7]
	v_lshlrev_b32_e32 v70, 30, v40
	v_and_b32_e32 v40, 1, v40
	v_fma_f32 v72, v71, v72, 1.0
	v_mul_f32_e32 v71, v71, v73
	v_fmac_f32_e32 v39, v39, v71
	v_cmp_eq_u32_e64 s[6:7], 0, v40
	v_lshlrev_b32_e32 v40, 30, v37
	v_and_b32_e32 v70, 0x80000000, v70
	v_cndmask_b32_e64 v39, -v39, v72, s[6:7]
	v_xor_b32_e32 v35, v35, v34
	v_and_b32_e32 v40, 0x80000000, v40
	v_xor_b32_e32 v39, v70, v39
	v_xor_b32_e32 v35, v35, v40
	v_mul_f32_e32 v40, v36, v36
	v_mov_b32_e32 v70, 0x3c0881c4
	v_fmac_f32_e32 v70, 0xb94c1982, v40
	v_fma_f32 v70, v40, v70, v28
	v_mul_f32_e32 v70, v40, v70
	v_fmac_f32_e32 v36, v36, v70
	v_mov_b32_e32 v70, 0xbab64f3b
	v_fmac_f32_e32 v70, 0x37d75334, v40
	v_fma_f32 v70, v40, v70, v26
	v_and_b32_e32 v37, 1, v37
	v_fma_f32 v70, v40, v70, v27
	v_fma_f32 v40, v40, v70, 1.0
	v_cmp_eq_u32_e64 s[8:9], 0, v37
	v_cndmask_b32_e64 v36, v40, v36, s[8:9]
	v_xor_b32_e32 v35, v35, v36
	v_cmp_class_f32_e64 s[8:9], v34, s52
	v_cndmask_b32_e64 v34, v33, v35, s[8:9]
	v_cmp_class_f32_e64 s[6:7], v17, s52
	v_add_f32_e32 v35, v34, v34
	v_cndmask_b32_e64 v39, v33, v39, s[6:7]
	v_mul_f32_e32 v34, v34, v35
	v_fma_f32 v16, v16, v39, -v34
	v_mul_f32_e32 v34, v44, v44
	v_mov_b32_e32 v35, 0x3c0881c4
	v_fmac_f32_e32 v35, 0xb94c1982, v34
	v_fma_f32 v35, v34, v35, v28
	v_mul_f32_e32 v35, v34, v35
	v_fmac_f32_e32 v44, v44, v35
	v_mov_b32_e32 v35, 0xbab64f3b
	v_fmac_f32_e32 v35, 0x37d75334, v34
	v_fma_f32 v35, v34, v35, v26
	v_fma_f32 v35, v34, v35, v27
	v_fma_f32 v34, v34, v35, 1.0
	v_and_b32_e32 v35, 1, v43
	v_cmp_eq_u32_e64 s[8:9], 0, v35
	v_lshlrev_b32_e32 v35, 30, v43
	v_and_b32_e32 v35, 0x80000000, v35
	v_xor_b32_e32 v17, v38, v17
	v_cndmask_b32_e64 v34, v34, v44, s[8:9]
	v_xor_b32_e32 v17, v17, v35
	v_xor_b32_e32 v17, v17, v34
	v_cndmask_b32_e64 v17, v33, v17, s[6:7]
	v_mov_b32_e32 v35, s31
	v_add_co_u32_e64 v34, s[6:7], s30, v4
	v_mul_f32_e32 v17, v69, v17
	v_addc_co_u32_e64 v35, s[6:7], 0, v35, s[6:7]
	global_store_dwordx2 v[34:35], v[16:17], off
	s_or_b64 exec, exec, s[10:11]
	s_and_saveexec_b64 s[8:9], s[2:3]
	s_cbranch_execnz .LBB151_65
.LBB151_60:                             ;   in Loop: Header=BB151_4 Depth=1
	s_or_b64 exec, exec, s[8:9]
	s_and_saveexec_b64 s[6:7], s[0:1]
	s_cbranch_execz .LBB151_66
.LBB151_61:                             ;   in Loop: Header=BB151_4 Depth=1
	v_mul_f32_e32 v14, 0x3fb8aa3b, v12
	v_rndne_f32_e32 v15, v14
	v_sub_f32_e32 v16, v14, v15
	v_fma_f32 v14, v12, s46, -v14
	v_fmac_f32_e32 v14, 0x32a5705f, v12
	v_add_f32_e32 v14, v16, v14
	v_cvt_i32_f32_e32 v16, v15
	v_exp_f32_e32 v14, v14
	v_cmp_ngt_f32_e64 s[0:1], s47, v12
	v_mov_b32_e32 v17, v12
	v_fmac_f32_e32 v17, 0xbf317218, v15
	v_ldexp_f32 v14, v14, v16
	v_cndmask_b32_e64 v14, 0, v14, s[0:1]
	v_cmp_nlt_f32_e64 s[0:1], s48, v12
	v_cndmask_b32_e64 v14, v31, v14, s[0:1]
	v_cmp_eq_f32_e64 s[0:1], s49, v15
	v_fmac_f32_e32 v17, 0x3102e308, v15
	v_mov_b32_e32 v15, 0x3ab69700
	v_fmac_f32_e32 v15, 0x395133b1, v17
	v_fma_f32 v15, v17, v15, v23
	v_fma_f32 v15, v17, v15, v24
	;; [unrolled: 1-line block ×3, first 2 shown]
	v_cndmask_b32_e64 v16, v16, v32, s[0:1]
	v_fma_f32 v15, v17, v15, 0.5
	v_ldexp_f32 v16, 1.0, v16
	v_mul_f32_e32 v15, v17, v15
	v_fmac_f32_e32 v17, v17, v15
	v_add_f32_e32 v15, -1.0, v16
	v_fmac_f32_e32 v15, v16, v17
	v_mul_f32_e32 v17, v57, v57
	v_mov_b32_e32 v34, 0xbab64f3b
	v_fmac_f32_e32 v34, 0x37d75334, v17
	v_mov_b32_e32 v35, 0x3c0881c4
	v_add_f32_e32 v16, v15, v15
	v_fma_f32 v34, v17, v34, v26
	v_fmac_f32_e32 v35, 0xb94c1982, v17
	v_cndmask_b32_e64 v15, v15, v16, s[0:1]
	v_cmp_nlt_f32_e64 s[0:1], s50, v12
	v_fma_f32 v34, v17, v34, v27
	v_fma_f32 v35, v17, v35, v28
	v_cndmask_b32_e64 v15, v31, v15, s[0:1]
	v_cmp_ngt_f32_e64 s[0:1], s51, v12
	v_and_b32_e32 v16, 1, v58
	v_fma_f32 v34, v17, v34, 1.0
	v_mul_f32_e32 v17, v17, v35
	v_cndmask_b32_e64 v12, -1.0, v15, s[0:1]
	v_fmac_f32_e32 v57, v57, v17
	v_cmp_eq_u32_e64 s[0:1], 0, v16
	v_cndmask_b32_e64 v16, -v57, v34, s[0:1]
	v_mul_f32_e32 v34, v54, v54
	v_mov_b32_e32 v35, 0x3c0881c4
	v_fmac_f32_e32 v35, 0xb94c1982, v34
	v_fma_f32 v35, v34, v35, v28
	v_mul_f32_e32 v35, v34, v35
	v_lshlrev_b32_e32 v15, 30, v58
	v_fmac_f32_e32 v54, v54, v35
	v_mov_b32_e32 v35, 0xbab64f3b
	v_and_b32_e32 v15, 0x80000000, v15
	v_lshlrev_b32_e32 v17, 30, v55
	v_fmac_f32_e32 v35, 0x37d75334, v34
	v_xor_b32_e32 v15, v15, v16
	v_xor_b32_e32 v16, v51, v50
	v_and_b32_e32 v17, 0x80000000, v17
	v_fma_f32 v35, v34, v35, v26
	v_xor_b32_e32 v16, v16, v17
	v_and_b32_e32 v17, 1, v55
	v_fma_f32 v35, v34, v35, v27
	v_fma_f32 v34, v34, v35, 1.0
	v_cmp_eq_u32_e64 s[2:3], 0, v17
	v_cndmask_b32_e64 v17, v34, v54, s[2:3]
	v_xor_b32_e32 v16, v16, v17
	v_cmp_class_f32_e64 s[2:3], v50, s52
	v_cndmask_b32_e64 v16, v33, v16, s[2:3]
	v_cmp_class_f32_e64 s[0:1], v13, s52
	v_add_f32_e32 v17, v16, v16
	v_cndmask_b32_e64 v15, v33, v15, s[0:1]
	v_mul_f32_e32 v16, v16, v17
	v_fma_f32 v12, v12, v15, -v16
	v_mul_f32_e32 v15, v62, v62
	v_mov_b32_e32 v16, 0x3c0881c4
	v_fmac_f32_e32 v16, 0xb94c1982, v15
	v_fma_f32 v16, v15, v16, v28
	v_mul_f32_e32 v16, v15, v16
	v_fmac_f32_e32 v62, v62, v16
	v_mov_b32_e32 v16, 0xbab64f3b
	v_fmac_f32_e32 v16, 0x37d75334, v15
	v_fma_f32 v16, v15, v16, v26
	v_fma_f32 v16, v15, v16, v27
	v_fma_f32 v15, v15, v16, 1.0
	v_and_b32_e32 v16, 1, v61
	v_cmp_eq_u32_e64 s[2:3], 0, v16
	v_lshlrev_b32_e32 v16, 30, v61
	v_and_b32_e32 v16, 0x80000000, v16
	v_xor_b32_e32 v13, v56, v13
	v_cndmask_b32_e64 v15, v15, v62, s[2:3]
	v_xor_b32_e32 v13, v13, v16
	v_xor_b32_e32 v13, v13, v15
	v_cndmask_b32_e64 v13, v33, v13, s[0:1]
	v_mul_f32_e32 v13, v14, v13
	v_mov_b32_e32 v15, s31
	v_add_co_u32_e64 v14, s[0:1], s30, v9
	v_addc_co_u32_e64 v15, s[0:1], v15, v18, s[0:1]
	global_store_dwordx2 v[14:15], v[12:13], off
	s_or_b64 exec, exec, s[6:7]
	s_and_saveexec_b64 s[2:3], vcc
	s_cbranch_execz .LBB151_3
	s_branch .LBB151_67
.LBB151_62:                             ;   in Loop: Header=BB151_4 Depth=1
	s_andn2_saveexec_b64 s[8:9], s[26:27]
	s_cbranch_execz .LBB151_58
.LBB151_63:                             ;   in Loop: Header=BB151_4 Depth=1
	v_cvt_i32_f32_e32 v2, v71
	v_fma_f32 v68, v71, s45, |v11|
	v_fmac_f32_e32 v68, 0xb3a22168, v71
	v_fmac_f32_e32 v68, 0xa7c234c4, v71
	s_or_b64 exec, exec, s[8:9]
	s_and_saveexec_b64 s[8:9], s[6:7]
	s_xor_b64 s[10:11], exec, s[8:9]
	s_cbranch_execnz .LBB151_59
.LBB151_64:                             ;   in Loop: Header=BB151_4 Depth=1
	s_or_b64 exec, exec, s[10:11]
	s_and_saveexec_b64 s[8:9], s[2:3]
	s_cbranch_execz .LBB151_60
.LBB151_65:                             ;   in Loop: Header=BB151_4 Depth=1
	v_mul_f32_e32 v16, 0x3fb8aa3b, v14
	v_rndne_f32_e32 v17, v16
	v_sub_f32_e32 v34, v16, v17
	v_fma_f32 v16, v14, s46, -v16
	v_fmac_f32_e32 v16, 0x32a5705f, v14
	v_add_f32_e32 v16, v34, v16
	v_cvt_i32_f32_e32 v34, v17
	v_exp_f32_e32 v16, v16
	v_cmp_ngt_f32_e64 s[2:3], s47, v14
	v_mov_b32_e32 v35, v14
	v_fmac_f32_e32 v35, 0xbf317218, v17
	v_ldexp_f32 v16, v16, v34
	v_cndmask_b32_e64 v16, 0, v16, s[2:3]
	v_cmp_nlt_f32_e64 s[2:3], s48, v14
	v_cndmask_b32_e64 v16, v31, v16, s[2:3]
	v_cmp_eq_f32_e64 s[2:3], s49, v17
	v_fmac_f32_e32 v35, 0x3102e308, v17
	v_mov_b32_e32 v17, 0x3ab69700
	v_fmac_f32_e32 v17, 0x395133b1, v35
	v_fma_f32 v17, v35, v17, v23
	v_fma_f32 v17, v35, v17, v24
	;; [unrolled: 1-line block ×3, first 2 shown]
	v_cndmask_b32_e64 v34, v34, v32, s[2:3]
	v_fma_f32 v17, v35, v17, 0.5
	v_ldexp_f32 v34, 1.0, v34
	v_mul_f32_e32 v17, v35, v17
	v_fmac_f32_e32 v35, v35, v17
	v_add_f32_e32 v17, -1.0, v34
	v_fmac_f32_e32 v17, v34, v35
	v_mul_f32_e32 v35, v48, v48
	v_mov_b32_e32 v36, 0xbab64f3b
	v_fmac_f32_e32 v36, 0x37d75334, v35
	v_mov_b32_e32 v37, 0x3c0881c4
	v_add_f32_e32 v34, v17, v17
	v_fma_f32 v36, v35, v36, v26
	v_fmac_f32_e32 v37, 0xb94c1982, v35
	v_cndmask_b32_e64 v17, v17, v34, s[2:3]
	v_cmp_nlt_f32_e64 s[2:3], s50, v14
	v_fma_f32 v36, v35, v36, v27
	v_fma_f32 v37, v35, v37, v28
	v_cndmask_b32_e64 v17, v31, v17, s[2:3]
	v_cmp_ngt_f32_e64 s[2:3], s51, v14
	v_and_b32_e32 v34, 1, v49
	v_fma_f32 v36, v35, v36, 1.0
	v_mul_f32_e32 v35, v35, v37
	v_cndmask_b32_e64 v14, -1.0, v17, s[2:3]
	v_fmac_f32_e32 v48, v48, v35
	v_cmp_eq_u32_e64 s[2:3], 0, v34
	v_cndmask_b32_e64 v34, -v48, v36, s[2:3]
	v_mul_f32_e32 v36, v45, v45
	v_mov_b32_e32 v37, 0x3c0881c4
	v_fmac_f32_e32 v37, 0xb94c1982, v36
	v_fma_f32 v37, v36, v37, v28
	v_mul_f32_e32 v37, v36, v37
	v_lshlrev_b32_e32 v17, 30, v49
	v_fmac_f32_e32 v45, v45, v37
	v_mov_b32_e32 v37, 0xbab64f3b
	v_and_b32_e32 v17, 0x80000000, v17
	v_lshlrev_b32_e32 v35, 30, v46
	v_fmac_f32_e32 v37, 0x37d75334, v36
	v_xor_b32_e32 v17, v17, v34
	v_xor_b32_e32 v34, v42, v41
	v_and_b32_e32 v35, 0x80000000, v35
	v_fma_f32 v37, v36, v37, v26
	v_xor_b32_e32 v34, v34, v35
	v_and_b32_e32 v35, 1, v46
	v_fma_f32 v37, v36, v37, v27
	v_fma_f32 v36, v36, v37, 1.0
	v_cmp_eq_u32_e64 s[6:7], 0, v35
	v_cndmask_b32_e64 v35, v36, v45, s[6:7]
	v_xor_b32_e32 v34, v34, v35
	v_cmp_class_f32_e64 s[6:7], v41, s52
	v_cndmask_b32_e64 v34, v33, v34, s[6:7]
	v_cmp_class_f32_e64 s[2:3], v15, s52
	v_add_f32_e32 v35, v34, v34
	v_cndmask_b32_e64 v17, v33, v17, s[2:3]
	v_mul_f32_e32 v34, v34, v35
	v_fma_f32 v14, v14, v17, -v34
	v_mul_f32_e32 v17, v53, v53
	v_mov_b32_e32 v34, 0x3c0881c4
	v_fmac_f32_e32 v34, 0xb94c1982, v17
	v_fma_f32 v34, v17, v34, v28
	v_mul_f32_e32 v34, v17, v34
	v_fmac_f32_e32 v53, v53, v34
	v_mov_b32_e32 v34, 0xbab64f3b
	v_fmac_f32_e32 v34, 0x37d75334, v17
	v_fma_f32 v34, v17, v34, v26
	v_fma_f32 v34, v17, v34, v27
	v_fma_f32 v17, v17, v34, 1.0
	v_and_b32_e32 v34, 1, v52
	v_cmp_eq_u32_e64 s[6:7], 0, v34
	v_lshlrev_b32_e32 v34, 30, v52
	v_and_b32_e32 v34, 0x80000000, v34
	v_xor_b32_e32 v15, v47, v15
	v_cndmask_b32_e64 v17, v17, v53, s[6:7]
	v_xor_b32_e32 v15, v15, v34
	v_xor_b32_e32 v15, v15, v17
	v_cndmask_b32_e64 v15, v33, v15, s[2:3]
	v_mul_f32_e32 v15, v16, v15
	v_mov_b32_e32 v17, s31
	v_add_co_u32_e64 v16, s[2:3], s30, v8
	v_addc_co_u32_e64 v17, s[2:3], 0, v17, s[2:3]
	global_store_dwordx2 v[16:17], v[14:15], off
	s_or_b64 exec, exec, s[8:9]
	s_and_saveexec_b64 s[6:7], s[0:1]
	s_cbranch_execnz .LBB151_61
.LBB151_66:                             ;   in Loop: Header=BB151_4 Depth=1
	s_or_b64 exec, exec, s[6:7]
	s_and_saveexec_b64 s[2:3], vcc
	s_cbranch_execz .LBB151_3
.LBB151_67:                             ;   in Loop: Header=BB151_4 Depth=1
	v_mul_f32_e32 v12, 0x3fb8aa3b, v10
	v_rndne_f32_e32 v13, v12
	v_sub_f32_e32 v14, v12, v13
	v_fma_f32 v12, v10, s46, -v12
	v_fmac_f32_e32 v12, 0x32a5705f, v10
	v_add_f32_e32 v12, v14, v12
	v_cvt_i32_f32_e32 v14, v13
	v_exp_f32_e32 v12, v12
	v_cmp_ngt_f32_e32 vcc, s47, v10
	v_mov_b32_e32 v15, v10
	v_fmac_f32_e32 v15, 0xbf317218, v13
	v_ldexp_f32 v12, v12, v14
	v_cndmask_b32_e32 v12, 0, v12, vcc
	v_cmp_nlt_f32_e32 vcc, s48, v10
	v_cndmask_b32_e32 v12, v31, v12, vcc
	v_cmp_eq_f32_e32 vcc, s49, v13
	v_fmac_f32_e32 v15, 0x3102e308, v13
	v_mov_b32_e32 v13, 0x3ab69700
	v_fmac_f32_e32 v13, 0x395133b1, v15
	v_fma_f32 v13, v15, v13, v23
	v_fma_f32 v13, v15, v13, v24
	;; [unrolled: 1-line block ×3, first 2 shown]
	v_cndmask_b32_e32 v14, v14, v32, vcc
	v_fma_f32 v13, v15, v13, 0.5
	v_ldexp_f32 v14, 1.0, v14
	v_mul_f32_e32 v13, v15, v13
	v_fmac_f32_e32 v15, v15, v13
	v_add_f32_e32 v13, -1.0, v14
	v_fmac_f32_e32 v13, v14, v15
	v_mul_f32_e32 v15, v66, v66
	v_mov_b32_e32 v16, 0xbab64f3b
	v_fmac_f32_e32 v16, 0x37d75334, v15
	v_mov_b32_e32 v17, 0x3c0881c4
	v_add_f32_e32 v14, v13, v13
	v_fma_f32 v16, v15, v16, v26
	v_fmac_f32_e32 v17, 0xb94c1982, v15
	v_cndmask_b32_e32 v13, v13, v14, vcc
	v_cmp_nlt_f32_e32 vcc, s50, v10
	v_fma_f32 v16, v15, v16, v27
	v_fma_f32 v17, v15, v17, v28
	v_cndmask_b32_e32 v13, v31, v13, vcc
	v_cmp_ngt_f32_e32 vcc, s51, v10
	v_and_b32_e32 v14, 1, v67
	v_fma_f32 v16, v15, v16, 1.0
	v_mul_f32_e32 v15, v15, v17
	v_cndmask_b32_e32 v10, -1.0, v13, vcc
	v_fmac_f32_e32 v66, v66, v15
	v_cmp_eq_u32_e32 vcc, 0, v14
	v_cndmask_b32_e64 v14, -v66, v16, vcc
	v_mul_f32_e32 v16, v63, v63
	v_mov_b32_e32 v17, 0x3c0881c4
	v_fmac_f32_e32 v17, 0xb94c1982, v16
	v_fma_f32 v17, v16, v17, v28
	v_mul_f32_e32 v17, v16, v17
	v_lshlrev_b32_e32 v13, 30, v67
	v_fmac_f32_e32 v63, v63, v17
	v_mov_b32_e32 v17, 0xbab64f3b
	v_and_b32_e32 v13, 0x80000000, v13
	v_lshlrev_b32_e32 v15, 30, v64
	v_fmac_f32_e32 v17, 0x37d75334, v16
	v_xor_b32_e32 v13, v13, v14
	v_xor_b32_e32 v14, v60, v59
	v_and_b32_e32 v15, 0x80000000, v15
	v_fma_f32 v17, v16, v17, v26
	v_xor_b32_e32 v14, v14, v15
	v_and_b32_e32 v15, 1, v64
	v_fma_f32 v17, v16, v17, v27
	v_fma_f32 v16, v16, v17, 1.0
	v_cmp_eq_u32_e64 s[0:1], 0, v15
	v_cndmask_b32_e64 v15, v16, v63, s[0:1]
	v_xor_b32_e32 v14, v14, v15
	v_cmp_class_f32_e64 s[0:1], v59, s52
	v_cndmask_b32_e64 v14, v33, v14, s[0:1]
	v_cmp_class_f32_e64 vcc, v11, s52
	v_add_f32_e32 v15, v14, v14
	v_cndmask_b32_e32 v13, v33, v13, vcc
	v_mul_f32_e32 v14, v14, v15
	v_fma_f32 v10, v10, v13, -v14
	v_mul_f32_e32 v13, v68, v68
	v_mov_b32_e32 v14, 0x3c0881c4
	v_fmac_f32_e32 v14, 0xb94c1982, v13
	v_fma_f32 v14, v13, v14, v28
	v_mul_f32_e32 v14, v13, v14
	v_fmac_f32_e32 v68, v68, v14
	v_mov_b32_e32 v14, 0xbab64f3b
	v_fmac_f32_e32 v14, 0x37d75334, v13
	v_fma_f32 v14, v13, v14, v26
	v_fma_f32 v14, v13, v14, v27
	v_fma_f32 v13, v13, v14, 1.0
	v_and_b32_e32 v14, 1, v2
	v_lshlrev_b32_e32 v2, 30, v2
	v_cmp_eq_u32_e64 s[0:1], 0, v14
	v_and_b32_e32 v2, 0x80000000, v2
	v_xor_b32_e32 v11, v65, v11
	v_cndmask_b32_e64 v13, v13, v68, s[0:1]
	v_xor_b32_e32 v2, v11, v2
	v_xor_b32_e32 v2, v2, v13
	v_cndmask_b32_e32 v2, v33, v2, vcc
	v_mul_f32_e32 v11, v12, v2
	v_mov_b32_e32 v2, s31
	v_add_co_u32_e32 v12, vcc, s30, v6
	v_addc_co_u32_e32 v13, vcc, v2, v7, vcc
	global_store_dwordx2 v[12:13], v[10:11], off
	s_branch .LBB151_3
.LBB151_68:
	s_cbranch_execz .LBB151_70
	s_branch .LBB151_121
.LBB151_69:
.LBB151_70:
	v_mov_b32_e32 v9, 0
	v_lshlrev_b32_e32 v8, 2, v0
	s_mov_b32 s14, 0
	v_cmp_gt_i64_e32 vcc, s[16:17], v[8:9]
	s_and_saveexec_b64 s[0:1], vcc
	s_cbranch_execz .LBB151_121
; %bb.71:
	s_load_dword s0, s[4:5], 0xd3c
	v_lshlrev_b32_e32 v1, 5, v0
	s_mov_b64 s[6:7], 0
	s_mov_b32 s22, 0x3c439041
	s_mov_b32 s23, 0xdb629599
	s_waitcnt lgkmcnt(0)
	s_and_b32 s0, s0, 0xffff
	s_lshl_b32 s15, s0, 2
	s_add_u32 s1, s18, s20
	s_addc_u32 s2, s19, s21
	v_add_lshl_u32 v8, v0, s0, 2
	v_mov_b32_e32 v0, s2
	v_add_co_u32_e32 v10, vcc, s1, v1
	v_addc_co_u32_e32 v11, vcc, 0, v0, vcc
	s_lshl_b32 s18, s0, 5
	s_mov_b32 s19, s14
	s_brev_b32 s20, 18
	s_mov_b32 s21, 0xfe5163ab
	s_mov_b32 s24, 0xf534ddc0
	;; [unrolled: 1-line block ×12, first 2 shown]
	v_mov_b32_e32 v14, 0x3c0887f9
	v_mov_b32_e32 v15, 0x3d2aaa81
	v_mov_b32_e32 v16, 0x3e2aaaab
	s_mov_b32 s36, 0x42b17217
	s_mov_b32 s37, 0xc1880000
	s_movk_i32 s38, 0x1f8
	v_mov_b32_e32 v17, 0x3d2aabf7
	v_mov_b32_e32 v18, 0xbf000004
	;; [unrolled: 1-line block ×3, first 2 shown]
	s_mov_b64 s[8:9], 0xffff
	v_not_b32_e32 v20, 63
	v_not_b32_e32 v21, 31
	v_mov_b32_e32 v22, 0x7f800000
	v_mov_b32_e32 v23, 0x7f
	;; [unrolled: 1-line block ×3, first 2 shown]
	v_pk_mov_b32 v[12:13], v[8:9], v[8:9] op_sel:[0,1]
	s_branch .LBB151_73
.LBB151_72:                             ;   in Loop: Header=BB151_73 Depth=1
	s_or_b64 exec, exec, s[0:1]
	v_mul_f32_e32 v60, 0x3fb8aa3b, v0
	v_rndne_f32_e32 v61, v60
	v_sub_f32_e32 v62, v60, v61
	v_fma_f32 v60, v0, s31, -v60
	v_fmac_f32_e32 v60, 0x32a5705f, v0
	v_add_f32_e32 v60, v62, v60
	v_cvt_i32_f32_e32 v62, v61
	v_exp_f32_e32 v60, v60
	v_cmp_ngt_f32_e32 vcc, s33, v0
	v_mov_b32_e32 v63, v0
	v_fmac_f32_e32 v63, 0xbf317218, v61
	v_ldexp_f32 v60, v60, v62
	v_cndmask_b32_e32 v60, 0, v60, vcc
	v_cmp_nlt_f32_e32 vcc, s34, v0
	v_cndmask_b32_e32 v60, v22, v60, vcc
	v_cmp_eq_f32_e32 vcc, s35, v61
	v_fmac_f32_e32 v63, 0x3102e308, v61
	v_mov_b32_e32 v61, 0x3ab69700
	v_fmac_f32_e32 v61, 0x395133b1, v63
	v_fma_f32 v61, v63, v61, v14
	v_fma_f32 v61, v63, v61, v15
	;; [unrolled: 1-line block ×3, first 2 shown]
	v_cndmask_b32_e32 v62, v62, v23, vcc
	v_fma_f32 v61, v63, v61, 0.5
	v_ldexp_f32 v62, 1.0, v62
	v_mul_f32_e32 v61, v63, v61
	v_fmac_f32_e32 v63, v63, v61
	v_add_f32_e32 v61, -1.0, v62
	v_fmac_f32_e32 v61, v62, v63
	v_add_f32_e32 v62, v61, v61
	v_cndmask_b32_e32 v61, v61, v62, vcc
	v_mul_f32_e32 v62, v53, v53
	v_mov_b32_e32 v63, 0xbab64f3b
	v_fmac_f32_e32 v63, 0x37d75334, v62
	v_mov_b32_e32 v64, 0x3c0881c4
	v_cmp_nlt_f32_e32 vcc, s36, v0
	v_fma_f32 v63, v62, v63, v17
	v_fmac_f32_e32 v64, 0xb94c1982, v62
	v_cndmask_b32_e32 v61, v22, v61, vcc
	v_cmp_ngt_f32_e32 vcc, s37, v0
	v_fma_f32 v63, v62, v63, v18
	v_fma_f32 v64, v62, v64, v19
	v_cndmask_b32_e32 v0, -1.0, v61, vcc
	v_lshlrev_b32_e32 v61, 30, v54
	v_and_b32_e32 v54, 1, v54
	v_fma_f32 v63, v62, v63, 1.0
	v_mul_f32_e32 v62, v62, v64
	v_fmac_f32_e32 v53, v53, v62
	v_cmp_eq_u32_e32 vcc, 0, v54
	v_lshlrev_b32_e32 v54, 30, v48
	v_and_b32_e32 v61, 0x80000000, v61
	v_cndmask_b32_e64 v53, -v53, v63, vcc
	v_xor_b32_e32 v44, v44, v43
	v_and_b32_e32 v54, 0x80000000, v54
	v_xor_b32_e32 v53, v61, v53
	v_xor_b32_e32 v44, v44, v54
	v_mul_f32_e32 v54, v46, v46
	v_mov_b32_e32 v61, 0x3c0881c4
	v_fmac_f32_e32 v61, 0xb94c1982, v54
	v_fma_f32 v61, v54, v61, v19
	v_mul_f32_e32 v61, v54, v61
	v_fmac_f32_e32 v46, v46, v61
	v_mov_b32_e32 v61, 0xbab64f3b
	v_fmac_f32_e32 v61, 0x37d75334, v54
	v_fma_f32 v61, v54, v61, v17
	v_and_b32_e32 v48, 1, v48
	v_fma_f32 v61, v54, v61, v18
	v_fma_f32 v54, v54, v61, 1.0
	v_cmp_eq_u32_e64 s[0:1], 0, v48
	v_cndmask_b32_e64 v46, v54, v46, s[0:1]
	v_xor_b32_e32 v44, v44, v46
	v_cmp_class_f32_e64 s[0:1], v43, s38
	v_cndmask_b32_e64 v43, v24, v44, s[0:1]
	v_cmp_class_f32_e64 vcc, v1, s38
	v_add_f32_e32 v44, v43, v43
	v_cndmask_b32_e32 v53, v24, v53, vcc
	v_mul_f32_e32 v43, v43, v44
	v_fma_f32 v0, v0, v53, -v43
	v_mul_f32_e32 v43, v56, v56
	v_mov_b32_e32 v44, 0x3c0881c4
	v_fmac_f32_e32 v44, 0xb94c1982, v43
	v_fma_f32 v44, v43, v44, v19
	v_mul_f32_e32 v44, v43, v44
	v_fmac_f32_e32 v56, v56, v44
	v_mov_b32_e32 v44, 0xbab64f3b
	v_fmac_f32_e32 v44, 0x37d75334, v43
	v_fma_f32 v44, v43, v44, v17
	v_fma_f32 v44, v43, v44, v18
	v_fma_f32 v43, v43, v44, 1.0
	v_and_b32_e32 v44, 1, v55
	v_cmp_eq_u32_e64 s[0:1], 0, v44
	v_lshlrev_b32_e32 v44, 30, v55
	v_and_b32_e32 v44, 0x80000000, v44
	v_xor_b32_e32 v1, v49, v1
	v_xor_b32_e32 v1, v1, v44
	v_mul_f32_e32 v44, 0x3fb8aa3b, v6
	v_rndne_f32_e32 v46, v44
	v_sub_f32_e32 v48, v44, v46
	v_fma_f32 v44, v6, s31, -v44
	v_fmac_f32_e32 v44, 0x32a5705f, v6
	v_add_f32_e32 v44, v48, v44
	v_exp_f32_e32 v44, v44
	v_cvt_i32_f32_e32 v48, v46
	v_cndmask_b32_e64 v43, v43, v56, s[0:1]
	v_xor_b32_e32 v1, v1, v43
	v_cndmask_b32_e32 v1, v24, v1, vcc
	v_ldexp_f32 v43, v44, v48
	v_cmp_ngt_f32_e32 vcc, s33, v6
	v_cndmask_b32_e32 v43, 0, v43, vcc
	v_cmp_nlt_f32_e32 vcc, s34, v6
	v_cndmask_b32_e32 v43, v22, v43, vcc
	v_cmp_eq_f32_e32 vcc, s35, v46
	v_cndmask_b32_e32 v44, v48, v23, vcc
	v_mov_b32_e32 v48, v6
	v_fmac_f32_e32 v48, 0xbf317218, v46
	v_fmac_f32_e32 v48, 0x3102e308, v46
	v_mov_b32_e32 v46, 0x3ab69700
	v_fmac_f32_e32 v46, 0x395133b1, v48
	v_fma_f32 v46, v48, v46, v14
	v_fma_f32 v46, v48, v46, v15
	;; [unrolled: 1-line block ×3, first 2 shown]
	v_fma_f32 v46, v48, v46, 0.5
	v_ldexp_f32 v44, 1.0, v44
	v_mul_f32_e32 v46, v48, v46
	v_fmac_f32_e32 v48, v48, v46
	v_add_f32_e32 v46, -1.0, v44
	v_fmac_f32_e32 v46, v44, v48
	v_add_f32_e32 v44, v46, v46
	v_cndmask_b32_e32 v44, v46, v44, vcc
	v_mul_f32_e32 v46, v39, v39
	v_mov_b32_e32 v48, 0xbab64f3b
	v_fmac_f32_e32 v48, 0x37d75334, v46
	v_mov_b32_e32 v49, 0x3c0881c4
	v_cmp_nlt_f32_e32 vcc, s36, v6
	v_fma_f32 v48, v46, v48, v17
	v_fmac_f32_e32 v49, 0xb94c1982, v46
	v_cndmask_b32_e32 v44, v22, v44, vcc
	v_cmp_ngt_f32_e32 vcc, s37, v6
	v_fma_f32 v48, v46, v48, v18
	v_fma_f32 v49, v46, v49, v19
	v_cndmask_b32_e32 v6, -1.0, v44, vcc
	v_lshlrev_b32_e32 v44, 30, v40
	v_and_b32_e32 v40, 1, v40
	v_fma_f32 v48, v46, v48, 1.0
	v_mul_f32_e32 v46, v46, v49
	v_fmac_f32_e32 v39, v39, v46
	v_cmp_eq_u32_e32 vcc, 0, v40
	v_lshlrev_b32_e32 v40, 30, v37
	v_and_b32_e32 v44, 0x80000000, v44
	v_cndmask_b32_e64 v39, -v39, v48, vcc
	v_xor_b32_e32 v35, v35, v34
	v_and_b32_e32 v40, 0x80000000, v40
	v_xor_b32_e32 v39, v44, v39
	v_xor_b32_e32 v35, v35, v40
	v_mul_f32_e32 v40, v36, v36
	v_mov_b32_e32 v44, 0x3c0881c4
	v_fmac_f32_e32 v44, 0xb94c1982, v40
	v_fma_f32 v44, v40, v44, v19
	v_mul_f32_e32 v44, v40, v44
	v_fmac_f32_e32 v36, v36, v44
	v_mov_b32_e32 v44, 0xbab64f3b
	v_fmac_f32_e32 v44, 0x37d75334, v40
	v_fma_f32 v44, v40, v44, v17
	v_and_b32_e32 v37, 1, v37
	v_fma_f32 v44, v40, v44, v18
	v_fma_f32 v40, v40, v44, 1.0
	v_cmp_eq_u32_e64 s[0:1], 0, v37
	v_cndmask_b32_e64 v36, v40, v36, s[0:1]
	v_xor_b32_e32 v35, v35, v36
	v_cmp_class_f32_e64 s[0:1], v34, s38
	v_cndmask_b32_e64 v34, v24, v35, s[0:1]
	v_cmp_class_f32_e64 vcc, v7, s38
	v_add_f32_e32 v35, v34, v34
	v_cndmask_b32_e32 v39, v24, v39, vcc
	v_mul_f32_e32 v34, v34, v35
	v_fma_f32 v6, v6, v39, -v34
	v_mul_f32_e32 v34, v42, v42
	v_mov_b32_e32 v35, 0x3c0881c4
	v_fmac_f32_e32 v35, 0xb94c1982, v34
	v_fma_f32 v35, v34, v35, v19
	v_mul_f32_e32 v35, v34, v35
	v_fmac_f32_e32 v42, v42, v35
	v_mov_b32_e32 v35, 0xbab64f3b
	v_fmac_f32_e32 v35, 0x37d75334, v34
	v_fma_f32 v35, v34, v35, v17
	v_fma_f32 v35, v34, v35, v18
	v_fma_f32 v34, v34, v35, 1.0
	v_and_b32_e32 v35, 1, v41
	v_cmp_eq_u32_e64 s[0:1], 0, v35
	v_lshlrev_b32_e32 v35, 30, v41
	v_and_b32_e32 v35, 0x80000000, v35
	v_xor_b32_e32 v7, v38, v7
	v_xor_b32_e32 v7, v7, v35
	v_mul_f32_e32 v35, 0x3fb8aa3b, v4
	v_rndne_f32_e32 v36, v35
	v_sub_f32_e32 v37, v35, v36
	v_fma_f32 v35, v4, s31, -v35
	v_fmac_f32_e32 v35, 0x32a5705f, v4
	v_add_f32_e32 v35, v37, v35
	v_exp_f32_e32 v35, v35
	v_cvt_i32_f32_e32 v37, v36
	v_cndmask_b32_e64 v34, v34, v42, s[0:1]
	v_xor_b32_e32 v7, v7, v34
	v_cndmask_b32_e32 v7, v24, v7, vcc
	v_ldexp_f32 v34, v35, v37
	v_cmp_ngt_f32_e32 vcc, s33, v4
	v_cndmask_b32_e32 v34, 0, v34, vcc
	v_cmp_nlt_f32_e32 vcc, s34, v4
	v_cndmask_b32_e32 v34, v22, v34, vcc
	v_cmp_eq_f32_e32 vcc, s35, v36
	v_cndmask_b32_e32 v35, v37, v23, vcc
	v_mov_b32_e32 v37, v4
	v_fmac_f32_e32 v37, 0xbf317218, v36
	v_fmac_f32_e32 v37, 0x3102e308, v36
	v_mov_b32_e32 v36, 0x3ab69700
	v_fmac_f32_e32 v36, 0x395133b1, v37
	v_fma_f32 v36, v37, v36, v14
	v_fma_f32 v36, v37, v36, v15
	;; [unrolled: 1-line block ×3, first 2 shown]
	v_fma_f32 v36, v37, v36, 0.5
	v_ldexp_f32 v35, 1.0, v35
	v_mul_f32_e32 v36, v37, v36
	v_fmac_f32_e32 v37, v37, v36
	v_add_f32_e32 v36, -1.0, v35
	v_fmac_f32_e32 v36, v35, v37
	v_add_f32_e32 v35, v36, v36
	v_cndmask_b32_e32 v35, v36, v35, vcc
	v_mul_f32_e32 v36, v30, v30
	v_mov_b32_e32 v37, 0xbab64f3b
	v_fmac_f32_e32 v37, 0x37d75334, v36
	v_mov_b32_e32 v38, 0x3c0881c4
	v_cmp_nlt_f32_e32 vcc, s36, v4
	v_fma_f32 v37, v36, v37, v17
	v_fmac_f32_e32 v38, 0xb94c1982, v36
	v_cndmask_b32_e32 v35, v22, v35, vcc
	v_cmp_ngt_f32_e32 vcc, s37, v4
	v_fma_f32 v37, v36, v37, v18
	v_fma_f32 v38, v36, v38, v19
	v_cndmask_b32_e32 v4, -1.0, v35, vcc
	v_lshlrev_b32_e32 v35, 30, v31
	v_and_b32_e32 v31, 1, v31
	v_fma_f32 v37, v36, v37, 1.0
	v_mul_f32_e32 v36, v36, v38
	v_fmac_f32_e32 v30, v30, v36
	v_cmp_eq_u32_e32 vcc, 0, v31
	v_lshlrev_b32_e32 v31, 30, v28
	v_and_b32_e32 v35, 0x80000000, v35
	v_cndmask_b32_e64 v30, -v30, v37, vcc
	v_xor_b32_e32 v26, v26, v25
	v_and_b32_e32 v31, 0x80000000, v31
	v_xor_b32_e32 v30, v35, v30
	v_xor_b32_e32 v26, v26, v31
	v_mul_f32_e32 v31, v27, v27
	v_mov_b32_e32 v35, 0x3c0881c4
	v_fmac_f32_e32 v35, 0xb94c1982, v31
	v_fma_f32 v35, v31, v35, v19
	v_mul_f32_e32 v35, v31, v35
	v_fmac_f32_e32 v27, v27, v35
	v_mov_b32_e32 v35, 0xbab64f3b
	v_fmac_f32_e32 v35, 0x37d75334, v31
	v_fma_f32 v35, v31, v35, v17
	v_and_b32_e32 v28, 1, v28
	v_fma_f32 v35, v31, v35, v18
	v_fma_f32 v31, v31, v35, 1.0
	v_cmp_eq_u32_e64 s[0:1], 0, v28
	v_cndmask_b32_e64 v27, v31, v27, s[0:1]
	v_xor_b32_e32 v26, v26, v27
	v_cmp_class_f32_e64 s[0:1], v25, s38
	v_cndmask_b32_e64 v25, v24, v26, s[0:1]
	v_cmp_class_f32_e64 vcc, v5, s38
	v_add_f32_e32 v26, v25, v25
	v_cndmask_b32_e32 v30, v24, v30, vcc
	v_mul_f32_e32 v25, v25, v26
	v_fma_f32 v4, v4, v30, -v25
	v_mul_f32_e32 v25, v33, v33
	v_mov_b32_e32 v26, 0x3c0881c4
	v_fmac_f32_e32 v26, 0xb94c1982, v25
	v_fma_f32 v26, v25, v26, v19
	v_mul_f32_e32 v26, v25, v26
	v_fmac_f32_e32 v33, v33, v26
	v_mov_b32_e32 v26, 0xbab64f3b
	v_fmac_f32_e32 v26, 0x37d75334, v25
	v_fma_f32 v26, v25, v26, v17
	v_fma_f32 v26, v25, v26, v18
	v_fma_f32 v25, v25, v26, 1.0
	v_and_b32_e32 v26, 1, v32
	v_cmp_eq_u32_e64 s[0:1], 0, v26
	v_lshlrev_b32_e32 v26, 30, v32
	v_and_b32_e32 v26, 0x80000000, v26
	v_xor_b32_e32 v5, v29, v5
	v_xor_b32_e32 v5, v5, v26
	v_mul_f32_e32 v26, 0x3fb8aa3b, v2
	v_rndne_f32_e32 v27, v26
	v_sub_f32_e32 v28, v26, v27
	v_fma_f32 v26, v2, s31, -v26
	v_fmac_f32_e32 v26, 0x32a5705f, v2
	v_add_f32_e32 v26, v28, v26
	v_exp_f32_e32 v26, v26
	v_cvt_i32_f32_e32 v28, v27
	v_cndmask_b32_e64 v25, v25, v33, s[0:1]
	v_xor_b32_e32 v5, v5, v25
	v_cndmask_b32_e32 v5, v24, v5, vcc
	v_ldexp_f32 v25, v26, v28
	v_cmp_ngt_f32_e32 vcc, s33, v2
	v_cndmask_b32_e32 v25, 0, v25, vcc
	v_cmp_nlt_f32_e32 vcc, s34, v2
	v_cndmask_b32_e32 v25, v22, v25, vcc
	v_cmp_eq_f32_e32 vcc, s35, v27
	v_cndmask_b32_e32 v26, v28, v23, vcc
	v_mov_b32_e32 v28, v2
	v_fmac_f32_e32 v28, 0xbf317218, v27
	v_fmac_f32_e32 v28, 0x3102e308, v27
	v_mov_b32_e32 v27, 0x3ab69700
	v_fmac_f32_e32 v27, 0x395133b1, v28
	v_fma_f32 v27, v28, v27, v14
	v_fma_f32 v27, v28, v27, v15
	;; [unrolled: 1-line block ×3, first 2 shown]
	v_fma_f32 v27, v28, v27, 0.5
	v_ldexp_f32 v26, 1.0, v26
	v_mul_f32_e32 v27, v28, v27
	v_fmac_f32_e32 v28, v28, v27
	v_add_f32_e32 v27, -1.0, v26
	v_fmac_f32_e32 v27, v26, v28
	v_mul_f32_e32 v28, v57, v57
	v_mov_b32_e32 v29, 0xbab64f3b
	v_fmac_f32_e32 v29, 0x37d75334, v28
	v_mov_b32_e32 v30, 0x3c0881c4
	v_add_f32_e32 v26, v27, v27
	v_fma_f32 v29, v28, v29, v17
	v_fmac_f32_e32 v30, 0xb94c1982, v28
	v_cndmask_b32_e32 v26, v27, v26, vcc
	v_cmp_nlt_f32_e32 vcc, s36, v2
	v_fma_f32 v29, v28, v29, v18
	v_fma_f32 v30, v28, v30, v19
	v_cndmask_b32_e32 v26, v22, v26, vcc
	v_cmp_ngt_f32_e32 vcc, s37, v2
	v_and_b32_e32 v27, 1, v58
	v_fma_f32 v29, v28, v29, 1.0
	v_mul_f32_e32 v28, v28, v30
	v_cndmask_b32_e32 v2, -1.0, v26, vcc
	v_fmac_f32_e32 v57, v57, v28
	v_cmp_eq_u32_e32 vcc, 0, v27
	v_cndmask_b32_e64 v27, -v57, v29, vcc
	v_mul_f32_e32 v29, v50, v50
	v_mov_b32_e32 v30, 0x3c0881c4
	v_fmac_f32_e32 v30, 0xb94c1982, v29
	v_fma_f32 v30, v29, v30, v19
	v_mul_f32_e32 v30, v29, v30
	v_lshlrev_b32_e32 v26, 30, v58
	v_fmac_f32_e32 v50, v50, v30
	v_mov_b32_e32 v30, 0xbab64f3b
	v_and_b32_e32 v26, 0x80000000, v26
	v_lshlrev_b32_e32 v28, 30, v51
	v_fmac_f32_e32 v30, 0x37d75334, v29
	v_xor_b32_e32 v26, v26, v27
	v_xor_b32_e32 v27, v47, v45
	v_and_b32_e32 v28, 0x80000000, v28
	v_fma_f32 v30, v29, v30, v17
	v_xor_b32_e32 v27, v27, v28
	v_and_b32_e32 v28, 1, v51
	v_fma_f32 v30, v29, v30, v18
	v_fma_f32 v29, v29, v30, 1.0
	v_cmp_eq_u32_e64 s[0:1], 0, v28
	v_cndmask_b32_e64 v28, v29, v50, s[0:1]
	v_xor_b32_e32 v27, v27, v28
	v_cmp_class_f32_e64 s[0:1], v45, s38
	v_cndmask_b32_e64 v27, v24, v27, s[0:1]
	v_cmp_class_f32_e64 vcc, v3, s38
	v_add_f32_e32 v28, v27, v27
	v_cndmask_b32_e32 v26, v24, v26, vcc
	v_mul_f32_e32 v27, v27, v28
	v_fma_f32 v2, v2, v26, -v27
	v_mul_f32_e32 v26, v59, v59
	v_mov_b32_e32 v27, 0x3c0881c4
	v_fmac_f32_e32 v27, 0xb94c1982, v26
	v_fma_f32 v27, v26, v27, v19
	v_mul_f32_e32 v27, v26, v27
	v_fmac_f32_e32 v59, v59, v27
	v_mov_b32_e32 v27, 0xbab64f3b
	v_fmac_f32_e32 v27, 0x37d75334, v26
	v_fma_f32 v27, v26, v27, v17
	v_fma_f32 v27, v26, v27, v18
	v_fma_f32 v26, v26, v27, 1.0
	v_and_b32_e32 v27, 1, v8
	v_lshlrev_b32_e32 v8, 30, v8
	v_cmp_eq_u32_e64 s[0:1], 0, v27
	v_and_b32_e32 v8, 0x80000000, v8
	v_xor_b32_e32 v3, v52, v3
	v_cndmask_b32_e64 v26, v26, v59, s[0:1]
	v_xor_b32_e32 v3, v3, v8
	v_xor_b32_e32 v3, v3, v26
	v_mul_f32_e32 v7, v43, v7
	v_mul_f32_e32 v5, v34, v5
	v_cndmask_b32_e32 v3, v24, v3, vcc
	v_cmp_le_i64_e32 vcc, s[16:17], v[12:13]
	v_cmp_lt_u64_e64 s[0:1], s[8:9], v[12:13]
	v_mul_f32_e32 v1, v60, v1
	v_mul_f32_e32 v3, v25, v3
	global_store_dwordx4 v[10:11], v[4:7], off
	global_store_dwordx4 v[10:11], v[0:3], off offset:16
	s_or_b64 s[0:1], vcc, s[0:1]
	v_mov_b32_e32 v0, s14
	v_add_co_u32_e32 v12, vcc, s15, v12
	v_addc_co_u32_e32 v13, vcc, v13, v0, vcc
	v_mov_b32_e32 v0, s19
	s_and_b64 s[0:1], exec, s[0:1]
	v_add_co_u32_e32 v10, vcc, s18, v10
	s_or_b64 s[6:7], s[0:1], s[6:7]
	v_addc_co_u32_e32 v11, vcc, v11, v0, vcc
	s_andn2_b64 exec, exec, s[6:7]
	s_cbranch_execz .LBB151_121
.LBB151_73:                             ; =>This Inner Loop Header: Depth=1
	global_load_dwordx4 v[4:7], v[10:11], off
	global_load_dwordx4 v[0:3], v[10:11], off offset:16
                                        ; implicit-def: $vgpr28
                                        ; implicit-def: $vgpr27
	s_waitcnt vmcnt(1)
	v_mul_f32_e32 v25, 0.5, v5
	v_and_b32_e32 v26, 0x7fffffff, v25
	v_cmp_nlt_f32_e64 s[0:1], |v25|, s20
	s_and_saveexec_b64 s[2:3], s[0:1]
	s_xor_b64 s[10:11], exec, s[2:3]
	s_cbranch_execz .LBB151_75
; %bb.74:                               ;   in Loop: Header=BB151_73 Depth=1
	v_lshrrev_b32_e32 v8, 23, v26
	v_add_u32_e32 v8, 0xffffff88, v8
	v_cmp_lt_u32_e32 vcc, 63, v8
	v_cndmask_b32_e32 v27, 0, v20, vcc
	v_add_u32_e32 v8, v27, v8
	v_cmp_lt_u32_e64 s[0:1], 31, v8
	v_cndmask_b32_e64 v27, 0, v21, s[0:1]
	v_add_u32_e32 v8, v27, v8
	v_cmp_lt_u32_e64 s[2:3], 31, v8
	v_cndmask_b32_e64 v27, 0, v21, s[2:3]
	v_add_u32_e32 v27, v27, v8
	v_and_b32_e32 v8, 0x7fffff, v26
	v_or_b32_e32 v40, 0x800000, v8
	v_mad_u64_u32 v[28:29], s[4:5], v40, s21, 0
	v_mov_b32_e32 v8, v29
	v_mad_u64_u32 v[30:31], s[4:5], v40, s22, v[8:9]
	v_mov_b32_e32 v8, v31
	;; [unrolled: 2-line block ×6, first 2 shown]
	v_mad_u64_u32 v[40:41], s[4:5], v40, s27, v[8:9]
	v_cndmask_b32_e32 v29, v38, v34, vcc
	v_cndmask_b32_e32 v8, v40, v36, vcc
	;; [unrolled: 1-line block ×3, first 2 shown]
	v_cndmask_b32_e64 v31, v8, v29, s[0:1]
	v_cndmask_b32_e64 v8, v33, v8, s[0:1]
	v_cndmask_b32_e32 v33, v36, v32, vcc
	v_cndmask_b32_e64 v29, v29, v33, s[0:1]
	v_sub_u32_e32 v35, 32, v27
	v_cmp_eq_u32_e64 s[4:5], 0, v27
	v_cndmask_b32_e32 v27, v34, v30, vcc
	v_cndmask_b32_e64 v8, v8, v31, s[2:3]
	v_cndmask_b32_e64 v31, v31, v29, s[2:3]
	;; [unrolled: 1-line block ×3, first 2 shown]
	v_alignbit_b32 v36, v8, v31, v35
	v_cndmask_b32_e64 v29, v29, v30, s[2:3]
	v_cndmask_b32_e64 v8, v36, v8, s[4:5]
	v_alignbit_b32 v33, v31, v29, v35
	v_cndmask_b32_e64 v31, v33, v31, s[4:5]
	v_bfe_u32 v36, v8, 29, 1
	v_cndmask_b32_e32 v28, v32, v28, vcc
	v_alignbit_b32 v33, v8, v31, 30
	v_sub_u32_e32 v37, 0, v36
	v_cndmask_b32_e64 v27, v27, v28, s[0:1]
	v_xor_b32_e32 v38, v33, v37
	v_cndmask_b32_e64 v27, v30, v27, s[2:3]
	v_alignbit_b32 v28, v29, v27, v35
	v_ffbh_u32_e32 v30, v38
	v_cndmask_b32_e64 v28, v28, v29, s[4:5]
	v_add_u32_e32 v30, 1, v30
	v_cmp_ne_u32_e32 vcc, v33, v37
	v_alignbit_b32 v29, v31, v28, 30
	v_cndmask_b32_e32 v30, 33, v30, vcc
	v_alignbit_b32 v27, v28, v27, 30
	v_xor_b32_e32 v29, v29, v37
	v_sub_u32_e32 v31, 32, v30
	v_xor_b32_e32 v27, v27, v37
	v_alignbit_b32 v32, v38, v29, v31
	v_alignbit_b32 v27, v29, v27, v31
	;; [unrolled: 1-line block ×3, first 2 shown]
	v_ffbh_u32_e32 v29, v28
	v_min_u32_e32 v29, 32, v29
	v_lshrrev_b32_e32 v34, 29, v8
	v_sub_u32_e32 v31, 31, v29
	v_alignbit_b32 v27, v28, v27, v31
	v_lshlrev_b32_e32 v28, 31, v34
	v_or_b32_e32 v31, 0x33800000, v28
	v_add_lshl_u32 v29, v29, v30, 23
	v_lshrrev_b32_e32 v27, 9, v27
	v_sub_u32_e32 v29, v31, v29
	v_or_b32_e32 v27, v29, v27
	v_alignbit_b32 v29, v30, v32, 9
	v_or_b32_e32 v28, v29, v28
	v_xor_b32_e32 v28, 1.0, v28
	v_mul_f32_e32 v29, 0x3fc90fda, v28
	v_fma_f32 v30, v28, s28, -v29
	v_fmac_f32_e32 v30, 0x33a22168, v28
	v_fmac_f32_e32 v30, 0x3fc90fda, v27
	v_lshrrev_b32_e32 v8, 30, v8
	v_add_f32_e32 v27, v29, v30
	v_add_u32_e32 v28, v36, v8
.LBB151_75:                             ;   in Loop: Header=BB151_73 Depth=1
	s_andn2_saveexec_b64 s[0:1], s[10:11]
; %bb.76:                               ;   in Loop: Header=BB151_73 Depth=1
	v_mul_f32_e64 v8, |v25|, s29
	v_rndne_f32_e32 v8, v8
	v_cvt_i32_f32_e32 v28, v8
	v_fma_f32 v27, v8, s30, |v25|
	v_fmac_f32_e32 v27, 0xb3a22168, v8
	v_fmac_f32_e32 v27, 0xa7c234c4, v8
; %bb.77:                               ;   in Loop: Header=BB151_73 Depth=1
	s_or_b64 exec, exec, s[0:1]
	v_and_b32_e32 v29, 0x7fffffff, v5
	v_cmp_nlt_f32_e64 s[10:11], |v5|, s20
                                        ; implicit-def: $vgpr31
                                        ; implicit-def: $vgpr30
	s_and_saveexec_b64 s[0:1], s[10:11]
	s_xor_b64 s[12:13], exec, s[0:1]
	s_cbranch_execz .LBB151_79
; %bb.78:                               ;   in Loop: Header=BB151_73 Depth=1
	v_lshrrev_b32_e32 v8, 23, v29
	v_add_u32_e32 v8, 0xffffff88, v8
	v_cmp_lt_u32_e32 vcc, 63, v8
	v_cndmask_b32_e32 v30, 0, v20, vcc
	v_add_u32_e32 v8, v30, v8
	v_cmp_lt_u32_e64 s[0:1], 31, v8
	v_cndmask_b32_e64 v30, 0, v21, s[0:1]
	v_add_u32_e32 v8, v30, v8
	v_cmp_lt_u32_e64 s[2:3], 31, v8
	v_cndmask_b32_e64 v30, 0, v21, s[2:3]
	v_add_u32_e32 v44, v30, v8
	v_and_b32_e32 v8, 0x7fffff, v29
	v_or_b32_e32 v42, 0x800000, v8
	v_mad_u64_u32 v[30:31], s[4:5], v42, s21, 0
	v_mov_b32_e32 v8, v31
	v_mad_u64_u32 v[32:33], s[4:5], v42, s22, v[8:9]
	v_mov_b32_e32 v8, v33
	;; [unrolled: 2-line block ×6, first 2 shown]
	v_mad_u64_u32 v[42:43], s[4:5], v42, s27, v[8:9]
	v_cndmask_b32_e32 v31, v40, v36, vcc
	v_cndmask_b32_e32 v8, v42, v38, vcc
	;; [unrolled: 1-line block ×3, first 2 shown]
	v_cndmask_b32_e64 v33, v8, v31, s[0:1]
	v_cndmask_b32_e64 v8, v35, v8, s[0:1]
	v_cndmask_b32_e32 v35, v38, v34, vcc
	v_cndmask_b32_e64 v31, v31, v35, s[0:1]
	v_cndmask_b32_e32 v32, v36, v32, vcc
	v_cndmask_b32_e64 v8, v8, v33, s[2:3]
	v_cndmask_b32_e64 v33, v33, v31, s[2:3]
	v_sub_u32_e32 v37, 32, v44
	v_cndmask_b32_e64 v35, v35, v32, s[0:1]
	v_alignbit_b32 v38, v8, v33, v37
	v_cmp_eq_u32_e64 s[4:5], 0, v44
	v_cndmask_b32_e64 v31, v31, v35, s[2:3]
	v_cndmask_b32_e32 v30, v34, v30, vcc
	v_cndmask_b32_e64 v8, v38, v8, s[4:5]
	v_alignbit_b32 v36, v33, v31, v37
	v_cndmask_b32_e64 v30, v32, v30, s[0:1]
	v_cndmask_b32_e64 v33, v36, v33, s[4:5]
	v_bfe_u32 v39, v8, 29, 1
	v_cndmask_b32_e64 v30, v35, v30, s[2:3]
	v_alignbit_b32 v36, v8, v33, 30
	v_sub_u32_e32 v40, 0, v39
	v_alignbit_b32 v32, v31, v30, v37
	v_xor_b32_e32 v41, v36, v40
	v_cndmask_b32_e64 v31, v32, v31, s[4:5]
	v_alignbit_b32 v32, v33, v31, 30
	v_ffbh_u32_e32 v33, v41
	v_add_u32_e32 v33, 1, v33
	v_cmp_ne_u32_e32 vcc, v36, v40
	v_cndmask_b32_e32 v33, 33, v33, vcc
	v_alignbit_b32 v30, v31, v30, 30
	v_xor_b32_e32 v32, v32, v40
	v_sub_u32_e32 v34, 32, v33
	v_xor_b32_e32 v30, v30, v40
	v_alignbit_b32 v35, v41, v32, v34
	v_alignbit_b32 v30, v32, v30, v34
	;; [unrolled: 1-line block ×3, first 2 shown]
	v_ffbh_u32_e32 v32, v31
	v_min_u32_e32 v32, 32, v32
	v_lshrrev_b32_e32 v38, 29, v8
	v_sub_u32_e32 v34, 31, v32
	v_alignbit_b32 v30, v31, v30, v34
	v_lshlrev_b32_e32 v31, 31, v38
	v_or_b32_e32 v34, 0x33800000, v31
	v_add_lshl_u32 v32, v32, v33, 23
	v_lshrrev_b32_e32 v30, 9, v30
	v_sub_u32_e32 v32, v34, v32
	v_or_b32_e32 v30, v32, v30
	v_alignbit_b32 v32, v33, v35, 9
	v_or_b32_e32 v31, v32, v31
	v_xor_b32_e32 v31, 1.0, v31
	v_mul_f32_e32 v32, 0x3fc90fda, v31
	v_fma_f32 v33, v31, s28, -v32
	v_fmac_f32_e32 v33, 0x33a22168, v31
	v_fmac_f32_e32 v33, 0x3fc90fda, v30
	v_lshrrev_b32_e32 v8, 30, v8
	v_add_f32_e32 v30, v32, v33
	v_add_u32_e32 v31, v39, v8
	s_andn2_saveexec_b64 s[0:1], s[12:13]
	s_branch .LBB151_80
.LBB151_79:                             ;   in Loop: Header=BB151_73 Depth=1
	s_andn2_saveexec_b64 s[0:1], s[12:13]
.LBB151_80:                             ;   in Loop: Header=BB151_73 Depth=1
	v_mul_f32_e64 v8, |v5|, s29
	v_rndne_f32_e32 v8, v8
	v_cvt_i32_f32_e32 v31, v8
	v_fma_f32 v30, v8, s30, |v5|
	v_fmac_f32_e32 v30, 0xb3a22168, v8
	v_fmac_f32_e32 v30, 0xa7c234c4, v8
; %bb.81:                               ;   in Loop: Header=BB151_73 Depth=1
	s_or_b64 exec, exec, s[0:1]
                                        ; implicit-def: $vgpr32
                                        ; implicit-def: $vgpr33
	s_and_saveexec_b64 s[0:1], s[10:11]
	s_xor_b64 s[10:11], exec, s[0:1]
	s_cbranch_execz .LBB151_83
; %bb.82:                               ;   in Loop: Header=BB151_73 Depth=1
	v_lshrrev_b32_e32 v8, 23, v29
	v_add_u32_e32 v8, 0xffffff88, v8
	v_cmp_lt_u32_e32 vcc, 63, v8
	v_cndmask_b32_e32 v32, 0, v20, vcc
	v_add_u32_e32 v8, v32, v8
	v_cmp_lt_u32_e64 s[0:1], 31, v8
	v_cndmask_b32_e64 v32, 0, v21, s[0:1]
	v_add_u32_e32 v8, v32, v8
	v_cmp_lt_u32_e64 s[2:3], 31, v8
	v_cndmask_b32_e64 v32, 0, v21, s[2:3]
	v_add_u32_e32 v46, v32, v8
	v_and_b32_e32 v8, 0x7fffff, v29
	v_or_b32_e32 v44, 0x800000, v8
	v_mad_u64_u32 v[32:33], s[4:5], v44, s21, 0
	v_mov_b32_e32 v8, v33
	v_mad_u64_u32 v[34:35], s[4:5], v44, s22, v[8:9]
	v_mov_b32_e32 v8, v35
	;; [unrolled: 2-line block ×6, first 2 shown]
	v_mad_u64_u32 v[44:45], s[4:5], v44, s27, v[8:9]
	v_cndmask_b32_e32 v33, v42, v38, vcc
	v_cndmask_b32_e32 v8, v44, v40, vcc
	;; [unrolled: 1-line block ×3, first 2 shown]
	v_cndmask_b32_e64 v35, v8, v33, s[0:1]
	v_cndmask_b32_e64 v8, v37, v8, s[0:1]
	v_cndmask_b32_e32 v37, v40, v36, vcc
	v_cndmask_b32_e64 v33, v33, v37, s[0:1]
	v_cndmask_b32_e32 v34, v38, v34, vcc
	v_cndmask_b32_e64 v8, v8, v35, s[2:3]
	v_cndmask_b32_e64 v35, v35, v33, s[2:3]
	v_sub_u32_e32 v39, 32, v46
	v_cndmask_b32_e64 v37, v37, v34, s[0:1]
	v_alignbit_b32 v40, v8, v35, v39
	v_cmp_eq_u32_e64 s[4:5], 0, v46
	v_cndmask_b32_e64 v33, v33, v37, s[2:3]
	v_cndmask_b32_e32 v32, v36, v32, vcc
	v_cndmask_b32_e64 v8, v40, v8, s[4:5]
	v_alignbit_b32 v38, v35, v33, v39
	v_cndmask_b32_e64 v32, v34, v32, s[0:1]
	v_cndmask_b32_e64 v35, v38, v35, s[4:5]
	v_bfe_u32 v41, v8, 29, 1
	v_cndmask_b32_e64 v32, v37, v32, s[2:3]
	v_alignbit_b32 v38, v8, v35, 30
	v_sub_u32_e32 v42, 0, v41
	v_alignbit_b32 v34, v33, v32, v39
	v_xor_b32_e32 v43, v38, v42
	v_cndmask_b32_e64 v33, v34, v33, s[4:5]
	v_alignbit_b32 v34, v35, v33, 30
	v_ffbh_u32_e32 v35, v43
	v_add_u32_e32 v35, 1, v35
	v_cmp_ne_u32_e32 vcc, v38, v42
	v_cndmask_b32_e32 v35, 33, v35, vcc
	v_alignbit_b32 v32, v33, v32, 30
	v_xor_b32_e32 v34, v34, v42
	v_sub_u32_e32 v36, 32, v35
	v_xor_b32_e32 v32, v32, v42
	v_alignbit_b32 v37, v43, v34, v36
	v_alignbit_b32 v32, v34, v32, v36
	v_alignbit_b32 v33, v37, v32, 9
	v_ffbh_u32_e32 v34, v33
	v_min_u32_e32 v34, 32, v34
	v_lshrrev_b32_e32 v40, 29, v8
	v_sub_u32_e32 v36, 31, v34
	v_alignbit_b32 v32, v33, v32, v36
	v_lshlrev_b32_e32 v33, 31, v40
	v_or_b32_e32 v36, 0x33800000, v33
	v_add_lshl_u32 v34, v34, v35, 23
	v_lshrrev_b32_e32 v32, 9, v32
	v_sub_u32_e32 v34, v36, v34
	v_or_b32_e32 v32, v34, v32
	v_alignbit_b32 v34, v35, v37, 9
	v_or_b32_e32 v33, v34, v33
	v_xor_b32_e32 v33, 1.0, v33
	v_mul_f32_e32 v34, 0x3fc90fda, v33
	v_fma_f32 v35, v33, s28, -v34
	v_fmac_f32_e32 v35, 0x33a22168, v33
	v_fmac_f32_e32 v35, 0x3fc90fda, v32
	v_lshrrev_b32_e32 v8, 30, v8
	v_add_f32_e32 v33, v34, v35
	v_add_u32_e32 v32, v41, v8
	s_andn2_saveexec_b64 s[0:1], s[10:11]
	s_cbranch_execnz .LBB151_84
	s_branch .LBB151_85
.LBB151_83:                             ;   in Loop: Header=BB151_73 Depth=1
	s_andn2_saveexec_b64 s[0:1], s[10:11]
.LBB151_84:                             ;   in Loop: Header=BB151_73 Depth=1
	v_mul_f32_e64 v8, |v5|, s29
	v_rndne_f32_e32 v8, v8
	v_cvt_i32_f32_e32 v32, v8
	v_fma_f32 v33, v8, s30, |v5|
	v_fmac_f32_e32 v33, 0xb3a22168, v8
	v_fmac_f32_e32 v33, 0xa7c234c4, v8
.LBB151_85:                             ;   in Loop: Header=BB151_73 Depth=1
	s_or_b64 exec, exec, s[0:1]
	v_mul_f32_e32 v34, 0.5, v7
	v_and_b32_e32 v35, 0x7fffffff, v34
	v_cmp_nlt_f32_e64 s[0:1], |v34|, s20
                                        ; implicit-def: $vgpr37
                                        ; implicit-def: $vgpr36
	s_and_saveexec_b64 s[2:3], s[0:1]
	s_xor_b64 s[10:11], exec, s[2:3]
	s_cbranch_execz .LBB151_87
; %bb.86:                               ;   in Loop: Header=BB151_73 Depth=1
	v_lshrrev_b32_e32 v8, 23, v35
	v_add_u32_e32 v8, 0xffffff88, v8
	v_cmp_lt_u32_e32 vcc, 63, v8
	v_cndmask_b32_e32 v36, 0, v20, vcc
	v_add_u32_e32 v8, v36, v8
	v_cmp_lt_u32_e64 s[0:1], 31, v8
	v_cndmask_b32_e64 v36, 0, v21, s[0:1]
	v_add_u32_e32 v8, v36, v8
	v_cmp_lt_u32_e64 s[2:3], 31, v8
	v_cndmask_b32_e64 v36, 0, v21, s[2:3]
	v_add_u32_e32 v50, v36, v8
	v_and_b32_e32 v8, 0x7fffff, v35
	v_or_b32_e32 v48, 0x800000, v8
	v_mad_u64_u32 v[36:37], s[4:5], v48, s21, 0
	v_mov_b32_e32 v8, v37
	v_mad_u64_u32 v[38:39], s[4:5], v48, s22, v[8:9]
	v_mov_b32_e32 v8, v39
	;; [unrolled: 2-line block ×6, first 2 shown]
	v_mad_u64_u32 v[48:49], s[4:5], v48, s27, v[8:9]
	v_cndmask_b32_e32 v37, v46, v42, vcc
	v_cndmask_b32_e32 v8, v48, v44, vcc
	;; [unrolled: 1-line block ×3, first 2 shown]
	v_cndmask_b32_e64 v39, v8, v37, s[0:1]
	v_cndmask_b32_e64 v8, v41, v8, s[0:1]
	v_cndmask_b32_e32 v41, v44, v40, vcc
	v_cndmask_b32_e64 v37, v37, v41, s[0:1]
	v_cndmask_b32_e32 v38, v42, v38, vcc
	v_cndmask_b32_e64 v8, v8, v39, s[2:3]
	v_cndmask_b32_e64 v39, v39, v37, s[2:3]
	v_sub_u32_e32 v43, 32, v50
	v_cndmask_b32_e64 v41, v41, v38, s[0:1]
	v_alignbit_b32 v44, v8, v39, v43
	v_cmp_eq_u32_e64 s[4:5], 0, v50
	v_cndmask_b32_e64 v37, v37, v41, s[2:3]
	v_cndmask_b32_e32 v36, v40, v36, vcc
	v_cndmask_b32_e64 v8, v44, v8, s[4:5]
	v_alignbit_b32 v42, v39, v37, v43
	v_cndmask_b32_e64 v36, v38, v36, s[0:1]
	v_cndmask_b32_e64 v39, v42, v39, s[4:5]
	v_bfe_u32 v45, v8, 29, 1
	v_cndmask_b32_e64 v36, v41, v36, s[2:3]
	v_alignbit_b32 v42, v8, v39, 30
	v_sub_u32_e32 v46, 0, v45
	v_alignbit_b32 v38, v37, v36, v43
	v_xor_b32_e32 v47, v42, v46
	v_cndmask_b32_e64 v37, v38, v37, s[4:5]
	v_alignbit_b32 v38, v39, v37, 30
	v_ffbh_u32_e32 v39, v47
	v_add_u32_e32 v39, 1, v39
	v_cmp_ne_u32_e32 vcc, v42, v46
	v_cndmask_b32_e32 v39, 33, v39, vcc
	v_alignbit_b32 v36, v37, v36, 30
	v_xor_b32_e32 v38, v38, v46
	v_sub_u32_e32 v40, 32, v39
	v_xor_b32_e32 v36, v36, v46
	v_alignbit_b32 v41, v47, v38, v40
	v_alignbit_b32 v36, v38, v36, v40
	;; [unrolled: 1-line block ×3, first 2 shown]
	v_ffbh_u32_e32 v38, v37
	v_min_u32_e32 v38, 32, v38
	v_lshrrev_b32_e32 v44, 29, v8
	v_sub_u32_e32 v40, 31, v38
	v_alignbit_b32 v36, v37, v36, v40
	v_lshlrev_b32_e32 v37, 31, v44
	v_or_b32_e32 v40, 0x33800000, v37
	v_add_lshl_u32 v38, v38, v39, 23
	v_lshrrev_b32_e32 v36, 9, v36
	v_sub_u32_e32 v38, v40, v38
	v_or_b32_e32 v36, v38, v36
	v_alignbit_b32 v38, v39, v41, 9
	v_or_b32_e32 v37, v38, v37
	v_xor_b32_e32 v37, 1.0, v37
	v_mul_f32_e32 v38, 0x3fc90fda, v37
	v_fma_f32 v39, v37, s28, -v38
	v_fmac_f32_e32 v39, 0x33a22168, v37
	v_fmac_f32_e32 v39, 0x3fc90fda, v36
	v_lshrrev_b32_e32 v8, 30, v8
	v_add_f32_e32 v36, v38, v39
	v_add_u32_e32 v37, v45, v8
.LBB151_87:                             ;   in Loop: Header=BB151_73 Depth=1
	s_andn2_saveexec_b64 s[0:1], s[10:11]
; %bb.88:                               ;   in Loop: Header=BB151_73 Depth=1
	v_mul_f32_e64 v8, |v34|, s29
	v_rndne_f32_e32 v8, v8
	v_cvt_i32_f32_e32 v37, v8
	v_fma_f32 v36, v8, s30, |v34|
	v_fmac_f32_e32 v36, 0xb3a22168, v8
	v_fmac_f32_e32 v36, 0xa7c234c4, v8
; %bb.89:                               ;   in Loop: Header=BB151_73 Depth=1
	s_or_b64 exec, exec, s[0:1]
	v_and_b32_e32 v38, 0x7fffffff, v7
	v_cmp_nlt_f32_e64 s[10:11], |v7|, s20
                                        ; implicit-def: $vgpr40
                                        ; implicit-def: $vgpr39
	s_and_saveexec_b64 s[0:1], s[10:11]
	s_xor_b64 s[12:13], exec, s[0:1]
	s_cbranch_execz .LBB151_91
; %bb.90:                               ;   in Loop: Header=BB151_73 Depth=1
	v_lshrrev_b32_e32 v8, 23, v38
	v_add_u32_e32 v8, 0xffffff88, v8
	v_cmp_lt_u32_e32 vcc, 63, v8
	v_cndmask_b32_e32 v39, 0, v20, vcc
	v_add_u32_e32 v8, v39, v8
	v_cmp_lt_u32_e64 s[0:1], 31, v8
	v_cndmask_b32_e64 v39, 0, v21, s[0:1]
	v_add_u32_e32 v8, v39, v8
	v_cmp_lt_u32_e64 s[2:3], 31, v8
	v_cndmask_b32_e64 v39, 0, v21, s[2:3]
	v_add_u32_e32 v39, v39, v8
	v_and_b32_e32 v8, 0x7fffff, v38
	v_or_b32_e32 v52, 0x800000, v8
	v_mad_u64_u32 v[40:41], s[4:5], v52, s21, 0
	v_mov_b32_e32 v8, v41
	v_mad_u64_u32 v[42:43], s[4:5], v52, s22, v[8:9]
	v_mov_b32_e32 v8, v43
	;; [unrolled: 2-line block ×6, first 2 shown]
	v_mad_u64_u32 v[52:53], s[4:5], v52, s27, v[8:9]
	v_cndmask_b32_e32 v41, v50, v46, vcc
	v_cndmask_b32_e32 v8, v52, v48, vcc
	;; [unrolled: 1-line block ×3, first 2 shown]
	v_cndmask_b32_e64 v43, v8, v41, s[0:1]
	v_cndmask_b32_e64 v8, v45, v8, s[0:1]
	v_cndmask_b32_e32 v45, v48, v44, vcc
	v_cndmask_b32_e64 v41, v41, v45, s[0:1]
	v_sub_u32_e32 v47, 32, v39
	v_cmp_eq_u32_e64 s[4:5], 0, v39
	v_cndmask_b32_e32 v39, v46, v42, vcc
	v_cndmask_b32_e64 v8, v8, v43, s[2:3]
	v_cndmask_b32_e64 v43, v43, v41, s[2:3]
	;; [unrolled: 1-line block ×3, first 2 shown]
	v_alignbit_b32 v48, v8, v43, v47
	v_cndmask_b32_e64 v41, v41, v42, s[2:3]
	v_cndmask_b32_e64 v8, v48, v8, s[4:5]
	v_alignbit_b32 v45, v43, v41, v47
	v_cndmask_b32_e64 v43, v45, v43, s[4:5]
	v_bfe_u32 v48, v8, 29, 1
	v_cndmask_b32_e32 v40, v44, v40, vcc
	v_alignbit_b32 v45, v8, v43, 30
	v_sub_u32_e32 v49, 0, v48
	v_cndmask_b32_e64 v39, v39, v40, s[0:1]
	v_xor_b32_e32 v50, v45, v49
	v_cndmask_b32_e64 v39, v42, v39, s[2:3]
	v_alignbit_b32 v40, v41, v39, v47
	v_ffbh_u32_e32 v42, v50
	v_cndmask_b32_e64 v40, v40, v41, s[4:5]
	v_add_u32_e32 v42, 1, v42
	v_cmp_ne_u32_e32 vcc, v45, v49
	v_alignbit_b32 v41, v43, v40, 30
	v_cndmask_b32_e32 v42, 33, v42, vcc
	v_alignbit_b32 v39, v40, v39, 30
	v_xor_b32_e32 v41, v41, v49
	v_sub_u32_e32 v43, 32, v42
	v_xor_b32_e32 v39, v39, v49
	v_alignbit_b32 v44, v50, v41, v43
	v_alignbit_b32 v39, v41, v39, v43
	;; [unrolled: 1-line block ×3, first 2 shown]
	v_ffbh_u32_e32 v41, v40
	v_min_u32_e32 v41, 32, v41
	v_lshrrev_b32_e32 v46, 29, v8
	v_sub_u32_e32 v43, 31, v41
	v_alignbit_b32 v39, v40, v39, v43
	v_lshlrev_b32_e32 v40, 31, v46
	v_or_b32_e32 v43, 0x33800000, v40
	v_add_lshl_u32 v41, v41, v42, 23
	v_lshrrev_b32_e32 v39, 9, v39
	v_sub_u32_e32 v41, v43, v41
	v_or_b32_e32 v39, v41, v39
	v_alignbit_b32 v41, v42, v44, 9
	v_or_b32_e32 v40, v41, v40
	v_xor_b32_e32 v40, 1.0, v40
	v_mul_f32_e32 v41, 0x3fc90fda, v40
	v_fma_f32 v42, v40, s28, -v41
	v_fmac_f32_e32 v42, 0x33a22168, v40
	v_fmac_f32_e32 v42, 0x3fc90fda, v39
	v_lshrrev_b32_e32 v8, 30, v8
	v_add_f32_e32 v39, v41, v42
	v_add_u32_e32 v40, v48, v8
	s_andn2_saveexec_b64 s[0:1], s[12:13]
	s_branch .LBB151_92
.LBB151_91:                             ;   in Loop: Header=BB151_73 Depth=1
	s_andn2_saveexec_b64 s[0:1], s[12:13]
.LBB151_92:                             ;   in Loop: Header=BB151_73 Depth=1
	v_mul_f32_e64 v8, |v7|, s29
	v_rndne_f32_e32 v8, v8
	v_cvt_i32_f32_e32 v40, v8
	v_fma_f32 v39, v8, s30, |v7|
	v_fmac_f32_e32 v39, 0xb3a22168, v8
	v_fmac_f32_e32 v39, 0xa7c234c4, v8
; %bb.93:                               ;   in Loop: Header=BB151_73 Depth=1
	s_or_b64 exec, exec, s[0:1]
                                        ; implicit-def: $vgpr41
                                        ; implicit-def: $vgpr42
	s_and_saveexec_b64 s[0:1], s[10:11]
	s_xor_b64 s[10:11], exec, s[0:1]
	s_cbranch_execz .LBB151_95
; %bb.94:                               ;   in Loop: Header=BB151_73 Depth=1
	v_lshrrev_b32_e32 v8, 23, v38
	v_add_u32_e32 v8, 0xffffff88, v8
	v_cmp_lt_u32_e32 vcc, 63, v8
	v_cndmask_b32_e32 v41, 0, v20, vcc
	v_add_u32_e32 v8, v41, v8
	v_cmp_lt_u32_e64 s[0:1], 31, v8
	v_cndmask_b32_e64 v41, 0, v21, s[0:1]
	v_add_u32_e32 v8, v41, v8
	v_cmp_lt_u32_e64 s[2:3], 31, v8
	v_cndmask_b32_e64 v41, 0, v21, s[2:3]
	v_add_u32_e32 v41, v41, v8
	v_and_b32_e32 v8, 0x7fffff, v38
	v_or_b32_e32 v54, 0x800000, v8
	v_mad_u64_u32 v[42:43], s[4:5], v54, s21, 0
	v_mov_b32_e32 v8, v43
	v_mad_u64_u32 v[44:45], s[4:5], v54, s22, v[8:9]
	v_mov_b32_e32 v8, v45
	;; [unrolled: 2-line block ×6, first 2 shown]
	v_mad_u64_u32 v[54:55], s[4:5], v54, s27, v[8:9]
	v_cndmask_b32_e32 v43, v52, v48, vcc
	v_cndmask_b32_e32 v8, v54, v50, vcc
	;; [unrolled: 1-line block ×3, first 2 shown]
	v_cndmask_b32_e64 v45, v8, v43, s[0:1]
	v_cndmask_b32_e64 v8, v47, v8, s[0:1]
	v_cndmask_b32_e32 v47, v50, v46, vcc
	v_cndmask_b32_e64 v43, v43, v47, s[0:1]
	v_sub_u32_e32 v49, 32, v41
	v_cmp_eq_u32_e64 s[4:5], 0, v41
	v_cndmask_b32_e32 v41, v48, v44, vcc
	v_cndmask_b32_e64 v8, v8, v45, s[2:3]
	v_cndmask_b32_e64 v45, v45, v43, s[2:3]
	;; [unrolled: 1-line block ×3, first 2 shown]
	v_alignbit_b32 v50, v8, v45, v49
	v_cndmask_b32_e64 v43, v43, v44, s[2:3]
	v_cndmask_b32_e64 v8, v50, v8, s[4:5]
	v_alignbit_b32 v47, v45, v43, v49
	v_cndmask_b32_e64 v45, v47, v45, s[4:5]
	v_bfe_u32 v50, v8, 29, 1
	v_cndmask_b32_e32 v42, v46, v42, vcc
	v_alignbit_b32 v47, v8, v45, 30
	v_sub_u32_e32 v51, 0, v50
	v_cndmask_b32_e64 v41, v41, v42, s[0:1]
	v_xor_b32_e32 v52, v47, v51
	v_cndmask_b32_e64 v41, v44, v41, s[2:3]
	v_alignbit_b32 v42, v43, v41, v49
	v_ffbh_u32_e32 v44, v52
	v_cndmask_b32_e64 v42, v42, v43, s[4:5]
	v_add_u32_e32 v44, 1, v44
	v_cmp_ne_u32_e32 vcc, v47, v51
	v_alignbit_b32 v43, v45, v42, 30
	v_cndmask_b32_e32 v44, 33, v44, vcc
	v_alignbit_b32 v41, v42, v41, 30
	v_xor_b32_e32 v43, v43, v51
	v_sub_u32_e32 v45, 32, v44
	v_xor_b32_e32 v41, v41, v51
	v_alignbit_b32 v46, v52, v43, v45
	v_alignbit_b32 v41, v43, v41, v45
	;; [unrolled: 1-line block ×3, first 2 shown]
	v_ffbh_u32_e32 v43, v42
	v_min_u32_e32 v43, 32, v43
	v_lshrrev_b32_e32 v48, 29, v8
	v_sub_u32_e32 v45, 31, v43
	v_alignbit_b32 v41, v42, v41, v45
	v_lshlrev_b32_e32 v42, 31, v48
	v_or_b32_e32 v45, 0x33800000, v42
	v_add_lshl_u32 v43, v43, v44, 23
	v_lshrrev_b32_e32 v41, 9, v41
	v_sub_u32_e32 v43, v45, v43
	v_or_b32_e32 v41, v43, v41
	v_alignbit_b32 v43, v44, v46, 9
	v_or_b32_e32 v42, v43, v42
	v_xor_b32_e32 v42, 1.0, v42
	v_mul_f32_e32 v43, 0x3fc90fda, v42
	v_fma_f32 v44, v42, s28, -v43
	v_fmac_f32_e32 v44, 0x33a22168, v42
	v_fmac_f32_e32 v44, 0x3fc90fda, v41
	v_lshrrev_b32_e32 v8, 30, v8
	v_add_f32_e32 v42, v43, v44
	v_add_u32_e32 v41, v50, v8
	s_andn2_saveexec_b64 s[0:1], s[10:11]
	s_cbranch_execnz .LBB151_96
	s_branch .LBB151_97
.LBB151_95:                             ;   in Loop: Header=BB151_73 Depth=1
	s_andn2_saveexec_b64 s[0:1], s[10:11]
.LBB151_96:                             ;   in Loop: Header=BB151_73 Depth=1
	v_mul_f32_e64 v8, |v7|, s29
	v_rndne_f32_e32 v8, v8
	v_cvt_i32_f32_e32 v41, v8
	v_fma_f32 v42, v8, s30, |v7|
	v_fmac_f32_e32 v42, 0xb3a22168, v8
	v_fmac_f32_e32 v42, 0xa7c234c4, v8
.LBB151_97:                             ;   in Loop: Header=BB151_73 Depth=1
	s_or_b64 exec, exec, s[0:1]
	s_waitcnt vmcnt(0)
	v_mul_f32_e32 v43, 0.5, v1
	v_and_b32_e32 v44, 0x7fffffff, v43
	v_cmp_nlt_f32_e64 s[0:1], |v43|, s20
                                        ; implicit-def: $vgpr48
                                        ; implicit-def: $vgpr46
	s_and_saveexec_b64 s[2:3], s[0:1]
	s_xor_b64 s[10:11], exec, s[2:3]
	s_cbranch_execz .LBB151_99
; %bb.98:                               ;   in Loop: Header=BB151_73 Depth=1
	v_lshrrev_b32_e32 v8, 23, v44
	v_add_u32_e32 v8, 0xffffff88, v8
	v_cmp_lt_u32_e32 vcc, 63, v8
	v_cndmask_b32_e32 v45, 0, v20, vcc
	v_add_u32_e32 v8, v45, v8
	v_cmp_lt_u32_e64 s[0:1], 31, v8
	v_cndmask_b32_e64 v45, 0, v21, s[0:1]
	v_add_u32_e32 v8, v45, v8
	v_cmp_lt_u32_e64 s[2:3], 31, v8
	v_cndmask_b32_e64 v45, 0, v21, s[2:3]
	v_add_u32_e32 v45, v45, v8
	v_and_b32_e32 v8, 0x7fffff, v44
	v_or_b32_e32 v58, 0x800000, v8
	v_mad_u64_u32 v[46:47], s[4:5], v58, s21, 0
	v_mov_b32_e32 v8, v47
	v_mad_u64_u32 v[48:49], s[4:5], v58, s22, v[8:9]
	v_mov_b32_e32 v8, v49
	;; [unrolled: 2-line block ×6, first 2 shown]
	v_mad_u64_u32 v[58:59], s[4:5], v58, s27, v[8:9]
	v_cndmask_b32_e32 v47, v56, v52, vcc
	v_cndmask_b32_e32 v8, v58, v54, vcc
	;; [unrolled: 1-line block ×3, first 2 shown]
	v_cndmask_b32_e64 v49, v8, v47, s[0:1]
	v_cndmask_b32_e64 v8, v51, v8, s[0:1]
	v_cndmask_b32_e32 v51, v54, v50, vcc
	v_cndmask_b32_e64 v47, v47, v51, s[0:1]
	v_sub_u32_e32 v53, 32, v45
	v_cmp_eq_u32_e64 s[4:5], 0, v45
	v_cndmask_b32_e32 v45, v52, v48, vcc
	v_cndmask_b32_e64 v8, v8, v49, s[2:3]
	v_cndmask_b32_e64 v49, v49, v47, s[2:3]
	;; [unrolled: 1-line block ×3, first 2 shown]
	v_alignbit_b32 v54, v8, v49, v53
	v_cndmask_b32_e64 v47, v47, v48, s[2:3]
	v_cndmask_b32_e64 v8, v54, v8, s[4:5]
	v_alignbit_b32 v51, v49, v47, v53
	v_cndmask_b32_e64 v49, v51, v49, s[4:5]
	v_bfe_u32 v54, v8, 29, 1
	v_cndmask_b32_e32 v46, v50, v46, vcc
	v_alignbit_b32 v51, v8, v49, 30
	v_sub_u32_e32 v55, 0, v54
	v_cndmask_b32_e64 v45, v45, v46, s[0:1]
	v_xor_b32_e32 v56, v51, v55
	v_cndmask_b32_e64 v45, v48, v45, s[2:3]
	v_alignbit_b32 v46, v47, v45, v53
	v_ffbh_u32_e32 v48, v56
	v_cndmask_b32_e64 v46, v46, v47, s[4:5]
	v_add_u32_e32 v48, 1, v48
	v_cmp_ne_u32_e32 vcc, v51, v55
	v_alignbit_b32 v47, v49, v46, 30
	v_cndmask_b32_e32 v48, 33, v48, vcc
	v_alignbit_b32 v45, v46, v45, 30
	v_xor_b32_e32 v47, v47, v55
	v_sub_u32_e32 v49, 32, v48
	v_xor_b32_e32 v45, v45, v55
	v_alignbit_b32 v50, v56, v47, v49
	v_alignbit_b32 v45, v47, v45, v49
	;; [unrolled: 1-line block ×3, first 2 shown]
	v_ffbh_u32_e32 v47, v46
	v_min_u32_e32 v47, 32, v47
	v_lshrrev_b32_e32 v52, 29, v8
	v_sub_u32_e32 v49, 31, v47
	v_alignbit_b32 v45, v46, v45, v49
	v_lshlrev_b32_e32 v46, 31, v52
	v_or_b32_e32 v49, 0x33800000, v46
	v_add_lshl_u32 v47, v47, v48, 23
	v_lshrrev_b32_e32 v45, 9, v45
	v_sub_u32_e32 v47, v49, v47
	v_or_b32_e32 v45, v47, v45
	v_alignbit_b32 v47, v48, v50, 9
	v_or_b32_e32 v46, v47, v46
	v_xor_b32_e32 v46, 1.0, v46
	v_mul_f32_e32 v47, 0x3fc90fda, v46
	v_fma_f32 v48, v46, s28, -v47
	v_fmac_f32_e32 v48, 0x33a22168, v46
	v_fmac_f32_e32 v48, 0x3fc90fda, v45
	v_lshrrev_b32_e32 v8, 30, v8
	v_add_f32_e32 v46, v47, v48
	v_add_u32_e32 v48, v54, v8
.LBB151_99:                             ;   in Loop: Header=BB151_73 Depth=1
	s_andn2_saveexec_b64 s[0:1], s[10:11]
; %bb.100:                              ;   in Loop: Header=BB151_73 Depth=1
	v_mul_f32_e64 v8, |v43|, s29
	v_rndne_f32_e32 v8, v8
	v_cvt_i32_f32_e32 v48, v8
	v_fma_f32 v46, v8, s30, |v43|
	v_fmac_f32_e32 v46, 0xb3a22168, v8
	v_fmac_f32_e32 v46, 0xa7c234c4, v8
; %bb.101:                              ;   in Loop: Header=BB151_73 Depth=1
	s_or_b64 exec, exec, s[0:1]
	v_and_b32_e32 v49, 0x7fffffff, v1
	v_cmp_nlt_f32_e64 s[10:11], |v1|, s20
                                        ; implicit-def: $vgpr54
                                        ; implicit-def: $vgpr53
	s_and_saveexec_b64 s[0:1], s[10:11]
	s_xor_b64 s[12:13], exec, s[0:1]
	s_cbranch_execz .LBB151_103
; %bb.102:                              ;   in Loop: Header=BB151_73 Depth=1
	v_lshrrev_b32_e32 v8, 23, v49
	v_add_u32_e32 v8, 0xffffff88, v8
	v_cmp_lt_u32_e32 vcc, 63, v8
	v_cndmask_b32_e32 v45, 0, v20, vcc
	v_add_u32_e32 v8, v45, v8
	v_cmp_lt_u32_e64 s[0:1], 31, v8
	v_cndmask_b32_e64 v45, 0, v21, s[0:1]
	v_add_u32_e32 v8, v45, v8
	v_cmp_lt_u32_e64 s[2:3], 31, v8
	v_cndmask_b32_e64 v45, 0, v21, s[2:3]
	v_add_u32_e32 v45, v45, v8
	v_and_b32_e32 v8, 0x7fffff, v49
	v_or_b32_e32 v47, 0x800000, v8
	v_mad_u64_u32 v[50:51], s[4:5], v47, s21, 0
	v_mov_b32_e32 v8, v51
	v_mad_u64_u32 v[52:53], s[4:5], v47, s22, v[8:9]
	v_mov_b32_e32 v8, v53
	;; [unrolled: 2-line block ×6, first 2 shown]
	v_mad_u64_u32 v[62:63], s[4:5], v47, s27, v[8:9]
	v_cndmask_b32_e32 v51, v60, v56, vcc
	v_cndmask_b32_e32 v8, v62, v58, vcc
	;; [unrolled: 1-line block ×3, first 2 shown]
	v_cndmask_b32_e64 v47, v8, v51, s[0:1]
	v_cndmask_b32_e64 v8, v53, v8, s[0:1]
	v_cndmask_b32_e32 v53, v58, v54, vcc
	v_cndmask_b32_e64 v51, v51, v53, s[0:1]
	v_sub_u32_e32 v55, 32, v45
	v_cmp_eq_u32_e64 s[4:5], 0, v45
	v_cndmask_b32_e32 v45, v56, v52, vcc
	v_cndmask_b32_e64 v8, v8, v47, s[2:3]
	v_cndmask_b32_e64 v47, v47, v51, s[2:3]
	;; [unrolled: 1-line block ×3, first 2 shown]
	v_alignbit_b32 v57, v8, v47, v55
	v_cndmask_b32_e64 v51, v51, v52, s[2:3]
	v_cndmask_b32_e64 v8, v57, v8, s[4:5]
	v_alignbit_b32 v53, v47, v51, v55
	v_cndmask_b32_e32 v50, v54, v50, vcc
	v_cndmask_b32_e64 v47, v53, v47, s[4:5]
	v_bfe_u32 v57, v8, 29, 1
	v_cndmask_b32_e64 v45, v45, v50, s[0:1]
	v_alignbit_b32 v53, v8, v47, 30
	v_sub_u32_e32 v58, 0, v57
	v_cndmask_b32_e64 v45, v52, v45, s[2:3]
	v_xor_b32_e32 v59, v53, v58
	v_alignbit_b32 v50, v51, v45, v55
	v_cndmask_b32_e64 v50, v50, v51, s[4:5]
	v_ffbh_u32_e32 v51, v59
	v_add_u32_e32 v51, 1, v51
	v_cmp_ne_u32_e32 vcc, v53, v58
	v_alignbit_b32 v47, v47, v50, 30
	v_cndmask_b32_e32 v51, 33, v51, vcc
	v_alignbit_b32 v45, v50, v45, 30
	v_xor_b32_e32 v47, v47, v58
	v_sub_u32_e32 v52, 32, v51
	v_xor_b32_e32 v45, v45, v58
	v_alignbit_b32 v53, v59, v47, v52
	v_alignbit_b32 v45, v47, v45, v52
	v_alignbit_b32 v47, v53, v45, 9
	v_ffbh_u32_e32 v50, v47
	v_min_u32_e32 v50, 32, v50
	v_lshrrev_b32_e32 v56, 29, v8
	v_sub_u32_e32 v52, 31, v50
	v_alignbit_b32 v45, v47, v45, v52
	v_lshlrev_b32_e32 v47, 31, v56
	v_or_b32_e32 v52, 0x33800000, v47
	v_add_lshl_u32 v50, v50, v51, 23
	v_lshrrev_b32_e32 v45, 9, v45
	v_sub_u32_e32 v50, v52, v50
	v_or_b32_e32 v45, v50, v45
	v_alignbit_b32 v50, v51, v53, 9
	v_or_b32_e32 v47, v50, v47
	v_xor_b32_e32 v47, 1.0, v47
	v_mul_f32_e32 v50, 0x3fc90fda, v47
	v_fma_f32 v51, v47, s28, -v50
	v_fmac_f32_e32 v51, 0x33a22168, v47
	v_fmac_f32_e32 v51, 0x3fc90fda, v45
	v_lshrrev_b32_e32 v8, 30, v8
	v_add_f32_e32 v53, v50, v51
	v_add_u32_e32 v54, v57, v8
	s_andn2_saveexec_b64 s[0:1], s[12:13]
	s_branch .LBB151_104
.LBB151_103:                            ;   in Loop: Header=BB151_73 Depth=1
	s_andn2_saveexec_b64 s[0:1], s[12:13]
.LBB151_104:                            ;   in Loop: Header=BB151_73 Depth=1
	v_mul_f32_e64 v8, |v1|, s29
	v_rndne_f32_e32 v8, v8
	v_cvt_i32_f32_e32 v54, v8
	v_fma_f32 v53, v8, s30, |v1|
	v_fmac_f32_e32 v53, 0xb3a22168, v8
	v_fmac_f32_e32 v53, 0xa7c234c4, v8
; %bb.105:                              ;   in Loop: Header=BB151_73 Depth=1
	s_or_b64 exec, exec, s[0:1]
                                        ; implicit-def: $vgpr55
                                        ; implicit-def: $vgpr56
	s_and_saveexec_b64 s[0:1], s[10:11]
	s_xor_b64 s[10:11], exec, s[0:1]
	s_cbranch_execz .LBB151_107
; %bb.106:                              ;   in Loop: Header=BB151_73 Depth=1
	v_lshrrev_b32_e32 v8, 23, v49
	v_add_u32_e32 v8, 0xffffff88, v8
	v_cmp_lt_u32_e32 vcc, 63, v8
	v_cndmask_b32_e32 v45, 0, v20, vcc
	v_add_u32_e32 v8, v45, v8
	v_cmp_lt_u32_e64 s[0:1], 31, v8
	v_cndmask_b32_e64 v45, 0, v21, s[0:1]
	v_add_u32_e32 v8, v45, v8
	v_cmp_lt_u32_e64 s[2:3], 31, v8
	v_cndmask_b32_e64 v45, 0, v21, s[2:3]
	v_add_u32_e32 v45, v45, v8
	v_and_b32_e32 v8, 0x7fffff, v49
	v_or_b32_e32 v47, 0x800000, v8
	v_mad_u64_u32 v[50:51], s[4:5], v47, s21, 0
	v_mov_b32_e32 v8, v51
	v_mad_u64_u32 v[56:57], s[4:5], v47, s22, v[8:9]
	v_mov_b32_e32 v8, v57
	;; [unrolled: 2-line block ×6, first 2 shown]
	v_mad_u64_u32 v[66:67], s[4:5], v47, s27, v[8:9]
	v_cndmask_b32_e32 v51, v64, v60, vcc
	v_cndmask_b32_e32 v8, v66, v62, vcc
	v_cndmask_b32_e32 v52, v67, v64, vcc
	v_cndmask_b32_e64 v47, v8, v51, s[0:1]
	v_cndmask_b32_e64 v8, v52, v8, s[0:1]
	v_cndmask_b32_e32 v52, v62, v58, vcc
	v_cndmask_b32_e64 v51, v51, v52, s[0:1]
	v_sub_u32_e32 v55, 32, v45
	v_cmp_eq_u32_e64 s[4:5], 0, v45
	v_cndmask_b32_e32 v45, v60, v56, vcc
	v_cndmask_b32_e64 v8, v8, v47, s[2:3]
	v_cndmask_b32_e64 v47, v47, v51, s[2:3]
	;; [unrolled: 1-line block ×3, first 2 shown]
	v_alignbit_b32 v57, v8, v47, v55
	v_cndmask_b32_e64 v51, v51, v52, s[2:3]
	v_cndmask_b32_e64 v8, v57, v8, s[4:5]
	v_alignbit_b32 v56, v47, v51, v55
	v_cndmask_b32_e32 v50, v58, v50, vcc
	v_cndmask_b32_e64 v47, v56, v47, s[4:5]
	v_bfe_u32 v59, v8, 29, 1
	v_cndmask_b32_e64 v45, v45, v50, s[0:1]
	v_alignbit_b32 v56, v8, v47, 30
	v_sub_u32_e32 v60, 0, v59
	v_cndmask_b32_e64 v45, v52, v45, s[2:3]
	v_xor_b32_e32 v61, v56, v60
	v_alignbit_b32 v50, v51, v45, v55
	v_cndmask_b32_e64 v50, v50, v51, s[4:5]
	v_ffbh_u32_e32 v51, v61
	v_add_u32_e32 v51, 1, v51
	v_cmp_ne_u32_e32 vcc, v56, v60
	v_alignbit_b32 v47, v47, v50, 30
	v_cndmask_b32_e32 v51, 33, v51, vcc
	v_alignbit_b32 v45, v50, v45, 30
	v_xor_b32_e32 v47, v47, v60
	v_sub_u32_e32 v52, 32, v51
	v_xor_b32_e32 v45, v45, v60
	v_alignbit_b32 v55, v61, v47, v52
	v_alignbit_b32 v45, v47, v45, v52
	;; [unrolled: 1-line block ×3, first 2 shown]
	v_ffbh_u32_e32 v50, v47
	v_min_u32_e32 v50, 32, v50
	v_lshrrev_b32_e32 v57, 29, v8
	v_sub_u32_e32 v52, 31, v50
	v_alignbit_b32 v45, v47, v45, v52
	v_lshlrev_b32_e32 v47, 31, v57
	v_or_b32_e32 v52, 0x33800000, v47
	v_add_lshl_u32 v50, v50, v51, 23
	v_lshrrev_b32_e32 v45, 9, v45
	v_sub_u32_e32 v50, v52, v50
	v_or_b32_e32 v45, v50, v45
	v_alignbit_b32 v50, v51, v55, 9
	v_or_b32_e32 v47, v50, v47
	v_xor_b32_e32 v47, 1.0, v47
	v_mul_f32_e32 v50, 0x3fc90fda, v47
	v_fma_f32 v51, v47, s28, -v50
	v_fmac_f32_e32 v51, 0x33a22168, v47
	v_fmac_f32_e32 v51, 0x3fc90fda, v45
	v_lshrrev_b32_e32 v8, 30, v8
	v_add_f32_e32 v56, v50, v51
	v_add_u32_e32 v55, v59, v8
	s_andn2_saveexec_b64 s[0:1], s[10:11]
	s_cbranch_execnz .LBB151_108
	s_branch .LBB151_109
.LBB151_107:                            ;   in Loop: Header=BB151_73 Depth=1
	s_andn2_saveexec_b64 s[0:1], s[10:11]
.LBB151_108:                            ;   in Loop: Header=BB151_73 Depth=1
	v_mul_f32_e64 v8, |v1|, s29
	v_rndne_f32_e32 v8, v8
	v_cvt_i32_f32_e32 v55, v8
	v_fma_f32 v56, v8, s30, |v1|
	v_fmac_f32_e32 v56, 0xb3a22168, v8
	v_fmac_f32_e32 v56, 0xa7c234c4, v8
.LBB151_109:                            ;   in Loop: Header=BB151_73 Depth=1
	s_or_b64 exec, exec, s[0:1]
	v_mul_f32_e32 v45, 0.5, v3
	v_and_b32_e32 v47, 0x7fffffff, v45
	v_cmp_nlt_f32_e64 s[0:1], |v45|, s20
                                        ; implicit-def: $vgpr51
                                        ; implicit-def: $vgpr50
	s_and_saveexec_b64 s[2:3], s[0:1]
	s_xor_b64 s[10:11], exec, s[2:3]
	s_cbranch_execz .LBB151_111
; %bb.110:                              ;   in Loop: Header=BB151_73 Depth=1
	v_lshrrev_b32_e32 v8, 23, v47
	v_add_u32_e32 v8, 0xffffff88, v8
	v_cmp_lt_u32_e32 vcc, 63, v8
	v_cndmask_b32_e32 v50, 0, v20, vcc
	v_add_u32_e32 v8, v50, v8
	v_cmp_lt_u32_e64 s[0:1], 31, v8
	v_cndmask_b32_e64 v50, 0, v21, s[0:1]
	v_add_u32_e32 v8, v50, v8
	v_cmp_lt_u32_e64 s[2:3], 31, v8
	v_cndmask_b32_e64 v50, 0, v21, s[2:3]
	v_add_u32_e32 v52, v50, v8
	v_and_b32_e32 v8, 0x7fffff, v47
	v_or_b32_e32 v57, 0x800000, v8
	v_mad_u64_u32 v[50:51], s[4:5], v57, s21, 0
	v_mov_b32_e32 v8, v51
	v_mad_u64_u32 v[58:59], s[4:5], v57, s22, v[8:9]
	v_mov_b32_e32 v8, v59
	;; [unrolled: 2-line block ×6, first 2 shown]
	v_mad_u64_u32 v[68:69], s[4:5], v57, s27, v[8:9]
	v_cndmask_b32_e32 v51, v66, v62, vcc
	v_cndmask_b32_e32 v8, v68, v64, vcc
	;; [unrolled: 1-line block ×3, first 2 shown]
	v_cndmask_b32_e64 v57, v8, v51, s[0:1]
	v_cndmask_b32_e64 v8, v59, v8, s[0:1]
	v_cndmask_b32_e32 v59, v64, v60, vcc
	v_cndmask_b32_e64 v51, v51, v59, s[0:1]
	v_sub_u32_e32 v61, 32, v52
	v_cmp_eq_u32_e64 s[4:5], 0, v52
	v_cndmask_b32_e32 v52, v62, v58, vcc
	v_cndmask_b32_e64 v8, v8, v57, s[2:3]
	v_cndmask_b32_e64 v57, v57, v51, s[2:3]
	;; [unrolled: 1-line block ×3, first 2 shown]
	v_alignbit_b32 v63, v8, v57, v61
	v_cndmask_b32_e64 v51, v51, v58, s[2:3]
	v_cndmask_b32_e32 v50, v60, v50, vcc
	v_cndmask_b32_e64 v8, v63, v8, s[4:5]
	v_alignbit_b32 v59, v57, v51, v61
	v_cndmask_b32_e64 v50, v52, v50, s[0:1]
	v_cndmask_b32_e64 v57, v59, v57, s[4:5]
	v_bfe_u32 v63, v8, 29, 1
	v_cndmask_b32_e64 v50, v58, v50, s[2:3]
	v_alignbit_b32 v59, v8, v57, 30
	v_sub_u32_e32 v64, 0, v63
	v_alignbit_b32 v52, v51, v50, v61
	v_xor_b32_e32 v65, v59, v64
	v_cndmask_b32_e64 v51, v52, v51, s[4:5]
	v_alignbit_b32 v52, v57, v51, 30
	v_ffbh_u32_e32 v57, v65
	v_add_u32_e32 v57, 1, v57
	v_cmp_ne_u32_e32 vcc, v59, v64
	v_cndmask_b32_e32 v57, 33, v57, vcc
	v_alignbit_b32 v50, v51, v50, 30
	v_xor_b32_e32 v52, v52, v64
	v_sub_u32_e32 v58, 32, v57
	v_xor_b32_e32 v50, v50, v64
	v_alignbit_b32 v59, v65, v52, v58
	v_alignbit_b32 v50, v52, v50, v58
	;; [unrolled: 1-line block ×3, first 2 shown]
	v_ffbh_u32_e32 v52, v51
	v_min_u32_e32 v52, 32, v52
	v_lshrrev_b32_e32 v62, 29, v8
	v_sub_u32_e32 v58, 31, v52
	v_alignbit_b32 v50, v51, v50, v58
	v_lshlrev_b32_e32 v51, 31, v62
	v_or_b32_e32 v58, 0x33800000, v51
	v_add_lshl_u32 v52, v52, v57, 23
	v_lshrrev_b32_e32 v50, 9, v50
	v_sub_u32_e32 v52, v58, v52
	v_or_b32_e32 v50, v52, v50
	v_alignbit_b32 v52, v57, v59, 9
	v_or_b32_e32 v51, v52, v51
	v_xor_b32_e32 v51, 1.0, v51
	v_mul_f32_e32 v52, 0x3fc90fda, v51
	v_fma_f32 v57, v51, s28, -v52
	v_fmac_f32_e32 v57, 0x33a22168, v51
	v_fmac_f32_e32 v57, 0x3fc90fda, v50
	v_lshrrev_b32_e32 v8, 30, v8
	v_add_f32_e32 v50, v52, v57
	v_add_u32_e32 v51, v63, v8
.LBB151_111:                            ;   in Loop: Header=BB151_73 Depth=1
	s_andn2_saveexec_b64 s[0:1], s[10:11]
; %bb.112:                              ;   in Loop: Header=BB151_73 Depth=1
	v_mul_f32_e64 v8, |v45|, s29
	v_rndne_f32_e32 v8, v8
	v_cvt_i32_f32_e32 v51, v8
	v_fma_f32 v50, v8, s30, |v45|
	v_fmac_f32_e32 v50, 0xb3a22168, v8
	v_fmac_f32_e32 v50, 0xa7c234c4, v8
; %bb.113:                              ;   in Loop: Header=BB151_73 Depth=1
	s_or_b64 exec, exec, s[0:1]
	v_and_b32_e32 v52, 0x7fffffff, v3
	v_cmp_nlt_f32_e64 s[10:11], |v3|, s20
                                        ; implicit-def: $vgpr58
                                        ; implicit-def: $vgpr57
	s_and_saveexec_b64 s[0:1], s[10:11]
	s_xor_b64 s[12:13], exec, s[0:1]
	s_cbranch_execz .LBB151_115
; %bb.114:                              ;   in Loop: Header=BB151_73 Depth=1
	v_lshrrev_b32_e32 v8, 23, v52
	v_add_u32_e32 v8, 0xffffff88, v8
	v_cmp_lt_u32_e32 vcc, 63, v8
	v_cndmask_b32_e32 v57, 0, v20, vcc
	v_add_u32_e32 v8, v57, v8
	v_cmp_lt_u32_e64 s[0:1], 31, v8
	v_cndmask_b32_e64 v57, 0, v21, s[0:1]
	v_add_u32_e32 v8, v57, v8
	v_cmp_lt_u32_e64 s[2:3], 31, v8
	v_cndmask_b32_e64 v57, 0, v21, s[2:3]
	v_add_u32_e32 v57, v57, v8
	v_and_b32_e32 v8, 0x7fffff, v52
	v_or_b32_e32 v70, 0x800000, v8
	v_mad_u64_u32 v[58:59], s[4:5], v70, s21, 0
	v_mov_b32_e32 v8, v59
	v_mad_u64_u32 v[60:61], s[4:5], v70, s22, v[8:9]
	v_mov_b32_e32 v8, v61
	;; [unrolled: 2-line block ×6, first 2 shown]
	v_mad_u64_u32 v[70:71], s[4:5], v70, s27, v[8:9]
	v_cndmask_b32_e32 v59, v68, v64, vcc
	v_cndmask_b32_e32 v8, v70, v66, vcc
	;; [unrolled: 1-line block ×3, first 2 shown]
	v_cndmask_b32_e64 v61, v8, v59, s[0:1]
	v_cndmask_b32_e64 v8, v63, v8, s[0:1]
	v_cndmask_b32_e32 v63, v66, v62, vcc
	v_cndmask_b32_e64 v59, v59, v63, s[0:1]
	v_sub_u32_e32 v65, 32, v57
	v_cmp_eq_u32_e64 s[4:5], 0, v57
	v_cndmask_b32_e32 v57, v64, v60, vcc
	v_cndmask_b32_e64 v8, v8, v61, s[2:3]
	v_cndmask_b32_e64 v61, v61, v59, s[2:3]
	;; [unrolled: 1-line block ×3, first 2 shown]
	v_alignbit_b32 v66, v8, v61, v65
	v_cndmask_b32_e64 v59, v59, v60, s[2:3]
	v_cndmask_b32_e64 v8, v66, v8, s[4:5]
	v_alignbit_b32 v63, v61, v59, v65
	v_cndmask_b32_e64 v61, v63, v61, s[4:5]
	v_bfe_u32 v66, v8, 29, 1
	v_cndmask_b32_e32 v58, v62, v58, vcc
	v_alignbit_b32 v63, v8, v61, 30
	v_sub_u32_e32 v67, 0, v66
	v_cndmask_b32_e64 v57, v57, v58, s[0:1]
	v_xor_b32_e32 v68, v63, v67
	v_cndmask_b32_e64 v57, v60, v57, s[2:3]
	v_alignbit_b32 v58, v59, v57, v65
	v_ffbh_u32_e32 v60, v68
	v_cndmask_b32_e64 v58, v58, v59, s[4:5]
	v_add_u32_e32 v60, 1, v60
	v_cmp_ne_u32_e32 vcc, v63, v67
	v_alignbit_b32 v59, v61, v58, 30
	v_cndmask_b32_e32 v60, 33, v60, vcc
	v_alignbit_b32 v57, v58, v57, 30
	v_xor_b32_e32 v59, v59, v67
	v_sub_u32_e32 v61, 32, v60
	v_xor_b32_e32 v57, v57, v67
	v_alignbit_b32 v62, v68, v59, v61
	v_alignbit_b32 v57, v59, v57, v61
	;; [unrolled: 1-line block ×3, first 2 shown]
	v_ffbh_u32_e32 v59, v58
	v_min_u32_e32 v59, 32, v59
	v_lshrrev_b32_e32 v64, 29, v8
	v_sub_u32_e32 v61, 31, v59
	v_alignbit_b32 v57, v58, v57, v61
	v_lshlrev_b32_e32 v58, 31, v64
	v_or_b32_e32 v61, 0x33800000, v58
	v_add_lshl_u32 v59, v59, v60, 23
	v_lshrrev_b32_e32 v57, 9, v57
	v_sub_u32_e32 v59, v61, v59
	v_or_b32_e32 v57, v59, v57
	v_alignbit_b32 v59, v60, v62, 9
	v_or_b32_e32 v58, v59, v58
	v_xor_b32_e32 v58, 1.0, v58
	v_mul_f32_e32 v59, 0x3fc90fda, v58
	v_fma_f32 v60, v58, s28, -v59
	v_fmac_f32_e32 v60, 0x33a22168, v58
	v_fmac_f32_e32 v60, 0x3fc90fda, v57
	v_lshrrev_b32_e32 v8, 30, v8
	v_add_f32_e32 v57, v59, v60
	v_add_u32_e32 v58, v66, v8
	s_andn2_saveexec_b64 s[0:1], s[12:13]
	s_branch .LBB151_116
.LBB151_115:                            ;   in Loop: Header=BB151_73 Depth=1
	s_andn2_saveexec_b64 s[0:1], s[12:13]
.LBB151_116:                            ;   in Loop: Header=BB151_73 Depth=1
	v_mul_f32_e64 v8, |v3|, s29
	v_rndne_f32_e32 v8, v8
	v_cvt_i32_f32_e32 v58, v8
	v_fma_f32 v57, v8, s30, |v3|
	v_fmac_f32_e32 v57, 0xb3a22168, v8
	v_fmac_f32_e32 v57, 0xa7c234c4, v8
; %bb.117:                              ;   in Loop: Header=BB151_73 Depth=1
	s_or_b64 exec, exec, s[0:1]
                                        ; implicit-def: $vgpr8
                                        ; implicit-def: $vgpr59
	s_and_saveexec_b64 s[0:1], s[10:11]
	s_xor_b64 s[10:11], exec, s[0:1]
	s_cbranch_execz .LBB151_119
; %bb.118:                              ;   in Loop: Header=BB151_73 Depth=1
	v_lshrrev_b32_e32 v8, 23, v52
	v_add_u32_e32 v8, 0xffffff88, v8
	v_cmp_lt_u32_e32 vcc, 63, v8
	v_cndmask_b32_e32 v59, 0, v20, vcc
	v_add_u32_e32 v8, v59, v8
	v_cmp_lt_u32_e64 s[0:1], 31, v8
	v_cndmask_b32_e64 v59, 0, v21, s[0:1]
	v_add_u32_e32 v8, v59, v8
	v_cmp_lt_u32_e64 s[2:3], 31, v8
	v_cndmask_b32_e64 v59, 0, v21, s[2:3]
	v_add_u32_e32 v59, v59, v8
	v_and_b32_e32 v8, 0x7fffff, v52
	v_or_b32_e32 v72, 0x800000, v8
	v_mad_u64_u32 v[60:61], s[4:5], v72, s21, 0
	v_mov_b32_e32 v8, v61
	v_mad_u64_u32 v[62:63], s[4:5], v72, s22, v[8:9]
	v_mov_b32_e32 v8, v63
	v_mad_u64_u32 v[64:65], s[4:5], v72, s23, v[8:9]
	v_mov_b32_e32 v8, v65
	v_mad_u64_u32 v[66:67], s[4:5], v72, s24, v[8:9]
	v_mov_b32_e32 v8, v67
	v_mad_u64_u32 v[68:69], s[4:5], v72, s25, v[8:9]
	v_mov_b32_e32 v8, v69
	v_mad_u64_u32 v[70:71], s[4:5], v72, s26, v[8:9]
	v_mov_b32_e32 v8, v71
	v_mad_u64_u32 v[72:73], s[4:5], v72, s27, v[8:9]
	v_cndmask_b32_e32 v61, v70, v66, vcc
	v_cndmask_b32_e32 v8, v72, v68, vcc
	v_cndmask_b32_e32 v65, v73, v70, vcc
	v_cndmask_b32_e64 v63, v8, v61, s[0:1]
	v_cndmask_b32_e64 v8, v65, v8, s[0:1]
	v_cndmask_b32_e32 v65, v68, v64, vcc
	v_cndmask_b32_e64 v61, v61, v65, s[0:1]
	v_sub_u32_e32 v67, 32, v59
	v_cmp_eq_u32_e64 s[4:5], 0, v59
	v_cndmask_b32_e32 v59, v66, v62, vcc
	v_cndmask_b32_e64 v8, v8, v63, s[2:3]
	v_cndmask_b32_e64 v63, v63, v61, s[2:3]
	;; [unrolled: 1-line block ×3, first 2 shown]
	v_alignbit_b32 v68, v8, v63, v67
	v_cndmask_b32_e64 v61, v61, v62, s[2:3]
	v_cndmask_b32_e64 v8, v68, v8, s[4:5]
	v_alignbit_b32 v65, v63, v61, v67
	v_cndmask_b32_e64 v63, v65, v63, s[4:5]
	v_bfe_u32 v68, v8, 29, 1
	v_cndmask_b32_e32 v60, v64, v60, vcc
	v_alignbit_b32 v65, v8, v63, 30
	v_sub_u32_e32 v69, 0, v68
	v_cndmask_b32_e64 v59, v59, v60, s[0:1]
	v_xor_b32_e32 v70, v65, v69
	v_cndmask_b32_e64 v59, v62, v59, s[2:3]
	v_alignbit_b32 v60, v61, v59, v67
	v_ffbh_u32_e32 v62, v70
	v_cndmask_b32_e64 v60, v60, v61, s[4:5]
	v_add_u32_e32 v62, 1, v62
	v_cmp_ne_u32_e32 vcc, v65, v69
	v_alignbit_b32 v61, v63, v60, 30
	v_cndmask_b32_e32 v62, 33, v62, vcc
	v_alignbit_b32 v59, v60, v59, 30
	v_xor_b32_e32 v61, v61, v69
	v_sub_u32_e32 v63, 32, v62
	v_xor_b32_e32 v59, v59, v69
	v_alignbit_b32 v64, v70, v61, v63
	v_alignbit_b32 v59, v61, v59, v63
	;; [unrolled: 1-line block ×3, first 2 shown]
	v_ffbh_u32_e32 v61, v60
	v_min_u32_e32 v61, 32, v61
	v_lshrrev_b32_e32 v66, 29, v8
	v_sub_u32_e32 v63, 31, v61
	v_alignbit_b32 v59, v60, v59, v63
	v_lshlrev_b32_e32 v60, 31, v66
	v_or_b32_e32 v63, 0x33800000, v60
	v_add_lshl_u32 v61, v61, v62, 23
	v_lshrrev_b32_e32 v59, 9, v59
	v_sub_u32_e32 v61, v63, v61
	v_or_b32_e32 v59, v61, v59
	v_alignbit_b32 v61, v62, v64, 9
	v_or_b32_e32 v60, v61, v60
	v_xor_b32_e32 v60, 1.0, v60
	v_mul_f32_e32 v61, 0x3fc90fda, v60
	v_fma_f32 v62, v60, s28, -v61
	v_fmac_f32_e32 v62, 0x33a22168, v60
	v_fmac_f32_e32 v62, 0x3fc90fda, v59
	v_lshrrev_b32_e32 v8, 30, v8
	v_add_f32_e32 v59, v61, v62
	v_add_u32_e32 v8, v68, v8
	s_andn2_saveexec_b64 s[0:1], s[10:11]
	s_cbranch_execz .LBB151_72
	s_branch .LBB151_120
.LBB151_119:                            ;   in Loop: Header=BB151_73 Depth=1
	s_andn2_saveexec_b64 s[0:1], s[10:11]
	s_cbranch_execz .LBB151_72
.LBB151_120:                            ;   in Loop: Header=BB151_73 Depth=1
	v_mul_f32_e64 v8, |v3|, s29
	v_rndne_f32_e32 v60, v8
	v_cvt_i32_f32_e32 v8, v60
	v_fma_f32 v59, v60, s30, |v3|
	v_fmac_f32_e32 v59, 0xb3a22168, v60
	v_fmac_f32_e32 v59, 0xa7c234c4, v60
	s_branch .LBB151_72
.LBB151_121:
	s_endpgm
	.section	.rodata,"a",@progbits
	.p2align	6, 0x0
	.amdhsa_kernel _ZN2at6native12_GLOBAL__N_125multi_tensor_apply_kernelINS1_18TensorListMetadataILi1EEENS1_14UnaryOpFunctorIN3c107complexIfEELi1ELi1ELi0EEEJNS0_5Expm1IS8_EEEEEvT_T0_DpT1_
		.amdhsa_group_segment_fixed_size 0
		.amdhsa_private_segment_fixed_size 0
		.amdhsa_kernarg_size 3632
		.amdhsa_user_sgpr_count 6
		.amdhsa_user_sgpr_private_segment_buffer 1
		.amdhsa_user_sgpr_dispatch_ptr 0
		.amdhsa_user_sgpr_queue_ptr 0
		.amdhsa_user_sgpr_kernarg_segment_ptr 1
		.amdhsa_user_sgpr_dispatch_id 0
		.amdhsa_user_sgpr_flat_scratch_init 0
		.amdhsa_user_sgpr_kernarg_preload_length 0
		.amdhsa_user_sgpr_kernarg_preload_offset 0
		.amdhsa_user_sgpr_private_segment_size 0
		.amdhsa_uses_dynamic_stack 0
		.amdhsa_system_sgpr_private_segment_wavefront_offset 0
		.amdhsa_system_sgpr_workgroup_id_x 1
		.amdhsa_system_sgpr_workgroup_id_y 0
		.amdhsa_system_sgpr_workgroup_id_z 0
		.amdhsa_system_sgpr_workgroup_info 0
		.amdhsa_system_vgpr_workitem_id 0
		.amdhsa_next_free_vgpr 84
		.amdhsa_next_free_sgpr 53
		.amdhsa_accum_offset 84
		.amdhsa_reserve_vcc 1
		.amdhsa_reserve_flat_scratch 0
		.amdhsa_float_round_mode_32 0
		.amdhsa_float_round_mode_16_64 0
		.amdhsa_float_denorm_mode_32 3
		.amdhsa_float_denorm_mode_16_64 3
		.amdhsa_dx10_clamp 1
		.amdhsa_ieee_mode 1
		.amdhsa_fp16_overflow 0
		.amdhsa_tg_split 0
		.amdhsa_exception_fp_ieee_invalid_op 0
		.amdhsa_exception_fp_denorm_src 0
		.amdhsa_exception_fp_ieee_div_zero 0
		.amdhsa_exception_fp_ieee_overflow 0
		.amdhsa_exception_fp_ieee_underflow 0
		.amdhsa_exception_fp_ieee_inexact 0
		.amdhsa_exception_int_div_zero 0
	.end_amdhsa_kernel
	.section	.text._ZN2at6native12_GLOBAL__N_125multi_tensor_apply_kernelINS1_18TensorListMetadataILi1EEENS1_14UnaryOpFunctorIN3c107complexIfEELi1ELi1ELi0EEEJNS0_5Expm1IS8_EEEEEvT_T0_DpT1_,"axG",@progbits,_ZN2at6native12_GLOBAL__N_125multi_tensor_apply_kernelINS1_18TensorListMetadataILi1EEENS1_14UnaryOpFunctorIN3c107complexIfEELi1ELi1ELi0EEEJNS0_5Expm1IS8_EEEEEvT_T0_DpT1_,comdat
.Lfunc_end151:
	.size	_ZN2at6native12_GLOBAL__N_125multi_tensor_apply_kernelINS1_18TensorListMetadataILi1EEENS1_14UnaryOpFunctorIN3c107complexIfEELi1ELi1ELi0EEEJNS0_5Expm1IS8_EEEEEvT_T0_DpT1_, .Lfunc_end151-_ZN2at6native12_GLOBAL__N_125multi_tensor_apply_kernelINS1_18TensorListMetadataILi1EEENS1_14UnaryOpFunctorIN3c107complexIfEELi1ELi1ELi0EEEJNS0_5Expm1IS8_EEEEEvT_T0_DpT1_
                                        ; -- End function
	.section	.AMDGPU.csdata,"",@progbits
; Kernel info:
; codeLenInByte = 21156
; NumSgprs: 57
; NumVgprs: 84
; NumAgprs: 0
; TotalNumVgprs: 84
; ScratchSize: 0
; MemoryBound: 1
; FloatMode: 240
; IeeeMode: 1
; LDSByteSize: 0 bytes/workgroup (compile time only)
; SGPRBlocks: 7
; VGPRBlocks: 10
; NumSGPRsForWavesPerEU: 57
; NumVGPRsForWavesPerEU: 84
; AccumOffset: 84
; Occupancy: 5
; WaveLimiterHint : 0
; COMPUTE_PGM_RSRC2:SCRATCH_EN: 0
; COMPUTE_PGM_RSRC2:USER_SGPR: 6
; COMPUTE_PGM_RSRC2:TRAP_HANDLER: 0
; COMPUTE_PGM_RSRC2:TGID_X_EN: 1
; COMPUTE_PGM_RSRC2:TGID_Y_EN: 0
; COMPUTE_PGM_RSRC2:TGID_Z_EN: 0
; COMPUTE_PGM_RSRC2:TIDIG_COMP_CNT: 0
; COMPUTE_PGM_RSRC3_GFX90A:ACCUM_OFFSET: 20
; COMPUTE_PGM_RSRC3_GFX90A:TG_SPLIT: 0
	.section	.text._ZN2at6native12_GLOBAL__N_125multi_tensor_apply_kernelINS1_18TensorListMetadataILi1EEENS1_14UnaryOpFunctorIN3c104HalfELi1ELi1ELi0EEEJNS0_5Expm1IfEEEEEvT_T0_DpT1_,"axG",@progbits,_ZN2at6native12_GLOBAL__N_125multi_tensor_apply_kernelINS1_18TensorListMetadataILi1EEENS1_14UnaryOpFunctorIN3c104HalfELi1ELi1ELi0EEEJNS0_5Expm1IfEEEEEvT_T0_DpT1_,comdat
	.globl	_ZN2at6native12_GLOBAL__N_125multi_tensor_apply_kernelINS1_18TensorListMetadataILi1EEENS1_14UnaryOpFunctorIN3c104HalfELi1ELi1ELi0EEEJNS0_5Expm1IfEEEEEvT_T0_DpT1_ ; -- Begin function _ZN2at6native12_GLOBAL__N_125multi_tensor_apply_kernelINS1_18TensorListMetadataILi1EEENS1_14UnaryOpFunctorIN3c104HalfELi1ELi1ELi0EEEJNS0_5Expm1IfEEEEEvT_T0_DpT1_
	.p2align	8
	.type	_ZN2at6native12_GLOBAL__N_125multi_tensor_apply_kernelINS1_18TensorListMetadataILi1EEENS1_14UnaryOpFunctorIN3c104HalfELi1ELi1ELi0EEEJNS0_5Expm1IfEEEEEvT_T0_DpT1_,@function
_ZN2at6native12_GLOBAL__N_125multi_tensor_apply_kernelINS1_18TensorListMetadataILi1EEENS1_14UnaryOpFunctorIN3c104HalfELi1ELi1ELi0EEEJNS0_5Expm1IfEEEEEvT_T0_DpT1_: ; @_ZN2at6native12_GLOBAL__N_125multi_tensor_apply_kernelINS1_18TensorListMetadataILi1EEENS1_14UnaryOpFunctorIN3c104HalfELi1ELi1ELi0EEEJNS0_5Expm1IfEEEEEvT_T0_DpT1_
; %bb.0:
	v_mov_b32_e32 v1, s6
	global_load_ubyte v1, v1, s[4:5] offset:1760
	s_add_u32 s0, s4, s6
	s_mul_hi_u32 s1, s6, 3
	s_mul_i32 s6, s6, 3
	s_addc_u32 s2, s5, 0
	s_add_u32 s0, s0, s6
	s_addc_u32 s1, s2, s1
	s_load_dword s0, s[0:1], 0x820
	s_mov_b32 s7, 0
	s_waitcnt vmcnt(0)
	v_readfirstlane_b32 s2, v1
	s_lshl_b32 s1, s2, 3
	s_load_dwordx2 s[2:3], s[4:5], s1 offset:0x370
	s_load_dwordx2 s[12:13], s[4:5], s1 offset:0x0
	s_waitcnt lgkmcnt(0)
	s_ashr_i32 s1, s0, 31
	s_lshl_b64 s[14:15], s[0:1], 17
	s_lshl_b64 s[0:1], s[0:1], 16
	s_and_b32 s6, s12, 7
	s_sub_u32 s10, s2, s0
	s_subb_u32 s11, s3, s1
	s_and_b32 s0, s2, 3
	s_mov_b32 s1, s7
	s_or_b64 s[0:1], s[6:7], s[0:1]
	s_cmp_eq_u64 s[0:1], 0
	s_cbranch_scc1 .LBB152_21
; %bb.1:
	v_cmp_lt_i64_e64 s[0:1], s[10:11], 1
	s_and_b64 vcc, exec, s[0:1]
	s_cbranch_vccnz .LBB152_20
; %bb.2:
	s_load_dword s0, s[4:5], 0xd3c
	v_mov_b32_e32 v2, 0x10000
	v_mov_b32_e32 v3, 0
	v_cmp_lt_u64_e32 vcc, s[10:11], v[2:3]
	v_lshlrev_b32_e32 v1, 1, v0
	s_waitcnt lgkmcnt(0)
	s_and_b32 s2, s0, 0xffff
	s_and_b64 s[0:1], vcc, exec
	s_cselect_b32 s17, s11, 0
	s_cselect_b32 s16, s10, 0x10000
	s_lshl_b32 s3, s2, 1
	s_lshl_b32 s23, s2, 2
	s_add_u32 s6, s12, s14
	s_addc_u32 s7, s13, s15
	v_mov_b32_e32 v3, s7
	v_add_co_u32_e32 v2, vcc, s6, v1
	s_mul_i32 s0, s2, 3
	v_addc_co_u32_e32 v3, vcc, 0, v3, vcc
	v_add_co_u32_e32 v1, vcc, s0, v0
	v_addc_co_u32_e64 v8, s[0:1], 0, 0, vcc
	v_add_co_u32_e32 v9, vcc, s3, v0
	v_addc_co_u32_e64 v10, s[0:1], 0, 0, vcc
	v_add_co_u32_e32 v11, vcc, s2, v0
	v_lshlrev_b32_e32 v4, 1, v11
	s_mov_b32 s22, 0
	v_addc_co_u32_e64 v12, s[0:1], 0, 0, vcc
	v_mov_b32_e32 v5, s7
	v_add_co_u32_e32 v4, vcc, s6, v4
	s_lshl_b32 s24, s2, 3
	s_mul_i32 s25, s2, 6
	s_mov_b32 s26, s22
	v_addc_co_u32_e32 v5, vcc, 0, v5, vcc
	s_mov_b64 s[18:19], 0
	s_mov_b32 s27, 0x43000000
	s_mov_b32 s28, 0xbf317218
	v_mov_b32_e32 v13, 0x3c0887f9
	v_mov_b32_e32 v14, 0x3d2aaa81
	;; [unrolled: 1-line block ×3, first 2 shown]
	s_mov_b32 s29, 0x42b17217
	s_mov_b32 s30, 0xcc40
	v_mov_b32_e32 v16, 0x7f
	v_mov_b32_e32 v17, 0x7f800000
	;; [unrolled: 1-line block ×3, first 2 shown]
	v_pk_mov_b32 v[6:7], s[10:11], s[10:11] op_sel:[0,1]
	v_mov_b32_e32 v19, s22
	s_branch .LBB152_4
.LBB152_3:                              ;   in Loop: Header=BB152_4 Depth=1
	s_or_b64 exec, exec, s[0:1]
	s_add_u32 s18, s18, s23
	s_waitcnt vmcnt(0)
	v_mov_b32_e32 v20, 0x10000
	s_addc_u32 s19, s19, 0
	v_mov_b32_e32 v21, 0
	v_cmp_lt_i64_e32 vcc, s[18:19], v[6:7]
	v_cmp_lt_u64_e64 s[0:1], s[18:19], v[20:21]
	s_and_b64 s[0:1], vcc, s[0:1]
	v_add_co_u32_e32 v2, vcc, s24, v2
	v_addc_co_u32_e32 v3, vcc, v3, v19, vcc
	v_add_co_u32_e32 v4, vcc, s24, v4
	v_addc_co_u32_e32 v5, vcc, v5, v19, vcc
	s_and_b64 vcc, exec, s[0:1]
	s_cbranch_vccz .LBB152_20
.LBB152_4:                              ; =>This Inner Loop Header: Depth=1
	v_mov_b32_e32 v21, s19
	v_add_co_u32_e32 v20, vcc, s18, v0
	v_addc_co_u32_e32 v21, vcc, 0, v21, vcc
	v_cmp_gt_u64_e64 s[6:7], s[16:17], v[20:21]
	v_mov_b32_e32 v23, 0
	s_and_saveexec_b64 s[0:1], s[6:7]
	s_cbranch_execz .LBB152_6
; %bb.5:                                ;   in Loop: Header=BB152_4 Depth=1
	global_load_ushort v23, v[2:3], off
.LBB152_6:                              ;   in Loop: Header=BB152_4 Depth=1
	s_or_b64 exec, exec, s[0:1]
	v_mov_b32_e32 v21, s19
	v_add_co_u32_e32 v20, vcc, s18, v11
	v_addc_co_u32_e32 v21, vcc, v12, v21, vcc
	v_cmp_gt_u64_e64 s[2:3], s[16:17], v[20:21]
	v_mov_b32_e32 v22, 0
	s_and_saveexec_b64 s[0:1], s[2:3]
	s_cbranch_execz .LBB152_8
; %bb.7:                                ;   in Loop: Header=BB152_4 Depth=1
	global_load_ushort v22, v[4:5], off
.LBB152_8:                              ;   in Loop: Header=BB152_4 Depth=1
	s_or_b64 exec, exec, s[0:1]
	v_mov_b32_e32 v21, s19
	v_add_co_u32_e32 v20, vcc, s18, v9
	v_addc_co_u32_e32 v21, vcc, v10, v21, vcc
	v_cmp_gt_u64_e64 s[0:1], s[16:17], v[20:21]
	v_mov_b32_e32 v20, 0
	v_mov_b32_e32 v21, 0
	s_and_saveexec_b64 s[8:9], s[0:1]
	s_cbranch_execz .LBB152_10
; %bb.9:                                ;   in Loop: Header=BB152_4 Depth=1
	v_mov_b32_e32 v21, s22
	v_add_co_u32_e32 v24, vcc, s23, v2
	v_addc_co_u32_e32 v25, vcc, v3, v21, vcc
	global_load_ushort v21, v[24:25], off
.LBB152_10:                             ;   in Loop: Header=BB152_4 Depth=1
	s_or_b64 exec, exec, s[8:9]
	v_mov_b32_e32 v25, s19
	v_add_co_u32_e32 v24, vcc, s18, v1
	v_addc_co_u32_e32 v25, vcc, v8, v25, vcc
	v_cmp_gt_u64_e32 vcc, s[16:17], v[24:25]
	s_and_saveexec_b64 s[20:21], vcc
	s_cbranch_execnz .LBB152_15
; %bb.11:                               ;   in Loop: Header=BB152_4 Depth=1
	s_or_b64 exec, exec, s[20:21]
	s_and_saveexec_b64 s[8:9], s[6:7]
	s_cbranch_execnz .LBB152_16
.LBB152_12:                             ;   in Loop: Header=BB152_4 Depth=1
	s_or_b64 exec, exec, s[8:9]
	s_and_saveexec_b64 s[6:7], s[2:3]
	s_cbranch_execnz .LBB152_17
.LBB152_13:                             ;   in Loop: Header=BB152_4 Depth=1
	s_or_b64 exec, exec, s[6:7]
	s_and_saveexec_b64 s[2:3], s[0:1]
	s_cbranch_execnz .LBB152_18
.LBB152_14:                             ;   in Loop: Header=BB152_4 Depth=1
	s_or_b64 exec, exec, s[2:3]
	s_and_saveexec_b64 s[0:1], vcc
	s_cbranch_execz .LBB152_3
	s_branch .LBB152_19
.LBB152_15:                             ;   in Loop: Header=BB152_4 Depth=1
	v_mov_b32_e32 v20, s26
	v_add_co_u32_e64 v24, s[8:9], s25, v2
	v_addc_co_u32_e64 v25, s[8:9], v3, v20, s[8:9]
	global_load_ushort v20, v[24:25], off
	s_or_b64 exec, exec, s[20:21]
	s_and_saveexec_b64 s[8:9], s[6:7]
	s_cbranch_execz .LBB152_12
.LBB152_16:                             ;   in Loop: Header=BB152_4 Depth=1
	s_waitcnt vmcnt(0)
	v_cvt_f32_f16_e32 v24, v23
	v_mov_b32_e32 v25, 0x3ab69700
	v_mul_f32_e32 v26, 0x3fb8aa3b, v24
	v_rndne_f32_e32 v26, v26
	v_fma_mix_f32 v28, v26, s28, v23 op_sel_hi:[0,0,1]
	v_fmac_f32_e32 v28, 0x3102e308, v26
	v_cvt_i32_f32_e32 v27, v26
	v_fmac_f32_e32 v25, 0x395133b1, v28
	v_fma_f32 v25, v28, v25, v13
	v_fma_f32 v25, v28, v25, v14
	v_cmp_eq_f32_e64 s[6:7], s27, v26
	v_fma_f32 v25, v28, v25, v15
	v_cndmask_b32_e64 v26, v27, v16, s[6:7]
	v_fma_f32 v25, v28, v25, 0.5
	v_ldexp_f32 v26, 1.0, v26
	v_mul_f32_e32 v25, v28, v25
	v_fmac_f32_e32 v28, v28, v25
	v_add_f32_e32 v25, -1.0, v26
	v_fmac_f32_e32 v25, v26, v28
	v_add_f32_e32 v26, v25, v25
	v_cndmask_b32_e64 v25, v25, v26, s[6:7]
	v_cmp_nlt_f32_e64 s[6:7], s29, v24
	v_cndmask_b32_e64 v24, v17, v25, s[6:7]
	v_cvt_f16_f32_e32 v24, v24
	v_cmp_ngt_f16_e64 s[6:7], s30, v23
	v_cndmask_b32_e64 v23, v18, v24, s[6:7]
	global_store_short v[2:3], v23, off
	s_or_b64 exec, exec, s[8:9]
	s_and_saveexec_b64 s[6:7], s[2:3]
	s_cbranch_execz .LBB152_13
.LBB152_17:                             ;   in Loop: Header=BB152_4 Depth=1
	s_waitcnt vmcnt(0)
	v_cvt_f32_f16_e32 v23, v22
	v_mov_b32_e32 v24, 0x3ab69700
	v_mul_f32_e32 v25, 0x3fb8aa3b, v23
	v_rndne_f32_e32 v25, v25
	v_fma_mix_f32 v26, v25, s28, v22 op_sel_hi:[0,0,1]
	v_fmac_f32_e32 v26, 0x3102e308, v25
	v_fmac_f32_e32 v24, 0x395133b1, v26
	v_fma_f32 v24, v26, v24, v13
	v_cvt_i32_f32_e32 v27, v25
	v_fma_f32 v24, v26, v24, v14
	v_fma_f32 v24, v26, v24, v15
	v_fma_f32 v24, v26, v24, 0.5
	v_mul_f32_e32 v24, v26, v24
	v_cmp_eq_f32_e64 s[2:3], s27, v25
	v_fmac_f32_e32 v26, v26, v24
	v_cndmask_b32_e64 v24, v27, v16, s[2:3]
	v_ldexp_f32 v24, 1.0, v24
	v_add_f32_e32 v25, -1.0, v24
	v_fmac_f32_e32 v25, v24, v26
	v_add_f32_e32 v24, v25, v25
	v_cndmask_b32_e64 v24, v25, v24, s[2:3]
	v_cmp_nlt_f32_e64 s[2:3], s29, v23
	v_cndmask_b32_e64 v23, v17, v24, s[2:3]
	v_cvt_f16_f32_e32 v23, v23
	v_cmp_ngt_f16_e64 s[2:3], s30, v22
	v_cndmask_b32_e64 v22, v18, v23, s[2:3]
	global_store_short v[4:5], v22, off
	s_or_b64 exec, exec, s[6:7]
	s_and_saveexec_b64 s[2:3], s[0:1]
	s_cbranch_execz .LBB152_14
.LBB152_18:                             ;   in Loop: Header=BB152_4 Depth=1
	s_waitcnt vmcnt(0)
	v_cvt_f32_f16_e32 v22, v21
	v_mov_b32_e32 v23, 0x3ab69700
	v_mul_f32_e32 v24, 0x3fb8aa3b, v22
	v_rndne_f32_e32 v24, v24
	v_fma_mix_f32 v25, v24, s28, v21 op_sel_hi:[0,0,1]
	v_fmac_f32_e32 v25, 0x3102e308, v24
	v_fmac_f32_e32 v23, 0x395133b1, v25
	v_fma_f32 v23, v25, v23, v13
	v_cvt_i32_f32_e32 v26, v24
	v_fma_f32 v23, v25, v23, v14
	v_fma_f32 v23, v25, v23, v15
	v_fma_f32 v23, v25, v23, 0.5
	v_mul_f32_e32 v23, v25, v23
	v_cmp_eq_f32_e64 s[0:1], s27, v24
	v_fmac_f32_e32 v25, v25, v23
	v_cndmask_b32_e64 v23, v26, v16, s[0:1]
	v_ldexp_f32 v23, 1.0, v23
	v_add_f32_e32 v24, -1.0, v23
	v_fmac_f32_e32 v24, v23, v25
	v_add_f32_e32 v23, v24, v24
	v_cndmask_b32_e64 v23, v24, v23, s[0:1]
	v_cmp_nlt_f32_e64 s[0:1], s29, v22
	v_cndmask_b32_e64 v22, v17, v23, s[0:1]
	v_cvt_f16_f32_e32 v22, v22
	v_cmp_ngt_f16_e64 s[0:1], s30, v21
	v_mov_b32_e32 v23, s22
	v_cndmask_b32_e64 v21, v18, v22, s[0:1]
	v_add_co_u32_e64 v22, s[0:1], s23, v2
	v_addc_co_u32_e64 v23, s[0:1], v3, v23, s[0:1]
	global_store_short v[22:23], v21, off
	s_or_b64 exec, exec, s[2:3]
	s_and_saveexec_b64 s[0:1], vcc
	s_cbranch_execz .LBB152_3
.LBB152_19:                             ;   in Loop: Header=BB152_4 Depth=1
	s_waitcnt vmcnt(0)
	v_cvt_f32_f16_e32 v21, v20
	v_mov_b32_e32 v22, 0x3ab69700
	v_mul_f32_e32 v23, 0x3fb8aa3b, v21
	v_rndne_f32_e32 v23, v23
	v_fma_mix_f32 v24, v23, s28, v20 op_sel_hi:[0,0,1]
	v_fmac_f32_e32 v24, 0x3102e308, v23
	v_fmac_f32_e32 v22, 0x395133b1, v24
	v_fma_f32 v22, v24, v22, v13
	v_cvt_i32_f32_e32 v25, v23
	v_fma_f32 v22, v24, v22, v14
	v_fma_f32 v22, v24, v22, v15
	v_fma_f32 v22, v24, v22, 0.5
	v_mul_f32_e32 v22, v24, v22
	v_cmp_eq_f32_e32 vcc, s27, v23
	v_fmac_f32_e32 v24, v24, v22
	v_cndmask_b32_e32 v22, v25, v16, vcc
	v_ldexp_f32 v22, 1.0, v22
	v_add_f32_e32 v23, -1.0, v22
	v_fmac_f32_e32 v23, v22, v24
	v_add_f32_e32 v22, v23, v23
	v_cndmask_b32_e32 v22, v23, v22, vcc
	v_cmp_nlt_f32_e32 vcc, s29, v21
	v_cndmask_b32_e32 v21, v17, v22, vcc
	v_cvt_f16_f32_e32 v21, v21
	v_cmp_ngt_f16_e32 vcc, s30, v20
	v_cndmask_b32_e32 v22, v18, v21, vcc
	v_mov_b32_e32 v21, s26
	v_add_co_u32_e32 v20, vcc, s25, v2
	v_addc_co_u32_e32 v21, vcc, v3, v21, vcc
	global_store_short v[20:21], v22, off
	s_branch .LBB152_3
.LBB152_20:
	s_cbranch_execz .LBB152_22
	s_branch .LBB152_25
.LBB152_21:
.LBB152_22:
	v_mov_b32_e32 v3, 0
	v_lshlrev_b32_e32 v2, 2, v0
	s_mov_b32 s0, 0
	v_cmp_gt_i64_e32 vcc, s[10:11], v[2:3]
	s_and_saveexec_b64 s[2:3], vcc
	s_cbranch_execz .LBB152_25
; %bb.23:
	s_load_dword s1, s[4:5], 0xd3c
	v_lshlrev_b32_e32 v1, 3, v0
	s_mov_b64 s[6:7], 0
	s_mov_b32 s8, 0x3fb8aa3b
	v_mov_b32_e32 v6, 0x7f
	s_waitcnt lgkmcnt(0)
	s_and_b32 s1, s1, 0xffff
	s_add_u32 s2, s12, s14
	s_addc_u32 s3, s13, s15
	v_mov_b32_e32 v2, s3
	v_add_co_u32_e32 v4, vcc, s2, v1
	s_mov_b32 s2, 0x3ab69700
	v_addc_co_u32_e32 v5, vcc, 0, v2, vcc
	s_lshl_b32 s9, s1, 3
	v_add_lshl_u32 v2, v0, s1, 2
	s_lshl_b32 s13, s1, 2
	s_mov_b32 s12, 0xbf317218
	s_mov_b32 s14, 0x3102e308
	;; [unrolled: 1-line block ×4, first 2 shown]
	v_pk_mov_b32 v[0:1], s[2:3], s[2:3] op_sel:[0,1]
	s_mov_b32 s18, 0x3c0887f9
	s_mov_b32 s20, 0x3d2aaa81
	;; [unrolled: 1-line block ×4, first 2 shown]
	v_mov_b32_e32 v7, 0x7f800000
	s_mov_b32 s19, 0xcc40
	v_mov_b32_e32 v8, 0xbc00
	s_mov_b64 s[24:25], 0xffff
	v_mov_b32_e32 v9, s0
	v_mov_b32_e32 v10, s0
.LBB152_24:                             ; =>This Inner Loop Header: Depth=1
	global_load_dwordx2 v[12:13], v[4:5], off
	v_cmp_le_i64_e32 vcc, s[10:11], v[2:3]
	v_cmp_lt_u64_e64 s[0:1], s[24:25], v[2:3]
	s_or_b64 s[0:1], vcc, s[0:1]
	s_and_b64 s[0:1], exec, s[0:1]
	s_or_b64 s[6:7], s[0:1], s[6:7]
	s_waitcnt vmcnt(0)
	v_cvt_f32_f16_sdwa v15, v12 dst_sel:DWORD dst_unused:UNUSED_PAD src0_sel:WORD_1
	v_cvt_f32_f16_sdwa v17, v13 dst_sel:DWORD dst_unused:UNUSED_PAD src0_sel:WORD_1
	v_cvt_f32_f16_e32 v16, v13
	v_cvt_f32_f16_e32 v14, v12
	v_pk_mul_f32 v[18:19], v[16:17], s[8:9] op_sel_hi:[1,0]
	v_pk_mul_f32 v[20:21], v[14:15], s[8:9] op_sel_hi:[1,0]
	v_rndne_f32_e32 v21, v21
	v_rndne_f32_e32 v20, v20
	;; [unrolled: 1-line block ×4, first 2 shown]
	v_pk_fma_f32 v[22:23], v[18:19], s[12:13], v[16:17] op_sel_hi:[1,0,1]
	v_pk_fma_f32 v[24:25], v[20:21], s[12:13], v[14:15] op_sel_hi:[1,0,1]
	;; [unrolled: 1-line block ×4, first 2 shown]
	v_cvt_i32_f32_e32 v11, v20
	v_cvt_i32_f32_e32 v30, v21
	;; [unrolled: 1-line block ×4, first 2 shown]
	v_pk_fma_f32 v[26:27], v[22:23], s[16:17], v[0:1] op_sel_hi:[1,0,0]
	v_pk_fma_f32 v[28:29], v[24:25], s[16:17], v[0:1] op_sel_hi:[1,0,0]
	;; [unrolled: 1-line block ×4, first 2 shown]
	v_cmp_eq_f32_e32 vcc, s15, v20
	v_cmp_eq_f32_e64 s[0:1], s15, v21
	v_pk_fma_f32 v[20:21], v[22:23], v[26:27], s[20:21] op_sel_hi:[1,1,0]
	v_pk_fma_f32 v[26:27], v[24:25], v[28:29], s[20:21] op_sel_hi:[1,1,0]
	v_cmp_eq_f32_e64 s[2:3], s15, v18
	v_cmp_eq_f32_e64 s[4:5], s15, v19
	v_pk_fma_f32 v[26:27], v[24:25], v[26:27], s[22:23] op_sel_hi:[1,1,0]
	v_pk_fma_f32 v[20:21], v[22:23], v[20:21], s[22:23] op_sel_hi:[1,1,0]
	v_cndmask_b32_e32 v11, v11, v6, vcc
	v_cndmask_b32_e64 v30, v30, v6, s[0:1]
	v_cndmask_b32_e64 v31, v31, v6, s[2:3]
	;; [unrolled: 1-line block ×3, first 2 shown]
	v_pk_fma_f32 v[20:21], v[22:23], v[20:21], 0.5 op_sel_hi:[1,1,0]
	v_pk_fma_f32 v[26:27], v[24:25], v[26:27], 0.5 op_sel_hi:[1,1,0]
	v_ldexp_f32 v18, 1.0, v11
	v_ldexp_f32 v19, 1.0, v30
	;; [unrolled: 1-line block ×4, first 2 shown]
	v_pk_mul_f32 v[26:27], v[24:25], v[26:27]
	v_pk_mul_f32 v[20:21], v[22:23], v[20:21]
	v_pk_add_f32 v[30:31], -1.0, v[28:29] op_sel_hi:[0,1]
	v_pk_add_f32 v[32:33], -1.0, v[18:19] op_sel_hi:[0,1]
	v_pk_fma_f32 v[20:21], v[22:23], v[20:21], v[22:23]
	v_pk_fma_f32 v[22:23], v[24:25], v[26:27], v[24:25]
	;; [unrolled: 1-line block ×4, first 2 shown]
	v_pk_add_f32 v[22:23], v[20:21], v[20:21]
	v_pk_add_f32 v[24:25], v[18:19], v[18:19]
	v_cndmask_b32_e32 v11, v18, v24, vcc
	v_cndmask_b32_e64 v18, v19, v25, s[0:1]
	v_cndmask_b32_e64 v19, v20, v22, s[2:3]
	;; [unrolled: 1-line block ×3, first 2 shown]
	v_cmp_nlt_f32_e32 vcc, s17, v17
	v_cndmask_b32_e32 v17, v7, v20, vcc
	v_cmp_nlt_f32_e32 vcc, s17, v16
	v_cndmask_b32_e32 v16, v7, v19, vcc
	;; [unrolled: 2-line block ×3, first 2 shown]
	v_cmp_nlt_f32_e32 vcc, s17, v14
	v_cvt_f16_f32_e32 v14, v17
	v_cvt_f16_f32_e32 v16, v16
	v_cndmask_b32_e32 v11, v7, v11, vcc
	v_cvt_f16_f32_e32 v15, v15
	v_cvt_f16_f32_e32 v11, v11
	v_cmp_nlt_f16_sdwa vcc, v13, s19 src0_sel:WORD_1 src1_sel:DWORD
	v_cndmask_b32_e32 v14, v8, v14, vcc
	v_cmp_ngt_f16_e32 vcc, s19, v13
	v_cndmask_b32_e32 v13, v8, v16, vcc
	v_cmp_nlt_f16_sdwa vcc, v12, s19 src0_sel:WORD_1 src1_sel:DWORD
	v_cndmask_b32_e32 v15, v8, v15, vcc
	v_cmp_ngt_f16_e32 vcc, s19, v12
	v_cndmask_b32_e32 v11, v8, v11, vcc
	v_pack_b32_f16 v13, v13, v14
	v_pack_b32_f16 v12, v11, v15
	global_store_dwordx2 v[4:5], v[12:13], off
	v_add_co_u32_e32 v4, vcc, s9, v4
	v_addc_co_u32_e32 v5, vcc, v5, v9, vcc
	v_add_co_u32_e32 v2, vcc, s13, v2
	v_addc_co_u32_e32 v3, vcc, v3, v10, vcc
	s_andn2_b64 exec, exec, s[6:7]
	s_cbranch_execnz .LBB152_24
.LBB152_25:
	s_endpgm
	.section	.rodata,"a",@progbits
	.p2align	6, 0x0
	.amdhsa_kernel _ZN2at6native12_GLOBAL__N_125multi_tensor_apply_kernelINS1_18TensorListMetadataILi1EEENS1_14UnaryOpFunctorIN3c104HalfELi1ELi1ELi0EEEJNS0_5Expm1IfEEEEEvT_T0_DpT1_
		.amdhsa_group_segment_fixed_size 0
		.amdhsa_private_segment_fixed_size 0
		.amdhsa_kernarg_size 3632
		.amdhsa_user_sgpr_count 6
		.amdhsa_user_sgpr_private_segment_buffer 1
		.amdhsa_user_sgpr_dispatch_ptr 0
		.amdhsa_user_sgpr_queue_ptr 0
		.amdhsa_user_sgpr_kernarg_segment_ptr 1
		.amdhsa_user_sgpr_dispatch_id 0
		.amdhsa_user_sgpr_flat_scratch_init 0
		.amdhsa_user_sgpr_kernarg_preload_length 0
		.amdhsa_user_sgpr_kernarg_preload_offset 0
		.amdhsa_user_sgpr_private_segment_size 0
		.amdhsa_uses_dynamic_stack 0
		.amdhsa_system_sgpr_private_segment_wavefront_offset 0
		.amdhsa_system_sgpr_workgroup_id_x 1
		.amdhsa_system_sgpr_workgroup_id_y 0
		.amdhsa_system_sgpr_workgroup_id_z 0
		.amdhsa_system_sgpr_workgroup_info 0
		.amdhsa_system_vgpr_workitem_id 0
		.amdhsa_next_free_vgpr 34
		.amdhsa_next_free_sgpr 31
		.amdhsa_accum_offset 36
		.amdhsa_reserve_vcc 1
		.amdhsa_reserve_flat_scratch 0
		.amdhsa_float_round_mode_32 0
		.amdhsa_float_round_mode_16_64 0
		.amdhsa_float_denorm_mode_32 3
		.amdhsa_float_denorm_mode_16_64 3
		.amdhsa_dx10_clamp 1
		.amdhsa_ieee_mode 1
		.amdhsa_fp16_overflow 0
		.amdhsa_tg_split 0
		.amdhsa_exception_fp_ieee_invalid_op 0
		.amdhsa_exception_fp_denorm_src 0
		.amdhsa_exception_fp_ieee_div_zero 0
		.amdhsa_exception_fp_ieee_overflow 0
		.amdhsa_exception_fp_ieee_underflow 0
		.amdhsa_exception_fp_ieee_inexact 0
		.amdhsa_exception_int_div_zero 0
	.end_amdhsa_kernel
	.section	.text._ZN2at6native12_GLOBAL__N_125multi_tensor_apply_kernelINS1_18TensorListMetadataILi1EEENS1_14UnaryOpFunctorIN3c104HalfELi1ELi1ELi0EEEJNS0_5Expm1IfEEEEEvT_T0_DpT1_,"axG",@progbits,_ZN2at6native12_GLOBAL__N_125multi_tensor_apply_kernelINS1_18TensorListMetadataILi1EEENS1_14UnaryOpFunctorIN3c104HalfELi1ELi1ELi0EEEJNS0_5Expm1IfEEEEEvT_T0_DpT1_,comdat
.Lfunc_end152:
	.size	_ZN2at6native12_GLOBAL__N_125multi_tensor_apply_kernelINS1_18TensorListMetadataILi1EEENS1_14UnaryOpFunctorIN3c104HalfELi1ELi1ELi0EEEJNS0_5Expm1IfEEEEEvT_T0_DpT1_, .Lfunc_end152-_ZN2at6native12_GLOBAL__N_125multi_tensor_apply_kernelINS1_18TensorListMetadataILi1EEENS1_14UnaryOpFunctorIN3c104HalfELi1ELi1ELi0EEEJNS0_5Expm1IfEEEEEvT_T0_DpT1_
                                        ; -- End function
	.section	.AMDGPU.csdata,"",@progbits
; Kernel info:
; codeLenInByte = 2296
; NumSgprs: 35
; NumVgprs: 34
; NumAgprs: 0
; TotalNumVgprs: 34
; ScratchSize: 0
; MemoryBound: 0
; FloatMode: 240
; IeeeMode: 1
; LDSByteSize: 0 bytes/workgroup (compile time only)
; SGPRBlocks: 4
; VGPRBlocks: 4
; NumSGPRsForWavesPerEU: 35
; NumVGPRsForWavesPerEU: 34
; AccumOffset: 36
; Occupancy: 8
; WaveLimiterHint : 0
; COMPUTE_PGM_RSRC2:SCRATCH_EN: 0
; COMPUTE_PGM_RSRC2:USER_SGPR: 6
; COMPUTE_PGM_RSRC2:TRAP_HANDLER: 0
; COMPUTE_PGM_RSRC2:TGID_X_EN: 1
; COMPUTE_PGM_RSRC2:TGID_Y_EN: 0
; COMPUTE_PGM_RSRC2:TGID_Z_EN: 0
; COMPUTE_PGM_RSRC2:TIDIG_COMP_CNT: 0
; COMPUTE_PGM_RSRC3_GFX90A:ACCUM_OFFSET: 8
; COMPUTE_PGM_RSRC3_GFX90A:TG_SPLIT: 0
	.section	.text._ZN2at6native12_GLOBAL__N_125multi_tensor_apply_kernelINS1_18TensorListMetadataILi1EEENS1_14UnaryOpFunctorIN3c108BFloat16ELi1ELi1ELi0EEEJNS0_5Expm1IfEEEEEvT_T0_DpT1_,"axG",@progbits,_ZN2at6native12_GLOBAL__N_125multi_tensor_apply_kernelINS1_18TensorListMetadataILi1EEENS1_14UnaryOpFunctorIN3c108BFloat16ELi1ELi1ELi0EEEJNS0_5Expm1IfEEEEEvT_T0_DpT1_,comdat
	.globl	_ZN2at6native12_GLOBAL__N_125multi_tensor_apply_kernelINS1_18TensorListMetadataILi1EEENS1_14UnaryOpFunctorIN3c108BFloat16ELi1ELi1ELi0EEEJNS0_5Expm1IfEEEEEvT_T0_DpT1_ ; -- Begin function _ZN2at6native12_GLOBAL__N_125multi_tensor_apply_kernelINS1_18TensorListMetadataILi1EEENS1_14UnaryOpFunctorIN3c108BFloat16ELi1ELi1ELi0EEEJNS0_5Expm1IfEEEEEvT_T0_DpT1_
	.p2align	8
	.type	_ZN2at6native12_GLOBAL__N_125multi_tensor_apply_kernelINS1_18TensorListMetadataILi1EEENS1_14UnaryOpFunctorIN3c108BFloat16ELi1ELi1ELi0EEEJNS0_5Expm1IfEEEEEvT_T0_DpT1_,@function
_ZN2at6native12_GLOBAL__N_125multi_tensor_apply_kernelINS1_18TensorListMetadataILi1EEENS1_14UnaryOpFunctorIN3c108BFloat16ELi1ELi1ELi0EEEJNS0_5Expm1IfEEEEEvT_T0_DpT1_: ; @_ZN2at6native12_GLOBAL__N_125multi_tensor_apply_kernelINS1_18TensorListMetadataILi1EEENS1_14UnaryOpFunctorIN3c108BFloat16ELi1ELi1ELi0EEEJNS0_5Expm1IfEEEEEvT_T0_DpT1_
; %bb.0:
	v_mov_b32_e32 v1, s6
	global_load_ubyte v1, v1, s[4:5] offset:1760
	s_add_u32 s0, s4, s6
	s_mul_hi_u32 s1, s6, 3
	s_mul_i32 s6, s6, 3
	s_addc_u32 s2, s5, 0
	s_add_u32 s0, s0, s6
	s_addc_u32 s1, s2, s1
	s_load_dword s0, s[0:1], 0x820
	s_mov_b32 s7, 0
	s_waitcnt vmcnt(0)
	v_readfirstlane_b32 s2, v1
	s_lshl_b32 s1, s2, 3
	s_load_dwordx2 s[2:3], s[4:5], s1 offset:0x370
	s_load_dwordx2 s[12:13], s[4:5], s1 offset:0x0
	s_waitcnt lgkmcnt(0)
	s_ashr_i32 s1, s0, 31
	s_lshl_b64 s[14:15], s[0:1], 17
	s_lshl_b64 s[0:1], s[0:1], 16
	s_and_b32 s6, s12, 7
	s_sub_u32 s10, s2, s0
	s_subb_u32 s11, s3, s1
	s_and_b32 s0, s2, 3
	s_mov_b32 s1, s7
	s_or_b64 s[0:1], s[6:7], s[0:1]
	s_cmp_eq_u64 s[0:1], 0
	s_cbranch_scc1 .LBB153_21
; %bb.1:
	v_cmp_lt_i64_e64 s[0:1], s[10:11], 1
	s_and_b64 vcc, exec, s[0:1]
	s_cbranch_vccnz .LBB153_20
; %bb.2:
	s_load_dword s0, s[4:5], 0xd3c
	v_mov_b32_e32 v2, 0x10000
	v_mov_b32_e32 v3, 0
	v_cmp_lt_u64_e32 vcc, s[10:11], v[2:3]
	v_lshlrev_b32_e32 v1, 1, v0
	s_waitcnt lgkmcnt(0)
	s_and_b32 s2, s0, 0xffff
	s_and_b64 s[0:1], vcc, exec
	s_cselect_b32 s17, s11, 0
	s_cselect_b32 s16, s10, 0x10000
	s_lshl_b32 s3, s2, 1
	s_lshl_b32 s23, s2, 2
	s_add_u32 s6, s12, s14
	s_addc_u32 s7, s13, s15
	v_mov_b32_e32 v3, s7
	v_add_co_u32_e32 v2, vcc, s6, v1
	s_mul_i32 s0, s2, 3
	v_addc_co_u32_e32 v3, vcc, 0, v3, vcc
	v_add_co_u32_e32 v1, vcc, s0, v0
	v_addc_co_u32_e64 v8, s[0:1], 0, 0, vcc
	v_add_co_u32_e32 v9, vcc, s3, v0
	v_addc_co_u32_e64 v10, s[0:1], 0, 0, vcc
	v_add_co_u32_e32 v11, vcc, s2, v0
	v_lshlrev_b32_e32 v4, 1, v11
	s_mov_b32 s22, 0
	v_addc_co_u32_e64 v12, s[0:1], 0, 0, vcc
	v_mov_b32_e32 v5, s7
	v_add_co_u32_e32 v4, vcc, s6, v4
	s_lshl_b32 s24, s2, 3
	s_mul_i32 s25, s2, 6
	s_mov_b32 s26, s22
	v_addc_co_u32_e32 v5, vcc, 0, v5, vcc
	s_mov_b64 s[18:19], 0
	s_mov_b32 s27, 0x43000000
	v_mov_b32_e32 v13, 0x3c0887f9
	v_mov_b32_e32 v14, 0x3d2aaa81
	;; [unrolled: 1-line block ×3, first 2 shown]
	s_mov_b32 s28, 0x42b17217
	s_mov_b32 s29, 0xc1880000
	s_movk_i32 s30, 0x7fff
	v_mov_b32_e32 v16, 0x7f
	v_mov_b32_e32 v17, 0x7f800000
	;; [unrolled: 1-line block ×3, first 2 shown]
	v_pk_mov_b32 v[6:7], s[10:11], s[10:11] op_sel:[0,1]
	v_mov_b32_e32 v19, s22
	s_branch .LBB153_4
.LBB153_3:                              ;   in Loop: Header=BB153_4 Depth=1
	s_or_b64 exec, exec, s[0:1]
	s_add_u32 s18, s18, s23
	s_waitcnt vmcnt(0)
	v_mov_b32_e32 v20, 0x10000
	s_addc_u32 s19, s19, 0
	v_mov_b32_e32 v21, 0
	v_cmp_lt_i64_e32 vcc, s[18:19], v[6:7]
	v_cmp_lt_u64_e64 s[0:1], s[18:19], v[20:21]
	s_and_b64 s[0:1], vcc, s[0:1]
	v_add_co_u32_e32 v2, vcc, s24, v2
	v_addc_co_u32_e32 v3, vcc, v3, v19, vcc
	v_add_co_u32_e32 v4, vcc, s24, v4
	v_addc_co_u32_e32 v5, vcc, v5, v19, vcc
	s_and_b64 vcc, exec, s[0:1]
	s_cbranch_vccz .LBB153_20
.LBB153_4:                              ; =>This Inner Loop Header: Depth=1
	v_mov_b32_e32 v21, s19
	v_add_co_u32_e32 v20, vcc, s18, v0
	v_addc_co_u32_e32 v21, vcc, 0, v21, vcc
	v_cmp_gt_u64_e64 s[6:7], s[16:17], v[20:21]
	v_mov_b32_e32 v23, 0
	s_and_saveexec_b64 s[0:1], s[6:7]
	s_cbranch_execz .LBB153_6
; %bb.5:                                ;   in Loop: Header=BB153_4 Depth=1
	global_load_ushort v23, v[2:3], off
.LBB153_6:                              ;   in Loop: Header=BB153_4 Depth=1
	s_or_b64 exec, exec, s[0:1]
	v_mov_b32_e32 v21, s19
	v_add_co_u32_e32 v20, vcc, s18, v11
	v_addc_co_u32_e32 v21, vcc, v12, v21, vcc
	v_cmp_gt_u64_e64 s[2:3], s[16:17], v[20:21]
	v_mov_b32_e32 v22, 0
	s_and_saveexec_b64 s[0:1], s[2:3]
	s_cbranch_execz .LBB153_8
; %bb.7:                                ;   in Loop: Header=BB153_4 Depth=1
	global_load_ushort v22, v[4:5], off
.LBB153_8:                              ;   in Loop: Header=BB153_4 Depth=1
	s_or_b64 exec, exec, s[0:1]
	v_mov_b32_e32 v21, s19
	v_add_co_u32_e32 v20, vcc, s18, v9
	v_addc_co_u32_e32 v21, vcc, v10, v21, vcc
	v_cmp_gt_u64_e64 s[0:1], s[16:17], v[20:21]
	v_mov_b32_e32 v20, 0
	v_mov_b32_e32 v21, 0
	s_and_saveexec_b64 s[8:9], s[0:1]
	s_cbranch_execz .LBB153_10
; %bb.9:                                ;   in Loop: Header=BB153_4 Depth=1
	v_mov_b32_e32 v21, s22
	v_add_co_u32_e32 v24, vcc, s23, v2
	v_addc_co_u32_e32 v25, vcc, v3, v21, vcc
	global_load_ushort v21, v[24:25], off
.LBB153_10:                             ;   in Loop: Header=BB153_4 Depth=1
	s_or_b64 exec, exec, s[8:9]
	v_mov_b32_e32 v25, s19
	v_add_co_u32_e32 v24, vcc, s18, v1
	v_addc_co_u32_e32 v25, vcc, v8, v25, vcc
	v_cmp_gt_u64_e32 vcc, s[16:17], v[24:25]
	s_and_saveexec_b64 s[20:21], vcc
	s_cbranch_execnz .LBB153_15
; %bb.11:                               ;   in Loop: Header=BB153_4 Depth=1
	s_or_b64 exec, exec, s[20:21]
	s_and_saveexec_b64 s[8:9], s[6:7]
	s_cbranch_execnz .LBB153_16
.LBB153_12:                             ;   in Loop: Header=BB153_4 Depth=1
	s_or_b64 exec, exec, s[8:9]
	s_and_saveexec_b64 s[6:7], s[2:3]
	s_cbranch_execnz .LBB153_17
.LBB153_13:                             ;   in Loop: Header=BB153_4 Depth=1
	s_or_b64 exec, exec, s[6:7]
	s_and_saveexec_b64 s[2:3], s[0:1]
	s_cbranch_execnz .LBB153_18
.LBB153_14:                             ;   in Loop: Header=BB153_4 Depth=1
	s_or_b64 exec, exec, s[2:3]
	s_and_saveexec_b64 s[0:1], vcc
	s_cbranch_execz .LBB153_3
	s_branch .LBB153_19
.LBB153_15:                             ;   in Loop: Header=BB153_4 Depth=1
	v_mov_b32_e32 v20, s26
	v_add_co_u32_e64 v24, s[8:9], s25, v2
	v_addc_co_u32_e64 v25, s[8:9], v3, v20, s[8:9]
	global_load_ushort v20, v[24:25], off
	s_or_b64 exec, exec, s[20:21]
	s_and_saveexec_b64 s[8:9], s[6:7]
	s_cbranch_execz .LBB153_12
.LBB153_16:                             ;   in Loop: Header=BB153_4 Depth=1
	s_waitcnt vmcnt(0)
	v_lshlrev_b32_e32 v23, 16, v23
	v_mul_f32_e32 v24, 0x3fb8aa3b, v23
	v_rndne_f32_e32 v24, v24
	v_mov_b32_e32 v26, v23
	v_fmac_f32_e32 v26, 0xbf317218, v24
	v_cvt_i32_f32_e32 v25, v24
	v_cmp_eq_f32_e64 s[6:7], s27, v24
	v_fmac_f32_e32 v26, 0x3102e308, v24
	v_mov_b32_e32 v24, 0x3ab69700
	v_fmac_f32_e32 v24, 0x395133b1, v26
	v_fma_f32 v24, v26, v24, v13
	v_fma_f32 v24, v26, v24, v14
	;; [unrolled: 1-line block ×3, first 2 shown]
	v_cndmask_b32_e64 v25, v25, v16, s[6:7]
	v_fma_f32 v24, v26, v24, 0.5
	v_ldexp_f32 v25, 1.0, v25
	v_mul_f32_e32 v24, v26, v24
	v_fmac_f32_e32 v26, v26, v24
	v_add_f32_e32 v24, -1.0, v25
	v_fmac_f32_e32 v24, v25, v26
	v_add_f32_e32 v25, v24, v24
	v_cndmask_b32_e64 v24, v24, v25, s[6:7]
	v_cmp_nlt_f32_e64 s[6:7], s28, v23
	v_cndmask_b32_e64 v24, v17, v24, s[6:7]
	v_cmp_ngt_f32_e64 s[6:7], s29, v23
	v_cndmask_b32_e64 v23, -1.0, v24, s[6:7]
	v_bfe_u32 v24, v23, 16, 1
	v_add3_u32 v24, v23, v24, s30
	v_lshrrev_b32_e32 v24, 16, v24
	v_cmp_o_f32_e64 s[6:7], v23, v23
	v_cndmask_b32_e64 v23, v18, v24, s[6:7]
	global_store_short v[2:3], v23, off
	s_or_b64 exec, exec, s[8:9]
	s_and_saveexec_b64 s[6:7], s[2:3]
	s_cbranch_execz .LBB153_13
.LBB153_17:                             ;   in Loop: Header=BB153_4 Depth=1
	s_waitcnt vmcnt(0)
	v_lshlrev_b32_e32 v22, 16, v22
	v_mul_f32_e32 v23, 0x3fb8aa3b, v22
	v_rndne_f32_e32 v23, v23
	v_mov_b32_e32 v24, v22
	v_fmac_f32_e32 v24, 0xbf317218, v23
	v_fmac_f32_e32 v24, 0x3102e308, v23
	v_mov_b32_e32 v25, 0x3ab69700
	v_fmac_f32_e32 v25, 0x395133b1, v24
	v_cvt_i32_f32_e32 v26, v23
	v_fma_f32 v25, v24, v25, v13
	v_fma_f32 v25, v24, v25, v14
	;; [unrolled: 1-line block ×3, first 2 shown]
	v_cmp_eq_f32_e64 s[2:3], s27, v23
	v_fma_f32 v25, v24, v25, 0.5
	v_cndmask_b32_e64 v23, v26, v16, s[2:3]
	v_mul_f32_e32 v25, v24, v25
	v_ldexp_f32 v23, 1.0, v23
	v_fmac_f32_e32 v24, v24, v25
	v_add_f32_e32 v25, -1.0, v23
	v_fmac_f32_e32 v25, v23, v24
	v_add_f32_e32 v23, v25, v25
	v_cndmask_b32_e64 v23, v25, v23, s[2:3]
	v_cmp_nlt_f32_e64 s[2:3], s28, v22
	v_cndmask_b32_e64 v23, v17, v23, s[2:3]
	v_cmp_ngt_f32_e64 s[2:3], s29, v22
	v_cndmask_b32_e64 v22, -1.0, v23, s[2:3]
	v_bfe_u32 v23, v22, 16, 1
	v_add3_u32 v23, v22, v23, s30
	v_lshrrev_b32_e32 v23, 16, v23
	v_cmp_o_f32_e64 s[2:3], v22, v22
	v_cndmask_b32_e64 v22, v18, v23, s[2:3]
	global_store_short v[4:5], v22, off
	s_or_b64 exec, exec, s[6:7]
	s_and_saveexec_b64 s[2:3], s[0:1]
	s_cbranch_execz .LBB153_14
.LBB153_18:                             ;   in Loop: Header=BB153_4 Depth=1
	s_waitcnt vmcnt(0)
	v_lshlrev_b32_e32 v21, 16, v21
	v_mul_f32_e32 v22, 0x3fb8aa3b, v21
	v_rndne_f32_e32 v22, v22
	v_mov_b32_e32 v23, v21
	v_fmac_f32_e32 v23, 0xbf317218, v22
	v_fmac_f32_e32 v23, 0x3102e308, v22
	v_mov_b32_e32 v24, 0x3ab69700
	v_fmac_f32_e32 v24, 0x395133b1, v23
	v_cvt_i32_f32_e32 v25, v22
	v_fma_f32 v24, v23, v24, v13
	v_fma_f32 v24, v23, v24, v14
	;; [unrolled: 1-line block ×3, first 2 shown]
	v_cmp_eq_f32_e64 s[0:1], s27, v22
	v_fma_f32 v24, v23, v24, 0.5
	v_cndmask_b32_e64 v22, v25, v16, s[0:1]
	v_mul_f32_e32 v24, v23, v24
	v_ldexp_f32 v22, 1.0, v22
	v_fmac_f32_e32 v23, v23, v24
	v_add_f32_e32 v24, -1.0, v22
	v_fmac_f32_e32 v24, v22, v23
	v_add_f32_e32 v22, v24, v24
	v_cndmask_b32_e64 v22, v24, v22, s[0:1]
	v_cmp_nlt_f32_e64 s[0:1], s28, v21
	v_cndmask_b32_e64 v22, v17, v22, s[0:1]
	v_cmp_ngt_f32_e64 s[0:1], s29, v21
	v_cndmask_b32_e64 v21, -1.0, v22, s[0:1]
	v_bfe_u32 v22, v21, 16, 1
	v_add3_u32 v22, v21, v22, s30
	v_lshrrev_b32_e32 v22, 16, v22
	v_cmp_o_f32_e64 s[0:1], v21, v21
	v_cndmask_b32_e64 v21, v18, v22, s[0:1]
	v_mov_b32_e32 v23, s22
	v_add_co_u32_e64 v22, s[0:1], s23, v2
	v_addc_co_u32_e64 v23, s[0:1], v3, v23, s[0:1]
	global_store_short v[22:23], v21, off
	s_or_b64 exec, exec, s[2:3]
	s_and_saveexec_b64 s[0:1], vcc
	s_cbranch_execz .LBB153_3
.LBB153_19:                             ;   in Loop: Header=BB153_4 Depth=1
	s_waitcnt vmcnt(0)
	v_lshlrev_b32_e32 v20, 16, v20
	v_mul_f32_e32 v21, 0x3fb8aa3b, v20
	v_rndne_f32_e32 v21, v21
	v_mov_b32_e32 v22, v20
	v_fmac_f32_e32 v22, 0xbf317218, v21
	v_fmac_f32_e32 v22, 0x3102e308, v21
	v_mov_b32_e32 v23, 0x3ab69700
	v_fmac_f32_e32 v23, 0x395133b1, v22
	v_cvt_i32_f32_e32 v24, v21
	v_fma_f32 v23, v22, v23, v13
	v_fma_f32 v23, v22, v23, v14
	;; [unrolled: 1-line block ×3, first 2 shown]
	v_cmp_eq_f32_e32 vcc, s27, v21
	v_fma_f32 v23, v22, v23, 0.5
	v_cndmask_b32_e32 v21, v24, v16, vcc
	v_mul_f32_e32 v23, v22, v23
	v_ldexp_f32 v21, 1.0, v21
	v_fmac_f32_e32 v22, v22, v23
	v_add_f32_e32 v23, -1.0, v21
	v_fmac_f32_e32 v23, v21, v22
	v_add_f32_e32 v21, v23, v23
	v_cndmask_b32_e32 v21, v23, v21, vcc
	v_cmp_nlt_f32_e32 vcc, s28, v20
	v_cndmask_b32_e32 v21, v17, v21, vcc
	v_cmp_ngt_f32_e32 vcc, s29, v20
	v_cndmask_b32_e32 v20, -1.0, v21, vcc
	v_bfe_u32 v21, v20, 16, 1
	v_add3_u32 v21, v20, v21, s30
	v_lshrrev_b32_e32 v21, 16, v21
	v_cmp_o_f32_e32 vcc, v20, v20
	v_cndmask_b32_e32 v22, v18, v21, vcc
	v_mov_b32_e32 v21, s26
	v_add_co_u32_e32 v20, vcc, s25, v2
	v_addc_co_u32_e32 v21, vcc, v3, v21, vcc
	global_store_short v[20:21], v22, off
	s_branch .LBB153_3
.LBB153_20:
	s_cbranch_execz .LBB153_22
	s_branch .LBB153_25
.LBB153_21:
.LBB153_22:
	v_mov_b32_e32 v3, 0
	v_lshlrev_b32_e32 v2, 2, v0
	s_mov_b32 s0, 0
	v_cmp_gt_i64_e32 vcc, s[10:11], v[2:3]
	s_and_saveexec_b64 s[2:3], vcc
	s_cbranch_execz .LBB153_25
; %bb.23:
	s_load_dword s1, s[4:5], 0xd3c
	v_lshlrev_b32_e32 v1, 3, v0
	s_mov_b64 s[6:7], 0
	s_mov_b32 s8, 0x3fb8aa3b
	v_mov_b32_e32 v6, 0x7f
	s_waitcnt lgkmcnt(0)
	s_and_b32 s1, s1, 0xffff
	s_add_u32 s2, s12, s14
	s_addc_u32 s3, s13, s15
	v_mov_b32_e32 v2, s3
	v_add_co_u32_e32 v4, vcc, s2, v1
	s_mov_b32 s2, 0x3ab69700
	v_addc_co_u32_e32 v5, vcc, 0, v2, vcc
	s_lshl_b32 s9, s1, 3
	v_add_lshl_u32 v2, v0, s1, 2
	s_lshl_b32 s13, s1, 2
	s_mov_b32 s12, 0xbf317218
	s_mov_b32 s14, 0x3102e308
	s_mov_b32 s15, 0x43000000
	s_mov_b32 s16, 0x395133b1
	v_pk_mov_b32 v[0:1], s[2:3], s[2:3] op_sel:[0,1]
	s_mov_b32 s18, 0x3c0887f9
	s_mov_b32 s20, 0x3d2aaa81
	;; [unrolled: 1-line block ×4, first 2 shown]
	v_mov_b32_e32 v7, 0x7f800000
	s_mov_b32 s19, 0xc1880000
	s_movk_i32 s21, 0x7fff
	v_mov_b32_e32 v8, 0x7fc0
	v_mov_b32_e32 v9, 0x7fc00000
	s_mov_b64 s[24:25], 0xffff
	v_mov_b32_e32 v10, s0
	v_mov_b32_e32 v11, s0
.LBB153_24:                             ; =>This Inner Loop Header: Depth=1
	global_load_dwordx2 v[12:13], v[4:5], off
	v_cmp_le_i64_e32 vcc, s[10:11], v[2:3]
	v_cmp_lt_u64_e64 s[0:1], s[24:25], v[2:3]
	s_or_b64 s[0:1], vcc, s[0:1]
	s_and_b64 s[0:1], exec, s[0:1]
	s_or_b64 s[6:7], s[0:1], s[6:7]
	s_waitcnt vmcnt(0)
	v_alignbit_b32 v16, v13, v12, 16
	v_lshlrev_b32_e32 v14, 16, v12
	v_and_b32_e32 v15, 0xffff0000, v12
	v_and_b32_e32 v13, 0xffff0000, v13
	;; [unrolled: 1-line block ×3, first 2 shown]
	v_pk_mul_f32 v[16:17], v[14:15], s[8:9] op_sel_hi:[1,0]
	v_pk_mul_f32 v[18:19], v[12:13], s[8:9] op_sel_hi:[1,0]
	v_rndne_f32_e32 v17, v17
	v_rndne_f32_e32 v16, v16
	;; [unrolled: 1-line block ×4, first 2 shown]
	v_pk_fma_f32 v[20:21], v[16:17], s[12:13], v[14:15] op_sel_hi:[1,0,1]
	v_pk_fma_f32 v[22:23], v[18:19], s[12:13], v[12:13] op_sel_hi:[1,0,1]
	;; [unrolled: 1-line block ×3, first 2 shown]
	v_cvt_i32_f32_e32 v28, v16
	v_cvt_i32_f32_e32 v29, v17
	v_pk_fma_f32 v[22:23], v[18:19], s[14:15], v[22:23] op_sel_hi:[1,0,1]
	v_pk_fma_f32 v[24:25], v[20:21], s[16:17], v[0:1] op_sel_hi:[1,0,0]
	v_cvt_i32_f32_e32 v30, v18
	v_cvt_i32_f32_e32 v31, v19
	v_pk_fma_f32 v[26:27], v[22:23], s[16:17], v[0:1] op_sel_hi:[1,0,0]
	v_pk_fma_f32 v[24:25], v[20:21], v[24:25], s[18:19] op_sel_hi:[1,1,0]
	v_cmp_eq_f32_e32 vcc, s15, v16
	v_cmp_eq_f32_e64 s[0:1], s15, v17
	v_pk_fma_f32 v[16:17], v[22:23], v[26:27], s[18:19] op_sel_hi:[1,1,0]
	v_pk_fma_f32 v[24:25], v[20:21], v[24:25], s[20:21] op_sel_hi:[1,1,0]
	;; [unrolled: 1-line block ×4, first 2 shown]
	v_cndmask_b32_e32 v28, v28, v6, vcc
	v_cndmask_b32_e64 v29, v29, v6, s[0:1]
	v_cmp_eq_f32_e64 s[2:3], s15, v18
	v_cmp_eq_f32_e64 s[4:5], s15, v19
	v_pk_fma_f32 v[16:17], v[22:23], v[16:17], s[22:23] op_sel_hi:[1,1,0]
	v_pk_fma_f32 v[24:25], v[20:21], v[24:25], 0.5 op_sel_hi:[1,1,0]
	v_ldexp_f32 v26, 1.0, v28
	v_ldexp_f32 v27, 1.0, v29
	v_cndmask_b32_e64 v18, v30, v6, s[2:3]
	v_cndmask_b32_e64 v19, v31, v6, s[4:5]
	v_pk_fma_f32 v[16:17], v[22:23], v[16:17], 0.5 op_sel_hi:[1,1,0]
	v_pk_mul_f32 v[24:25], v[20:21], v[24:25]
	v_ldexp_f32 v18, 1.0, v18
	v_ldexp_f32 v19, 1.0, v19
	v_pk_add_f32 v[28:29], -1.0, v[26:27] op_sel_hi:[0,1]
	v_pk_mul_f32 v[16:17], v[22:23], v[16:17]
	v_pk_fma_f32 v[20:21], v[20:21], v[24:25], v[20:21]
	v_pk_add_f32 v[30:31], -1.0, v[18:19] op_sel_hi:[0,1]
	v_pk_fma_f32 v[16:17], v[22:23], v[16:17], v[22:23]
	v_pk_fma_f32 v[20:21], v[26:27], v[20:21], v[28:29]
	;; [unrolled: 1-line block ×3, first 2 shown]
	v_pk_add_f32 v[18:19], v[20:21], v[20:21]
	v_cndmask_b32_e32 v18, v20, v18, vcc
	v_cmp_nlt_f32_e32 vcc, s17, v14
	v_pk_add_f32 v[22:23], v[16:17], v[16:17]
	v_cndmask_b32_e64 v19, v21, v19, s[0:1]
	v_cndmask_b32_e32 v18, v7, v18, vcc
	v_cmp_nlt_f32_e32 vcc, s17, v15
	v_cndmask_b32_e64 v16, v16, v22, s[2:3]
	v_cndmask_b32_e32 v19, v7, v19, vcc
	v_cmp_nlt_f32_e32 vcc, s17, v12
	;; [unrolled: 3-line block ×3, first 2 shown]
	v_cndmask_b32_e32 v17, v7, v17, vcc
	v_cmp_ngt_f32_e32 vcc, s19, v15
	v_cndmask_b32_e32 v15, -1.0, v19, vcc
	v_cmp_ngt_f32_e32 vcc, s19, v14
	v_cndmask_b32_e32 v14, -1.0, v18, vcc
	;; [unrolled: 2-line block ×4, first 2 shown]
	v_bfe_u32 v16, v14, 16, 1
	v_bfe_u32 v17, v15, 16, 1
	v_add3_u32 v16, v14, v16, s21
	v_add3_u32 v17, v15, v17, s21
	v_bfe_u32 v18, v12, 16, 1
	v_lshrrev_b32_e32 v16, 16, v16
	v_cmp_o_f32_e32 vcc, v14, v14
	v_bfe_u32 v19, v13, 16, 1
	v_and_b32_e32 v17, 0xffff0000, v17
	v_add3_u32 v18, v12, v18, s21
	v_cndmask_b32_e32 v14, v8, v16, vcc
	v_cmp_o_f32_e32 vcc, v15, v15
	v_add3_u32 v19, v13, v19, s21
	v_lshrrev_b32_e32 v18, 16, v18
	v_cndmask_b32_e32 v15, v9, v17, vcc
	v_cmp_o_f32_e32 vcc, v12, v12
	v_and_b32_e32 v19, 0xffff0000, v19
	v_cndmask_b32_e32 v16, v8, v18, vcc
	v_cmp_o_f32_e32 vcc, v13, v13
	v_cndmask_b32_e32 v13, v9, v19, vcc
	v_or3_b32 v12, v14, 0, v15
	v_or3_b32 v13, 0, v16, v13
	global_store_dwordx2 v[4:5], v[12:13], off
	v_add_co_u32_e32 v4, vcc, s9, v4
	v_addc_co_u32_e32 v5, vcc, v5, v10, vcc
	v_add_co_u32_e32 v2, vcc, s13, v2
	v_addc_co_u32_e32 v3, vcc, v3, v11, vcc
	s_andn2_b64 exec, exec, s[6:7]
	s_cbranch_execnz .LBB153_24
.LBB153_25:
	s_endpgm
	.section	.rodata,"a",@progbits
	.p2align	6, 0x0
	.amdhsa_kernel _ZN2at6native12_GLOBAL__N_125multi_tensor_apply_kernelINS1_18TensorListMetadataILi1EEENS1_14UnaryOpFunctorIN3c108BFloat16ELi1ELi1ELi0EEEJNS0_5Expm1IfEEEEEvT_T0_DpT1_
		.amdhsa_group_segment_fixed_size 0
		.amdhsa_private_segment_fixed_size 0
		.amdhsa_kernarg_size 3632
		.amdhsa_user_sgpr_count 6
		.amdhsa_user_sgpr_private_segment_buffer 1
		.amdhsa_user_sgpr_dispatch_ptr 0
		.amdhsa_user_sgpr_queue_ptr 0
		.amdhsa_user_sgpr_kernarg_segment_ptr 1
		.amdhsa_user_sgpr_dispatch_id 0
		.amdhsa_user_sgpr_flat_scratch_init 0
		.amdhsa_user_sgpr_kernarg_preload_length 0
		.amdhsa_user_sgpr_kernarg_preload_offset 0
		.amdhsa_user_sgpr_private_segment_size 0
		.amdhsa_uses_dynamic_stack 0
		.amdhsa_system_sgpr_private_segment_wavefront_offset 0
		.amdhsa_system_sgpr_workgroup_id_x 1
		.amdhsa_system_sgpr_workgroup_id_y 0
		.amdhsa_system_sgpr_workgroup_id_z 0
		.amdhsa_system_sgpr_workgroup_info 0
		.amdhsa_system_vgpr_workitem_id 0
		.amdhsa_next_free_vgpr 32
		.amdhsa_next_free_sgpr 31
		.amdhsa_accum_offset 32
		.amdhsa_reserve_vcc 1
		.amdhsa_reserve_flat_scratch 0
		.amdhsa_float_round_mode_32 0
		.amdhsa_float_round_mode_16_64 0
		.amdhsa_float_denorm_mode_32 3
		.amdhsa_float_denorm_mode_16_64 3
		.amdhsa_dx10_clamp 1
		.amdhsa_ieee_mode 1
		.amdhsa_fp16_overflow 0
		.amdhsa_tg_split 0
		.amdhsa_exception_fp_ieee_invalid_op 0
		.amdhsa_exception_fp_denorm_src 0
		.amdhsa_exception_fp_ieee_div_zero 0
		.amdhsa_exception_fp_ieee_overflow 0
		.amdhsa_exception_fp_ieee_underflow 0
		.amdhsa_exception_fp_ieee_inexact 0
		.amdhsa_exception_int_div_zero 0
	.end_amdhsa_kernel
	.section	.text._ZN2at6native12_GLOBAL__N_125multi_tensor_apply_kernelINS1_18TensorListMetadataILi1EEENS1_14UnaryOpFunctorIN3c108BFloat16ELi1ELi1ELi0EEEJNS0_5Expm1IfEEEEEvT_T0_DpT1_,"axG",@progbits,_ZN2at6native12_GLOBAL__N_125multi_tensor_apply_kernelINS1_18TensorListMetadataILi1EEENS1_14UnaryOpFunctorIN3c108BFloat16ELi1ELi1ELi0EEEJNS0_5Expm1IfEEEEEvT_T0_DpT1_,comdat
.Lfunc_end153:
	.size	_ZN2at6native12_GLOBAL__N_125multi_tensor_apply_kernelINS1_18TensorListMetadataILi1EEENS1_14UnaryOpFunctorIN3c108BFloat16ELi1ELi1ELi0EEEJNS0_5Expm1IfEEEEEvT_T0_DpT1_, .Lfunc_end153-_ZN2at6native12_GLOBAL__N_125multi_tensor_apply_kernelINS1_18TensorListMetadataILi1EEENS1_14UnaryOpFunctorIN3c108BFloat16ELi1ELi1ELi0EEEJNS0_5Expm1IfEEEEEvT_T0_DpT1_
                                        ; -- End function
	.section	.AMDGPU.csdata,"",@progbits
; Kernel info:
; codeLenInByte = 2548
; NumSgprs: 35
; NumVgprs: 32
; NumAgprs: 0
; TotalNumVgprs: 32
; ScratchSize: 0
; MemoryBound: 0
; FloatMode: 240
; IeeeMode: 1
; LDSByteSize: 0 bytes/workgroup (compile time only)
; SGPRBlocks: 4
; VGPRBlocks: 3
; NumSGPRsForWavesPerEU: 35
; NumVGPRsForWavesPerEU: 32
; AccumOffset: 32
; Occupancy: 8
; WaveLimiterHint : 0
; COMPUTE_PGM_RSRC2:SCRATCH_EN: 0
; COMPUTE_PGM_RSRC2:USER_SGPR: 6
; COMPUTE_PGM_RSRC2:TRAP_HANDLER: 0
; COMPUTE_PGM_RSRC2:TGID_X_EN: 1
; COMPUTE_PGM_RSRC2:TGID_Y_EN: 0
; COMPUTE_PGM_RSRC2:TGID_Z_EN: 0
; COMPUTE_PGM_RSRC2:TIDIG_COMP_CNT: 0
; COMPUTE_PGM_RSRC3_GFX90A:ACCUM_OFFSET: 7
; COMPUTE_PGM_RSRC3_GFX90A:TG_SPLIT: 0
	.section	.text._ZN2at6native12_GLOBAL__N_125multi_tensor_apply_kernelINS1_18TensorListMetadataILi2EEENS1_14UnaryOpFunctorIdLi2ELi1ELi1EEEJNS0_4TanhIdEEEEEvT_T0_DpT1_,"axG",@progbits,_ZN2at6native12_GLOBAL__N_125multi_tensor_apply_kernelINS1_18TensorListMetadataILi2EEENS1_14UnaryOpFunctorIdLi2ELi1ELi1EEEJNS0_4TanhIdEEEEEvT_T0_DpT1_,comdat
	.globl	_ZN2at6native12_GLOBAL__N_125multi_tensor_apply_kernelINS1_18TensorListMetadataILi2EEENS1_14UnaryOpFunctorIdLi2ELi1ELi1EEEJNS0_4TanhIdEEEEEvT_T0_DpT1_ ; -- Begin function _ZN2at6native12_GLOBAL__N_125multi_tensor_apply_kernelINS1_18TensorListMetadataILi2EEENS1_14UnaryOpFunctorIdLi2ELi1ELi1EEEJNS0_4TanhIdEEEEEvT_T0_DpT1_
	.p2align	8
	.type	_ZN2at6native12_GLOBAL__N_125multi_tensor_apply_kernelINS1_18TensorListMetadataILi2EEENS1_14UnaryOpFunctorIdLi2ELi1ELi1EEEJNS0_4TanhIdEEEEEvT_T0_DpT1_,@function
_ZN2at6native12_GLOBAL__N_125multi_tensor_apply_kernelINS1_18TensorListMetadataILi2EEENS1_14UnaryOpFunctorIdLi2ELi1ELi1EEEJNS0_4TanhIdEEEEEvT_T0_DpT1_: ; @_ZN2at6native12_GLOBAL__N_125multi_tensor_apply_kernelINS1_18TensorListMetadataILi2EEENS1_14UnaryOpFunctorIdLi2ELi1ELi1EEEJNS0_4TanhIdEEEEEvT_T0_DpT1_
; %bb.0:
	v_mov_b32_e32 v1, s6
	global_load_ubyte v1, v1, s[4:5] offset:1536
	s_add_u32 s0, s4, s6
	s_mul_hi_u32 s3, s6, 3
	s_mul_i32 s6, s6, 3
	s_addc_u32 s7, s5, 0
	s_add_u32 s2, s0, s6
	s_addc_u32 s3, s7, s3
	s_load_dword s14, s[2:3], 0x740
	s_mov_b32 s1, 0
	s_mov_b32 s13, s1
	;; [unrolled: 1-line block ×3, first 2 shown]
	s_waitcnt lgkmcnt(0)
	s_ashr_i32 s15, s14, 31
	s_lshl_b64 s[8:9], s[14:15], 19
	s_waitcnt vmcnt(0)
	v_readfirstlane_b32 s0, v1
	s_lshl_b32 s0, s0, 3
	s_load_dwordx2 s[6:7], s[4:5], s0 offset:0x0
	s_load_dwordx2 s[16:17], s[4:5], s0 offset:0x400
	s_load_dwordx2 s[2:3], s[4:5], s0 offset:0x200
	s_waitcnt lgkmcnt(0)
	s_add_u32 s33, s6, s8
	s_addc_u32 s50, s7, s9
	s_and_b32 s0, s33, 31
	s_add_u32 s51, s2, s8
	s_addc_u32 s52, s3, s9
	s_and_b32 s12, s16, 3
	s_and_b32 s10, s51, 31
	s_or_b64 s[12:13], s[0:1], s[12:13]
	s_or_b64 s[12:13], s[10:11], s[12:13]
	s_lshl_b64 s[10:11], s[14:15], 16
	s_sub_u32 s10, s16, s10
	s_subb_u32 s11, s17, s11
	s_cmp_eq_u64 s[12:13], 0
	s_mov_b64 s[12:13], -1
	s_cbranch_scc0 .LBB154_5
; %bb.1:
	v_mov_b32_e32 v11, 0
	v_lshlrev_b32_e32 v10, 2, v0
	v_cmp_gt_i64_e32 vcc, s[10:11], v[10:11]
	s_and_saveexec_b64 s[12:13], vcc
	s_cbranch_execz .LBB154_4
; %bb.2:
	s_load_dword s0, s[4:5], 0xc5c
	s_mov_b32 s26, 0xfca7ab0c
	s_mov_b32 s27, 0x3e928af3
	;; [unrolled: 1-line block ×4, first 2 shown]
	s_waitcnt lgkmcnt(0)
	s_and_b32 s0, s0, 0xffff
	s_mov_b32 s20, 0xf278e000
	s_mov_b32 s22, 0xf97b57a0
	s_mov_b32 s24, 0x6a5dcb37
	v_pk_mov_b32 v[14:15], s[26:27], s[26:27] op_sel:[0,1]
	s_mov_b32 s26, 0x623fde64
	s_mov_b32 s28, 0x7c89e6b0
	;; [unrolled: 1-line block ×10, first 2 shown]
	v_lshlrev_b32_e32 v12, 5, v0
	s_mov_b64 s[14:15], 0
	v_add_lshl_u32 v10, v0, s0, 2
	s_lshl_b32 s53, s0, 2
	s_lshl_b32 s54, s0, 5
	s_brev_b32 s55, -2
	s_mov_b32 s17, 0x3ff71547
	s_mov_b32 s19, 0xbfe62e42
	;; [unrolled: 1-line block ×14, first 2 shown]
	v_mov_b32_e32 v1, 0x3ff00000
	s_mov_b32 s47, 0x3e400000
	s_mov_b64 s[48:49], 0xffff
	v_mov_b32_e32 v13, s1
.LBB154_3:                              ; =>This Inner Loop Header: Depth=1
	v_add_co_u32_e32 v2, vcc, s33, v12
	v_mov_b32_e32 v3, s50
	v_addc_co_u32_e32 v3, vcc, 0, v3, vcc
	global_load_dwordx4 v[6:9], v[2:3], off offset:16
	s_nop 0
	global_load_dwordx4 v[2:5], v[2:3], off
	v_cmp_lt_u64_e64 s[0:1], s[48:49], v[10:11]
	s_waitcnt vmcnt(0)
	v_mul_f64 v[16:17], |v[2:3]|, s[16:17]
	v_rndne_f64_e32 v[16:17], v[16:17]
	v_fma_f64 v[18:19], v[16:17], s[18:19], |v[2:3]|
	v_add_f64 v[20:21], v[18:19], 0
	v_mul_f64 v[22:23], v[16:17], s[20:21]
	v_add_f64 v[24:25], v[20:21], -v[22:23]
	v_add_f64 v[18:19], v[18:19], -v[20:21]
	;; [unrolled: 1-line block ×3, first 2 shown]
	v_add_f64 v[18:19], v[18:19], 0
	v_add_f64 v[20:21], v[20:21], -v[22:23]
	v_add_f64 v[18:19], v[18:19], v[20:21]
	v_add_f64 v[20:21], v[24:25], v[18:19]
	v_add_f64 v[22:23], v[24:25], -v[20:21]
	v_add_f64 v[18:19], v[18:19], v[22:23]
	v_mul_f64 v[22:23], v[16:17], s[22:23]
	v_add_f64 v[24:25], v[20:21], -v[22:23]
	v_add_f64 v[20:21], v[20:21], -v[24:25]
	;; [unrolled: 1-line block ×3, first 2 shown]
	v_add_f64 v[18:19], v[18:19], v[20:21]
	v_add_f64 v[20:21], v[24:25], v[18:19]
	v_add_f64 v[22:23], v[24:25], -v[20:21]
	v_add_f64 v[18:19], v[18:19], v[22:23]
	v_fma_f64 v[22:23], s[24:25], v[20:21], v[14:15]
	v_fma_f64 v[22:23], v[20:21], v[22:23], s[26:27]
	;; [unrolled: 1-line block ×5, first 2 shown]
	v_mul_f64 v[24:25], v[20:21], v[20:21]
	v_fma_f64 v[22:23], v[20:21], v[22:23], s[36:37]
	v_fma_f64 v[26:27], v[20:21], v[20:21], -v[24:25]
	v_add_f64 v[28:29], v[18:19], v[18:19]
	v_fma_f64 v[22:23], v[20:21], v[22:23], s[38:39]
	v_fmac_f64_e32 v[26:27], v[20:21], v[28:29]
	v_fma_f64 v[22:23], v[20:21], v[22:23], s[40:41]
	v_add_f64 v[28:29], v[24:25], v[26:27]
	v_fma_f64 v[22:23], v[20:21], v[22:23], s[42:43]
	v_add_f64 v[24:25], v[28:29], -v[24:25]
	v_add_f64 v[24:25], v[26:27], -v[24:25]
	v_mul_f64 v[26:27], v[28:29], v[22:23]
	v_fma_f64 v[28:29], v[28:29], v[22:23], -v[26:27]
	v_fmac_f64_e32 v[28:29], v[24:25], v[22:23]
	v_add_f64 v[22:23], v[26:27], v[28:29]
	v_add_f64 v[24:25], v[22:23], -v[26:27]
	v_add_f64 v[26:27], v[20:21], v[22:23]
	v_add_f64 v[24:25], v[28:29], -v[24:25]
	v_add_f64 v[20:21], v[26:27], -v[20:21]
	;; [unrolled: 1-line block ×3, first 2 shown]
	v_add_f64 v[18:19], v[18:19], v[24:25]
	v_add_f64 v[18:19], v[18:19], v[20:21]
	;; [unrolled: 1-line block ×3, first 2 shown]
	v_add_f64 v[22:23], v[20:21], -v[26:27]
	v_add_f64 v[18:19], v[18:19], -v[22:23]
	v_add_f64 v[22:23], v[20:21], 1.0
	v_add_f64 v[24:25], v[22:23], -1.0
	v_add_f64 v[20:21], v[20:21], -v[24:25]
	v_add_f64 v[18:19], v[18:19], v[20:21]
	v_add_f64 v[20:21], v[22:23], v[18:19]
	v_add_f64 v[22:23], v[20:21], -v[22:23]
	v_add_f64 v[18:19], v[18:19], -v[22:23]
	v_cvt_i32_f64_e32 v22, v[16:17]
	v_ldexp_f64 v[16:17], v[20:21], v22
	v_rcp_f64_e32 v[20:21], v[16:17]
	v_ldexp_f64 v[18:19], v[18:19], v22
	v_cmp_ngt_f64_e64 vcc, |v[2:3]|, s[44:45]
	v_and_b32_e32 v36, 0x7fffffff, v3
	v_fma_f64 v[22:23], -v[16:17], v[20:21], 1.0
	v_fmac_f64_e32 v[20:21], v[22:23], v[20:21]
	v_fma_f64 v[22:23], -v[16:17], v[20:21], 1.0
	v_fmac_f64_e32 v[20:21], v[22:23], v[20:21]
	v_mul_f64 v[22:23], v[16:17], v[20:21]
	v_fma_f64 v[24:25], v[20:21], v[16:17], -v[22:23]
	v_fmac_f64_e32 v[24:25], v[20:21], v[18:19]
	v_add_f64 v[26:27], v[22:23], v[24:25]
	v_add_f64 v[28:29], -v[26:27], 1.0
	v_add_f64 v[22:23], v[26:27], -v[22:23]
	v_add_f64 v[30:31], -v[28:29], 1.0
	v_add_f64 v[26:27], v[30:31], -v[26:27]
	v_add_f64 v[22:23], v[22:23], -v[24:25]
	v_add_f64 v[22:23], v[22:23], v[26:27]
	v_add_f64 v[24:25], v[28:29], v[22:23]
	v_add_f64 v[26:27], v[28:29], -v[24:25]
	v_add_f64 v[22:23], v[22:23], v[26:27]
	v_mul_f64 v[26:27], v[20:21], v[24:25]
	v_mul_f64 v[28:29], v[16:17], v[26:27]
	v_fma_f64 v[30:31], v[26:27], v[16:17], -v[28:29]
	v_fmac_f64_e32 v[30:31], v[26:27], v[18:19]
	v_add_f64 v[32:33], v[28:29], v[30:31]
	v_add_f64 v[34:35], v[24:25], -v[32:33]
	v_add_f64 v[24:25], v[24:25], -v[34:35]
	;; [unrolled: 1-line block ×4, first 2 shown]
	v_add_f64 v[22:23], v[22:23], v[24:25]
	v_add_f64 v[24:25], v[28:29], -v[30:31]
	v_add_f64 v[22:23], v[24:25], v[22:23]
	v_add_f64 v[22:23], v[34:35], v[22:23]
	v_add_f64 v[24:25], v[20:21], v[26:27]
	v_mul_f64 v[22:23], v[20:21], v[22:23]
	v_add_f64 v[20:21], v[24:25], -v[20:21]
	v_add_f64 v[20:21], v[26:27], -v[20:21]
	v_add_f64 v[20:21], v[20:21], v[22:23]
	v_add_f64 v[22:23], v[24:25], v[20:21]
	v_add_f64 v[24:25], v[22:23], -v[24:25]
	v_add_f64 v[20:21], v[20:21], -v[24:25]
	;; [unrolled: 1-line block ×5, first 2 shown]
	v_add_f64 v[26:27], v[18:19], v[26:27]
	v_add_f64 v[26:27], v[26:27], -v[20:21]
	v_add_f64 v[28:29], v[24:25], v[26:27]
	v_add_f64 v[24:25], v[28:29], -v[24:25]
	v_add_f64 v[24:25], v[26:27], -v[24:25]
	v_add_f64 v[26:27], v[16:17], v[22:23]
	v_add_f64 v[16:17], v[26:27], -v[16:17]
	v_add_f64 v[16:17], v[22:23], -v[16:17]
	v_add_f64 v[18:19], v[18:19], v[20:21]
	v_add_f64 v[16:17], v[18:19], v[16:17]
	;; [unrolled: 1-line block ×3, first 2 shown]
	v_add_f64 v[20:21], v[18:19], -v[26:27]
	v_add_f64 v[16:17], v[16:17], -v[20:21]
	v_rcp_f64_e32 v[20:21], v[18:19]
	v_fma_f64 v[22:23], -v[18:19], v[20:21], 1.0
	v_fmac_f64_e32 v[20:21], v[22:23], v[20:21]
	v_fma_f64 v[22:23], -v[18:19], v[20:21], 1.0
	v_fmac_f64_e32 v[20:21], v[22:23], v[20:21]
	v_mul_f64 v[22:23], v[28:29], v[20:21]
	v_mul_f64 v[26:27], v[18:19], v[22:23]
	v_fma_f64 v[18:19], v[22:23], v[18:19], -v[26:27]
	v_fmac_f64_e32 v[18:19], v[22:23], v[16:17]
	v_add_f64 v[16:17], v[26:27], v[18:19]
	v_add_f64 v[26:27], v[16:17], -v[26:27]
	v_add_f64 v[18:19], v[18:19], -v[26:27]
	;; [unrolled: 1-line block ×6, first 2 shown]
	v_add_f64 v[16:17], v[24:25], v[16:17]
	v_add_f64 v[16:17], v[26:27], v[16:17]
	v_mul_f64 v[16:17], v[20:21], v[16:17]
	v_add_f64 v[16:17], v[22:23], v[16:17]
	v_cndmask_b32_e32 v17, v1, v17, vcc
	v_cndmask_b32_e32 v16, 0, v16, vcc
	v_cmp_lt_f64_e64 vcc, |v[2:3]|, s[46:47]
	v_cndmask_b32_e32 v2, v16, v2, vcc
	v_cndmask_b32_e32 v16, v17, v36, vcc
	v_bfi_b32 v3, s55, v16, v3
	v_mul_f64 v[16:17], |v[4:5]|, s[16:17]
	v_rndne_f64_e32 v[16:17], v[16:17]
	v_fma_f64 v[18:19], v[16:17], s[18:19], |v[4:5]|
	v_add_f64 v[20:21], v[18:19], 0
	v_mul_f64 v[22:23], v[16:17], s[20:21]
	v_add_f64 v[24:25], v[20:21], -v[22:23]
	v_add_f64 v[18:19], v[18:19], -v[20:21]
	;; [unrolled: 1-line block ×3, first 2 shown]
	v_add_f64 v[18:19], v[18:19], 0
	v_add_f64 v[20:21], v[20:21], -v[22:23]
	v_add_f64 v[18:19], v[18:19], v[20:21]
	v_add_f64 v[20:21], v[24:25], v[18:19]
	v_add_f64 v[22:23], v[24:25], -v[20:21]
	v_add_f64 v[18:19], v[18:19], v[22:23]
	v_mul_f64 v[22:23], v[16:17], s[22:23]
	v_add_f64 v[24:25], v[20:21], -v[22:23]
	v_add_f64 v[20:21], v[20:21], -v[24:25]
	;; [unrolled: 1-line block ×3, first 2 shown]
	v_add_f64 v[18:19], v[18:19], v[20:21]
	v_add_f64 v[20:21], v[24:25], v[18:19]
	v_add_f64 v[22:23], v[24:25], -v[20:21]
	v_add_f64 v[18:19], v[18:19], v[22:23]
	v_fma_f64 v[22:23], s[24:25], v[20:21], v[14:15]
	v_fma_f64 v[22:23], v[20:21], v[22:23], s[26:27]
	;; [unrolled: 1-line block ×5, first 2 shown]
	v_mul_f64 v[24:25], v[20:21], v[20:21]
	v_fma_f64 v[22:23], v[20:21], v[22:23], s[36:37]
	v_fma_f64 v[26:27], v[20:21], v[20:21], -v[24:25]
	v_add_f64 v[28:29], v[18:19], v[18:19]
	v_fma_f64 v[22:23], v[20:21], v[22:23], s[38:39]
	v_fmac_f64_e32 v[26:27], v[20:21], v[28:29]
	v_fma_f64 v[22:23], v[20:21], v[22:23], s[40:41]
	v_add_f64 v[28:29], v[24:25], v[26:27]
	v_fma_f64 v[22:23], v[20:21], v[22:23], s[42:43]
	v_add_f64 v[24:25], v[28:29], -v[24:25]
	v_add_f64 v[24:25], v[26:27], -v[24:25]
	v_mul_f64 v[26:27], v[28:29], v[22:23]
	v_fma_f64 v[28:29], v[28:29], v[22:23], -v[26:27]
	v_fmac_f64_e32 v[28:29], v[24:25], v[22:23]
	v_add_f64 v[22:23], v[26:27], v[28:29]
	v_add_f64 v[24:25], v[22:23], -v[26:27]
	v_add_f64 v[26:27], v[20:21], v[22:23]
	v_add_f64 v[24:25], v[28:29], -v[24:25]
	v_add_f64 v[20:21], v[26:27], -v[20:21]
	;; [unrolled: 1-line block ×3, first 2 shown]
	v_add_f64 v[18:19], v[18:19], v[24:25]
	v_add_f64 v[18:19], v[18:19], v[20:21]
	;; [unrolled: 1-line block ×3, first 2 shown]
	v_add_f64 v[22:23], v[20:21], -v[26:27]
	v_add_f64 v[18:19], v[18:19], -v[22:23]
	v_add_f64 v[22:23], v[20:21], 1.0
	v_add_f64 v[24:25], v[22:23], -1.0
	v_add_f64 v[20:21], v[20:21], -v[24:25]
	v_add_f64 v[18:19], v[18:19], v[20:21]
	v_add_f64 v[20:21], v[22:23], v[18:19]
	v_add_f64 v[22:23], v[20:21], -v[22:23]
	v_add_f64 v[18:19], v[18:19], -v[22:23]
	v_cvt_i32_f64_e32 v22, v[16:17]
	v_ldexp_f64 v[16:17], v[20:21], v22
	v_rcp_f64_e32 v[20:21], v[16:17]
	v_ldexp_f64 v[18:19], v[18:19], v22
	v_cmp_ngt_f64_e64 vcc, |v[4:5]|, s[44:45]
	v_and_b32_e32 v36, 0x7fffffff, v5
	v_fma_f64 v[22:23], -v[16:17], v[20:21], 1.0
	v_fmac_f64_e32 v[20:21], v[22:23], v[20:21]
	v_fma_f64 v[22:23], -v[16:17], v[20:21], 1.0
	v_fmac_f64_e32 v[20:21], v[22:23], v[20:21]
	v_mul_f64 v[22:23], v[16:17], v[20:21]
	v_fma_f64 v[24:25], v[20:21], v[16:17], -v[22:23]
	v_fmac_f64_e32 v[24:25], v[20:21], v[18:19]
	v_add_f64 v[26:27], v[22:23], v[24:25]
	v_add_f64 v[28:29], -v[26:27], 1.0
	v_add_f64 v[22:23], v[26:27], -v[22:23]
	v_add_f64 v[30:31], -v[28:29], 1.0
	v_add_f64 v[26:27], v[30:31], -v[26:27]
	v_add_f64 v[22:23], v[22:23], -v[24:25]
	v_add_f64 v[22:23], v[22:23], v[26:27]
	v_add_f64 v[24:25], v[28:29], v[22:23]
	v_add_f64 v[26:27], v[28:29], -v[24:25]
	v_add_f64 v[22:23], v[22:23], v[26:27]
	v_mul_f64 v[26:27], v[20:21], v[24:25]
	v_mul_f64 v[28:29], v[16:17], v[26:27]
	v_fma_f64 v[30:31], v[26:27], v[16:17], -v[28:29]
	v_fmac_f64_e32 v[30:31], v[26:27], v[18:19]
	v_add_f64 v[32:33], v[28:29], v[30:31]
	v_add_f64 v[34:35], v[24:25], -v[32:33]
	v_add_f64 v[24:25], v[24:25], -v[34:35]
	;; [unrolled: 1-line block ×4, first 2 shown]
	v_add_f64 v[22:23], v[22:23], v[24:25]
	v_add_f64 v[24:25], v[28:29], -v[30:31]
	v_add_f64 v[22:23], v[24:25], v[22:23]
	v_add_f64 v[22:23], v[34:35], v[22:23]
	;; [unrolled: 1-line block ×3, first 2 shown]
	v_mul_f64 v[22:23], v[20:21], v[22:23]
	v_add_f64 v[20:21], v[24:25], -v[20:21]
	v_add_f64 v[20:21], v[26:27], -v[20:21]
	v_add_f64 v[20:21], v[20:21], v[22:23]
	v_add_f64 v[22:23], v[24:25], v[20:21]
	v_add_f64 v[24:25], v[22:23], -v[24:25]
	v_add_f64 v[20:21], v[20:21], -v[24:25]
	;; [unrolled: 1-line block ×5, first 2 shown]
	v_add_f64 v[26:27], v[18:19], v[26:27]
	v_add_f64 v[26:27], v[26:27], -v[20:21]
	v_add_f64 v[28:29], v[24:25], v[26:27]
	v_add_f64 v[24:25], v[28:29], -v[24:25]
	v_add_f64 v[24:25], v[26:27], -v[24:25]
	v_add_f64 v[26:27], v[16:17], v[22:23]
	v_add_f64 v[16:17], v[26:27], -v[16:17]
	v_add_f64 v[16:17], v[22:23], -v[16:17]
	v_add_f64 v[18:19], v[18:19], v[20:21]
	v_add_f64 v[16:17], v[18:19], v[16:17]
	;; [unrolled: 1-line block ×3, first 2 shown]
	v_add_f64 v[20:21], v[18:19], -v[26:27]
	v_add_f64 v[16:17], v[16:17], -v[20:21]
	v_rcp_f64_e32 v[20:21], v[18:19]
	v_fma_f64 v[22:23], -v[18:19], v[20:21], 1.0
	v_fmac_f64_e32 v[20:21], v[22:23], v[20:21]
	v_fma_f64 v[22:23], -v[18:19], v[20:21], 1.0
	v_fmac_f64_e32 v[20:21], v[22:23], v[20:21]
	v_mul_f64 v[22:23], v[28:29], v[20:21]
	v_mul_f64 v[26:27], v[18:19], v[22:23]
	v_fma_f64 v[18:19], v[22:23], v[18:19], -v[26:27]
	v_fmac_f64_e32 v[18:19], v[22:23], v[16:17]
	v_add_f64 v[16:17], v[26:27], v[18:19]
	v_add_f64 v[26:27], v[16:17], -v[26:27]
	v_add_f64 v[18:19], v[18:19], -v[26:27]
	;; [unrolled: 1-line block ×6, first 2 shown]
	v_add_f64 v[16:17], v[24:25], v[16:17]
	v_add_f64 v[16:17], v[26:27], v[16:17]
	v_mul_f64 v[16:17], v[20:21], v[16:17]
	v_add_f64 v[16:17], v[22:23], v[16:17]
	v_cndmask_b32_e32 v17, v1, v17, vcc
	v_cndmask_b32_e32 v16, 0, v16, vcc
	v_cmp_lt_f64_e64 vcc, |v[4:5]|, s[46:47]
	v_cndmask_b32_e32 v4, v16, v4, vcc
	v_cndmask_b32_e32 v16, v17, v36, vcc
	v_bfi_b32 v5, s55, v16, v5
	v_mul_f64 v[16:17], |v[6:7]|, s[16:17]
	v_rndne_f64_e32 v[16:17], v[16:17]
	v_fma_f64 v[18:19], v[16:17], s[18:19], |v[6:7]|
	v_add_f64 v[20:21], v[18:19], 0
	v_mul_f64 v[22:23], v[16:17], s[20:21]
	v_add_f64 v[24:25], v[20:21], -v[22:23]
	v_add_f64 v[18:19], v[18:19], -v[20:21]
	;; [unrolled: 1-line block ×3, first 2 shown]
	v_add_f64 v[18:19], v[18:19], 0
	v_add_f64 v[20:21], v[20:21], -v[22:23]
	v_add_f64 v[18:19], v[18:19], v[20:21]
	v_add_f64 v[20:21], v[24:25], v[18:19]
	v_add_f64 v[22:23], v[24:25], -v[20:21]
	v_add_f64 v[18:19], v[18:19], v[22:23]
	v_mul_f64 v[22:23], v[16:17], s[22:23]
	v_add_f64 v[24:25], v[20:21], -v[22:23]
	v_add_f64 v[20:21], v[20:21], -v[24:25]
	;; [unrolled: 1-line block ×3, first 2 shown]
	v_add_f64 v[18:19], v[18:19], v[20:21]
	v_add_f64 v[20:21], v[24:25], v[18:19]
	v_add_f64 v[22:23], v[24:25], -v[20:21]
	v_add_f64 v[18:19], v[18:19], v[22:23]
	v_fma_f64 v[22:23], s[24:25], v[20:21], v[14:15]
	v_fma_f64 v[22:23], v[20:21], v[22:23], s[26:27]
	;; [unrolled: 1-line block ×5, first 2 shown]
	v_mul_f64 v[24:25], v[20:21], v[20:21]
	v_fma_f64 v[22:23], v[20:21], v[22:23], s[36:37]
	v_fma_f64 v[26:27], v[20:21], v[20:21], -v[24:25]
	v_add_f64 v[28:29], v[18:19], v[18:19]
	v_fma_f64 v[22:23], v[20:21], v[22:23], s[38:39]
	v_fmac_f64_e32 v[26:27], v[20:21], v[28:29]
	v_fma_f64 v[22:23], v[20:21], v[22:23], s[40:41]
	v_add_f64 v[28:29], v[24:25], v[26:27]
	v_fma_f64 v[22:23], v[20:21], v[22:23], s[42:43]
	v_add_f64 v[24:25], v[28:29], -v[24:25]
	v_add_f64 v[24:25], v[26:27], -v[24:25]
	v_mul_f64 v[26:27], v[28:29], v[22:23]
	v_fma_f64 v[28:29], v[28:29], v[22:23], -v[26:27]
	v_fmac_f64_e32 v[28:29], v[24:25], v[22:23]
	v_add_f64 v[22:23], v[26:27], v[28:29]
	v_add_f64 v[24:25], v[22:23], -v[26:27]
	v_add_f64 v[26:27], v[20:21], v[22:23]
	v_add_f64 v[24:25], v[28:29], -v[24:25]
	v_add_f64 v[20:21], v[26:27], -v[20:21]
	;; [unrolled: 1-line block ×3, first 2 shown]
	v_add_f64 v[18:19], v[18:19], v[24:25]
	v_add_f64 v[18:19], v[18:19], v[20:21]
	;; [unrolled: 1-line block ×3, first 2 shown]
	v_add_f64 v[22:23], v[20:21], -v[26:27]
	v_add_f64 v[18:19], v[18:19], -v[22:23]
	v_add_f64 v[22:23], v[20:21], 1.0
	v_add_f64 v[24:25], v[22:23], -1.0
	v_add_f64 v[20:21], v[20:21], -v[24:25]
	v_add_f64 v[18:19], v[18:19], v[20:21]
	v_add_f64 v[20:21], v[22:23], v[18:19]
	v_add_f64 v[22:23], v[20:21], -v[22:23]
	v_add_f64 v[18:19], v[18:19], -v[22:23]
	v_cvt_i32_f64_e32 v22, v[16:17]
	v_ldexp_f64 v[16:17], v[20:21], v22
	v_rcp_f64_e32 v[20:21], v[16:17]
	v_ldexp_f64 v[18:19], v[18:19], v22
	v_cmp_ngt_f64_e64 vcc, |v[6:7]|, s[44:45]
	v_and_b32_e32 v36, 0x7fffffff, v7
	v_fma_f64 v[22:23], -v[16:17], v[20:21], 1.0
	v_fmac_f64_e32 v[20:21], v[22:23], v[20:21]
	v_fma_f64 v[22:23], -v[16:17], v[20:21], 1.0
	v_fmac_f64_e32 v[20:21], v[22:23], v[20:21]
	v_mul_f64 v[22:23], v[16:17], v[20:21]
	v_fma_f64 v[24:25], v[20:21], v[16:17], -v[22:23]
	v_fmac_f64_e32 v[24:25], v[20:21], v[18:19]
	v_add_f64 v[26:27], v[22:23], v[24:25]
	v_add_f64 v[28:29], -v[26:27], 1.0
	v_add_f64 v[22:23], v[26:27], -v[22:23]
	v_add_f64 v[30:31], -v[28:29], 1.0
	v_add_f64 v[26:27], v[30:31], -v[26:27]
	v_add_f64 v[22:23], v[22:23], -v[24:25]
	v_add_f64 v[22:23], v[22:23], v[26:27]
	v_add_f64 v[24:25], v[28:29], v[22:23]
	v_add_f64 v[26:27], v[28:29], -v[24:25]
	v_add_f64 v[22:23], v[22:23], v[26:27]
	v_mul_f64 v[26:27], v[20:21], v[24:25]
	v_mul_f64 v[28:29], v[16:17], v[26:27]
	v_fma_f64 v[30:31], v[26:27], v[16:17], -v[28:29]
	v_fmac_f64_e32 v[30:31], v[26:27], v[18:19]
	v_add_f64 v[32:33], v[28:29], v[30:31]
	v_add_f64 v[34:35], v[24:25], -v[32:33]
	v_add_f64 v[24:25], v[24:25], -v[34:35]
	;; [unrolled: 1-line block ×4, first 2 shown]
	v_add_f64 v[22:23], v[22:23], v[24:25]
	v_add_f64 v[24:25], v[28:29], -v[30:31]
	v_add_f64 v[22:23], v[24:25], v[22:23]
	v_add_f64 v[22:23], v[34:35], v[22:23]
	;; [unrolled: 1-line block ×3, first 2 shown]
	v_mul_f64 v[22:23], v[20:21], v[22:23]
	v_add_f64 v[20:21], v[24:25], -v[20:21]
	v_add_f64 v[20:21], v[26:27], -v[20:21]
	v_add_f64 v[20:21], v[20:21], v[22:23]
	v_add_f64 v[22:23], v[24:25], v[20:21]
	v_add_f64 v[24:25], v[22:23], -v[24:25]
	v_add_f64 v[20:21], v[20:21], -v[24:25]
	;; [unrolled: 1-line block ×5, first 2 shown]
	v_add_f64 v[26:27], v[18:19], v[26:27]
	v_add_f64 v[26:27], v[26:27], -v[20:21]
	v_add_f64 v[28:29], v[24:25], v[26:27]
	v_add_f64 v[24:25], v[28:29], -v[24:25]
	v_add_f64 v[24:25], v[26:27], -v[24:25]
	v_add_f64 v[26:27], v[16:17], v[22:23]
	v_add_f64 v[16:17], v[26:27], -v[16:17]
	v_add_f64 v[16:17], v[22:23], -v[16:17]
	v_add_f64 v[18:19], v[18:19], v[20:21]
	v_add_f64 v[16:17], v[18:19], v[16:17]
	;; [unrolled: 1-line block ×3, first 2 shown]
	v_add_f64 v[20:21], v[18:19], -v[26:27]
	v_add_f64 v[16:17], v[16:17], -v[20:21]
	v_rcp_f64_e32 v[20:21], v[18:19]
	v_fma_f64 v[22:23], -v[18:19], v[20:21], 1.0
	v_fmac_f64_e32 v[20:21], v[22:23], v[20:21]
	v_fma_f64 v[22:23], -v[18:19], v[20:21], 1.0
	v_fmac_f64_e32 v[20:21], v[22:23], v[20:21]
	v_mul_f64 v[22:23], v[28:29], v[20:21]
	v_mul_f64 v[26:27], v[18:19], v[22:23]
	v_fma_f64 v[18:19], v[22:23], v[18:19], -v[26:27]
	v_fmac_f64_e32 v[18:19], v[22:23], v[16:17]
	v_add_f64 v[16:17], v[26:27], v[18:19]
	v_add_f64 v[26:27], v[16:17], -v[26:27]
	v_add_f64 v[18:19], v[18:19], -v[26:27]
	;; [unrolled: 1-line block ×6, first 2 shown]
	v_add_f64 v[16:17], v[24:25], v[16:17]
	v_add_f64 v[16:17], v[26:27], v[16:17]
	v_mul_f64 v[16:17], v[20:21], v[16:17]
	v_add_f64 v[16:17], v[22:23], v[16:17]
	v_cndmask_b32_e32 v17, v1, v17, vcc
	v_cndmask_b32_e32 v16, 0, v16, vcc
	v_cmp_lt_f64_e64 vcc, |v[6:7]|, s[46:47]
	v_cndmask_b32_e32 v6, v16, v6, vcc
	v_cndmask_b32_e32 v16, v17, v36, vcc
	v_bfi_b32 v7, s55, v16, v7
	v_mul_f64 v[16:17], |v[8:9]|, s[16:17]
	v_rndne_f64_e32 v[22:23], v[16:17]
	v_fma_f64 v[16:17], v[22:23], s[18:19], |v[8:9]|
	v_add_f64 v[18:19], v[16:17], 0
	v_mul_f64 v[24:25], v[22:23], s[20:21]
	v_add_f64 v[26:27], v[18:19], -v[24:25]
	v_add_f64 v[16:17], v[16:17], -v[18:19]
	;; [unrolled: 1-line block ×3, first 2 shown]
	v_add_f64 v[16:17], v[16:17], 0
	v_add_f64 v[18:19], v[18:19], -v[24:25]
	v_add_f64 v[16:17], v[16:17], v[18:19]
	v_add_f64 v[18:19], v[26:27], v[16:17]
	v_add_f64 v[24:25], v[26:27], -v[18:19]
	v_add_f64 v[16:17], v[16:17], v[24:25]
	v_mul_f64 v[24:25], v[22:23], s[22:23]
	v_add_f64 v[26:27], v[18:19], -v[24:25]
	v_add_f64 v[18:19], v[18:19], -v[26:27]
	;; [unrolled: 1-line block ×3, first 2 shown]
	v_add_f64 v[16:17], v[16:17], v[18:19]
	v_add_f64 v[18:19], v[26:27], v[16:17]
	v_add_f64 v[24:25], v[26:27], -v[18:19]
	v_add_f64 v[16:17], v[16:17], v[24:25]
	v_fma_f64 v[24:25], s[24:25], v[18:19], v[14:15]
	v_fma_f64 v[24:25], v[18:19], v[24:25], s[26:27]
	;; [unrolled: 1-line block ×5, first 2 shown]
	v_mul_f64 v[26:27], v[18:19], v[18:19]
	v_fma_f64 v[24:25], v[18:19], v[24:25], s[36:37]
	v_fma_f64 v[28:29], v[18:19], v[18:19], -v[26:27]
	v_add_f64 v[30:31], v[16:17], v[16:17]
	v_fma_f64 v[24:25], v[18:19], v[24:25], s[38:39]
	v_fmac_f64_e32 v[28:29], v[18:19], v[30:31]
	v_fma_f64 v[24:25], v[18:19], v[24:25], s[40:41]
	v_add_f64 v[30:31], v[26:27], v[28:29]
	v_fma_f64 v[24:25], v[18:19], v[24:25], s[42:43]
	v_add_f64 v[26:27], v[30:31], -v[26:27]
	v_add_f64 v[26:27], v[28:29], -v[26:27]
	v_mul_f64 v[28:29], v[30:31], v[24:25]
	v_fma_f64 v[30:31], v[30:31], v[24:25], -v[28:29]
	v_fmac_f64_e32 v[30:31], v[26:27], v[24:25]
	v_add_f64 v[24:25], v[28:29], v[30:31]
	v_add_f64 v[26:27], v[24:25], -v[28:29]
	v_add_f64 v[28:29], v[18:19], v[24:25]
	v_add_f64 v[26:27], v[30:31], -v[26:27]
	v_add_f64 v[18:19], v[28:29], -v[18:19]
	;; [unrolled: 1-line block ×3, first 2 shown]
	v_add_f64 v[16:17], v[16:17], v[26:27]
	v_add_f64 v[16:17], v[16:17], v[18:19]
	;; [unrolled: 1-line block ×3, first 2 shown]
	v_add_f64 v[24:25], v[18:19], -v[28:29]
	v_add_f64 v[16:17], v[16:17], -v[24:25]
	v_add_f64 v[24:25], v[18:19], 1.0
	v_add_f64 v[26:27], v[24:25], -1.0
	v_add_f64 v[18:19], v[18:19], -v[26:27]
	v_add_f64 v[18:19], v[16:17], v[18:19]
	v_add_f64 v[16:17], v[24:25], v[18:19]
	v_cvt_i32_f64_e32 v21, v[22:23]
	v_add_f64 v[24:25], v[16:17], -v[24:25]
	v_ldexp_f64 v[16:17], v[16:17], v21
	v_rcp_f64_e32 v[22:23], v[16:17]
	v_add_f64 v[18:19], v[18:19], -v[24:25]
	v_ldexp_f64 v[18:19], v[18:19], v21
	v_cmp_ngt_f64_e64 vcc, |v[8:9]|, s[44:45]
	v_fma_f64 v[24:25], -v[16:17], v[22:23], 1.0
	v_fmac_f64_e32 v[22:23], v[24:25], v[22:23]
	v_fma_f64 v[24:25], -v[16:17], v[22:23], 1.0
	v_fmac_f64_e32 v[22:23], v[24:25], v[22:23]
	v_mul_f64 v[24:25], v[16:17], v[22:23]
	v_fma_f64 v[26:27], v[22:23], v[16:17], -v[24:25]
	v_fmac_f64_e32 v[26:27], v[22:23], v[18:19]
	v_add_f64 v[28:29], v[24:25], v[26:27]
	v_add_f64 v[30:31], -v[28:29], 1.0
	v_add_f64 v[24:25], v[28:29], -v[24:25]
	v_add_f64 v[32:33], -v[30:31], 1.0
	v_add_f64 v[28:29], v[32:33], -v[28:29]
	v_add_f64 v[24:25], v[24:25], -v[26:27]
	v_add_f64 v[24:25], v[24:25], v[28:29]
	v_add_f64 v[26:27], v[30:31], v[24:25]
	v_add_f64 v[28:29], v[30:31], -v[26:27]
	v_add_f64 v[24:25], v[24:25], v[28:29]
	v_mul_f64 v[28:29], v[22:23], v[26:27]
	v_mul_f64 v[30:31], v[16:17], v[28:29]
	v_fma_f64 v[32:33], v[28:29], v[16:17], -v[30:31]
	v_fmac_f64_e32 v[32:33], v[28:29], v[18:19]
	v_add_f64 v[34:35], v[30:31], v[32:33]
	v_add_f64 v[36:37], v[26:27], -v[34:35]
	v_add_f64 v[26:27], v[26:27], -v[36:37]
	;; [unrolled: 1-line block ×4, first 2 shown]
	v_add_f64 v[24:25], v[24:25], v[26:27]
	v_add_f64 v[26:27], v[30:31], -v[32:33]
	v_add_f64 v[24:25], v[26:27], v[24:25]
	v_add_f64 v[24:25], v[36:37], v[24:25]
	;; [unrolled: 1-line block ×3, first 2 shown]
	v_mul_f64 v[24:25], v[22:23], v[24:25]
	v_add_f64 v[22:23], v[26:27], -v[22:23]
	v_add_f64 v[22:23], v[28:29], -v[22:23]
	v_add_f64 v[22:23], v[22:23], v[24:25]
	v_add_f64 v[24:25], v[26:27], v[22:23]
	v_add_f64 v[26:27], v[24:25], -v[26:27]
	v_add_f64 v[22:23], v[22:23], -v[26:27]
	;; [unrolled: 1-line block ×5, first 2 shown]
	v_add_f64 v[28:29], v[18:19], v[28:29]
	v_add_f64 v[28:29], v[28:29], -v[22:23]
	v_add_f64 v[30:31], v[26:27], v[28:29]
	v_add_f64 v[26:27], v[30:31], -v[26:27]
	v_add_f64 v[26:27], v[28:29], -v[26:27]
	v_add_f64 v[28:29], v[16:17], v[24:25]
	v_add_f64 v[16:17], v[28:29], -v[16:17]
	v_add_f64 v[16:17], v[24:25], -v[16:17]
	v_add_f64 v[18:19], v[18:19], v[22:23]
	v_add_f64 v[16:17], v[18:19], v[16:17]
	v_add_f64 v[18:19], v[28:29], v[16:17]
	v_add_f64 v[22:23], v[18:19], -v[28:29]
	v_add_f64 v[16:17], v[16:17], -v[22:23]
	v_rcp_f64_e32 v[22:23], v[18:19]
	v_and_b32_e32 v20, 0x7fffffff, v9
	v_fma_f64 v[24:25], -v[18:19], v[22:23], 1.0
	v_fmac_f64_e32 v[22:23], v[24:25], v[22:23]
	v_fma_f64 v[24:25], -v[18:19], v[22:23], 1.0
	v_fmac_f64_e32 v[22:23], v[24:25], v[22:23]
	v_mul_f64 v[24:25], v[30:31], v[22:23]
	v_mul_f64 v[28:29], v[18:19], v[24:25]
	v_fma_f64 v[18:19], v[24:25], v[18:19], -v[28:29]
	v_fmac_f64_e32 v[18:19], v[24:25], v[16:17]
	v_add_f64 v[16:17], v[28:29], v[18:19]
	v_add_f64 v[28:29], v[16:17], -v[28:29]
	v_add_f64 v[18:19], v[18:19], -v[28:29]
	;; [unrolled: 1-line block ×6, first 2 shown]
	v_add_f64 v[16:17], v[26:27], v[16:17]
	v_add_f64 v[16:17], v[28:29], v[16:17]
	v_mul_f64 v[16:17], v[22:23], v[16:17]
	v_add_f64 v[16:17], v[24:25], v[16:17]
	v_cndmask_b32_e32 v17, v1, v17, vcc
	v_cndmask_b32_e32 v16, 0, v16, vcc
	v_cmp_lt_f64_e64 vcc, |v[8:9]|, s[46:47]
	v_cndmask_b32_e32 v8, v16, v8, vcc
	v_cndmask_b32_e32 v16, v17, v20, vcc
	v_bfi_b32 v9, s55, v16, v9
	v_add_co_u32_e32 v16, vcc, s51, v12
	v_mov_b32_e32 v17, s52
	v_addc_co_u32_e32 v17, vcc, 0, v17, vcc
	v_cmp_le_i64_e32 vcc, s[10:11], v[10:11]
	s_or_b64 s[0:1], vcc, s[0:1]
	s_add_u32 s33, s33, s54
	s_addc_u32 s50, s50, 0
	s_add_u32 s51, s51, s54
	s_addc_u32 s52, s52, 0
	v_add_co_u32_e32 v10, vcc, s53, v10
	s_and_b64 s[0:1], exec, s[0:1]
	v_addc_co_u32_e32 v11, vcc, v11, v13, vcc
	s_or_b64 s[14:15], s[0:1], s[14:15]
	global_store_dwordx4 v[16:17], v[2:5], off
	global_store_dwordx4 v[16:17], v[6:9], off offset:16
	s_andn2_b64 exec, exec, s[14:15]
	s_cbranch_execnz .LBB154_3
.LBB154_4:
	s_or_b64 exec, exec, s[12:13]
	s_mov_b64 s[12:13], 0
.LBB154_5:
	s_andn2_b64 vcc, exec, s[12:13]
	s_cbranch_vccnz .LBB154_25
; %bb.6:
	v_cmp_lt_i64_e64 s[0:1], s[10:11], 1
	s_and_b64 vcc, exec, s[0:1]
	s_cbranch_vccnz .LBB154_25
; %bb.7:
	s_load_dword s0, s[4:5], 0xc5c
	v_mov_b32_e32 v2, 0x10000
	v_mov_b32_e32 v3, 0
	v_cmp_lt_u64_e32 vcc, s[10:11], v[2:3]
	v_lshlrev_b32_e32 v10, 3, v0
	s_waitcnt lgkmcnt(0)
	s_and_b32 s4, s0, 0xffff
	s_and_b64 s[0:1], vcc, exec
	v_mov_b32_e32 v13, s7
	v_add_co_u32_e32 v2, vcc, s6, v10
	v_addc_co_u32_e32 v1, vcc, 0, v13, vcc
	v_mov_b32_e32 v11, 0
	v_mov_b32_e32 v15, s3
	v_add_co_u32_e32 v4, vcc, s2, v10
	v_addc_co_u32_e32 v3, vcc, 0, v15, vcc
	v_mad_u64_u32 v[8:9], s[0:1], s4, 24, v[10:11]
	v_add_co_u32_e32 v6, vcc, s6, v8
	v_addc_co_u32_e32 v5, vcc, v13, v9, vcc
	v_add_co_u32_e32 v8, vcc, s2, v8
	s_mul_i32 s14, s4, 3
	v_addc_co_u32_e32 v7, vcc, v15, v9, vcc
	v_add_co_u32_e32 v17, vcc, s14, v0
	v_addc_co_u32_e64 v44, s[0:1], 0, 0, vcc
	s_cselect_b32 s13, s11, 0
	s_cselect_b32 s12, s10, 0x10000
	s_lshl_b32 s0, s4, 4
	v_add_co_u32_e32 v11, vcc, s0, v10
	v_addc_co_u32_e64 v14, s[0:1], 0, 0, vcc
	v_add_co_u32_e32 v10, vcc, s6, v11
	v_addc_co_u32_e32 v9, vcc, v13, v14, vcc
	v_add_co_u32_e32 v12, vcc, s2, v11
	s_lshl_b32 s5, s4, 1
	v_addc_co_u32_e32 v11, vcc, v15, v14, vcc
	v_add_co_u32_e32 v45, vcc, s5, v0
	v_addc_co_u32_e64 v46, s[0:1], 0, 0, vcc
	v_add_co_u32_e32 v47, vcc, s4, v0
	v_lshlrev_b32_e32 v16, 3, v47
	v_addc_co_u32_e64 v48, s[0:1], 0, 0, vcc
	v_add_co_u32_e32 v14, vcc, s6, v16
	v_addc_co_u32_e32 v13, vcc, 0, v13, vcc
	v_add_co_u32_e32 v16, vcc, s2, v16
	s_mov_b32 s16, 0
	s_mov_b32 s18, 0x652b82fe
	s_mov_b32 s20, 0xfefa3000
	s_mov_b32 s22, 0xf278e000
	s_mov_b32 s24, 0xf97b57a0
	s_mov_b32 s26, 0x6a5dcb37
	s_mov_b32 s28, 0
	s_mov_b32 s33, 0
	s_lshl_b32 s34, s4, 2
	s_lshl_b32 s35, s4, 5
	v_addc_co_u32_e32 v15, vcc, 0, v15, vcc
	s_mov_b64 s[14:15], 0
	s_brev_b32 s36, -2
	s_mov_b32 s17, 0x3e400000
	s_mov_b32 s19, 0x3ff71547
	s_mov_b32 s21, 0xbfe62e42
	s_mov_b32 s23, 0xbd53de6a
	s_mov_b32 s25, 0xbac9cc01
	s_mov_b32 s27, 0x3e5ade15
	s_mov_b32 s29, 0x40331000
	v_mov_b32_e32 v18, 0xfca7ab0c
	v_mov_b32_e32 v19, 0x3e928af3
	;; [unrolled: 1-line block ×19, first 2 shown]
	s_branch .LBB154_9
.LBB154_8:                              ;   in Loop: Header=BB154_9 Depth=1
	s_or_b64 exec, exec, s[0:1]
	s_add_u32 s14, s14, s34
	s_addc_u32 s15, s15, 0
	s_waitcnt vmcnt(0)
	v_pk_mov_b32 v[36:37], s[10:11], s[10:11] op_sel:[0,1]
	v_cmp_ge_i64_e32 vcc, s[14:15], v[36:37]
	v_mov_b32_e32 v36, 0xffff
	v_mov_b32_e32 v37, 0
	v_cmp_gt_u64_e64 s[0:1], s[14:15], v[36:37]
	s_or_b64 s[0:1], vcc, s[0:1]
	v_mov_b32_e32 v36, s33
	v_add_co_u32_e32 v2, vcc, s35, v2
	v_addc_co_u32_e32 v1, vcc, v1, v36, vcc
	v_add_co_u32_e32 v4, vcc, s35, v4
	v_addc_co_u32_e32 v3, vcc, v3, v36, vcc
	;; [unrolled: 2-line block ×8, first 2 shown]
	s_and_b64 vcc, exec, s[0:1]
	s_cbranch_vccnz .LBB154_25
.LBB154_9:                              ; =>This Inner Loop Header: Depth=1
	v_mov_b32_e32 v37, s15
	v_add_co_u32_e32 v36, vcc, s14, v0
	v_addc_co_u32_e32 v37, vcc, 0, v37, vcc
	v_pk_mov_b32 v[40:41], 0, 0
	v_cmp_gt_u64_e64 s[4:5], s[12:13], v[36:37]
	v_pk_mov_b32 v[42:43], v[40:41], v[40:41] op_sel:[0,1]
	s_and_saveexec_b64 s[0:1], s[4:5]
	s_cbranch_execz .LBB154_11
; %bb.10:                               ;   in Loop: Header=BB154_9 Depth=1
	v_mov_b32_e32 v37, s9
	v_add_co_u32_e32 v36, vcc, s8, v2
	v_addc_co_u32_e32 v37, vcc, v1, v37, vcc
	global_load_dwordx2 v[42:43], v[36:37], off
.LBB154_11:                             ;   in Loop: Header=BB154_9 Depth=1
	s_or_b64 exec, exec, s[0:1]
	v_mov_b32_e32 v37, s15
	v_add_co_u32_e32 v36, vcc, s14, v47
	v_addc_co_u32_e32 v37, vcc, v48, v37, vcc
	v_cmp_gt_u64_e64 s[2:3], s[12:13], v[36:37]
	s_and_saveexec_b64 s[0:1], s[2:3]
	s_cbranch_execz .LBB154_13
; %bb.12:                               ;   in Loop: Header=BB154_9 Depth=1
	v_mov_b32_e32 v37, s9
	v_add_co_u32_e32 v36, vcc, s8, v14
	v_addc_co_u32_e32 v37, vcc, v13, v37, vcc
	global_load_dwordx2 v[40:41], v[36:37], off
.LBB154_13:                             ;   in Loop: Header=BB154_9 Depth=1
	s_or_b64 exec, exec, s[0:1]
	v_mov_b32_e32 v37, s15
	v_add_co_u32_e32 v36, vcc, s14, v45
	v_addc_co_u32_e32 v37, vcc, v46, v37, vcc
	v_cmp_gt_u64_e64 s[0:1], s[12:13], v[36:37]
	v_pk_mov_b32 v[36:37], 0, 0
	v_pk_mov_b32 v[38:39], v[36:37], v[36:37] op_sel:[0,1]
	s_and_saveexec_b64 s[6:7], s[0:1]
	s_cbranch_execz .LBB154_15
; %bb.14:                               ;   in Loop: Header=BB154_9 Depth=1
	v_mov_b32_e32 v39, s9
	v_add_co_u32_e32 v38, vcc, s8, v10
	v_addc_co_u32_e32 v39, vcc, v9, v39, vcc
	global_load_dwordx2 v[38:39], v[38:39], off
.LBB154_15:                             ;   in Loop: Header=BB154_9 Depth=1
	s_or_b64 exec, exec, s[6:7]
	v_mov_b32_e32 v51, s15
	v_add_co_u32_e32 v50, vcc, s14, v17
	v_addc_co_u32_e32 v51, vcc, v44, v51, vcc
	v_cmp_gt_u64_e32 vcc, s[12:13], v[50:51]
	s_and_saveexec_b64 s[30:31], vcc
	s_cbranch_execnz .LBB154_20
; %bb.16:                               ;   in Loop: Header=BB154_9 Depth=1
	s_or_b64 exec, exec, s[30:31]
	s_and_saveexec_b64 s[6:7], s[4:5]
	s_cbranch_execnz .LBB154_21
.LBB154_17:                             ;   in Loop: Header=BB154_9 Depth=1
	s_or_b64 exec, exec, s[6:7]
	s_and_saveexec_b64 s[4:5], s[2:3]
	s_cbranch_execnz .LBB154_22
.LBB154_18:                             ;   in Loop: Header=BB154_9 Depth=1
	s_or_b64 exec, exec, s[4:5]
	s_and_saveexec_b64 s[2:3], s[0:1]
	s_cbranch_execnz .LBB154_23
.LBB154_19:                             ;   in Loop: Header=BB154_9 Depth=1
	s_or_b64 exec, exec, s[2:3]
	s_and_saveexec_b64 s[0:1], vcc
	s_cbranch_execz .LBB154_8
	s_branch .LBB154_24
.LBB154_20:                             ;   in Loop: Header=BB154_9 Depth=1
	v_mov_b32_e32 v37, s9
	v_add_co_u32_e64 v36, s[6:7], s8, v6
	v_addc_co_u32_e64 v37, s[6:7], v5, v37, s[6:7]
	global_load_dwordx2 v[36:37], v[36:37], off
	s_or_b64 exec, exec, s[30:31]
	s_and_saveexec_b64 s[6:7], s[4:5]
	s_cbranch_execz .LBB154_17
.LBB154_21:                             ;   in Loop: Header=BB154_9 Depth=1
	s_waitcnt vmcnt(0)
	v_mul_f64 v[50:51], |v[42:43]|, s[18:19]
	v_rndne_f64_e32 v[50:51], v[50:51]
	v_fma_f64 v[52:53], v[50:51], s[20:21], |v[42:43]|
	v_add_f64 v[54:55], v[52:53], 0
	v_mul_f64 v[56:57], v[50:51], s[22:23]
	v_add_f64 v[58:59], v[54:55], v[56:57]
	v_add_f64 v[52:53], v[52:53], -v[54:55]
	v_add_f64 v[54:55], v[54:55], -v[58:59]
	v_add_f64 v[52:53], v[52:53], 0
	v_add_f64 v[54:55], v[54:55], v[56:57]
	;; [unrolled: 1-line block ×4, first 2 shown]
	v_mul_f64 v[56:57], v[50:51], s[24:25]
	v_add_f64 v[60:61], v[54:55], v[56:57]
	v_add_f64 v[58:59], v[58:59], -v[54:55]
	v_add_f64 v[54:55], v[54:55], -v[60:61]
	v_add_f64 v[52:53], v[52:53], v[58:59]
	v_add_f64 v[54:55], v[54:55], v[56:57]
	;; [unrolled: 1-line block ×4, first 2 shown]
	v_pk_mov_b32 v[62:63], v[18:19], v[18:19] op_sel:[0,1]
	v_fmac_f64_e32 v[62:63], s[26:27], v[54:55]
	v_pk_mov_b32 v[64:65], v[20:21], v[20:21] op_sel:[0,1]
	v_fmac_f64_e32 v[64:65], v[54:55], v[62:63]
	v_pk_mov_b32 v[62:63], v[22:23], v[22:23] op_sel:[0,1]
	v_fmac_f64_e32 v[62:63], v[54:55], v[64:65]
	v_pk_mov_b32 v[64:65], v[24:25], v[24:25] op_sel:[0,1]
	v_fmac_f64_e32 v[64:65], v[54:55], v[62:63]
	v_pk_mov_b32 v[62:63], v[26:27], v[26:27] op_sel:[0,1]
	v_add_f64 v[58:59], v[60:61], -v[54:55]
	v_fmac_f64_e32 v[62:63], v[54:55], v[64:65]
	v_pk_mov_b32 v[64:65], v[28:29], v[28:29] op_sel:[0,1]
	v_mul_f64 v[56:57], v[54:55], v[54:55]
	v_add_f64 v[52:53], v[52:53], v[58:59]
	v_fmac_f64_e32 v[64:65], v[54:55], v[62:63]
	v_pk_mov_b32 v[62:63], v[30:31], v[30:31] op_sel:[0,1]
	v_add_f64 v[58:59], v[52:53], v[52:53]
	v_fma_f64 v[60:61], v[54:55], v[54:55], -v[56:57]
	v_fmac_f64_e32 v[62:63], v[54:55], v[64:65]
	v_pk_mov_b32 v[64:65], v[32:33], v[32:33] op_sel:[0,1]
	v_fmac_f64_e32 v[60:61], v[54:55], v[58:59]
	v_fmac_f64_e32 v[64:65], v[54:55], v[62:63]
	v_pk_mov_b32 v[62:63], v[34:35], v[34:35] op_sel:[0,1]
	v_add_f64 v[58:59], v[56:57], v[60:61]
	v_fmac_f64_e32 v[62:63], v[54:55], v[64:65]
	v_mul_f64 v[64:65], v[58:59], v[62:63]
	v_add_f64 v[56:57], v[58:59], -v[56:57]
	v_add_f64 v[56:57], v[60:61], -v[56:57]
	v_fma_f64 v[58:59], v[58:59], v[62:63], -v[64:65]
	v_fmac_f64_e32 v[58:59], v[56:57], v[62:63]
	v_add_f64 v[56:57], v[64:65], v[58:59]
	v_add_f64 v[60:61], v[54:55], v[56:57]
	v_add_f64 v[62:63], v[56:57], -v[64:65]
	v_add_f64 v[58:59], v[58:59], -v[62:63]
	;; [unrolled: 1-line block ×3, first 2 shown]
	v_add_f64 v[52:53], v[52:53], v[58:59]
	v_add_f64 v[54:55], v[56:57], -v[54:55]
	v_add_f64 v[52:53], v[52:53], v[54:55]
	v_add_f64 v[54:55], v[60:61], v[52:53]
	v_add_f64 v[56:57], v[54:55], 1.0
	v_add_f64 v[58:59], v[54:55], -v[60:61]
	v_add_f64 v[52:53], v[52:53], -v[58:59]
	v_add_f64 v[58:59], v[56:57], -1.0
	v_add_f64 v[54:55], v[54:55], -v[58:59]
	v_add_f64 v[52:53], v[52:53], v[54:55]
	v_add_f64 v[54:55], v[56:57], v[52:53]
	v_cvt_i32_f64_e32 v62, v[50:51]
	v_ldexp_f64 v[50:51], v[54:55], v62
	v_rcp_f64_e32 v[58:59], v[50:51]
	v_add_f64 v[54:55], v[54:55], -v[56:57]
	v_add_f64 v[52:53], v[52:53], -v[54:55]
	v_ldexp_f64 v[52:53], v[52:53], v62
	v_fma_f64 v[60:61], -v[50:51], v[58:59], 1.0
	v_fmac_f64_e32 v[58:59], v[60:61], v[58:59]
	v_fma_f64 v[60:61], -v[50:51], v[58:59], 1.0
	v_fmac_f64_e32 v[58:59], v[60:61], v[58:59]
	v_mul_f64 v[60:61], v[50:51], v[58:59]
	v_fma_f64 v[54:55], v[58:59], v[50:51], -v[60:61]
	v_fmac_f64_e32 v[54:55], v[58:59], v[52:53]
	v_add_f64 v[56:57], v[60:61], v[54:55]
	v_add_f64 v[62:63], -v[56:57], 1.0
	v_add_f64 v[60:61], v[56:57], -v[60:61]
	v_add_f64 v[54:55], v[60:61], -v[54:55]
	v_add_f64 v[60:61], -v[62:63], 1.0
	v_add_f64 v[56:57], v[60:61], -v[56:57]
	v_add_f64 v[54:55], v[54:55], v[56:57]
	v_add_f64 v[56:57], v[62:63], v[54:55]
	v_mul_f64 v[60:61], v[58:59], v[56:57]
	v_mul_f64 v[68:69], v[50:51], v[60:61]
	v_add_f64 v[64:65], v[58:59], v[60:61]
	v_fma_f64 v[70:71], v[60:61], v[50:51], -v[68:69]
	v_add_f64 v[66:67], v[64:65], -v[58:59]
	v_fmac_f64_e32 v[70:71], v[60:61], v[52:53]
	v_add_f64 v[66:67], v[60:61], -v[66:67]
	v_add_f64 v[60:61], v[68:69], v[70:71]
	v_add_f64 v[72:73], v[56:57], -v[60:61]
	v_add_f64 v[62:63], v[62:63], -v[56:57]
	;; [unrolled: 1-line block ×4, first 2 shown]
	v_add_f64 v[54:55], v[54:55], v[62:63]
	v_add_f64 v[56:57], v[56:57], -v[60:61]
	v_add_f64 v[68:69], v[68:69], -v[70:71]
	v_add_f64 v[54:55], v[54:55], v[56:57]
	v_add_f64 v[54:55], v[68:69], v[54:55]
	;; [unrolled: 1-line block ×3, first 2 shown]
	v_mul_f64 v[54:55], v[58:59], v[54:55]
	v_add_f64 v[54:55], v[66:67], v[54:55]
	v_add_f64 v[56:57], v[64:65], v[54:55]
	v_add_f64 v[62:63], v[56:57], -v[64:65]
	v_add_f64 v[58:59], v[50:51], -v[56:57]
	;; [unrolled: 1-line block ×3, first 2 shown]
	v_add_f64 v[62:63], v[50:51], v[56:57]
	v_add_f64 v[60:61], v[50:51], -v[58:59]
	v_add_f64 v[50:51], v[62:63], -v[50:51]
	v_add_f64 v[64:65], v[52:53], v[54:55]
	v_add_f64 v[50:51], v[56:57], -v[50:51]
	v_add_f64 v[50:51], v[64:65], v[50:51]
	;; [unrolled: 2-line block ×3, first 2 shown]
	v_rcp_f64_e32 v[64:65], v[56:57]
	v_add_f64 v[52:53], v[52:53], v[60:61]
	v_add_f64 v[52:53], v[52:53], -v[54:55]
	v_add_f64 v[54:55], v[58:59], v[52:53]
	v_fma_f64 v[60:61], -v[56:57], v[64:65], 1.0
	v_fmac_f64_e32 v[64:65], v[60:61], v[64:65]
	v_fma_f64 v[60:61], -v[56:57], v[64:65], 1.0
	v_fmac_f64_e32 v[64:65], v[60:61], v[64:65]
	v_mul_f64 v[60:61], v[54:55], v[64:65]
	v_mul_f64 v[66:67], v[56:57], v[60:61]
	v_add_f64 v[62:63], v[56:57], -v[62:63]
	v_add_f64 v[50:51], v[50:51], -v[62:63]
	v_fma_f64 v[56:57], v[60:61], v[56:57], -v[66:67]
	v_fmac_f64_e32 v[56:57], v[60:61], v[50:51]
	v_add_f64 v[50:51], v[66:67], v[56:57]
	v_add_f64 v[62:63], v[54:55], -v[50:51]
	v_add_f64 v[58:59], v[54:55], -v[58:59]
	;; [unrolled: 1-line block ×8, first 2 shown]
	v_add_f64 v[50:51], v[52:53], v[50:51]
	v_add_f64 v[50:51], v[62:63], v[50:51]
	v_mul_f64 v[50:51], v[64:65], v[50:51]
	v_add_f64 v[50:51], v[60:61], v[50:51]
	v_cmp_ngt_f64_e64 s[4:5], |v[42:43]|, s[28:29]
	v_and_b32_e32 v74, 0x7fffffff, v43
	v_cndmask_b32_e64 v51, v49, v51, s[4:5]
	v_cndmask_b32_e64 v50, 0, v50, s[4:5]
	v_cmp_lt_f64_e64 s[4:5], |v[42:43]|, s[16:17]
	v_cndmask_b32_e64 v42, v50, v42, s[4:5]
	v_cndmask_b32_e64 v50, v51, v74, s[4:5]
	v_bfi_b32 v43, s36, v50, v43
	v_mov_b32_e32 v51, s9
	v_add_co_u32_e64 v50, s[4:5], s8, v4
	v_addc_co_u32_e64 v51, s[4:5], v3, v51, s[4:5]
	global_store_dwordx2 v[50:51], v[42:43], off
	s_or_b64 exec, exec, s[6:7]
	s_and_saveexec_b64 s[4:5], s[2:3]
	s_cbranch_execz .LBB154_18
.LBB154_22:                             ;   in Loop: Header=BB154_9 Depth=1
	s_waitcnt vmcnt(0)
	v_mul_f64 v[42:43], |v[40:41]|, s[18:19]
	v_rndne_f64_e32 v[42:43], v[42:43]
	v_fma_f64 v[50:51], v[42:43], s[20:21], |v[40:41]|
	v_add_f64 v[52:53], v[50:51], 0
	v_mul_f64 v[54:55], v[42:43], s[22:23]
	v_add_f64 v[56:57], v[52:53], v[54:55]
	v_add_f64 v[50:51], v[50:51], -v[52:53]
	v_add_f64 v[52:53], v[52:53], -v[56:57]
	v_add_f64 v[50:51], v[50:51], 0
	v_add_f64 v[52:53], v[52:53], v[54:55]
	;; [unrolled: 1-line block ×4, first 2 shown]
	v_add_f64 v[54:55], v[56:57], -v[52:53]
	v_add_f64 v[50:51], v[50:51], v[54:55]
	v_mul_f64 v[54:55], v[42:43], s[24:25]
	v_add_f64 v[56:57], v[52:53], v[54:55]
	v_add_f64 v[52:53], v[52:53], -v[56:57]
	v_add_f64 v[52:53], v[52:53], v[54:55]
	v_add_f64 v[50:51], v[50:51], v[52:53]
	;; [unrolled: 1-line block ×3, first 2 shown]
	v_add_f64 v[54:55], v[56:57], -v[52:53]
	v_add_f64 v[50:51], v[50:51], v[54:55]
	v_pk_mov_b32 v[54:55], v[18:19], v[18:19] op_sel:[0,1]
	v_fmac_f64_e32 v[54:55], s[26:27], v[52:53]
	v_pk_mov_b32 v[56:57], v[20:21], v[20:21] op_sel:[0,1]
	v_fmac_f64_e32 v[56:57], v[52:53], v[54:55]
	;; [unrolled: 2-line block ×9, first 2 shown]
	v_mul_f64 v[56:57], v[52:53], v[52:53]
	v_fma_f64 v[58:59], v[52:53], v[52:53], -v[56:57]
	v_add_f64 v[60:61], v[50:51], v[50:51]
	v_fmac_f64_e32 v[58:59], v[52:53], v[60:61]
	v_add_f64 v[60:61], v[56:57], v[58:59]
	v_add_f64 v[56:57], v[60:61], -v[56:57]
	v_add_f64 v[56:57], v[58:59], -v[56:57]
	v_mul_f64 v[58:59], v[60:61], v[54:55]
	v_fma_f64 v[60:61], v[60:61], v[54:55], -v[58:59]
	v_fmac_f64_e32 v[60:61], v[56:57], v[54:55]
	v_add_f64 v[54:55], v[58:59], v[60:61]
	v_add_f64 v[56:57], v[54:55], -v[58:59]
	v_add_f64 v[58:59], v[52:53], v[54:55]
	v_add_f64 v[56:57], v[60:61], -v[56:57]
	v_add_f64 v[52:53], v[58:59], -v[52:53]
	v_add_f64 v[52:53], v[54:55], -v[52:53]
	v_add_f64 v[50:51], v[50:51], v[56:57]
	v_add_f64 v[50:51], v[50:51], v[52:53]
	;; [unrolled: 1-line block ×3, first 2 shown]
	v_add_f64 v[54:55], v[52:53], -v[58:59]
	v_add_f64 v[50:51], v[50:51], -v[54:55]
	v_add_f64 v[54:55], v[52:53], 1.0
	v_add_f64 v[56:57], v[54:55], -1.0
	v_add_f64 v[52:53], v[52:53], -v[56:57]
	v_add_f64 v[50:51], v[50:51], v[52:53]
	v_add_f64 v[52:53], v[54:55], v[50:51]
	v_cvt_i32_f64_e32 v58, v[42:43]
	v_ldexp_f64 v[42:43], v[52:53], v58
	v_rcp_f64_e32 v[56:57], v[42:43]
	v_add_f64 v[52:53], v[52:53], -v[54:55]
	v_add_f64 v[50:51], v[50:51], -v[52:53]
	v_ldexp_f64 v[50:51], v[50:51], v58
	v_fma_f64 v[52:53], -v[42:43], v[56:57], 1.0
	v_fmac_f64_e32 v[56:57], v[52:53], v[56:57]
	v_fma_f64 v[52:53], -v[42:43], v[56:57], 1.0
	v_fmac_f64_e32 v[56:57], v[52:53], v[56:57]
	v_mul_f64 v[52:53], v[42:43], v[56:57]
	v_fma_f64 v[54:55], v[56:57], v[42:43], -v[52:53]
	v_fmac_f64_e32 v[54:55], v[56:57], v[50:51]
	v_add_f64 v[58:59], v[52:53], v[54:55]
	v_add_f64 v[60:61], -v[58:59], 1.0
	v_add_f64 v[52:53], v[58:59], -v[52:53]
	v_add_f64 v[62:63], -v[60:61], 1.0
	v_add_f64 v[58:59], v[62:63], -v[58:59]
	v_add_f64 v[52:53], v[52:53], -v[54:55]
	v_add_f64 v[52:53], v[52:53], v[58:59]
	v_add_f64 v[54:55], v[60:61], v[52:53]
	v_add_f64 v[58:59], v[60:61], -v[54:55]
	v_add_f64 v[52:53], v[52:53], v[58:59]
	v_mul_f64 v[58:59], v[56:57], v[54:55]
	v_mul_f64 v[60:61], v[42:43], v[58:59]
	v_fma_f64 v[62:63], v[58:59], v[42:43], -v[60:61]
	v_fmac_f64_e32 v[62:63], v[58:59], v[50:51]
	v_add_f64 v[64:65], v[60:61], v[62:63]
	v_add_f64 v[66:67], v[54:55], -v[64:65]
	v_add_f64 v[54:55], v[54:55], -v[66:67]
	;; [unrolled: 1-line block ×4, first 2 shown]
	v_add_f64 v[52:53], v[52:53], v[54:55]
	v_add_f64 v[54:55], v[60:61], -v[62:63]
	v_add_f64 v[52:53], v[54:55], v[52:53]
	v_add_f64 v[52:53], v[66:67], v[52:53]
	;; [unrolled: 1-line block ×3, first 2 shown]
	v_mul_f64 v[52:53], v[56:57], v[52:53]
	v_add_f64 v[56:57], v[54:55], -v[56:57]
	v_add_f64 v[56:57], v[58:59], -v[56:57]
	v_add_f64 v[52:53], v[56:57], v[52:53]
	v_add_f64 v[56:57], v[54:55], v[52:53]
	v_add_f64 v[54:55], v[56:57], -v[54:55]
	v_add_f64 v[52:53], v[52:53], -v[54:55]
	;; [unrolled: 1-line block ×4, first 2 shown]
	v_add_f64 v[62:63], v[42:43], v[56:57]
	v_add_f64 v[58:59], v[58:59], -v[56:57]
	v_add_f64 v[42:43], v[62:63], -v[42:43]
	v_add_f64 v[58:59], v[50:51], v[58:59]
	v_add_f64 v[42:43], v[56:57], -v[42:43]
	v_add_f64 v[50:51], v[50:51], v[52:53]
	v_add_f64 v[42:43], v[50:51], v[42:43]
	;; [unrolled: 1-line block ×3, first 2 shown]
	v_add_f64 v[58:59], v[58:59], -v[52:53]
	v_rcp_f64_e32 v[52:53], v[50:51]
	v_add_f64 v[56:57], v[50:51], -v[62:63]
	v_add_f64 v[42:43], v[42:43], -v[56:57]
	v_add_f64 v[60:61], v[54:55], v[58:59]
	v_fma_f64 v[56:57], -v[50:51], v[52:53], 1.0
	v_fmac_f64_e32 v[52:53], v[56:57], v[52:53]
	v_fma_f64 v[56:57], -v[50:51], v[52:53], 1.0
	v_fmac_f64_e32 v[52:53], v[56:57], v[52:53]
	v_add_f64 v[54:55], v[60:61], -v[54:55]
	v_mul_f64 v[56:57], v[60:61], v[52:53]
	v_add_f64 v[54:55], v[58:59], -v[54:55]
	v_mul_f64 v[58:59], v[50:51], v[56:57]
	v_fma_f64 v[50:51], v[56:57], v[50:51], -v[58:59]
	v_fmac_f64_e32 v[50:51], v[56:57], v[42:43]
	v_add_f64 v[42:43], v[58:59], v[50:51]
	v_add_f64 v[58:59], v[42:43], -v[58:59]
	v_add_f64 v[50:51], v[50:51], -v[58:59]
	;; [unrolled: 1-line block ×6, first 2 shown]
	v_add_f64 v[42:43], v[54:55], v[42:43]
	v_add_f64 v[42:43], v[58:59], v[42:43]
	v_mul_f64 v[42:43], v[52:53], v[42:43]
	v_add_f64 v[42:43], v[56:57], v[42:43]
	v_cmp_ngt_f64_e64 s[2:3], |v[40:41]|, s[28:29]
	v_and_b32_e32 v68, 0x7fffffff, v41
	v_cndmask_b32_e64 v43, v49, v43, s[2:3]
	v_cndmask_b32_e64 v42, 0, v42, s[2:3]
	v_cmp_lt_f64_e64 s[2:3], |v[40:41]|, s[16:17]
	v_cndmask_b32_e64 v40, v42, v40, s[2:3]
	v_cndmask_b32_e64 v42, v43, v68, s[2:3]
	v_bfi_b32 v41, s36, v42, v41
	v_mov_b32_e32 v43, s9
	v_add_co_u32_e64 v42, s[2:3], s8, v16
	v_addc_co_u32_e64 v43, s[2:3], v15, v43, s[2:3]
	global_store_dwordx2 v[42:43], v[40:41], off
	s_or_b64 exec, exec, s[4:5]
	s_and_saveexec_b64 s[2:3], s[0:1]
	s_cbranch_execz .LBB154_19
.LBB154_23:                             ;   in Loop: Header=BB154_9 Depth=1
	s_waitcnt vmcnt(0)
	v_mul_f64 v[40:41], |v[38:39]|, s[18:19]
	v_rndne_f64_e32 v[40:41], v[40:41]
	v_fma_f64 v[42:43], v[40:41], s[20:21], |v[38:39]|
	v_add_f64 v[50:51], v[42:43], 0
	v_mul_f64 v[52:53], v[40:41], s[22:23]
	v_add_f64 v[54:55], v[50:51], v[52:53]
	v_add_f64 v[42:43], v[42:43], -v[50:51]
	v_add_f64 v[50:51], v[50:51], -v[54:55]
	v_add_f64 v[42:43], v[42:43], 0
	v_add_f64 v[50:51], v[50:51], v[52:53]
	;; [unrolled: 1-line block ×4, first 2 shown]
	v_add_f64 v[52:53], v[54:55], -v[50:51]
	v_add_f64 v[42:43], v[42:43], v[52:53]
	v_mul_f64 v[52:53], v[40:41], s[24:25]
	v_add_f64 v[54:55], v[50:51], v[52:53]
	v_add_f64 v[50:51], v[50:51], -v[54:55]
	v_add_f64 v[50:51], v[50:51], v[52:53]
	v_add_f64 v[42:43], v[42:43], v[50:51]
	;; [unrolled: 1-line block ×3, first 2 shown]
	v_add_f64 v[52:53], v[54:55], -v[50:51]
	v_add_f64 v[42:43], v[42:43], v[52:53]
	v_pk_mov_b32 v[52:53], v[18:19], v[18:19] op_sel:[0,1]
	v_fmac_f64_e32 v[52:53], s[26:27], v[50:51]
	v_pk_mov_b32 v[54:55], v[20:21], v[20:21] op_sel:[0,1]
	v_fmac_f64_e32 v[54:55], v[50:51], v[52:53]
	;; [unrolled: 2-line block ×9, first 2 shown]
	v_mul_f64 v[54:55], v[50:51], v[50:51]
	v_fma_f64 v[56:57], v[50:51], v[50:51], -v[54:55]
	v_add_f64 v[58:59], v[42:43], v[42:43]
	v_fmac_f64_e32 v[56:57], v[50:51], v[58:59]
	v_add_f64 v[58:59], v[54:55], v[56:57]
	v_add_f64 v[54:55], v[58:59], -v[54:55]
	v_add_f64 v[54:55], v[56:57], -v[54:55]
	v_mul_f64 v[56:57], v[58:59], v[52:53]
	v_fma_f64 v[58:59], v[58:59], v[52:53], -v[56:57]
	v_fmac_f64_e32 v[58:59], v[54:55], v[52:53]
	v_add_f64 v[52:53], v[56:57], v[58:59]
	v_add_f64 v[54:55], v[52:53], -v[56:57]
	v_add_f64 v[56:57], v[50:51], v[52:53]
	v_add_f64 v[54:55], v[58:59], -v[54:55]
	v_add_f64 v[50:51], v[56:57], -v[50:51]
	;; [unrolled: 1-line block ×3, first 2 shown]
	v_add_f64 v[42:43], v[42:43], v[54:55]
	v_add_f64 v[42:43], v[42:43], v[50:51]
	;; [unrolled: 1-line block ×3, first 2 shown]
	v_add_f64 v[52:53], v[50:51], -v[56:57]
	v_add_f64 v[42:43], v[42:43], -v[52:53]
	v_add_f64 v[52:53], v[50:51], 1.0
	v_add_f64 v[54:55], v[52:53], -1.0
	v_add_f64 v[50:51], v[50:51], -v[54:55]
	v_add_f64 v[42:43], v[42:43], v[50:51]
	v_add_f64 v[50:51], v[52:53], v[42:43]
	v_cvt_i32_f64_e32 v56, v[40:41]
	v_ldexp_f64 v[40:41], v[50:51], v56
	v_rcp_f64_e32 v[54:55], v[40:41]
	v_add_f64 v[50:51], v[50:51], -v[52:53]
	v_add_f64 v[42:43], v[42:43], -v[50:51]
	v_ldexp_f64 v[42:43], v[42:43], v56
	v_fma_f64 v[50:51], -v[40:41], v[54:55], 1.0
	v_fmac_f64_e32 v[54:55], v[50:51], v[54:55]
	v_fma_f64 v[50:51], -v[40:41], v[54:55], 1.0
	v_fmac_f64_e32 v[54:55], v[50:51], v[54:55]
	v_mul_f64 v[50:51], v[40:41], v[54:55]
	v_fma_f64 v[52:53], v[54:55], v[40:41], -v[50:51]
	v_fmac_f64_e32 v[52:53], v[54:55], v[42:43]
	v_add_f64 v[56:57], v[50:51], v[52:53]
	v_add_f64 v[58:59], -v[56:57], 1.0
	v_add_f64 v[50:51], v[56:57], -v[50:51]
	v_add_f64 v[60:61], -v[58:59], 1.0
	v_add_f64 v[56:57], v[60:61], -v[56:57]
	v_add_f64 v[50:51], v[50:51], -v[52:53]
	v_add_f64 v[50:51], v[50:51], v[56:57]
	v_add_f64 v[52:53], v[58:59], v[50:51]
	v_add_f64 v[56:57], v[58:59], -v[52:53]
	v_add_f64 v[50:51], v[50:51], v[56:57]
	v_mul_f64 v[56:57], v[54:55], v[52:53]
	v_mul_f64 v[58:59], v[40:41], v[56:57]
	v_fma_f64 v[60:61], v[56:57], v[40:41], -v[58:59]
	v_fmac_f64_e32 v[60:61], v[56:57], v[42:43]
	v_add_f64 v[62:63], v[58:59], v[60:61]
	v_add_f64 v[64:65], v[52:53], -v[62:63]
	v_add_f64 v[52:53], v[52:53], -v[64:65]
	;; [unrolled: 1-line block ×4, first 2 shown]
	v_add_f64 v[50:51], v[50:51], v[52:53]
	v_add_f64 v[52:53], v[58:59], -v[60:61]
	v_add_f64 v[50:51], v[52:53], v[50:51]
	v_add_f64 v[50:51], v[64:65], v[50:51]
	;; [unrolled: 1-line block ×3, first 2 shown]
	v_mul_f64 v[50:51], v[54:55], v[50:51]
	v_add_f64 v[54:55], v[52:53], -v[54:55]
	v_add_f64 v[54:55], v[56:57], -v[54:55]
	v_add_f64 v[50:51], v[54:55], v[50:51]
	v_add_f64 v[54:55], v[52:53], v[50:51]
	v_add_f64 v[52:53], v[54:55], -v[52:53]
	v_add_f64 v[50:51], v[50:51], -v[52:53]
	;; [unrolled: 1-line block ×4, first 2 shown]
	v_add_f64 v[60:61], v[40:41], v[54:55]
	v_add_f64 v[56:57], v[56:57], -v[54:55]
	v_add_f64 v[40:41], v[60:61], -v[40:41]
	v_add_f64 v[56:57], v[42:43], v[56:57]
	v_add_f64 v[40:41], v[54:55], -v[40:41]
	v_add_f64 v[42:43], v[42:43], v[50:51]
	v_add_f64 v[40:41], v[42:43], v[40:41]
	v_add_f64 v[42:43], v[60:61], v[40:41]
	v_add_f64 v[56:57], v[56:57], -v[50:51]
	v_rcp_f64_e32 v[50:51], v[42:43]
	v_add_f64 v[54:55], v[42:43], -v[60:61]
	v_add_f64 v[40:41], v[40:41], -v[54:55]
	v_add_f64 v[58:59], v[52:53], v[56:57]
	v_fma_f64 v[54:55], -v[42:43], v[50:51], 1.0
	v_fmac_f64_e32 v[50:51], v[54:55], v[50:51]
	v_fma_f64 v[54:55], -v[42:43], v[50:51], 1.0
	v_fmac_f64_e32 v[50:51], v[54:55], v[50:51]
	v_add_f64 v[52:53], v[58:59], -v[52:53]
	v_mul_f64 v[54:55], v[58:59], v[50:51]
	v_add_f64 v[52:53], v[56:57], -v[52:53]
	v_mul_f64 v[56:57], v[42:43], v[54:55]
	v_fma_f64 v[42:43], v[54:55], v[42:43], -v[56:57]
	v_fmac_f64_e32 v[42:43], v[54:55], v[40:41]
	v_add_f64 v[40:41], v[56:57], v[42:43]
	v_add_f64 v[56:57], v[40:41], -v[56:57]
	v_add_f64 v[42:43], v[42:43], -v[56:57]
	;; [unrolled: 1-line block ×6, first 2 shown]
	v_add_f64 v[40:41], v[52:53], v[40:41]
	v_add_f64 v[40:41], v[56:57], v[40:41]
	v_mul_f64 v[40:41], v[50:51], v[40:41]
	v_add_f64 v[40:41], v[54:55], v[40:41]
	v_cmp_ngt_f64_e64 s[0:1], |v[38:39]|, s[28:29]
	v_and_b32_e32 v66, 0x7fffffff, v39
	v_cndmask_b32_e64 v41, v49, v41, s[0:1]
	v_cndmask_b32_e64 v40, 0, v40, s[0:1]
	v_cmp_lt_f64_e64 s[0:1], |v[38:39]|, s[16:17]
	v_cndmask_b32_e64 v38, v40, v38, s[0:1]
	v_cndmask_b32_e64 v40, v41, v66, s[0:1]
	v_bfi_b32 v39, s36, v40, v39
	v_mov_b32_e32 v41, s9
	v_add_co_u32_e64 v40, s[0:1], s8, v12
	v_addc_co_u32_e64 v41, s[0:1], v11, v41, s[0:1]
	global_store_dwordx2 v[40:41], v[38:39], off
	s_or_b64 exec, exec, s[2:3]
	s_and_saveexec_b64 s[0:1], vcc
	s_cbranch_execz .LBB154_8
.LBB154_24:                             ;   in Loop: Header=BB154_9 Depth=1
	s_waitcnt vmcnt(0)
	v_mul_f64 v[38:39], |v[36:37]|, s[18:19]
	v_rndne_f64_e32 v[38:39], v[38:39]
	v_fma_f64 v[40:41], v[38:39], s[20:21], |v[36:37]|
	v_add_f64 v[42:43], v[40:41], 0
	v_mul_f64 v[50:51], v[38:39], s[22:23]
	v_add_f64 v[52:53], v[42:43], v[50:51]
	v_add_f64 v[40:41], v[40:41], -v[42:43]
	v_add_f64 v[42:43], v[42:43], -v[52:53]
	v_add_f64 v[40:41], v[40:41], 0
	v_add_f64 v[42:43], v[42:43], v[50:51]
	;; [unrolled: 1-line block ×4, first 2 shown]
	v_add_f64 v[50:51], v[52:53], -v[42:43]
	v_add_f64 v[40:41], v[40:41], v[50:51]
	v_mul_f64 v[50:51], v[38:39], s[24:25]
	v_add_f64 v[52:53], v[42:43], v[50:51]
	v_add_f64 v[42:43], v[42:43], -v[52:53]
	v_add_f64 v[42:43], v[42:43], v[50:51]
	v_add_f64 v[40:41], v[40:41], v[42:43]
	;; [unrolled: 1-line block ×3, first 2 shown]
	v_add_f64 v[50:51], v[52:53], -v[42:43]
	v_add_f64 v[40:41], v[40:41], v[50:51]
	v_pk_mov_b32 v[50:51], v[18:19], v[18:19] op_sel:[0,1]
	v_fmac_f64_e32 v[50:51], s[26:27], v[42:43]
	v_pk_mov_b32 v[52:53], v[20:21], v[20:21] op_sel:[0,1]
	v_fmac_f64_e32 v[52:53], v[42:43], v[50:51]
	;; [unrolled: 2-line block ×9, first 2 shown]
	v_mul_f64 v[52:53], v[42:43], v[42:43]
	v_fma_f64 v[54:55], v[42:43], v[42:43], -v[52:53]
	v_add_f64 v[56:57], v[40:41], v[40:41]
	v_fmac_f64_e32 v[54:55], v[42:43], v[56:57]
	v_add_f64 v[56:57], v[52:53], v[54:55]
	v_add_f64 v[52:53], v[56:57], -v[52:53]
	v_add_f64 v[52:53], v[54:55], -v[52:53]
	v_mul_f64 v[54:55], v[56:57], v[50:51]
	v_fma_f64 v[56:57], v[56:57], v[50:51], -v[54:55]
	v_fmac_f64_e32 v[56:57], v[52:53], v[50:51]
	v_add_f64 v[50:51], v[54:55], v[56:57]
	v_add_f64 v[52:53], v[50:51], -v[54:55]
	v_add_f64 v[54:55], v[42:43], v[50:51]
	v_add_f64 v[52:53], v[56:57], -v[52:53]
	v_add_f64 v[42:43], v[54:55], -v[42:43]
	;; [unrolled: 1-line block ×3, first 2 shown]
	v_add_f64 v[40:41], v[40:41], v[52:53]
	v_add_f64 v[40:41], v[40:41], v[42:43]
	;; [unrolled: 1-line block ×3, first 2 shown]
	v_add_f64 v[50:51], v[42:43], -v[54:55]
	v_add_f64 v[40:41], v[40:41], -v[50:51]
	v_add_f64 v[50:51], v[42:43], 1.0
	v_add_f64 v[52:53], v[50:51], -1.0
	v_add_f64 v[42:43], v[42:43], -v[52:53]
	v_add_f64 v[40:41], v[40:41], v[42:43]
	v_add_f64 v[42:43], v[50:51], v[40:41]
	v_cvt_i32_f64_e32 v54, v[38:39]
	v_ldexp_f64 v[38:39], v[42:43], v54
	v_rcp_f64_e32 v[52:53], v[38:39]
	v_add_f64 v[42:43], v[42:43], -v[50:51]
	v_add_f64 v[40:41], v[40:41], -v[42:43]
	v_ldexp_f64 v[40:41], v[40:41], v54
	v_fma_f64 v[42:43], -v[38:39], v[52:53], 1.0
	v_fmac_f64_e32 v[52:53], v[42:43], v[52:53]
	v_fma_f64 v[42:43], -v[38:39], v[52:53], 1.0
	v_fmac_f64_e32 v[52:53], v[42:43], v[52:53]
	v_mul_f64 v[42:43], v[38:39], v[52:53]
	v_fma_f64 v[50:51], v[52:53], v[38:39], -v[42:43]
	v_fmac_f64_e32 v[50:51], v[52:53], v[40:41]
	v_add_f64 v[54:55], v[42:43], v[50:51]
	v_add_f64 v[56:57], -v[54:55], 1.0
	v_add_f64 v[42:43], v[54:55], -v[42:43]
	v_add_f64 v[58:59], -v[56:57], 1.0
	v_add_f64 v[54:55], v[58:59], -v[54:55]
	v_add_f64 v[42:43], v[42:43], -v[50:51]
	v_add_f64 v[42:43], v[42:43], v[54:55]
	v_add_f64 v[50:51], v[56:57], v[42:43]
	v_add_f64 v[54:55], v[56:57], -v[50:51]
	v_add_f64 v[42:43], v[42:43], v[54:55]
	v_mul_f64 v[54:55], v[52:53], v[50:51]
	v_mul_f64 v[56:57], v[38:39], v[54:55]
	v_fma_f64 v[58:59], v[54:55], v[38:39], -v[56:57]
	v_fmac_f64_e32 v[58:59], v[54:55], v[40:41]
	v_add_f64 v[60:61], v[56:57], v[58:59]
	v_add_f64 v[62:63], v[50:51], -v[60:61]
	v_add_f64 v[50:51], v[50:51], -v[62:63]
	;; [unrolled: 1-line block ×4, first 2 shown]
	v_add_f64 v[42:43], v[42:43], v[50:51]
	v_add_f64 v[50:51], v[56:57], -v[58:59]
	v_add_f64 v[42:43], v[50:51], v[42:43]
	v_add_f64 v[42:43], v[62:63], v[42:43]
	;; [unrolled: 1-line block ×3, first 2 shown]
	v_mul_f64 v[42:43], v[52:53], v[42:43]
	v_add_f64 v[52:53], v[50:51], -v[52:53]
	v_add_f64 v[52:53], v[54:55], -v[52:53]
	v_add_f64 v[42:43], v[52:53], v[42:43]
	v_add_f64 v[52:53], v[50:51], v[42:43]
	v_add_f64 v[50:51], v[52:53], -v[50:51]
	v_add_f64 v[42:43], v[42:43], -v[50:51]
	;; [unrolled: 1-line block ×4, first 2 shown]
	v_add_f64 v[58:59], v[38:39], v[52:53]
	v_add_f64 v[54:55], v[54:55], -v[52:53]
	v_add_f64 v[38:39], v[58:59], -v[38:39]
	v_add_f64 v[54:55], v[40:41], v[54:55]
	v_add_f64 v[38:39], v[52:53], -v[38:39]
	v_add_f64 v[40:41], v[40:41], v[42:43]
	v_add_f64 v[38:39], v[40:41], v[38:39]
	;; [unrolled: 1-line block ×3, first 2 shown]
	v_add_f64 v[54:55], v[54:55], -v[42:43]
	v_rcp_f64_e32 v[42:43], v[40:41]
	v_add_f64 v[52:53], v[40:41], -v[58:59]
	v_add_f64 v[38:39], v[38:39], -v[52:53]
	v_add_f64 v[56:57], v[50:51], v[54:55]
	v_fma_f64 v[52:53], -v[40:41], v[42:43], 1.0
	v_fmac_f64_e32 v[42:43], v[52:53], v[42:43]
	v_fma_f64 v[52:53], -v[40:41], v[42:43], 1.0
	v_fmac_f64_e32 v[42:43], v[52:53], v[42:43]
	v_add_f64 v[50:51], v[56:57], -v[50:51]
	v_mul_f64 v[52:53], v[56:57], v[42:43]
	v_add_f64 v[50:51], v[54:55], -v[50:51]
	v_mul_f64 v[54:55], v[40:41], v[52:53]
	v_fma_f64 v[40:41], v[52:53], v[40:41], -v[54:55]
	v_fmac_f64_e32 v[40:41], v[52:53], v[38:39]
	v_add_f64 v[38:39], v[54:55], v[40:41]
	v_add_f64 v[54:55], v[38:39], -v[54:55]
	v_add_f64 v[40:41], v[40:41], -v[54:55]
	;; [unrolled: 1-line block ×6, first 2 shown]
	v_add_f64 v[38:39], v[50:51], v[38:39]
	v_add_f64 v[38:39], v[54:55], v[38:39]
	v_mul_f64 v[38:39], v[42:43], v[38:39]
	v_add_f64 v[38:39], v[52:53], v[38:39]
	v_cmp_ngt_f64_e64 vcc, |v[36:37]|, s[28:29]
	v_and_b32_e32 v64, 0x7fffffff, v37
	v_cndmask_b32_e32 v39, v49, v39, vcc
	v_cndmask_b32_e32 v38, 0, v38, vcc
	v_cmp_lt_f64_e64 vcc, |v[36:37]|, s[16:17]
	v_cndmask_b32_e32 v36, v38, v36, vcc
	v_cndmask_b32_e32 v38, v39, v64, vcc
	v_bfi_b32 v37, s36, v38, v37
	v_mov_b32_e32 v39, s9
	v_add_co_u32_e32 v38, vcc, s8, v8
	v_addc_co_u32_e32 v39, vcc, v7, v39, vcc
	global_store_dwordx2 v[38:39], v[36:37], off
	s_branch .LBB154_8
.LBB154_25:
	s_endpgm
	.section	.rodata,"a",@progbits
	.p2align	6, 0x0
	.amdhsa_kernel _ZN2at6native12_GLOBAL__N_125multi_tensor_apply_kernelINS1_18TensorListMetadataILi2EEENS1_14UnaryOpFunctorIdLi2ELi1ELi1EEEJNS0_4TanhIdEEEEEvT_T0_DpT1_
		.amdhsa_group_segment_fixed_size 0
		.amdhsa_private_segment_fixed_size 0
		.amdhsa_kernarg_size 3408
		.amdhsa_user_sgpr_count 6
		.amdhsa_user_sgpr_private_segment_buffer 1
		.amdhsa_user_sgpr_dispatch_ptr 0
		.amdhsa_user_sgpr_queue_ptr 0
		.amdhsa_user_sgpr_kernarg_segment_ptr 1
		.amdhsa_user_sgpr_dispatch_id 0
		.amdhsa_user_sgpr_flat_scratch_init 0
		.amdhsa_user_sgpr_kernarg_preload_length 0
		.amdhsa_user_sgpr_kernarg_preload_offset 0
		.amdhsa_user_sgpr_private_segment_size 0
		.amdhsa_uses_dynamic_stack 0
		.amdhsa_system_sgpr_private_segment_wavefront_offset 0
		.amdhsa_system_sgpr_workgroup_id_x 1
		.amdhsa_system_sgpr_workgroup_id_y 0
		.amdhsa_system_sgpr_workgroup_id_z 0
		.amdhsa_system_sgpr_workgroup_info 0
		.amdhsa_system_vgpr_workitem_id 0
		.amdhsa_next_free_vgpr 75
		.amdhsa_next_free_sgpr 56
		.amdhsa_accum_offset 76
		.amdhsa_reserve_vcc 1
		.amdhsa_reserve_flat_scratch 0
		.amdhsa_float_round_mode_32 0
		.amdhsa_float_round_mode_16_64 0
		.amdhsa_float_denorm_mode_32 3
		.amdhsa_float_denorm_mode_16_64 3
		.amdhsa_dx10_clamp 1
		.amdhsa_ieee_mode 1
		.amdhsa_fp16_overflow 0
		.amdhsa_tg_split 0
		.amdhsa_exception_fp_ieee_invalid_op 0
		.amdhsa_exception_fp_denorm_src 0
		.amdhsa_exception_fp_ieee_div_zero 0
		.amdhsa_exception_fp_ieee_overflow 0
		.amdhsa_exception_fp_ieee_underflow 0
		.amdhsa_exception_fp_ieee_inexact 0
		.amdhsa_exception_int_div_zero 0
	.end_amdhsa_kernel
	.section	.text._ZN2at6native12_GLOBAL__N_125multi_tensor_apply_kernelINS1_18TensorListMetadataILi2EEENS1_14UnaryOpFunctorIdLi2ELi1ELi1EEEJNS0_4TanhIdEEEEEvT_T0_DpT1_,"axG",@progbits,_ZN2at6native12_GLOBAL__N_125multi_tensor_apply_kernelINS1_18TensorListMetadataILi2EEENS1_14UnaryOpFunctorIdLi2ELi1ELi1EEEJNS0_4TanhIdEEEEEvT_T0_DpT1_,comdat
.Lfunc_end154:
	.size	_ZN2at6native12_GLOBAL__N_125multi_tensor_apply_kernelINS1_18TensorListMetadataILi2EEENS1_14UnaryOpFunctorIdLi2ELi1ELi1EEEJNS0_4TanhIdEEEEEvT_T0_DpT1_, .Lfunc_end154-_ZN2at6native12_GLOBAL__N_125multi_tensor_apply_kernelINS1_18TensorListMetadataILi2EEENS1_14UnaryOpFunctorIdLi2ELi1ELi1EEEJNS0_4TanhIdEEEEEvT_T0_DpT1_
                                        ; -- End function
	.section	.AMDGPU.csdata,"",@progbits
; Kernel info:
; codeLenInByte = 10664
; NumSgprs: 60
; NumVgprs: 75
; NumAgprs: 0
; TotalNumVgprs: 75
; ScratchSize: 0
; MemoryBound: 0
; FloatMode: 240
; IeeeMode: 1
; LDSByteSize: 0 bytes/workgroup (compile time only)
; SGPRBlocks: 7
; VGPRBlocks: 9
; NumSGPRsForWavesPerEU: 60
; NumVGPRsForWavesPerEU: 75
; AccumOffset: 76
; Occupancy: 6
; WaveLimiterHint : 0
; COMPUTE_PGM_RSRC2:SCRATCH_EN: 0
; COMPUTE_PGM_RSRC2:USER_SGPR: 6
; COMPUTE_PGM_RSRC2:TRAP_HANDLER: 0
; COMPUTE_PGM_RSRC2:TGID_X_EN: 1
; COMPUTE_PGM_RSRC2:TGID_Y_EN: 0
; COMPUTE_PGM_RSRC2:TGID_Z_EN: 0
; COMPUTE_PGM_RSRC2:TIDIG_COMP_CNT: 0
; COMPUTE_PGM_RSRC3_GFX90A:ACCUM_OFFSET: 18
; COMPUTE_PGM_RSRC3_GFX90A:TG_SPLIT: 0
	.section	.text._ZN2at6native12_GLOBAL__N_125multi_tensor_apply_kernelINS1_18TensorListMetadataILi2EEENS1_14UnaryOpFunctorIfLi2ELi1ELi1EEEJNS0_4TanhIfEEEEEvT_T0_DpT1_,"axG",@progbits,_ZN2at6native12_GLOBAL__N_125multi_tensor_apply_kernelINS1_18TensorListMetadataILi2EEENS1_14UnaryOpFunctorIfLi2ELi1ELi1EEEJNS0_4TanhIfEEEEEvT_T0_DpT1_,comdat
	.globl	_ZN2at6native12_GLOBAL__N_125multi_tensor_apply_kernelINS1_18TensorListMetadataILi2EEENS1_14UnaryOpFunctorIfLi2ELi1ELi1EEEJNS0_4TanhIfEEEEEvT_T0_DpT1_ ; -- Begin function _ZN2at6native12_GLOBAL__N_125multi_tensor_apply_kernelINS1_18TensorListMetadataILi2EEENS1_14UnaryOpFunctorIfLi2ELi1ELi1EEEJNS0_4TanhIfEEEEEvT_T0_DpT1_
	.p2align	8
	.type	_ZN2at6native12_GLOBAL__N_125multi_tensor_apply_kernelINS1_18TensorListMetadataILi2EEENS1_14UnaryOpFunctorIfLi2ELi1ELi1EEEJNS0_4TanhIfEEEEEvT_T0_DpT1_,@function
_ZN2at6native12_GLOBAL__N_125multi_tensor_apply_kernelINS1_18TensorListMetadataILi2EEENS1_14UnaryOpFunctorIfLi2ELi1ELi1EEEJNS0_4TanhIfEEEEEvT_T0_DpT1_: ; @_ZN2at6native12_GLOBAL__N_125multi_tensor_apply_kernelINS1_18TensorListMetadataILi2EEENS1_14UnaryOpFunctorIfLi2ELi1ELi1EEEJNS0_4TanhIfEEEEEvT_T0_DpT1_
; %bb.0:
	v_mov_b32_e32 v1, s6
	global_load_ubyte v1, v1, s[4:5] offset:1536
	s_add_u32 s0, s4, s6
	s_mul_hi_u32 s3, s6, 3
	s_mul_i32 s6, s6, 3
	s_addc_u32 s7, s5, 0
	s_add_u32 s2, s0, s6
	s_addc_u32 s3, s7, s3
	s_load_dword s14, s[2:3], 0x740
	s_mov_b32 s1, 0
	s_mov_b32 s13, s1
	;; [unrolled: 1-line block ×3, first 2 shown]
	s_waitcnt lgkmcnt(0)
	s_ashr_i32 s15, s14, 31
	s_lshl_b64 s[8:9], s[14:15], 18
	s_waitcnt vmcnt(0)
	v_readfirstlane_b32 s0, v1
	s_lshl_b32 s0, s0, 3
	s_load_dwordx2 s[6:7], s[4:5], s0 offset:0x0
	s_load_dwordx2 s[16:17], s[4:5], s0 offset:0x400
	;; [unrolled: 1-line block ×3, first 2 shown]
	s_waitcnt lgkmcnt(0)
	s_add_u32 s18, s6, s8
	s_addc_u32 s19, s7, s9
	s_and_b32 s0, s18, 15
	s_add_u32 s20, s2, s8
	s_addc_u32 s21, s3, s9
	s_and_b32 s12, s16, 3
	s_and_b32 s10, s20, 15
	s_or_b64 s[12:13], s[0:1], s[12:13]
	s_or_b64 s[12:13], s[10:11], s[12:13]
	s_lshl_b64 s[10:11], s[14:15], 16
	s_sub_u32 s10, s16, s10
	s_subb_u32 s11, s17, s11
	s_cmp_eq_u64 s[12:13], 0
	s_mov_b64 s[12:13], -1
	s_cbranch_scc0 .LBB155_21
; %bb.1:
	v_mov_b32_e32 v7, 0
	v_lshlrev_b32_e32 v6, 2, v0
	v_cmp_gt_i64_e32 vcc, s[10:11], v[6:7]
	s_and_saveexec_b64 s[12:13], vcc
	s_cbranch_execz .LBB155_20
; %bb.2:
	s_load_dword s0, s[4:5], 0xc5c
	v_lshlrev_b32_e32 v8, 4, v0
	s_mov_b64 s[14:15], 0
	s_mov_b32 s24, 0x3f200000
	s_mov_b32 s25, 0x3fb8aa3b
	s_waitcnt lgkmcnt(0)
	s_and_b32 s0, s0, 0xffff
	v_add_lshl_u32 v6, v0, s0, 2
	s_lshl_b32 s22, s0, 2
	s_lshl_b32 s23, s0, 4
	s_mov_b32 s26, 0xc2ce8ed0
	s_mov_b32 s27, 0x42b17218
	v_mov_b32_e32 v1, 0xbd5c1c4e
	v_mov_b32_e32 v9, 0x3e088382
	;; [unrolled: 1-line block ×3, first 2 shown]
	s_brev_b32 s28, -2
	s_mov_b64 s[16:17], 0xffff
	v_mov_b32_e32 v11, s1
	v_mov_b32_e32 v12, 0x7f800000
	s_branch .LBB155_4
.LBB155_3:                              ;   in Loop: Header=BB155_4 Depth=1
	s_or_b64 exec, exec, s[0:1]
	v_bfi_b32 v3, s28, v14, v3
	v_bfi_b32 v2, s28, v13, v2
	v_mov_b32_e32 v13, s21
	v_add_co_u32_e32 v14, vcc, s20, v8
	v_bfi_b32 v4, s28, v15, v4
	v_addc_co_u32_e32 v15, vcc, 0, v13, vcc
	v_cmp_le_i64_e32 vcc, s[10:11], v[6:7]
	v_cmp_lt_u64_e64 s[0:1], s[16:17], v[6:7]
	s_or_b64 s[0:1], vcc, s[0:1]
	s_add_u32 s18, s18, s23
	s_addc_u32 s19, s19, 0
	s_add_u32 s20, s20, s23
	s_addc_u32 s21, s21, 0
	s_and_b64 s[0:1], exec, s[0:1]
	v_add_co_u32_e32 v6, vcc, s22, v6
	v_bfi_b32 v5, s28, v16, v5
	s_or_b64 s[14:15], s[0:1], s[14:15]
	v_addc_co_u32_e32 v7, vcc, v7, v11, vcc
	global_store_dwordx4 v[14:15], v[2:5], off
	s_andn2_b64 exec, exec, s[14:15]
	s_cbranch_execz .LBB155_20
.LBB155_4:                              ; =>This Inner Loop Header: Depth=1
	v_mov_b32_e32 v3, s19
	v_add_co_u32_e32 v2, vcc, s18, v8
	v_addc_co_u32_e32 v3, vcc, 0, v3, vcc
	global_load_dwordx4 v[2:5], v[2:3], off
                                        ; implicit-def: $vgpr13
	s_waitcnt vmcnt(0)
	v_cmp_nlt_f32_e64 s[0:1], |v2|, s24
	s_and_saveexec_b64 s[30:31], s[0:1]
	s_xor_b64 s[0:1], exec, s[30:31]
	s_cbranch_execz .LBB155_6
; %bb.5:                                ;   in Loop: Header=BB155_4 Depth=1
	v_add_f32_e64 v13, |v2|, |v2|
	v_mul_f32_e32 v14, 0x3fb8aa3b, v13
	v_rndne_f32_e32 v15, v14
	v_sub_f32_e32 v16, v14, v15
	v_fma_f32 v14, v13, s25, -v14
	v_fmac_f32_e32 v14, 0x32a5705f, v13
	v_add_f32_e32 v14, v16, v14
	v_cvt_i32_f32_e32 v15, v15
	v_exp_f32_e32 v14, v14
	v_cmp_ngt_f32_e32 vcc, s26, v13
	v_ldexp_f32 v14, v14, v15
	v_cndmask_b32_e32 v14, 0, v14, vcc
	v_cmp_nlt_f32_e32 vcc, s27, v13
	v_cndmask_b32_e32 v13, v12, v14, vcc
	v_add_f32_e32 v13, 1.0, v13
	v_rcp_f32_e32 v13, v13
	v_fma_f32 v13, v13, -2.0, 1.0
.LBB155_6:                              ;   in Loop: Header=BB155_4 Depth=1
	s_andn2_saveexec_b64 s[0:1], s[0:1]
; %bb.7:                                ;   in Loop: Header=BB155_4 Depth=1
	v_mul_f32_e32 v13, v2, v2
	v_mov_b32_e32 v14, 0x3ca908c9
	v_fmac_f32_e32 v14, 0xbbbac73d, v13
	v_fma_f32 v14, v13, v14, v1
	v_fma_f32 v14, v13, v14, v9
	;; [unrolled: 1-line block ×3, first 2 shown]
	v_mul_f32_e64 v14, |v2|, v14
	v_fma_f32 v13, v13, v14, |v2|
; %bb.8:                                ;   in Loop: Header=BB155_4 Depth=1
	s_or_b64 exec, exec, s[0:1]
	v_cmp_nlt_f32_e64 s[0:1], |v3|, s24
                                        ; implicit-def: $vgpr14
	s_and_saveexec_b64 s[30:31], s[0:1]
	s_xor_b64 s[0:1], exec, s[30:31]
	s_cbranch_execz .LBB155_10
; %bb.9:                                ;   in Loop: Header=BB155_4 Depth=1
	v_add_f32_e64 v14, |v3|, |v3|
	v_mul_f32_e32 v15, 0x3fb8aa3b, v14
	v_rndne_f32_e32 v16, v15
	v_sub_f32_e32 v17, v15, v16
	v_fma_f32 v15, v14, s25, -v15
	v_fmac_f32_e32 v15, 0x32a5705f, v14
	v_add_f32_e32 v15, v17, v15
	v_cvt_i32_f32_e32 v16, v16
	v_exp_f32_e32 v15, v15
	v_cmp_ngt_f32_e32 vcc, s26, v14
	v_ldexp_f32 v15, v15, v16
	v_cndmask_b32_e32 v15, 0, v15, vcc
	v_cmp_nlt_f32_e32 vcc, s27, v14
	v_cndmask_b32_e32 v14, v12, v15, vcc
	v_add_f32_e32 v14, 1.0, v14
	v_rcp_f32_e32 v14, v14
	v_fma_f32 v14, v14, -2.0, 1.0
.LBB155_10:                             ;   in Loop: Header=BB155_4 Depth=1
	s_andn2_saveexec_b64 s[0:1], s[0:1]
; %bb.11:                               ;   in Loop: Header=BB155_4 Depth=1
	v_mul_f32_e32 v14, v3, v3
	v_mov_b32_e32 v15, 0x3ca908c9
	v_fmac_f32_e32 v15, 0xbbbac73d, v14
	v_fma_f32 v15, v14, v15, v1
	v_fma_f32 v15, v14, v15, v9
	;; [unrolled: 1-line block ×3, first 2 shown]
	v_mul_f32_e64 v15, |v3|, v15
	v_fma_f32 v14, v14, v15, |v3|
; %bb.12:                               ;   in Loop: Header=BB155_4 Depth=1
	s_or_b64 exec, exec, s[0:1]
	v_cmp_nlt_f32_e64 s[0:1], |v4|, s24
                                        ; implicit-def: $vgpr15
	s_and_saveexec_b64 s[30:31], s[0:1]
	s_xor_b64 s[0:1], exec, s[30:31]
	s_cbranch_execz .LBB155_14
; %bb.13:                               ;   in Loop: Header=BB155_4 Depth=1
	v_add_f32_e64 v15, |v4|, |v4|
	v_mul_f32_e32 v16, 0x3fb8aa3b, v15
	v_rndne_f32_e32 v17, v16
	v_sub_f32_e32 v18, v16, v17
	v_fma_f32 v16, v15, s25, -v16
	v_fmac_f32_e32 v16, 0x32a5705f, v15
	v_add_f32_e32 v16, v18, v16
	v_cvt_i32_f32_e32 v17, v17
	v_exp_f32_e32 v16, v16
	v_cmp_ngt_f32_e32 vcc, s26, v15
	v_ldexp_f32 v16, v16, v17
	v_cndmask_b32_e32 v16, 0, v16, vcc
	v_cmp_nlt_f32_e32 vcc, s27, v15
	v_cndmask_b32_e32 v15, v12, v16, vcc
	v_add_f32_e32 v15, 1.0, v15
	v_rcp_f32_e32 v15, v15
	v_fma_f32 v15, v15, -2.0, 1.0
.LBB155_14:                             ;   in Loop: Header=BB155_4 Depth=1
	s_andn2_saveexec_b64 s[0:1], s[0:1]
; %bb.15:                               ;   in Loop: Header=BB155_4 Depth=1
	v_mul_f32_e32 v15, v4, v4
	v_mov_b32_e32 v16, 0x3ca908c9
	v_fmac_f32_e32 v16, 0xbbbac73d, v15
	v_fma_f32 v16, v15, v16, v1
	v_fma_f32 v16, v15, v16, v9
	;; [unrolled: 1-line block ×3, first 2 shown]
	v_mul_f32_e64 v16, |v4|, v16
	v_fma_f32 v15, v15, v16, |v4|
; %bb.16:                               ;   in Loop: Header=BB155_4 Depth=1
	s_or_b64 exec, exec, s[0:1]
	v_cmp_nlt_f32_e64 s[0:1], |v5|, s24
                                        ; implicit-def: $vgpr16
	s_and_saveexec_b64 s[30:31], s[0:1]
	s_xor_b64 s[0:1], exec, s[30:31]
	s_cbranch_execz .LBB155_18
; %bb.17:                               ;   in Loop: Header=BB155_4 Depth=1
	v_add_f32_e64 v16, |v5|, |v5|
	v_mul_f32_e32 v17, 0x3fb8aa3b, v16
	v_rndne_f32_e32 v18, v17
	v_sub_f32_e32 v19, v17, v18
	v_fma_f32 v17, v16, s25, -v17
	v_fmac_f32_e32 v17, 0x32a5705f, v16
	v_add_f32_e32 v17, v19, v17
	v_cvt_i32_f32_e32 v18, v18
	v_exp_f32_e32 v17, v17
	v_cmp_ngt_f32_e32 vcc, s26, v16
	v_ldexp_f32 v17, v17, v18
	v_cndmask_b32_e32 v17, 0, v17, vcc
	v_cmp_nlt_f32_e32 vcc, s27, v16
	v_cndmask_b32_e32 v16, v12, v17, vcc
	v_add_f32_e32 v16, 1.0, v16
	v_rcp_f32_e32 v16, v16
	v_fma_f32 v16, v16, -2.0, 1.0
.LBB155_18:                             ;   in Loop: Header=BB155_4 Depth=1
	s_andn2_saveexec_b64 s[0:1], s[0:1]
	s_cbranch_execz .LBB155_3
; %bb.19:                               ;   in Loop: Header=BB155_4 Depth=1
	v_mul_f32_e32 v16, v5, v5
	v_mov_b32_e32 v17, 0x3ca908c9
	v_fmac_f32_e32 v17, 0xbbbac73d, v16
	v_fma_f32 v17, v16, v17, v1
	v_fma_f32 v17, v16, v17, v9
	;; [unrolled: 1-line block ×3, first 2 shown]
	v_mul_f32_e64 v17, |v5|, v17
	v_fma_f32 v16, v16, v17, |v5|
	s_branch .LBB155_3
.LBB155_20:
	s_or_b64 exec, exec, s[12:13]
	s_mov_b64 s[12:13], 0
.LBB155_21:
	s_andn2_b64 vcc, exec, s[12:13]
	s_cbranch_vccnz .LBB155_57
; %bb.22:
	v_cmp_lt_i64_e64 s[0:1], s[10:11], 1
	s_and_b64 vcc, exec, s[0:1]
	s_cbranch_vccnz .LBB155_57
; %bb.23:
	s_load_dword s0, s[4:5], 0xc5c
	v_mov_b32_e32 v2, 0x10000
	v_mov_b32_e32 v3, 0
	v_cmp_lt_u64_e32 vcc, s[10:11], v[2:3]
	v_lshlrev_b32_e32 v10, 2, v0
	s_waitcnt lgkmcnt(0)
	s_and_b32 s4, s0, 0xffff
	s_and_b64 s[0:1], vcc, exec
	v_mov_b32_e32 v13, s7
	v_add_co_u32_e32 v2, vcc, s6, v10
	v_addc_co_u32_e32 v1, vcc, 0, v13, vcc
	v_mov_b32_e32 v11, 0
	v_mov_b32_e32 v15, s3
	v_add_co_u32_e32 v4, vcc, s2, v10
	v_addc_co_u32_e32 v3, vcc, 0, v15, vcc
	v_mad_u64_u32 v[8:9], s[0:1], s4, 12, v[10:11]
	v_add_co_u32_e32 v6, vcc, s6, v8
	v_addc_co_u32_e32 v5, vcc, v13, v9, vcc
	v_add_co_u32_e32 v8, vcc, s2, v8
	s_mul_i32 s14, s4, 3
	v_addc_co_u32_e32 v7, vcc, v15, v9, vcc
	v_add_co_u32_e32 v17, vcc, s14, v0
	v_addc_co_u32_e64 v18, s[0:1], 0, 0, vcc
	s_cselect_b32 s13, s11, 0
	s_cselect_b32 s12, s10, 0x10000
	s_lshl_b32 s0, s4, 3
	v_add_co_u32_e32 v11, vcc, s0, v10
	v_addc_co_u32_e64 v14, s[0:1], 0, 0, vcc
	v_add_co_u32_e32 v10, vcc, s6, v11
	v_addc_co_u32_e32 v9, vcc, v13, v14, vcc
	v_add_co_u32_e32 v12, vcc, s2, v11
	s_lshl_b32 s5, s4, 1
	v_addc_co_u32_e32 v11, vcc, v15, v14, vcc
	v_add_co_u32_e32 v19, vcc, s5, v0
	v_addc_co_u32_e64 v20, s[0:1], 0, 0, vcc
	v_add_co_u32_e32 v21, vcc, s4, v0
	v_lshlrev_b32_e32 v16, 2, v21
	v_addc_co_u32_e64 v22, s[0:1], 0, 0, vcc
	v_add_co_u32_e32 v14, vcc, s6, v16
	v_addc_co_u32_e32 v13, vcc, 0, v13, vcc
	v_add_co_u32_e32 v16, vcc, s2, v16
	s_mov_b32 s18, 0
	s_lshl_b32 s19, s4, 2
	s_lshl_b32 s20, s4, 4
	v_addc_co_u32_e32 v15, vcc, 0, v15, vcc
	s_mov_b64 s[14:15], 0
	s_mov_b32 s21, 0x3f200000
	s_mov_b32 s22, 0x3fb8aa3b
	;; [unrolled: 1-line block ×4, first 2 shown]
	v_mov_b32_e32 v23, 0xbd5c1c4e
	v_mov_b32_e32 v24, 0x3e088382
	;; [unrolled: 1-line block ×3, first 2 shown]
	s_brev_b32 s25, -2
	v_mov_b32_e32 v26, 0x7f800000
	s_branch .LBB155_25
.LBB155_24:                             ;   in Loop: Header=BB155_25 Depth=1
	s_or_b64 exec, exec, s[0:1]
	s_add_u32 s14, s14, s19
	s_addc_u32 s15, s15, 0
	v_pk_mov_b32 v[28:29], s[10:11], s[10:11] op_sel:[0,1]
	v_cmp_ge_i64_e32 vcc, s[14:15], v[28:29]
	v_mov_b32_e32 v28, 0xffff
	v_mov_b32_e32 v29, 0
	v_cmp_gt_u64_e64 s[0:1], s[14:15], v[28:29]
	s_or_b64 s[0:1], vcc, s[0:1]
	v_mov_b32_e32 v27, s18
	v_add_co_u32_e32 v2, vcc, s20, v2
	v_addc_co_u32_e32 v1, vcc, v1, v27, vcc
	v_add_co_u32_e32 v4, vcc, s20, v4
	v_addc_co_u32_e32 v3, vcc, v3, v27, vcc
	;; [unrolled: 2-line block ×8, first 2 shown]
	s_and_b64 vcc, exec, s[0:1]
	s_cbranch_vccnz .LBB155_57
.LBB155_25:                             ; =>This Inner Loop Header: Depth=1
	v_mov_b32_e32 v27, s15
	v_add_co_u32_e32 v28, vcc, s14, v0
	v_addc_co_u32_e32 v29, vcc, 0, v27, vcc
	v_cmp_gt_u64_e32 vcc, s[12:13], v[28:29]
	v_mov_b32_e32 v27, 0
	s_and_saveexec_b64 s[2:3], vcc
	s_cbranch_execz .LBB155_27
; %bb.26:                               ;   in Loop: Header=BB155_25 Depth=1
	v_mov_b32_e32 v27, s9
	v_add_co_u32_e64 v28, s[0:1], s8, v2
	v_addc_co_u32_e64 v29, s[0:1], v1, v27, s[0:1]
	global_load_dword v27, v[28:29], off
.LBB155_27:                             ;   in Loop: Header=BB155_25 Depth=1
	s_or_b64 exec, exec, s[2:3]
	v_mov_b32_e32 v29, s15
	v_add_co_u32_e64 v28, s[0:1], s14, v21
	v_addc_co_u32_e64 v29, s[0:1], v22, v29, s[0:1]
	v_cmp_gt_u64_e64 s[0:1], s[12:13], v[28:29]
	v_mov_b32_e32 v29, 0
	s_and_saveexec_b64 s[4:5], s[0:1]
	s_cbranch_execz .LBB155_29
; %bb.28:                               ;   in Loop: Header=BB155_25 Depth=1
	v_mov_b32_e32 v29, s9
	v_add_co_u32_e64 v28, s[2:3], s8, v14
	v_addc_co_u32_e64 v29, s[2:3], v13, v29, s[2:3]
	global_load_dword v29, v[28:29], off
.LBB155_29:                             ;   in Loop: Header=BB155_25 Depth=1
	s_or_b64 exec, exec, s[4:5]
	v_mov_b32_e32 v28, s15
	v_add_co_u32_e64 v30, s[2:3], s14, v19
	v_addc_co_u32_e64 v31, s[2:3], v20, v28, s[2:3]
	v_cmp_gt_u64_e64 s[2:3], s[12:13], v[30:31]
	v_mov_b32_e32 v28, 0
	v_mov_b32_e32 v30, 0
	s_and_saveexec_b64 s[6:7], s[2:3]
	s_cbranch_execz .LBB155_31
; %bb.30:                               ;   in Loop: Header=BB155_25 Depth=1
	v_mov_b32_e32 v31, s9
	v_add_co_u32_e64 v30, s[4:5], s8, v10
	v_addc_co_u32_e64 v31, s[4:5], v9, v31, s[4:5]
	global_load_dword v30, v[30:31], off
.LBB155_31:                             ;   in Loop: Header=BB155_25 Depth=1
	s_or_b64 exec, exec, s[6:7]
	v_mov_b32_e32 v31, s15
	v_add_co_u32_e64 v32, s[4:5], s14, v17
	v_addc_co_u32_e64 v33, s[4:5], v18, v31, s[4:5]
	v_cmp_gt_u64_e64 s[4:5], s[12:13], v[32:33]
	s_and_saveexec_b64 s[16:17], s[4:5]
	s_cbranch_execz .LBB155_33
; %bb.32:                               ;   in Loop: Header=BB155_25 Depth=1
	v_mov_b32_e32 v28, s9
	v_add_co_u32_e64 v32, s[6:7], s8, v6
	v_addc_co_u32_e64 v33, s[6:7], v5, v28, s[6:7]
	global_load_dword v28, v[32:33], off
.LBB155_33:                             ;   in Loop: Header=BB155_25 Depth=1
	s_or_b64 exec, exec, s[16:17]
	s_waitcnt vmcnt(0)
	v_cmp_nlt_f32_e64 s[6:7], |v27|, s21
                                        ; implicit-def: $vgpr31
	s_and_saveexec_b64 s[16:17], s[6:7]
	s_xor_b64 s[16:17], exec, s[16:17]
	s_cbranch_execz .LBB155_35
; %bb.34:                               ;   in Loop: Header=BB155_25 Depth=1
	v_add_f32_e64 v31, |v27|, |v27|
	v_mul_f32_e32 v32, 0x3fb8aa3b, v31
	v_rndne_f32_e32 v33, v32
	v_sub_f32_e32 v34, v32, v33
	v_fma_f32 v32, v31, s22, -v32
	v_fmac_f32_e32 v32, 0x32a5705f, v31
	v_add_f32_e32 v32, v34, v32
	v_cvt_i32_f32_e32 v33, v33
	v_exp_f32_e32 v32, v32
	v_cmp_ngt_f32_e64 s[6:7], s23, v31
	v_ldexp_f32 v32, v32, v33
	v_cndmask_b32_e64 v32, 0, v32, s[6:7]
	v_cmp_nlt_f32_e64 s[6:7], s24, v31
	v_cndmask_b32_e64 v31, v26, v32, s[6:7]
	v_add_f32_e32 v31, 1.0, v31
	v_rcp_f32_e32 v31, v31
	v_fma_f32 v31, v31, -2.0, 1.0
.LBB155_35:                             ;   in Loop: Header=BB155_25 Depth=1
	s_andn2_saveexec_b64 s[6:7], s[16:17]
; %bb.36:                               ;   in Loop: Header=BB155_25 Depth=1
	v_mul_f32_e32 v31, v27, v27
	v_mov_b32_e32 v32, 0x3ca908c9
	v_fmac_f32_e32 v32, 0xbbbac73d, v31
	v_fma_f32 v32, v31, v32, v23
	v_fma_f32 v32, v31, v32, v24
	;; [unrolled: 1-line block ×3, first 2 shown]
	v_mul_f32_e64 v32, |v27|, v32
	v_fma_f32 v31, v31, v32, |v27|
; %bb.37:                               ;   in Loop: Header=BB155_25 Depth=1
	s_or_b64 exec, exec, s[6:7]
	v_cmp_nlt_f32_e64 s[6:7], |v29|, s21
                                        ; implicit-def: $vgpr32
	s_and_saveexec_b64 s[16:17], s[6:7]
	s_xor_b64 s[16:17], exec, s[16:17]
	s_cbranch_execz .LBB155_39
; %bb.38:                               ;   in Loop: Header=BB155_25 Depth=1
	v_add_f32_e64 v32, |v29|, |v29|
	v_mul_f32_e32 v33, 0x3fb8aa3b, v32
	v_rndne_f32_e32 v34, v33
	v_sub_f32_e32 v35, v33, v34
	v_fma_f32 v33, v32, s22, -v33
	v_fmac_f32_e32 v33, 0x32a5705f, v32
	v_add_f32_e32 v33, v35, v33
	v_cvt_i32_f32_e32 v34, v34
	v_exp_f32_e32 v33, v33
	v_cmp_ngt_f32_e64 s[6:7], s23, v32
	v_ldexp_f32 v33, v33, v34
	v_cndmask_b32_e64 v33, 0, v33, s[6:7]
	v_cmp_nlt_f32_e64 s[6:7], s24, v32
	v_cndmask_b32_e64 v32, v26, v33, s[6:7]
	v_add_f32_e32 v32, 1.0, v32
	v_rcp_f32_e32 v32, v32
	v_fma_f32 v32, v32, -2.0, 1.0
.LBB155_39:                             ;   in Loop: Header=BB155_25 Depth=1
	s_andn2_saveexec_b64 s[6:7], s[16:17]
; %bb.40:                               ;   in Loop: Header=BB155_25 Depth=1
	v_mul_f32_e32 v32, v29, v29
	v_mov_b32_e32 v33, 0x3ca908c9
	v_fmac_f32_e32 v33, 0xbbbac73d, v32
	v_fma_f32 v33, v32, v33, v23
	v_fma_f32 v33, v32, v33, v24
	v_fma_f32 v33, v32, v33, v25
	v_mul_f32_e64 v33, |v29|, v33
	v_fma_f32 v32, v32, v33, |v29|
; %bb.41:                               ;   in Loop: Header=BB155_25 Depth=1
	s_or_b64 exec, exec, s[6:7]
	v_cmp_nlt_f32_e64 s[6:7], |v30|, s21
                                        ; implicit-def: $vgpr33
	s_and_saveexec_b64 s[16:17], s[6:7]
	s_xor_b64 s[16:17], exec, s[16:17]
	s_cbranch_execz .LBB155_43
; %bb.42:                               ;   in Loop: Header=BB155_25 Depth=1
	v_add_f32_e64 v33, |v30|, |v30|
	v_mul_f32_e32 v34, 0x3fb8aa3b, v33
	v_rndne_f32_e32 v35, v34
	v_sub_f32_e32 v36, v34, v35
	v_fma_f32 v34, v33, s22, -v34
	v_fmac_f32_e32 v34, 0x32a5705f, v33
	v_add_f32_e32 v34, v36, v34
	v_cvt_i32_f32_e32 v35, v35
	v_exp_f32_e32 v34, v34
	v_cmp_ngt_f32_e64 s[6:7], s23, v33
	v_ldexp_f32 v34, v34, v35
	v_cndmask_b32_e64 v34, 0, v34, s[6:7]
	v_cmp_nlt_f32_e64 s[6:7], s24, v33
	v_cndmask_b32_e64 v33, v26, v34, s[6:7]
	v_add_f32_e32 v33, 1.0, v33
	v_rcp_f32_e32 v33, v33
	v_fma_f32 v33, v33, -2.0, 1.0
.LBB155_43:                             ;   in Loop: Header=BB155_25 Depth=1
	s_andn2_saveexec_b64 s[6:7], s[16:17]
; %bb.44:                               ;   in Loop: Header=BB155_25 Depth=1
	v_mul_f32_e32 v33, v30, v30
	v_mov_b32_e32 v34, 0x3ca908c9
	v_fmac_f32_e32 v34, 0xbbbac73d, v33
	v_fma_f32 v34, v33, v34, v23
	v_fma_f32 v34, v33, v34, v24
	;; [unrolled: 1-line block ×3, first 2 shown]
	v_mul_f32_e64 v34, |v30|, v34
	v_fma_f32 v33, v33, v34, |v30|
; %bb.45:                               ;   in Loop: Header=BB155_25 Depth=1
	s_or_b64 exec, exec, s[6:7]
	v_cmp_nlt_f32_e64 s[6:7], |v28|, s21
                                        ; implicit-def: $vgpr34
	s_and_saveexec_b64 s[16:17], s[6:7]
	s_xor_b64 s[16:17], exec, s[16:17]
	s_cbranch_execnz .LBB155_51
; %bb.46:                               ;   in Loop: Header=BB155_25 Depth=1
	s_andn2_saveexec_b64 s[6:7], s[16:17]
	s_cbranch_execnz .LBB155_52
.LBB155_47:                             ;   in Loop: Header=BB155_25 Depth=1
	s_or_b64 exec, exec, s[6:7]
	s_and_saveexec_b64 s[6:7], vcc
	s_xor_b64 s[6:7], exec, s[6:7]
	s_cbranch_execnz .LBB155_53
.LBB155_48:                             ;   in Loop: Header=BB155_25 Depth=1
	s_or_b64 exec, exec, s[6:7]
	s_and_saveexec_b64 s[6:7], s[0:1]
	s_cbranch_execnz .LBB155_54
.LBB155_49:                             ;   in Loop: Header=BB155_25 Depth=1
	s_or_b64 exec, exec, s[6:7]
	s_and_saveexec_b64 s[0:1], s[2:3]
	s_cbranch_execnz .LBB155_55
.LBB155_50:                             ;   in Loop: Header=BB155_25 Depth=1
	s_or_b64 exec, exec, s[0:1]
	s_and_saveexec_b64 s[0:1], s[4:5]
	s_cbranch_execz .LBB155_24
	s_branch .LBB155_56
.LBB155_51:                             ;   in Loop: Header=BB155_25 Depth=1
	v_add_f32_e64 v34, |v28|, |v28|
	v_mul_f32_e32 v35, 0x3fb8aa3b, v34
	v_rndne_f32_e32 v36, v35
	v_sub_f32_e32 v37, v35, v36
	v_fma_f32 v35, v34, s22, -v35
	v_fmac_f32_e32 v35, 0x32a5705f, v34
	v_add_f32_e32 v35, v37, v35
	v_cvt_i32_f32_e32 v36, v36
	v_exp_f32_e32 v35, v35
	v_cmp_ngt_f32_e64 s[6:7], s23, v34
	v_ldexp_f32 v35, v35, v36
	v_cndmask_b32_e64 v35, 0, v35, s[6:7]
	v_cmp_nlt_f32_e64 s[6:7], s24, v34
	v_cndmask_b32_e64 v34, v26, v35, s[6:7]
	v_add_f32_e32 v34, 1.0, v34
	v_rcp_f32_e32 v34, v34
	v_fma_f32 v34, v34, -2.0, 1.0
	s_andn2_saveexec_b64 s[6:7], s[16:17]
	s_cbranch_execz .LBB155_47
.LBB155_52:                             ;   in Loop: Header=BB155_25 Depth=1
	v_mul_f32_e32 v34, v28, v28
	v_mov_b32_e32 v35, 0x3ca908c9
	v_fmac_f32_e32 v35, 0xbbbac73d, v34
	v_fma_f32 v35, v34, v35, v23
	v_fma_f32 v35, v34, v35, v24
	v_fma_f32 v35, v34, v35, v25
	v_mul_f32_e64 v35, |v28|, v35
	v_fma_f32 v34, v34, v35, |v28|
	s_or_b64 exec, exec, s[6:7]
	s_and_saveexec_b64 s[6:7], vcc
	s_xor_b64 s[6:7], exec, s[6:7]
	s_cbranch_execz .LBB155_48
.LBB155_53:                             ;   in Loop: Header=BB155_25 Depth=1
	v_bfi_b32 v27, s25, v31, v27
	v_mov_b32_e32 v31, s9
	v_add_co_u32_e32 v36, vcc, s8, v4
	v_addc_co_u32_e32 v37, vcc, v3, v31, vcc
	global_store_dword v[36:37], v27, off
	s_or_b64 exec, exec, s[6:7]
	s_and_saveexec_b64 s[6:7], s[0:1]
	s_cbranch_execz .LBB155_49
.LBB155_54:                             ;   in Loop: Header=BB155_25 Depth=1
	v_bfi_b32 v27, s25, v32, v29
	v_mov_b32_e32 v29, s9
	v_add_co_u32_e32 v36, vcc, s8, v16
	v_addc_co_u32_e32 v37, vcc, v15, v29, vcc
	global_store_dword v[36:37], v27, off
	s_or_b64 exec, exec, s[6:7]
	s_and_saveexec_b64 s[0:1], s[2:3]
	s_cbranch_execz .LBB155_50
.LBB155_55:                             ;   in Loop: Header=BB155_25 Depth=1
	v_bfi_b32 v27, s25, v33, v30
	v_mov_b32_e32 v29, s9
	v_add_co_u32_e32 v30, vcc, s8, v12
	v_addc_co_u32_e32 v31, vcc, v11, v29, vcc
	global_store_dword v[30:31], v27, off
	s_or_b64 exec, exec, s[0:1]
	s_and_saveexec_b64 s[0:1], s[4:5]
	s_cbranch_execz .LBB155_24
.LBB155_56:                             ;   in Loop: Header=BB155_25 Depth=1
	v_bfi_b32 v27, s25, v34, v28
	v_mov_b32_e32 v29, s9
	v_add_co_u32_e32 v28, vcc, s8, v8
	v_addc_co_u32_e32 v29, vcc, v7, v29, vcc
	global_store_dword v[28:29], v27, off
	s_branch .LBB155_24
.LBB155_57:
	s_endpgm
	.section	.rodata,"a",@progbits
	.p2align	6, 0x0
	.amdhsa_kernel _ZN2at6native12_GLOBAL__N_125multi_tensor_apply_kernelINS1_18TensorListMetadataILi2EEENS1_14UnaryOpFunctorIfLi2ELi1ELi1EEEJNS0_4TanhIfEEEEEvT_T0_DpT1_
		.amdhsa_group_segment_fixed_size 0
		.amdhsa_private_segment_fixed_size 0
		.amdhsa_kernarg_size 3408
		.amdhsa_user_sgpr_count 6
		.amdhsa_user_sgpr_private_segment_buffer 1
		.amdhsa_user_sgpr_dispatch_ptr 0
		.amdhsa_user_sgpr_queue_ptr 0
		.amdhsa_user_sgpr_kernarg_segment_ptr 1
		.amdhsa_user_sgpr_dispatch_id 0
		.amdhsa_user_sgpr_flat_scratch_init 0
		.amdhsa_user_sgpr_kernarg_preload_length 0
		.amdhsa_user_sgpr_kernarg_preload_offset 0
		.amdhsa_user_sgpr_private_segment_size 0
		.amdhsa_uses_dynamic_stack 0
		.amdhsa_system_sgpr_private_segment_wavefront_offset 0
		.amdhsa_system_sgpr_workgroup_id_x 1
		.amdhsa_system_sgpr_workgroup_id_y 0
		.amdhsa_system_sgpr_workgroup_id_z 0
		.amdhsa_system_sgpr_workgroup_info 0
		.amdhsa_system_vgpr_workitem_id 0
		.amdhsa_next_free_vgpr 38
		.amdhsa_next_free_sgpr 32
		.amdhsa_accum_offset 40
		.amdhsa_reserve_vcc 1
		.amdhsa_reserve_flat_scratch 0
		.amdhsa_float_round_mode_32 0
		.amdhsa_float_round_mode_16_64 0
		.amdhsa_float_denorm_mode_32 3
		.amdhsa_float_denorm_mode_16_64 3
		.amdhsa_dx10_clamp 1
		.amdhsa_ieee_mode 1
		.amdhsa_fp16_overflow 0
		.amdhsa_tg_split 0
		.amdhsa_exception_fp_ieee_invalid_op 0
		.amdhsa_exception_fp_denorm_src 0
		.amdhsa_exception_fp_ieee_div_zero 0
		.amdhsa_exception_fp_ieee_overflow 0
		.amdhsa_exception_fp_ieee_underflow 0
		.amdhsa_exception_fp_ieee_inexact 0
		.amdhsa_exception_int_div_zero 0
	.end_amdhsa_kernel
	.section	.text._ZN2at6native12_GLOBAL__N_125multi_tensor_apply_kernelINS1_18TensorListMetadataILi2EEENS1_14UnaryOpFunctorIfLi2ELi1ELi1EEEJNS0_4TanhIfEEEEEvT_T0_DpT1_,"axG",@progbits,_ZN2at6native12_GLOBAL__N_125multi_tensor_apply_kernelINS1_18TensorListMetadataILi2EEENS1_14UnaryOpFunctorIfLi2ELi1ELi1EEEJNS0_4TanhIfEEEEEvT_T0_DpT1_,comdat
.Lfunc_end155:
	.size	_ZN2at6native12_GLOBAL__N_125multi_tensor_apply_kernelINS1_18TensorListMetadataILi2EEENS1_14UnaryOpFunctorIfLi2ELi1ELi1EEEJNS0_4TanhIfEEEEEvT_T0_DpT1_, .Lfunc_end155-_ZN2at6native12_GLOBAL__N_125multi_tensor_apply_kernelINS1_18TensorListMetadataILi2EEENS1_14UnaryOpFunctorIfLi2ELi1ELi1EEEJNS0_4TanhIfEEEEEvT_T0_DpT1_
                                        ; -- End function
	.section	.AMDGPU.csdata,"",@progbits
; Kernel info:
; codeLenInByte = 2924
; NumSgprs: 36
; NumVgprs: 38
; NumAgprs: 0
; TotalNumVgprs: 38
; ScratchSize: 0
; MemoryBound: 0
; FloatMode: 240
; IeeeMode: 1
; LDSByteSize: 0 bytes/workgroup (compile time only)
; SGPRBlocks: 4
; VGPRBlocks: 4
; NumSGPRsForWavesPerEU: 36
; NumVGPRsForWavesPerEU: 38
; AccumOffset: 40
; Occupancy: 8
; WaveLimiterHint : 0
; COMPUTE_PGM_RSRC2:SCRATCH_EN: 0
; COMPUTE_PGM_RSRC2:USER_SGPR: 6
; COMPUTE_PGM_RSRC2:TRAP_HANDLER: 0
; COMPUTE_PGM_RSRC2:TGID_X_EN: 1
; COMPUTE_PGM_RSRC2:TGID_Y_EN: 0
; COMPUTE_PGM_RSRC2:TGID_Z_EN: 0
; COMPUTE_PGM_RSRC2:TIDIG_COMP_CNT: 0
; COMPUTE_PGM_RSRC3_GFX90A:ACCUM_OFFSET: 9
; COMPUTE_PGM_RSRC3_GFX90A:TG_SPLIT: 0
	.section	.text._ZN2at6native12_GLOBAL__N_125multi_tensor_apply_kernelINS1_18TensorListMetadataILi2EEENS1_14UnaryOpFunctorIN3c107complexIdEELi2ELi1ELi1EEEJNS0_4TanhIS8_EEEEEvT_T0_DpT1_,"axG",@progbits,_ZN2at6native12_GLOBAL__N_125multi_tensor_apply_kernelINS1_18TensorListMetadataILi2EEENS1_14UnaryOpFunctorIN3c107complexIdEELi2ELi1ELi1EEEJNS0_4TanhIS8_EEEEEvT_T0_DpT1_,comdat
	.globl	_ZN2at6native12_GLOBAL__N_125multi_tensor_apply_kernelINS1_18TensorListMetadataILi2EEENS1_14UnaryOpFunctorIN3c107complexIdEELi2ELi1ELi1EEEJNS0_4TanhIS8_EEEEEvT_T0_DpT1_ ; -- Begin function _ZN2at6native12_GLOBAL__N_125multi_tensor_apply_kernelINS1_18TensorListMetadataILi2EEENS1_14UnaryOpFunctorIN3c107complexIdEELi2ELi1ELi1EEEJNS0_4TanhIS8_EEEEEvT_T0_DpT1_
	.p2align	8
	.type	_ZN2at6native12_GLOBAL__N_125multi_tensor_apply_kernelINS1_18TensorListMetadataILi2EEENS1_14UnaryOpFunctorIN3c107complexIdEELi2ELi1ELi1EEEJNS0_4TanhIS8_EEEEEvT_T0_DpT1_,@function
_ZN2at6native12_GLOBAL__N_125multi_tensor_apply_kernelINS1_18TensorListMetadataILi2EEENS1_14UnaryOpFunctorIN3c107complexIdEELi2ELi1ELi1EEEJNS0_4TanhIS8_EEEEEvT_T0_DpT1_: ; @_ZN2at6native12_GLOBAL__N_125multi_tensor_apply_kernelINS1_18TensorListMetadataILi2EEENS1_14UnaryOpFunctorIN3c107complexIdEELi2ELi1ELi1EEEJNS0_4TanhIS8_EEEEEvT_T0_DpT1_
; %bb.0:
	v_mov_b32_e32 v1, s6
	global_load_ubyte v1, v1, s[4:5] offset:1536
	s_add_u32 s0, s4, s6
	s_mul_hi_u32 s3, s6, 3
	s_mul_i32 s6, s6, 3
	s_addc_u32 s7, s5, 0
	s_add_u32 s2, s0, s6
	s_addc_u32 s3, s7, s3
	s_load_dword s2, s[2:3], 0x740
                                        ; implicit-def: $vgpr114 : SGPR spill to VGPR lane
	s_mov_b32 s9, 0
	s_mov_b32 s1, s9
	s_waitcnt lgkmcnt(0)
	s_ashr_i32 s3, s2, 31
	s_lshl_b64 s[10:11], s[2:3], 20
	s_waitcnt vmcnt(0)
	v_readfirstlane_b32 s0, v1
	s_lshl_b32 s0, s0, 3
	s_load_dwordx2 s[14:15], s[4:5], s0 offset:0x0
	s_load_dwordx2 s[12:13], s[4:5], s0 offset:0x400
	;; [unrolled: 1-line block ×3, first 2 shown]
	s_waitcnt lgkmcnt(0)
	s_add_u32 s33, s14, s10
	v_writelane_b32 v114, s14, 0
	s_addc_u32 s64, s15, s11
	s_add_u32 s65, s6, s10
	v_writelane_b32 v114, s15, 1
	s_addc_u32 s66, s7, s11
	s_and_b32 s0, s33, 63
	s_and_b32 s14, s12, 3
	s_mov_b32 s15, s9
	s_and_b32 s8, s65, 63
	s_or_b64 s[0:1], s[0:1], s[14:15]
	s_lshl_b64 s[2:3], s[2:3], 16
	s_or_b64 s[0:1], s[8:9], s[0:1]
	s_sub_u32 s12, s12, s2
	s_subb_u32 s13, s13, s3
	s_cmp_eq_u64 s[0:1], 0
	s_mov_b64 s[0:1], -1
	s_cbranch_scc0 .LBB156_157
; %bb.1:
	v_mov_b32_e32 v18, 0
	v_lshlrev_b32_e32 v2, 2, v0
	v_mov_b32_e32 v3, v18
	v_cmp_gt_i64_e32 vcc, s[12:13], v[2:3]
	s_mov_b64 s[0:1], exec
	v_writelane_b32 v114, s0, 2
	v_writelane_b32 v114, s1, 3
	s_and_b64 s[0:1], s[0:1], vcc
	s_mov_b64 exec, s[0:1]
	s_cbranch_execz .LBB156_156
; %bb.2:
	s_load_dword s0, s[4:5], 0xc5c
	s_mov_b32 s18, 0
	s_mov_b32 s20, 0
	s_mov_b32 s22, 0
	s_mov_b32 s26, 0x54442d18
	s_waitcnt lgkmcnt(0)
	s_and_b32 s0, s0, 0xffff
	s_mov_b32 s34, 0x6dc9c883
	s_mov_b32 s36, 0x33145c00
	s_mov_b32 s38, 0x252049c0
	s_mov_b32 s42, 0xfefa39ef
	s_mov_b32 s46, 0x3b39803f
	s_mov_b32 s50, 0x652b82fe
	s_mov_b32 s58, 0x6a5dcb37
	s_mov_b32 s60, 0x11110bb3
	s_mov_b32 s62, 0x55555555
	s_mov_b32 s70, 0x9037ab78
	s_mov_b32 s72, 0x46cc5e42
	s_mov_b32 s74, 0xa17f65f6
	s_mov_b32 s76, 0x19f4ec90
	s_mov_b32 s78, 0x16c16967
	s_mov_b32 s80, 0xb42fdfa7
	s_mov_b32 s82, 0xf9a43bb8
	s_mov_b32 s84, 0x796cde01
	s_mov_b32 s86, 0x19e83e5c
	v_mov_b32_e32 v21, v18
	v_lshlrev_b32_e32 v22, 6, v0
	v_add_lshl_u32 v20, v0, s0, 2
	s_lshl_b32 s8, s0, 2
	s_lshl_b32 s67, s0, 6
	s_mov_b64 s[16:17], 0
	s_brev_b32 s68, -2
	s_mov_b32 s69, 0x7ff00000
	s_movk_i32 s90, 0x1f8
	s_mov_b32 s91, 0x40360000
	s_mov_b32 s19, 0x41d00000
	;; [unrolled: 1-line block ×3, first 2 shown]
	s_movk_i32 s2, 0xff80
	s_mov_b32 s23, 0x7ff00000
	s_mov_b32 s25, 0x3ff921fb
	;; [unrolled: 1-line block ×17, first 2 shown]
	v_mov_b32_e32 v1, 0x260
	s_mov_b32 s71, 0x3e21eeb6
	s_mov_b32 s73, 0xbda907db
	s_mov_b32 s75, 0xbe927e4f
	s_mov_b32 s77, 0x3efa01a0
	s_mov_b32 s79, 0xbf56c16c
	s_mov_b32 s81, 0xbe5ae600
	s_mov_b32 s83, 0x3de5e0b2
	s_mov_b32 s85, 0x3ec71de3
	s_mov_b32 s87, 0xbf2a01a0
	s_mov_b32 s89, 0xbfc55555
	s_mov_b32 s3, 0xfffff
	s_mov_b64 s[92:93], 0xffff
	v_mov_b32_e32 v23, 0x40100000
	v_mov_b32_e32 v84, 0x3ff00000
	v_mov_b32_e32 v24, 0xa9a29f71
	v_mov_b32_e32 v25, 0xbf078809
	v_mov_b32_e32 v26, 0x90a8aae0
	v_mov_b32_e32 v27, 0x3f17746f
	v_mov_b32_e32 v28, 0xa6fbf144
	v_mov_b32_e32 v29, 0xbefbb44d
	v_mov_b32_e32 v30, 0xa7943acf
	v_mov_b32_e32 v31, 0x3f21e634
	v_mov_b32_e32 v32, 0xdeb68feb
	v_mov_b32_e32 v33, 0x3f2d250f
	v_mov_b32_e32 v34, 0xb58c4d95
	v_mov_b32_e32 v35, 0x3f437fd9
	v_mov_b32_e32 v36, 0x15120e2c
	v_mov_b32_e32 v37, 0x3f57d5af
	v_mov_b32_e32 v38, 0xe09491df
	v_mov_b32_e32 v39, 0x3f6d6d93
	v_mov_b32_e32 v40, 0x2033784d
	v_mov_b32_e32 v41, 0x3f8226e1
	v_mov_b32_e32 v42, 0x9ac36ae2
	v_mov_b32_e32 v43, 0x3f9664f4
	v_mov_b32_e32 v44, 0x1b451c21
	v_mov_b32_e32 v45, 0x3faba1ba
	v_mov_b32_e32 v46, 0x111185b7
	v_mov_b32_e32 v47, 0x3fc11111
	v_mov_b32_e32 v48, 0x555554ee
	v_mov_b32_e32 v49, 0x3fd55555
	v_mov_b32_e32 v50, 0xfca7ab0c
	v_mov_b32_e32 v51, 0x3e928af3
	v_mov_b32_e32 v52, 0x623fde64
	v_mov_b32_e32 v53, 0x3ec71dee
	v_mov_b32_e32 v54, 0x7c89e6b0
	v_mov_b32_e32 v55, 0x3efa0199
	v_mov_b32_e32 v56, 0x14761f6e
	v_mov_b32_e32 v57, 0x3f2a01a0
	v_mov_b32_e32 v58, 0x1852b7b0
	v_mov_b32_e32 v59, 0x3f56c16c
	v_mov_b32_e32 v60, 0x11122322
	v_mov_b32_e32 v61, 0x3f811111
	v_mov_b32_e32 v62, 0x555502a1
	v_mov_b32_e32 v63, 0x3fa55555
	v_mov_b32_e32 v64, 0x55555511
	v_mov_b32_e32 v65, 0x3fc55555
	v_mov_b32_e32 v66, 11
	v_mov_b32_e32 v67, 0x3fe00000
	v_mov_b32_e32 v85, 0x7ff00000
	v_mov_b32_e32 v86, 0xffffff80
	v_mov_b32_e32 v87, 0x7ff80000
	s_branch .LBB156_7
.LBB156_3:                              ;   in Loop: Header=BB156_7 Depth=1
	s_or_b64 exec, exec, s[0:1]
	v_mul_f64 v[72:73], v[68:69], v[68:69]
	v_pk_mov_b32 v[92:93], s[70:71], s[70:71] op_sel:[0,1]
	v_mul_f64 v[74:75], v[72:73], 0.5
	v_fma_f64 v[94:95], s[72:73], v[72:73], v[92:93]
	v_add_f64 v[76:77], -v[74:75], 1.0
	v_fma_f64 v[94:95], v[72:73], v[94:95], s[74:75]
	v_add_f64 v[78:79], -v[76:77], 1.0
	v_fma_f64 v[94:95], v[72:73], v[94:95], s[76:77]
	v_add_f64 v[74:75], v[78:79], -v[74:75]
	v_fma_f64 v[94:95], v[72:73], v[94:95], s[78:79]
	v_mul_f64 v[78:79], v[72:73], v[72:73]
	v_fma_f64 v[94:95], v[72:73], v[94:95], s[62:63]
	v_fma_f64 v[74:75], v[68:69], -v[70:71], v[74:75]
	v_fmac_f64_e32 v[74:75], v[78:79], v[94:95]
	v_add_f64 v[74:75], v[76:77], v[74:75]
	v_pk_mov_b32 v[76:77], s[80:81], s[80:81] op_sel:[0,1]
	v_fma_f64 v[78:79], s[82:83], v[72:73], v[76:77]
	v_fma_f64 v[78:79], v[72:73], v[78:79], s[84:85]
	;; [unrolled: 1-line block ×4, first 2 shown]
	v_mul_f64 v[94:95], v[68:69], -v[72:73]
	v_mul_f64 v[96:97], v[70:71], 0.5
	v_fmac_f64_e32 v[96:97], v[94:95], v[78:79]
	v_fma_f64 v[70:71], v[72:73], v[96:97], -v[70:71]
	s_mov_b32 s88, s62
	v_fmac_f64_e32 v[70:71], s[88:89], v[94:95]
	v_and_b32_e32 v19, 1, v88
	v_add_f64 v[68:69], v[68:69], -v[70:71]
	v_cmp_eq_u32_e32 vcc, 0, v19
	v_cndmask_b32_e32 v19, v74, v68, vcc
	v_cndmask_b32_e32 v68, v75, v69, vcc
	v_lshlrev_b32_e32 v69, 30, v88
	v_xor_b32_e32 v69, v69, v5
	v_and_b32_e32 v69, 0x80000000, v69
	v_xor_b32_e32 v68, v68, v69
	v_cmp_class_f64_e64 vcc, v[4:5], s90
	v_cndmask_b32_e32 v5, v87, v68, vcc
	v_mul_f64 v[68:69], v[80:81], v[80:81]
	v_mul_f64 v[70:71], v[68:69], 0.5
	v_fmac_f64_e32 v[92:93], s[72:73], v[68:69]
	v_add_f64 v[72:73], -v[70:71], 1.0
	v_fma_f64 v[78:79], v[68:69], v[92:93], s[74:75]
	v_add_f64 v[74:75], -v[72:73], 1.0
	v_fma_f64 v[78:79], v[68:69], v[78:79], s[76:77]
	v_add_f64 v[70:71], v[74:75], -v[70:71]
	v_fma_f64 v[78:79], v[68:69], v[78:79], s[78:79]
	v_mul_f64 v[74:75], v[68:69], v[68:69]
	v_fma_f64 v[78:79], v[68:69], v[78:79], s[62:63]
	v_fma_f64 v[70:71], v[80:81], -v[82:83], v[70:71]
	v_fmac_f64_e32 v[70:71], v[74:75], v[78:79]
	v_fmac_f64_e32 v[76:77], s[82:83], v[68:69]
	v_add_f64 v[70:71], v[72:73], v[70:71]
	v_fma_f64 v[72:73], v[68:69], v[76:77], s[84:85]
	v_fma_f64 v[72:73], v[68:69], v[72:73], s[86:87]
	;; [unrolled: 1-line block ×3, first 2 shown]
	v_mul_f64 v[74:75], v[80:81], -v[68:69]
	v_mul_f64 v[76:77], v[82:83], 0.5
	v_fmac_f64_e32 v[76:77], v[74:75], v[72:73]
	v_fma_f64 v[68:69], v[68:69], v[76:77], -v[82:83]
	v_fmac_f64_e32 v[68:69], s[88:89], v[74:75]
	v_add_f64 v[68:69], v[80:81], -v[68:69]
	v_cndmask_b32_e32 v4, 0, v19, vcc
	v_xor_b32_e32 v19, 0x80000000, v69
	v_and_b32_e32 v69, 1, v90
	v_cmp_eq_u32_e64 s[0:1], 0, v69
	v_lshlrev_b32_e32 v69, 30, v90
	v_cndmask_b32_e64 v19, v19, v71, s[0:1]
	v_and_b32_e32 v69, 0x80000000, v69
	v_cndmask_b32_e64 v68, v68, v70, s[0:1]
	v_xor_b32_e32 v19, v19, v69
	v_cndmask_b32_e32 v68, 0, v68, vcc
	v_cndmask_b32_e32 v69, v87, v19, vcc
	v_mul_f64 v[4:5], v[4:5], v[68:69]
.LBB156_4:                              ;   in Loop: Header=BB156_7 Depth=1
	s_or_b64 exec, exec, s[94:95]
	v_add_co_u32_e32 v2, vcc, 0, v2
	v_bfi_b32 v19, s68, 0, v5
	v_addc_co_u32_e32 v3, vcc, -2.0, v3, vcc
	v_pk_mov_b32 v[4:5], v[18:19], v[18:19] op_sel:[0,1]
.LBB156_5:                              ;   in Loop: Header=BB156_7 Depth=1
	s_or_b64 exec, exec, s[40:41]
.LBB156_6:                              ;   in Loop: Header=BB156_7 Depth=1
	s_or_b64 exec, exec, s[14:15]
	v_mov_b32_e32 v19, s66
	v_add_co_u32_e32 v68, vcc, s65, v22
	v_addc_co_u32_e32 v69, vcc, 0, v19, vcc
	v_cmp_le_i64_e32 vcc, s[12:13], v[20:21]
	v_cmp_lt_u64_e64 s[0:1], s[92:93], v[20:21]
	s_or_b64 s[0:1], vcc, s[0:1]
	s_add_u32 s33, s33, s67
	s_addc_u32 s64, s64, 0
	s_add_u32 s65, s65, s67
	s_addc_u32 s66, s66, 0
	global_store_dwordx4 v[68:69], v[14:17], off
	global_store_dwordx4 v[68:69], v[10:13], off offset:16
	global_store_dwordx4 v[68:69], v[6:9], off offset:32
	;; [unrolled: 1-line block ×3, first 2 shown]
	s_and_b64 s[0:1], exec, s[0:1]
	v_mov_b32_e32 v2, s9
	v_add_co_u32_e32 v20, vcc, s8, v20
	s_or_b64 s[16:17], s[0:1], s[16:17]
	v_addc_co_u32_e32 v21, vcc, v21, v2, vcc
	s_andn2_b64 exec, exec, s[16:17]
	s_cbranch_execz .LBB156_156
.LBB156_7:                              ; =>This Inner Loop Header: Depth=1
	v_mov_b32_e32 v2, s64
	v_add_co_u32_e32 v6, vcc, s33, v22
	v_addc_co_u32_e32 v7, vcc, 0, v2, vcc
	global_load_dwordx4 v[10:13], v[6:7], off offset:16
	global_load_dwordx4 v[14:17], v[6:7], off
	global_load_dwordx4 v[2:5], v[6:7], off offset:48
	s_nop 0
	global_load_dwordx4 v[6:9], v[6:7], off offset:32
	s_waitcnt vmcnt(2)
	v_and_b32_e32 v19, 0x7fffffff, v15
	v_cmp_gt_u32_e32 vcc, s69, v19
	s_and_saveexec_b64 s[0:1], vcc
	s_xor_b64 s[94:95], exec, s[0:1]
	s_cbranch_execz .LBB156_29
; %bb.8:                                ;   in Loop: Header=BB156_7 Depth=1
	v_cmp_class_f64_e64 s[0:1], v[16:17], s90
	s_and_saveexec_b64 s[14:15], s[0:1]
	s_xor_b64 s[14:15], exec, s[14:15]
	s_cbranch_execz .LBB156_26
; %bb.9:                                ;   in Loop: Header=BB156_7 Depth=1
	v_cmp_gt_u32_e32 vcc, s91, v19
	s_and_saveexec_b64 s[0:1], vcc
	s_xor_b64 s[40:41], exec, s[0:1]
	s_cbranch_execz .LBB156_15
; %bb.10:                               ;   in Loop: Header=BB156_7 Depth=1
	v_cmp_nlt_f64_e64 s[0:1], |v[16:17]|, s[18:19]
                                        ; implicit-def: $vgpr72
                                        ; implicit-def: $vgpr68_vgpr69
                                        ; implicit-def: $vgpr70_vgpr71
	s_and_saveexec_b64 s[54:55], s[0:1]
	s_xor_b64 s[54:55], exec, s[54:55]
	s_cbranch_execz .LBB156_12
; %bb.11:                               ;   in Loop: Header=BB156_7 Depth=1
	v_and_b32_e32 v19, 0x7fffffff, v17
	v_ldexp_f64 v[72:73], |v[16:17]|, s2
	v_cmp_ge_f64_e64 vcc, |v[16:17]|, s[20:21]
	v_trig_preop_f64 v[68:69], |v[16:17]|, 0
	v_cndmask_b32_e32 v73, v19, v73, vcc
	v_cndmask_b32_e32 v72, v16, v72, vcc
	v_trig_preop_f64 v[70:71], |v[16:17]|, 1
	v_mul_f64 v[76:77], v[68:69], v[72:73]
	v_mul_f64 v[74:75], v[70:71], v[72:73]
	v_fma_f64 v[68:69], v[68:69], v[72:73], -v[76:77]
	v_add_f64 v[78:79], v[74:75], v[68:69]
	v_add_f64 v[80:81], v[76:77], v[78:79]
	v_ldexp_f64 v[82:83], v[80:81], -2
	v_fract_f64_e32 v[88:89], v[82:83]
	v_cmp_neq_f64_e64 vcc, |v[82:83]|, s[22:23]
	v_cndmask_b32_e32 v83, 0, v89, vcc
	v_cndmask_b32_e32 v82, 0, v88, vcc
	v_add_f64 v[88:89], v[78:79], -v[74:75]
	v_add_f64 v[68:69], v[68:69], -v[88:89]
	;; [unrolled: 1-line block ×4, first 2 shown]
	v_fma_f64 v[70:71], v[70:71], v[72:73], -v[74:75]
	v_trig_preop_f64 v[74:75], |v[16:17]|, 2
	v_add_f64 v[68:69], v[68:69], v[88:89]
	v_mul_f64 v[88:89], v[74:75], v[72:73]
	v_add_f64 v[90:91], v[88:89], v[70:71]
	v_add_f64 v[92:93], v[90:91], v[68:69]
	v_add_f64 v[76:77], v[80:81], -v[76:77]
	v_add_f64 v[80:81], v[92:93], -v[90:91]
	;; [unrolled: 1-line block ×5, first 2 shown]
	v_add_f64 v[68:69], v[68:69], v[80:81]
	v_add_f64 v[80:81], v[90:91], -v[88:89]
	v_add_f64 v[70:71], v[70:71], -v[80:81]
	;; [unrolled: 1-line block ×4, first 2 shown]
	v_add_f64 v[70:71], v[70:71], v[80:81]
	v_add_f64 v[76:77], v[78:79], -v[76:77]
	v_add_f64 v[68:69], v[70:71], v[68:69]
	v_fma_f64 v[70:71], v[74:75], v[72:73], -v[88:89]
	v_add_f64 v[78:79], v[76:77], v[92:93]
	v_add_f64 v[68:69], v[70:71], v[68:69]
	v_ldexp_f64 v[70:71], v[82:83], 2
	v_add_f64 v[72:73], v[78:79], v[70:71]
	v_cmp_gt_f64_e32 vcc, 0, v[72:73]
	v_cndmask_b32_e32 v19, 0, v23, vcc
	v_add_f64 v[70:71], v[70:71], v[18:19]
	v_add_f64 v[72:73], v[78:79], v[70:71]
	v_cvt_i32_f64_e32 v19, v[72:73]
	v_cvt_f64_i32_e32 v[72:73], v19
	v_add_f64 v[70:71], v[70:71], -v[72:73]
	v_add_f64 v[76:77], v[78:79], -v[76:77]
	v_add_f64 v[74:75], v[78:79], v[70:71]
	v_add_f64 v[76:77], v[92:93], -v[76:77]
	v_add_f64 v[70:71], v[74:75], -v[70:71]
	v_cmp_le_f64_e32 vcc, 0.5, v[74:75]
	v_add_f64 v[68:69], v[76:77], v[68:69]
	v_add_f64 v[70:71], v[78:79], -v[70:71]
	v_addc_co_u32_e64 v72, s[0:1], 0, v19, vcc
	v_cndmask_b32_e32 v19, 0, v84, vcc
	v_add_f64 v[68:69], v[68:69], v[70:71]
	v_add_f64 v[70:71], v[74:75], -v[18:19]
	v_add_f64 v[74:75], v[70:71], v[68:69]
	v_add_f64 v[70:71], v[74:75], -v[70:71]
	s_mov_b32 s24, s26
	v_add_f64 v[68:69], v[68:69], -v[70:71]
	v_mul_f64 v[70:71], v[74:75], s[24:25]
	v_fma_f64 v[76:77], v[74:75], s[24:25], -v[70:71]
	s_mov_b32 s31, s29
	v_fmac_f64_e32 v[76:77], s[30:31], v[74:75]
	v_fmac_f64_e32 v[76:77], s[24:25], v[68:69]
	v_add_f64 v[68:69], v[70:71], v[76:77]
	v_add_f64 v[70:71], v[68:69], -v[70:71]
	v_add_f64 v[70:71], v[76:77], -v[70:71]
.LBB156_12:                             ;   in Loop: Header=BB156_7 Depth=1
	s_andn2_saveexec_b64 s[0:1], s[54:55]
	s_cbranch_execz .LBB156_14
; %bb.13:                               ;   in Loop: Header=BB156_7 Depth=1
	v_mul_f64 v[68:69], |v[16:17]|, s[34:35]
	v_rndne_f64_e32 v[72:73], v[68:69]
	v_fma_f64 v[68:69], v[72:73], s[26:27], |v[16:17]|
	v_mul_f64 v[74:75], v[72:73], s[36:37]
	v_add_f64 v[78:79], v[68:69], v[74:75]
	v_fma_f64 v[70:71], s[36:37], v[72:73], v[68:69]
	s_mov_b32 s28, s36
	v_add_f64 v[68:69], v[68:69], -v[78:79]
	v_fma_f64 v[76:77], s[28:29], v[72:73], v[74:75]
	v_add_f64 v[68:69], v[68:69], v[74:75]
	v_add_f64 v[74:75], v[78:79], -v[70:71]
	v_add_f64 v[68:69], v[74:75], v[68:69]
	v_add_f64 v[74:75], v[68:69], -v[76:77]
	v_fmac_f64_e32 v[74:75], s[38:39], v[72:73]
	v_add_f64 v[68:69], v[70:71], v[74:75]
	v_add_f64 v[70:71], v[68:69], -v[70:71]
	v_add_f64 v[70:71], v[74:75], -v[70:71]
	v_cvt_i32_f64_e32 v72, v[72:73]
.LBB156_14:                             ;   in Loop: Header=BB156_7 Depth=1
	s_or_b64 exec, exec, s[0:1]
	v_mul_f64 v[74:75], v[68:69], v[68:69]
	v_fma_f64 v[76:77], v[68:69], v[68:69], -v[74:75]
	v_add_f64 v[78:79], v[70:71], v[70:71]
	v_fmac_f64_e32 v[76:77], v[68:69], v[78:79]
	s_mov_b32 s0, 0xc751c08c
	v_add_f64 v[74:75], v[74:75], v[76:77]
	v_pk_mov_b32 v[76:77], v[24:25], v[24:25] op_sel:[0,1]
	s_mov_b32 s1, 0x3ef5e089
	v_fmac_f64_e32 v[76:77], s[0:1], v[74:75]
	v_pk_mov_b32 v[78:79], v[26:27], v[26:27] op_sel:[0,1]
	v_fmac_f64_e32 v[78:79], v[74:75], v[76:77]
	v_pk_mov_b32 v[76:77], v[28:29], v[28:29] op_sel:[0,1]
	;; [unrolled: 2-line block ×12, first 2 shown]
	v_fmac_f64_e32 v[76:77], v[74:75], v[78:79]
	v_mul_f64 v[74:75], v[74:75], v[76:77]
	v_mul_f64 v[76:77], v[68:69], v[74:75]
	v_add_f64 v[78:79], v[68:69], v[76:77]
	v_fma_f64 v[74:75], v[68:69], v[74:75], -v[76:77]
	v_add_f64 v[68:69], v[78:79], -v[68:69]
	v_add_f64 v[68:69], v[76:77], -v[68:69]
	v_add_f64 v[70:71], v[70:71], v[74:75]
	v_add_f64 v[68:69], v[70:71], v[68:69]
	;; [unrolled: 1-line block ×3, first 2 shown]
	v_rcp_f64_e32 v[74:75], v[70:71]
	v_and_b32_e32 v16, 1, v72
	v_add_f64 v[72:73], v[70:71], -v[78:79]
	v_add_f64 v[68:69], v[68:69], -v[72:73]
	v_fma_f64 v[72:73], -v[70:71], v[74:75], 1.0
	v_fmac_f64_e32 v[74:75], v[72:73], v[74:75]
	v_fma_f64 v[72:73], -v[70:71], v[74:75], 1.0
	v_fmac_f64_e32 v[74:75], v[72:73], v[74:75]
	v_mul_f64 v[72:73], v[70:71], v[74:75]
	v_fma_f64 v[76:77], v[74:75], v[70:71], -v[72:73]
	v_fmac_f64_e32 v[76:77], v[74:75], v[68:69]
	v_add_f64 v[68:69], v[72:73], v[76:77]
	v_add_f64 v[78:79], -v[68:69], 1.0
	v_add_f64 v[72:73], v[68:69], -v[72:73]
	v_add_f64 v[80:81], -v[78:79], 1.0
	v_add_f64 v[68:69], v[80:81], -v[68:69]
	v_add_f64 v[72:73], v[72:73], -v[76:77]
	v_add_f64 v[68:69], v[72:73], v[68:69]
	v_add_f64 v[68:69], v[78:79], v[68:69]
	v_mul_f64 v[68:69], v[74:75], v[68:69]
	v_add_f64 v[68:69], v[74:75], v[68:69]
	v_cmp_eq_u32_e32 vcc, 0, v16
	v_xor_b32_e32 v19, 0x80000000, v69
	v_cndmask_b32_e32 v16, v68, v70, vcc
	v_add_f64 v[68:69], |v[14:15]|, s[42:43]
	v_cndmask_b32_e32 v19, v19, v71, vcc
	v_add_f64 v[70:71], v[68:69], -|v[14:15]|
	v_add_f64 v[72:73], v[70:71], -v[68:69]
	s_mov_b32 s44, s42
	v_add_f64 v[72:73], |v[14:15]|, v[72:73]
	v_add_f64 v[70:71], v[70:71], s[44:45]
	v_add_f64 v[70:71], v[72:73], -v[70:71]
	v_add_f64 v[70:71], v[70:71], s[46:47]
	v_add_f64 v[72:73], v[68:69], v[70:71]
	v_add_f64 v[68:69], v[68:69], -v[72:73]
	s_mov_b32 s48, s50
	v_add_f64 v[68:69], v[70:71], v[68:69]
	v_mul_f64 v[70:71], v[72:73], s[48:49]
	v_rndne_f64_e32 v[70:71], v[70:71]
	s_mov_b32 s53, s43
	v_fmac_f64_e32 v[72:73], s[52:53], v[70:71]
	v_add_f64 v[74:75], v[68:69], v[72:73]
	s_mov_b32 s0, 0xf278e000
	v_add_f64 v[72:73], v[72:73], -v[74:75]
	s_mov_b32 s1, 0xbd53de6a
	v_add_f64 v[68:69], v[68:69], v[72:73]
	v_mul_f64 v[72:73], v[70:71], s[0:1]
	v_add_f64 v[76:77], v[74:75], v[72:73]
	v_add_f64 v[74:75], v[74:75], -v[76:77]
	v_add_f64 v[72:73], v[74:75], v[72:73]
	v_add_f64 v[68:69], v[68:69], v[72:73]
	;; [unrolled: 1-line block ×3, first 2 shown]
	s_mov_b32 s0, 0xf97b57a0
	v_add_f64 v[74:75], v[76:77], -v[72:73]
	s_mov_b32 s1, 0xbac9cc01
	v_add_f64 v[68:69], v[68:69], v[74:75]
	v_mul_f64 v[74:75], v[70:71], s[0:1]
	v_add_f64 v[76:77], v[72:73], v[74:75]
	v_add_f64 v[72:73], v[72:73], -v[76:77]
	v_add_f64 v[72:73], v[72:73], v[74:75]
	v_add_f64 v[68:69], v[68:69], v[72:73]
	;; [unrolled: 1-line block ×3, first 2 shown]
	v_add_f64 v[74:75], v[76:77], -v[72:73]
	v_add_f64 v[68:69], v[68:69], v[74:75]
	v_pk_mov_b32 v[74:75], v[50:51], v[50:51] op_sel:[0,1]
	v_fmac_f64_e32 v[74:75], s[58:59], v[72:73]
	v_pk_mov_b32 v[76:77], v[52:53], v[52:53] op_sel:[0,1]
	v_fmac_f64_e32 v[76:77], v[72:73], v[74:75]
	;; [unrolled: 2-line block ×9, first 2 shown]
	v_mul_f64 v[76:77], v[72:73], v[72:73]
	v_fma_f64 v[78:79], v[72:73], v[72:73], -v[76:77]
	v_add_f64 v[80:81], v[68:69], v[68:69]
	v_fmac_f64_e32 v[78:79], v[72:73], v[80:81]
	v_add_f64 v[80:81], v[76:77], v[78:79]
	v_add_f64 v[76:77], v[80:81], -v[76:77]
	v_add_f64 v[76:77], v[78:79], -v[76:77]
	v_mul_f64 v[78:79], v[80:81], v[74:75]
	v_fma_f64 v[80:81], v[80:81], v[74:75], -v[78:79]
	v_fmac_f64_e32 v[80:81], v[76:77], v[74:75]
	v_add_f64 v[74:75], v[78:79], v[80:81]
	v_add_f64 v[76:77], v[74:75], -v[78:79]
	v_add_f64 v[78:79], v[72:73], v[74:75]
	v_add_f64 v[76:77], v[80:81], -v[76:77]
	v_add_f64 v[72:73], v[78:79], -v[72:73]
	;; [unrolled: 1-line block ×3, first 2 shown]
	v_add_f64 v[68:69], v[68:69], v[76:77]
	v_add_f64 v[68:69], v[68:69], v[72:73]
	;; [unrolled: 1-line block ×3, first 2 shown]
	v_add_f64 v[74:75], v[72:73], -v[78:79]
	v_add_f64 v[68:69], v[68:69], -v[74:75]
	v_add_f64 v[74:75], v[72:73], 1.0
	v_add_f64 v[76:77], v[74:75], -1.0
	v_add_f64 v[72:73], v[72:73], -v[76:77]
	v_add_f64 v[68:69], v[68:69], v[72:73]
	v_add_f64 v[72:73], v[74:75], v[68:69]
	v_cvt_i32_f64_e32 v78, v[70:71]
	v_ldexp_f64 v[70:71], v[72:73], v78
	v_rcp_f64_e32 v[76:77], v[70:71]
	v_add_f64 v[72:73], v[72:73], -v[74:75]
	v_add_f64 v[68:69], v[68:69], -v[72:73]
	v_ldexp_f64 v[68:69], v[68:69], v78
	v_fma_f64 v[72:73], -v[70:71], v[76:77], 1.0
	v_fmac_f64_e32 v[76:77], v[72:73], v[76:77]
	v_fma_f64 v[72:73], -v[70:71], v[76:77], 1.0
	v_fmac_f64_e32 v[76:77], v[72:73], v[76:77]
	v_mul_f64 v[72:73], v[70:71], v[76:77]
	v_fma_f64 v[74:75], v[76:77], v[70:71], -v[72:73]
	v_fmac_f64_e32 v[74:75], v[76:77], v[68:69]
	v_add_f64 v[78:79], v[72:73], v[74:75]
	v_add_f64 v[80:81], -v[78:79], 1.0
	v_add_f64 v[72:73], v[78:79], -v[72:73]
	v_add_f64 v[82:83], -v[80:81], 1.0
	v_add_f64 v[78:79], v[82:83], -v[78:79]
	v_add_f64 v[72:73], v[72:73], -v[74:75]
	v_add_f64 v[72:73], v[72:73], v[78:79]
	v_add_f64 v[74:75], v[80:81], v[72:73]
	v_add_f64 v[78:79], v[80:81], -v[74:75]
	v_add_f64 v[72:73], v[72:73], v[78:79]
	v_mul_f64 v[78:79], v[76:77], v[74:75]
	v_mul_f64 v[80:81], v[70:71], v[78:79]
	v_fma_f64 v[82:83], v[78:79], v[70:71], -v[80:81]
	v_fmac_f64_e32 v[82:83], v[78:79], v[68:69]
	v_add_f64 v[88:89], v[80:81], v[82:83]
	v_add_f64 v[90:91], v[74:75], -v[88:89]
	v_add_f64 v[74:75], v[74:75], -v[90:91]
	;; [unrolled: 1-line block ×4, first 2 shown]
	v_add_f64 v[72:73], v[72:73], v[74:75]
	v_add_f64 v[74:75], v[80:81], -v[82:83]
	v_add_f64 v[72:73], v[74:75], v[72:73]
	v_add_f64 v[72:73], v[90:91], v[72:73]
	;; [unrolled: 1-line block ×3, first 2 shown]
	v_mul_f64 v[72:73], v[76:77], v[72:73]
	v_add_f64 v[76:77], v[74:75], -v[76:77]
	v_add_f64 v[76:77], v[78:79], -v[76:77]
	v_add_f64 v[72:73], v[76:77], v[72:73]
	v_add_f64 v[76:77], v[74:75], v[72:73]
	v_add_f64 v[74:75], v[76:77], -v[74:75]
	v_add_f64 v[72:73], v[72:73], -v[74:75]
	v_ldexp_f64 v[74:75], v[76:77], -2
	v_add_f64 v[76:77], v[70:71], -v[74:75]
	v_add_f64 v[70:71], v[70:71], -v[76:77]
	;; [unrolled: 1-line block ×3, first 2 shown]
	s_mov_b32 s0, 0x8fb9f87e
	v_ldexp_f64 v[72:73], v[72:73], -2
	v_add_f64 v[68:69], v[68:69], v[70:71]
	s_mov_b32 s1, 0x408633ce
	v_add_f64 v[68:69], v[68:69], -v[72:73]
	v_cmp_nge_f64_e64 vcc, |v[14:15]|, s[0:1]
	s_mov_b32 s0, 0
	v_add_f64 v[68:69], v[76:77], v[68:69]
	s_mov_b32 s1, 0x3e400000
	v_and_b32_e32 v92, 0x7fffffff, v15
	v_cndmask_b32_e32 v69, v85, v69, vcc
	v_cndmask_b32_e32 v68, 0, v68, vcc
	v_cmp_lt_f64_e64 vcc, |v[14:15]|, s[0:1]
	v_cndmask_b32_e32 v14, v68, v14, vcc
	v_cndmask_b32_e32 v68, v69, v92, vcc
	v_bfi_b32 v15, s68, v68, v15
	s_mov_b32 s0, 0
	v_fma_f64 v[68:69], v[14:15], v[14:15], 1.0
	s_brev_b32 s1, 8
	v_cmp_gt_f64_e32 vcc, s[0:1], v[68:69]
	v_cndmask_b32_e64 v70, 0, 1, vcc
	v_lshlrev_b32_e32 v70, 8, v70
	v_ldexp_f64 v[68:69], v[68:69], v70
	v_rsq_f64_e32 v[70:71], v[68:69]
	v_and_b32_e32 v17, 0x80000000, v17
	v_xor_b32_e32 v17, v19, v17
	v_cndmask_b32_e32 v19, 0, v86, vcc
	v_mul_f64 v[74:75], v[68:69], v[70:71]
	v_mul_f64 v[70:71], v[70:71], 0.5
	v_fma_f64 v[76:77], -v[70:71], v[74:75], 0.5
	v_fmac_f64_e32 v[74:75], v[74:75], v[76:77]
	v_fma_f64 v[78:79], -v[74:75], v[74:75], v[68:69]
	v_fmac_f64_e32 v[70:71], v[70:71], v[76:77]
	v_fmac_f64_e32 v[74:75], v[78:79], v[70:71]
	v_fma_f64 v[76:77], -v[74:75], v[74:75], v[68:69]
	v_fmac_f64_e32 v[74:75], v[76:77], v[70:71]
	v_ldexp_f64 v[70:71], v[74:75], v19
	v_cmp_class_f64_e32 vcc, v[68:69], v1
	v_fma_f64 v[72:73], v[16:17], v[16:17], 1.0
	v_cndmask_b32_e32 v69, v71, v69, vcc
	v_cndmask_b32_e32 v68, v70, v68, vcc
	v_mul_f64 v[70:71], v[14:15], v[72:73]
	v_mul_f64 v[68:69], v[68:69], v[72:73]
	v_fma_f64 v[70:71], v[14:15], v[70:71], 1.0
	v_mul_f64 v[14:15], v[14:15], v[68:69]
	v_div_scale_f64 v[68:69], s[0:1], v[70:71], v[70:71], v[14:15]
	v_rcp_f64_e32 v[72:73], v[68:69]
	v_fma_f64 v[74:75], -v[68:69], v[72:73], 1.0
	v_fmac_f64_e32 v[72:73], v[72:73], v[74:75]
	v_fma_f64 v[74:75], -v[68:69], v[72:73], 1.0
	v_fmac_f64_e32 v[72:73], v[72:73], v[74:75]
	v_div_scale_f64 v[74:75], vcc, v[14:15], v[70:71], v[14:15]
	v_mul_f64 v[76:77], v[74:75], v[72:73]
	v_fma_f64 v[68:69], -v[68:69], v[76:77], v[74:75]
	v_div_scale_f64 v[74:75], s[0:1], v[70:71], v[70:71], v[16:17]
	v_rcp_f64_e32 v[78:79], v[74:75]
	v_div_fmas_f64 v[68:69], v[68:69], v[72:73], v[76:77]
	v_div_fixup_f64 v[14:15], v[68:69], v[70:71], v[14:15]
	v_fma_f64 v[68:69], -v[74:75], v[78:79], 1.0
	v_fmac_f64_e32 v[78:79], v[78:79], v[68:69]
	v_fma_f64 v[68:69], -v[74:75], v[78:79], 1.0
	v_fmac_f64_e32 v[78:79], v[78:79], v[68:69]
	v_div_scale_f64 v[68:69], vcc, v[16:17], v[70:71], v[16:17]
	v_mul_f64 v[72:73], v[68:69], v[78:79]
	v_fma_f64 v[68:69], -v[74:75], v[72:73], v[68:69]
	s_nop 1
	v_div_fmas_f64 v[68:69], v[68:69], v[78:79], v[72:73]
	v_div_fixup_f64 v[16:17], v[68:69], v[70:71], v[16:17]
.LBB156_15:                             ;   in Loop: Header=BB156_7 Depth=1
	s_andn2_saveexec_b64 s[40:41], s[40:41]
	s_cbranch_execz .LBB156_18
; %bb.16:                               ;   in Loop: Header=BB156_7 Depth=1
	v_cmp_nlt_f64_e64 s[54:55], |v[16:17]|, s[18:19]
                                        ; implicit-def: $vgpr76
                                        ; implicit-def: $vgpr68_vgpr69
                                        ; implicit-def: $vgpr70_vgpr71
	s_and_saveexec_b64 s[0:1], s[54:55]
	s_xor_b64 s[56:57], exec, s[0:1]
	s_cbranch_execz .LBB156_19
; %bb.17:                               ;   in Loop: Header=BB156_7 Depth=1
	v_and_b32_e32 v19, 0x7fffffff, v17
	v_ldexp_f64 v[72:73], |v[16:17]|, s2
	v_cmp_ge_f64_e64 vcc, |v[16:17]|, s[20:21]
	v_trig_preop_f64 v[68:69], |v[16:17]|, 0
	v_cndmask_b32_e32 v73, v19, v73, vcc
	v_cndmask_b32_e32 v72, v16, v72, vcc
	v_trig_preop_f64 v[70:71], |v[16:17]|, 1
	v_mul_f64 v[76:77], v[68:69], v[72:73]
	v_mul_f64 v[74:75], v[70:71], v[72:73]
	v_fma_f64 v[68:69], v[68:69], v[72:73], -v[76:77]
	v_add_f64 v[78:79], v[74:75], v[68:69]
	v_add_f64 v[80:81], v[76:77], v[78:79]
	v_ldexp_f64 v[82:83], v[80:81], -2
	v_fract_f64_e32 v[88:89], v[82:83]
	v_cmp_neq_f64_e64 vcc, |v[82:83]|, s[22:23]
	v_cndmask_b32_e32 v83, 0, v89, vcc
	v_cndmask_b32_e32 v82, 0, v88, vcc
	v_add_f64 v[88:89], v[78:79], -v[74:75]
	v_add_f64 v[68:69], v[68:69], -v[88:89]
	;; [unrolled: 1-line block ×4, first 2 shown]
	v_fma_f64 v[70:71], v[70:71], v[72:73], -v[74:75]
	v_trig_preop_f64 v[74:75], |v[16:17]|, 2
	v_add_f64 v[68:69], v[68:69], v[88:89]
	v_mul_f64 v[88:89], v[74:75], v[72:73]
	v_add_f64 v[90:91], v[88:89], v[70:71]
	v_add_f64 v[92:93], v[90:91], v[68:69]
	v_add_f64 v[76:77], v[80:81], -v[76:77]
	v_add_f64 v[80:81], v[92:93], -v[90:91]
	;; [unrolled: 1-line block ×5, first 2 shown]
	v_add_f64 v[68:69], v[68:69], v[80:81]
	v_add_f64 v[80:81], v[90:91], -v[88:89]
	v_add_f64 v[70:71], v[70:71], -v[80:81]
	v_add_f64 v[80:81], v[90:91], -v[80:81]
	v_add_f64 v[80:81], v[88:89], -v[80:81]
	v_add_f64 v[70:71], v[70:71], v[80:81]
	v_add_f64 v[76:77], v[78:79], -v[76:77]
	v_add_f64 v[68:69], v[70:71], v[68:69]
	v_fma_f64 v[70:71], v[74:75], v[72:73], -v[88:89]
	v_add_f64 v[78:79], v[76:77], v[92:93]
	v_add_f64 v[68:69], v[70:71], v[68:69]
	v_ldexp_f64 v[70:71], v[82:83], 2
	v_add_f64 v[72:73], v[78:79], v[70:71]
	v_cmp_gt_f64_e32 vcc, 0, v[72:73]
	v_cndmask_b32_e32 v19, 0, v23, vcc
	v_add_f64 v[70:71], v[70:71], v[18:19]
	v_add_f64 v[72:73], v[78:79], v[70:71]
	v_cvt_i32_f64_e32 v19, v[72:73]
	v_cvt_f64_i32_e32 v[72:73], v19
	v_add_f64 v[70:71], v[70:71], -v[72:73]
	v_add_f64 v[76:77], v[78:79], -v[76:77]
	v_add_f64 v[72:73], v[78:79], v[70:71]
	v_add_f64 v[76:77], v[92:93], -v[76:77]
	v_add_f64 v[70:71], v[72:73], -v[70:71]
	v_cmp_le_f64_e32 vcc, 0.5, v[72:73]
	v_add_f64 v[68:69], v[76:77], v[68:69]
	v_add_f64 v[70:71], v[78:79], -v[70:71]
	v_addc_co_u32_e64 v76, s[0:1], 0, v19, vcc
	v_cndmask_b32_e32 v19, 0, v84, vcc
	v_add_f64 v[68:69], v[68:69], v[70:71]
	v_add_f64 v[70:71], v[72:73], -v[18:19]
	v_add_f64 v[72:73], v[70:71], v[68:69]
	v_add_f64 v[70:71], v[72:73], -v[70:71]
	s_mov_b32 s24, s26
	v_add_f64 v[68:69], v[68:69], -v[70:71]
	v_mul_f64 v[70:71], v[72:73], s[24:25]
	v_fma_f64 v[74:75], v[72:73], s[24:25], -v[70:71]
	s_mov_b32 s31, s29
	v_fmac_f64_e32 v[74:75], s[30:31], v[72:73]
	v_fmac_f64_e32 v[74:75], s[24:25], v[68:69]
	v_add_f64 v[68:69], v[70:71], v[74:75]
	v_add_f64 v[70:71], v[68:69], -v[70:71]
	v_add_f64 v[70:71], v[74:75], -v[70:71]
	s_andn2_saveexec_b64 s[0:1], s[56:57]
	s_cbranch_execz .LBB156_21
	s_branch .LBB156_20
.LBB156_18:                             ;   in Loop: Header=BB156_7 Depth=1
	s_or_b64 exec, exec, s[40:41]
	s_andn2_saveexec_b64 s[0:1], s[14:15]
	s_cbranch_execnz .LBB156_27
	s_branch .LBB156_28
.LBB156_19:                             ;   in Loop: Header=BB156_7 Depth=1
	s_andn2_saveexec_b64 s[0:1], s[56:57]
	s_cbranch_execz .LBB156_21
.LBB156_20:                             ;   in Loop: Header=BB156_7 Depth=1
	v_mul_f64 v[68:69], |v[16:17]|, s[34:35]
	v_rndne_f64_e32 v[72:73], v[68:69]
	v_fma_f64 v[68:69], v[72:73], s[26:27], |v[16:17]|
	v_mul_f64 v[74:75], v[72:73], s[36:37]
	v_add_f64 v[78:79], v[68:69], v[74:75]
	v_fma_f64 v[70:71], s[36:37], v[72:73], v[68:69]
	s_mov_b32 s28, s36
	v_add_f64 v[68:69], v[68:69], -v[78:79]
	v_fma_f64 v[76:77], s[28:29], v[72:73], v[74:75]
	v_add_f64 v[68:69], v[68:69], v[74:75]
	v_add_f64 v[74:75], v[78:79], -v[70:71]
	v_add_f64 v[68:69], v[74:75], v[68:69]
	v_add_f64 v[74:75], v[68:69], -v[76:77]
	v_fmac_f64_e32 v[74:75], s[38:39], v[72:73]
	v_add_f64 v[68:69], v[70:71], v[74:75]
	v_add_f64 v[70:71], v[68:69], -v[70:71]
	v_add_f64 v[70:71], v[74:75], -v[70:71]
	v_cvt_i32_f64_e32 v76, v[72:73]
.LBB156_21:                             ;   in Loop: Header=BB156_7 Depth=1
	s_or_b64 exec, exec, s[0:1]
                                        ; implicit-def: $vgpr77
                                        ; implicit-def: $vgpr72_vgpr73
                                        ; implicit-def: $vgpr74_vgpr75
	s_and_saveexec_b64 s[0:1], s[54:55]
	s_xor_b64 s[54:55], exec, s[0:1]
	s_cbranch_execz .LBB156_23
; %bb.22:                               ;   in Loop: Header=BB156_7 Depth=1
	v_and_b32_e32 v19, 0x7fffffff, v17
	v_ldexp_f64 v[78:79], |v[16:17]|, s2
	v_cmp_ge_f64_e64 vcc, |v[16:17]|, s[20:21]
	v_trig_preop_f64 v[72:73], |v[16:17]|, 0
	v_cndmask_b32_e32 v79, v19, v79, vcc
	v_cndmask_b32_e32 v78, v16, v78, vcc
	v_trig_preop_f64 v[74:75], |v[16:17]|, 1
	v_mul_f64 v[82:83], v[72:73], v[78:79]
	v_mul_f64 v[80:81], v[74:75], v[78:79]
	v_fma_f64 v[72:73], v[72:73], v[78:79], -v[82:83]
	v_add_f64 v[88:89], v[80:81], v[72:73]
	v_add_f64 v[90:91], v[82:83], v[88:89]
	v_ldexp_f64 v[92:93], v[90:91], -2
	v_fract_f64_e32 v[94:95], v[92:93]
	v_cmp_neq_f64_e64 vcc, |v[92:93]|, s[22:23]
	v_cndmask_b32_e32 v93, 0, v95, vcc
	v_cndmask_b32_e32 v92, 0, v94, vcc
	v_add_f64 v[94:95], v[88:89], -v[80:81]
	v_add_f64 v[72:73], v[72:73], -v[94:95]
	;; [unrolled: 1-line block ×4, first 2 shown]
	v_fma_f64 v[74:75], v[74:75], v[78:79], -v[80:81]
	v_trig_preop_f64 v[80:81], |v[16:17]|, 2
	v_add_f64 v[72:73], v[72:73], v[94:95]
	v_mul_f64 v[94:95], v[80:81], v[78:79]
	v_add_f64 v[96:97], v[94:95], v[74:75]
	v_add_f64 v[98:99], v[96:97], v[72:73]
	v_add_f64 v[82:83], v[90:91], -v[82:83]
	v_add_f64 v[90:91], v[98:99], -v[96:97]
	;; [unrolled: 1-line block ×5, first 2 shown]
	v_add_f64 v[72:73], v[72:73], v[90:91]
	v_add_f64 v[90:91], v[96:97], -v[94:95]
	v_add_f64 v[74:75], v[74:75], -v[90:91]
	;; [unrolled: 1-line block ×4, first 2 shown]
	v_add_f64 v[74:75], v[74:75], v[90:91]
	v_add_f64 v[82:83], v[88:89], -v[82:83]
	v_add_f64 v[72:73], v[74:75], v[72:73]
	v_fma_f64 v[74:75], v[80:81], v[78:79], -v[94:95]
	v_add_f64 v[88:89], v[82:83], v[98:99]
	v_add_f64 v[72:73], v[74:75], v[72:73]
	v_ldexp_f64 v[74:75], v[92:93], 2
	v_add_f64 v[78:79], v[88:89], v[74:75]
	v_cmp_gt_f64_e32 vcc, 0, v[78:79]
	v_cndmask_b32_e32 v19, 0, v23, vcc
	v_add_f64 v[74:75], v[74:75], v[18:19]
	v_add_f64 v[78:79], v[88:89], v[74:75]
	v_cvt_i32_f64_e32 v19, v[78:79]
	v_cvt_f64_i32_e32 v[78:79], v19
	v_add_f64 v[74:75], v[74:75], -v[78:79]
	v_add_f64 v[82:83], v[88:89], -v[82:83]
	v_add_f64 v[78:79], v[88:89], v[74:75]
	v_add_f64 v[82:83], v[98:99], -v[82:83]
	v_add_f64 v[74:75], v[78:79], -v[74:75]
	v_cmp_le_f64_e32 vcc, 0.5, v[78:79]
	v_add_f64 v[72:73], v[82:83], v[72:73]
	v_add_f64 v[74:75], v[88:89], -v[74:75]
	v_addc_co_u32_e64 v77, s[0:1], 0, v19, vcc
	v_cndmask_b32_e32 v19, 0, v84, vcc
	v_add_f64 v[72:73], v[72:73], v[74:75]
	v_add_f64 v[74:75], v[78:79], -v[18:19]
	v_add_f64 v[78:79], v[74:75], v[72:73]
	v_add_f64 v[74:75], v[78:79], -v[74:75]
	s_mov_b32 s24, s26
	v_add_f64 v[72:73], v[72:73], -v[74:75]
	v_mul_f64 v[74:75], v[78:79], s[24:25]
	v_fma_f64 v[80:81], v[78:79], s[24:25], -v[74:75]
	s_mov_b32 s31, s29
	v_fmac_f64_e32 v[80:81], s[30:31], v[78:79]
	v_fmac_f64_e32 v[80:81], s[24:25], v[72:73]
	v_add_f64 v[72:73], v[74:75], v[80:81]
	v_add_f64 v[74:75], v[72:73], -v[74:75]
	v_add_f64 v[74:75], v[80:81], -v[74:75]
	s_andn2_saveexec_b64 s[0:1], s[54:55]
	s_cbranch_execnz .LBB156_24
	s_branch .LBB156_25
.LBB156_23:                             ;   in Loop: Header=BB156_7 Depth=1
	s_andn2_saveexec_b64 s[0:1], s[54:55]
	s_cbranch_execz .LBB156_25
.LBB156_24:                             ;   in Loop: Header=BB156_7 Depth=1
	v_mul_f64 v[72:73], |v[16:17]|, s[34:35]
	v_rndne_f64_e32 v[78:79], v[72:73]
	v_fma_f64 v[72:73], v[78:79], s[26:27], |v[16:17]|
	v_mul_f64 v[80:81], v[78:79], s[36:37]
	v_add_f64 v[88:89], v[72:73], v[80:81]
	v_fma_f64 v[74:75], s[36:37], v[78:79], v[72:73]
	s_mov_b32 s28, s36
	v_add_f64 v[72:73], v[72:73], -v[88:89]
	v_fma_f64 v[82:83], s[28:29], v[78:79], v[80:81]
	v_add_f64 v[72:73], v[72:73], v[80:81]
	v_add_f64 v[80:81], v[88:89], -v[74:75]
	v_add_f64 v[72:73], v[80:81], v[72:73]
	v_add_f64 v[80:81], v[72:73], -v[82:83]
	v_fmac_f64_e32 v[80:81], s[38:39], v[78:79]
	v_add_f64 v[72:73], v[74:75], v[80:81]
	v_add_f64 v[74:75], v[72:73], -v[74:75]
	v_add_f64 v[74:75], v[80:81], -v[74:75]
	v_cvt_i32_f64_e32 v77, v[78:79]
.LBB156_25:                             ;   in Loop: Header=BB156_7 Depth=1
	s_or_b64 exec, exec, s[0:1]
	v_mul_f64 v[78:79], v[68:69], v[68:69]
	v_pk_mov_b32 v[90:91], s[70:71], s[70:71] op_sel:[0,1]
	v_mul_f64 v[80:81], v[78:79], 0.5
	v_fma_f64 v[92:93], s[72:73], v[78:79], v[90:91]
	v_add_f64 v[82:83], -v[80:81], 1.0
	v_fma_f64 v[92:93], v[78:79], v[92:93], s[74:75]
	v_add_f64 v[88:89], -v[82:83], 1.0
	v_fma_f64 v[92:93], v[78:79], v[92:93], s[76:77]
	v_add_f64 v[80:81], v[88:89], -v[80:81]
	v_fma_f64 v[92:93], v[78:79], v[92:93], s[78:79]
	v_mul_f64 v[88:89], v[78:79], v[78:79]
	v_fma_f64 v[92:93], v[78:79], v[92:93], s[62:63]
	v_fma_f64 v[80:81], v[68:69], -v[70:71], v[80:81]
	v_fmac_f64_e32 v[80:81], v[88:89], v[92:93]
	v_add_f64 v[80:81], v[82:83], v[80:81]
	v_pk_mov_b32 v[82:83], s[80:81], s[80:81] op_sel:[0,1]
	v_fma_f64 v[88:89], s[82:83], v[78:79], v[82:83]
	v_fma_f64 v[88:89], v[78:79], v[88:89], s[84:85]
	;; [unrolled: 1-line block ×4, first 2 shown]
	v_mul_f64 v[92:93], v[68:69], -v[78:79]
	v_mul_f64 v[94:95], v[70:71], 0.5
	v_fmac_f64_e32 v[94:95], v[92:93], v[88:89]
	v_fma_f64 v[70:71], v[78:79], v[94:95], -v[70:71]
	s_mov_b32 s88, s62
	v_fmac_f64_e32 v[70:71], s[88:89], v[92:93]
	v_and_b32_e32 v16, 1, v76
	v_add_f64 v[68:69], v[68:69], -v[70:71]
	v_cmp_eq_u32_e32 vcc, 0, v16
	v_cndmask_b32_e32 v16, v80, v68, vcc
	v_lshlrev_b32_e32 v68, 30, v76
	v_cndmask_b32_e32 v19, v81, v69, vcc
	v_xor_b32_e32 v17, v68, v17
	v_mul_f64 v[68:69], |v[14:15]|, s[50:51]
	v_rndne_f64_e32 v[68:69], v[68:69]
	v_fma_f64 v[70:71], v[68:69], s[42:43], -|v[14:15]|
	v_fmac_f64_e32 v[70:71], s[46:47], v[68:69]
	v_pk_mov_b32 v[78:79], v[50:51], v[50:51] op_sel:[0,1]
	v_fmac_f64_e32 v[78:79], s[58:59], v[70:71]
	v_pk_mov_b32 v[80:81], v[52:53], v[52:53] op_sel:[0,1]
	;; [unrolled: 2-line block ×9, first 2 shown]
	v_fmac_f64_e32 v[78:79], v[70:71], v[80:81]
	v_and_b32_e32 v17, 0x80000000, v17
	v_fma_f64 v[78:79], v[70:71], v[78:79], 1.0
	s_mov_b32 s0, 0
	v_xor_b32_e32 v17, v19, v17
	v_fma_f64 v[70:71], v[70:71], v[78:79], 1.0
	v_cvt_i32_f64_e32 v19, v[68:69]
	s_mov_b32 s1, 0x4090cc00
	v_ldexp_f64 v[68:69], v[70:71], v19
	v_cmp_ngt_f64_e64 vcc, |v[14:15]|, s[0:1]
	v_bfi_b32 v19, s68, v84, v15
	v_mul_f64 v[14:15], v[72:73], v[72:73]
	v_mul_f64 v[70:71], v[14:15], 0.5
	v_fmac_f64_e32 v[90:91], s[72:73], v[14:15]
	v_add_f64 v[78:79], -v[70:71], 1.0
	v_fma_f64 v[88:89], v[14:15], v[90:91], s[74:75]
	v_add_f64 v[80:81], -v[78:79], 1.0
	v_fma_f64 v[88:89], v[14:15], v[88:89], s[76:77]
	v_add_f64 v[70:71], v[80:81], -v[70:71]
	v_fma_f64 v[88:89], v[14:15], v[88:89], s[78:79]
	v_mul_f64 v[80:81], v[14:15], v[14:15]
	v_fma_f64 v[88:89], v[14:15], v[88:89], s[62:63]
	v_fma_f64 v[70:71], v[72:73], -v[74:75], v[70:71]
	v_fmac_f64_e32 v[70:71], v[80:81], v[88:89]
	v_fmac_f64_e32 v[82:83], s[82:83], v[14:15]
	v_add_f64 v[70:71], v[78:79], v[70:71]
	v_fma_f64 v[78:79], v[14:15], v[82:83], s[84:85]
	v_fma_f64 v[78:79], v[14:15], v[78:79], s[86:87]
	;; [unrolled: 1-line block ×3, first 2 shown]
	v_mul_f64 v[80:81], v[72:73], -v[14:15]
	v_mul_f64 v[82:83], v[74:75], 0.5
	v_fmac_f64_e32 v[82:83], v[80:81], v[78:79]
	v_fma_f64 v[14:15], v[14:15], v[82:83], -v[74:75]
	v_fmac_f64_e32 v[14:15], s[88:89], v[80:81]
	v_add_f64 v[14:15], v[72:73], -v[14:15]
	v_and_b32_e32 v72, 1, v77
	v_cndmask_b32_e32 v69, 0, v69, vcc
	v_cndmask_b32_e32 v68, 0, v68, vcc
	v_cmp_eq_u32_e32 vcc, 0, v72
	v_xor_b32_e32 v15, 0x80000000, v15
	v_cndmask_b32_e32 v14, v14, v70, vcc
	v_lshlrev_b32_e32 v70, 30, v77
	v_cndmask_b32_e32 v15, v15, v71, vcc
	v_and_b32_e32 v70, 0x80000000, v70
	v_mul_f64 v[16:17], v[16:17], 4.0
	v_xor_b32_e32 v15, v15, v70
	v_mul_f64 v[14:15], v[16:17], v[14:15]
	v_mul_f64 v[14:15], v[68:69], v[14:15]
	;; [unrolled: 1-line block ×3, first 2 shown]
	v_pk_mov_b32 v[14:15], v[18:19], v[18:19] op_sel:[0,1]
	s_or_b64 exec, exec, s[40:41]
.LBB156_26:                             ;   in Loop: Header=BB156_7 Depth=1
	s_andn2_saveexec_b64 s[0:1], s[14:15]
.LBB156_27:                             ;   in Loop: Header=BB156_7 Depth=1
	v_add_f64 v[16:17], v[16:17], -v[16:17]
	v_pk_mov_b32 v[14:15], v[16:17], v[16:17] op_sel:[0,1]
.LBB156_28:                             ;   in Loop: Header=BB156_7 Depth=1
	s_or_b64 exec, exec, s[0:1]
.LBB156_29:                             ;   in Loop: Header=BB156_7 Depth=1
	s_andn2_saveexec_b64 s[14:15], s[94:95]
	s_cbranch_execz .LBB156_45
; %bb.30:                               ;   in Loop: Header=BB156_7 Depth=1
	v_and_or_b32 v19, v15, s3, v14
	v_cmp_ne_u32_e32 vcc, 0, v19
	s_and_saveexec_b64 s[0:1], vcc
	s_xor_b64 s[0:1], exec, s[0:1]
; %bb.31:                               ;   in Loop: Header=BB156_7 Depth=1
	v_mul_f64 v[68:69], v[14:15], v[16:17]
	v_cmp_eq_f64_e32 vcc, 0, v[16:17]
	v_cndmask_b32_e32 v17, v69, v17, vcc
	v_cndmask_b32_e32 v16, v68, v16, vcc
; %bb.32:                               ;   in Loop: Header=BB156_7 Depth=1
	s_andn2_saveexec_b64 s[40:41], s[0:1]
	s_cbranch_execz .LBB156_44
; %bb.33:                               ;   in Loop: Header=BB156_7 Depth=1
	v_cmp_neq_f64_e64 s[0:1], |v[16:17]|, s[22:23]
	s_and_saveexec_b64 s[94:95], s[0:1]
	s_cbranch_execz .LBB156_43
; %bb.34:                               ;   in Loop: Header=BB156_7 Depth=1
	v_cmp_nlt_f64_e64 s[54:55], |v[16:17]|, s[18:19]
	v_trig_preop_f64 v[76:77], |v[16:17]|, 0
	v_trig_preop_f64 v[74:75], |v[16:17]|, 1
	v_ldexp_f64 v[78:79], |v[16:17]|, s2
	v_trig_preop_f64 v[72:73], |v[16:17]|, 2
	v_and_b32_e32 v89, 0x7fffffff, v17
                                        ; implicit-def: $vgpr88
                                        ; implicit-def: $vgpr68_vgpr69
                                        ; implicit-def: $vgpr70_vgpr71
	s_and_saveexec_b64 s[0:1], s[54:55]
	s_xor_b64 s[56:57], exec, s[0:1]
	s_cbranch_execz .LBB156_36
; %bb.35:                               ;   in Loop: Header=BB156_7 Depth=1
	v_cmp_ge_f64_e64 vcc, |v[16:17]|, s[20:21]
	v_cndmask_b32_e32 v69, v89, v79, vcc
	v_cndmask_b32_e32 v68, v16, v78, vcc
	v_mul_f64 v[80:81], v[76:77], v[68:69]
	v_mul_f64 v[70:71], v[74:75], v[68:69]
	v_fma_f64 v[82:83], v[76:77], v[68:69], -v[80:81]
	v_add_f64 v[90:91], v[70:71], v[82:83]
	v_add_f64 v[92:93], v[80:81], v[90:91]
	v_ldexp_f64 v[94:95], v[92:93], -2
	v_fract_f64_e32 v[96:97], v[94:95]
	v_cmp_neq_f64_e64 vcc, |v[94:95]|, s[22:23]
	v_cndmask_b32_e32 v95, 0, v97, vcc
	v_cndmask_b32_e32 v94, 0, v96, vcc
	v_add_f64 v[96:97], v[90:91], -v[70:71]
	v_add_f64 v[82:83], v[82:83], -v[96:97]
	;; [unrolled: 1-line block ×4, first 2 shown]
	v_add_f64 v[82:83], v[82:83], v[96:97]
	v_fma_f64 v[70:71], v[74:75], v[68:69], -v[70:71]
	v_mul_f64 v[96:97], v[72:73], v[68:69]
	v_add_f64 v[98:99], v[96:97], v[70:71]
	v_add_f64 v[100:101], v[98:99], v[82:83]
	v_add_f64 v[80:81], v[92:93], -v[80:81]
	v_add_f64 v[92:93], v[100:101], -v[98:99]
	;; [unrolled: 1-line block ×5, first 2 shown]
	v_add_f64 v[82:83], v[82:83], v[92:93]
	v_add_f64 v[92:93], v[98:99], -v[96:97]
	v_add_f64 v[70:71], v[70:71], -v[92:93]
	;; [unrolled: 1-line block ×5, first 2 shown]
	v_add_f64 v[90:91], v[80:81], v[100:101]
	v_add_f64 v[70:71], v[70:71], v[92:93]
	v_add_f64 v[80:81], v[90:91], -v[80:81]
	v_add_f64 v[70:71], v[70:71], v[82:83]
	v_fma_f64 v[68:69], v[72:73], v[68:69], -v[96:97]
	v_add_f64 v[80:81], v[100:101], -v[80:81]
	v_add_f64 v[68:69], v[68:69], v[70:71]
	v_ldexp_f64 v[70:71], v[94:95], 2
	v_add_f64 v[68:69], v[80:81], v[68:69]
	v_add_f64 v[80:81], v[90:91], v[70:71]
	v_cmp_gt_f64_e32 vcc, 0, v[80:81]
	v_cndmask_b32_e32 v19, 0, v23, vcc
	v_add_f64 v[70:71], v[70:71], v[18:19]
	v_add_f64 v[80:81], v[90:91], v[70:71]
	v_cvt_i32_f64_e32 v19, v[80:81]
	v_cvt_f64_i32_e32 v[80:81], v19
	v_add_f64 v[70:71], v[70:71], -v[80:81]
	v_add_f64 v[80:81], v[90:91], v[70:71]
	v_add_f64 v[70:71], v[80:81], -v[70:71]
	v_cmp_le_f64_e32 vcc, 0.5, v[80:81]
	v_add_f64 v[70:71], v[90:91], -v[70:71]
	v_addc_co_u32_e64 v88, s[0:1], 0, v19, vcc
	v_cndmask_b32_e32 v19, 0, v84, vcc
	v_add_f64 v[68:69], v[68:69], v[70:71]
	v_add_f64 v[70:71], v[80:81], -v[18:19]
	v_add_f64 v[80:81], v[70:71], v[68:69]
	v_add_f64 v[70:71], v[80:81], -v[70:71]
	s_mov_b32 s24, s26
	v_add_f64 v[68:69], v[68:69], -v[70:71]
	v_mul_f64 v[70:71], v[80:81], s[24:25]
	v_fma_f64 v[82:83], v[80:81], s[24:25], -v[70:71]
	s_mov_b32 s31, s29
	v_fmac_f64_e32 v[82:83], s[30:31], v[80:81]
	v_fmac_f64_e32 v[82:83], s[24:25], v[68:69]
	v_add_f64 v[68:69], v[70:71], v[82:83]
	v_add_f64 v[70:71], v[68:69], -v[70:71]
	v_add_f64 v[70:71], v[82:83], -v[70:71]
	s_andn2_saveexec_b64 s[0:1], s[56:57]
	s_cbranch_execz .LBB156_38
	s_branch .LBB156_37
.LBB156_36:                             ;   in Loop: Header=BB156_7 Depth=1
	s_andn2_saveexec_b64 s[0:1], s[56:57]
	s_cbranch_execz .LBB156_38
.LBB156_37:                             ;   in Loop: Header=BB156_7 Depth=1
	v_mul_f64 v[68:69], |v[16:17]|, s[34:35]
	v_rndne_f64_e32 v[80:81], v[68:69]
	v_fma_f64 v[68:69], v[80:81], s[26:27], |v[16:17]|
	v_mul_f64 v[82:83], v[80:81], s[36:37]
	v_add_f64 v[92:93], v[68:69], v[82:83]
	v_fma_f64 v[70:71], s[36:37], v[80:81], v[68:69]
	s_mov_b32 s28, s36
	v_add_f64 v[68:69], v[68:69], -v[92:93]
	v_fma_f64 v[90:91], s[28:29], v[80:81], v[82:83]
	v_add_f64 v[68:69], v[68:69], v[82:83]
	v_add_f64 v[82:83], v[92:93], -v[70:71]
	v_add_f64 v[68:69], v[82:83], v[68:69]
	v_add_f64 v[82:83], v[68:69], -v[90:91]
	v_fmac_f64_e32 v[82:83], s[38:39], v[80:81]
	v_add_f64 v[68:69], v[70:71], v[82:83]
	v_add_f64 v[70:71], v[68:69], -v[70:71]
	v_add_f64 v[70:71], v[82:83], -v[70:71]
	v_cvt_i32_f64_e32 v88, v[80:81]
.LBB156_38:                             ;   in Loop: Header=BB156_7 Depth=1
	s_or_b64 exec, exec, s[0:1]
                                        ; implicit-def: $vgpr90
                                        ; implicit-def: $vgpr80_vgpr81
                                        ; implicit-def: $vgpr82_vgpr83
	s_and_saveexec_b64 s[0:1], s[54:55]
	s_xor_b64 s[54:55], exec, s[0:1]
	s_cbranch_execz .LBB156_40
; %bb.39:                               ;   in Loop: Header=BB156_7 Depth=1
	v_cmp_ge_f64_e64 vcc, |v[16:17]|, s[20:21]
	v_cndmask_b32_e32 v79, v89, v79, vcc
	v_cndmask_b32_e32 v78, v16, v78, vcc
	v_mul_f64 v[82:83], v[76:77], v[78:79]
	v_mul_f64 v[80:81], v[74:75], v[78:79]
	v_fma_f64 v[76:77], v[76:77], v[78:79], -v[82:83]
	v_add_f64 v[90:91], v[80:81], v[76:77]
	v_add_f64 v[92:93], v[82:83], v[90:91]
	v_ldexp_f64 v[94:95], v[92:93], -2
	v_fract_f64_e32 v[96:97], v[94:95]
	v_cmp_neq_f64_e64 vcc, |v[94:95]|, s[22:23]
	v_cndmask_b32_e32 v95, 0, v97, vcc
	v_cndmask_b32_e32 v94, 0, v96, vcc
	v_add_f64 v[96:97], v[90:91], -v[80:81]
	v_add_f64 v[76:77], v[76:77], -v[96:97]
	;; [unrolled: 1-line block ×4, first 2 shown]
	v_fma_f64 v[74:75], v[74:75], v[78:79], -v[80:81]
	v_mul_f64 v[80:81], v[72:73], v[78:79]
	v_add_f64 v[76:77], v[76:77], v[96:97]
	v_add_f64 v[96:97], v[80:81], v[74:75]
	;; [unrolled: 1-line block ×3, first 2 shown]
	v_add_f64 v[82:83], v[92:93], -v[82:83]
	v_add_f64 v[92:93], v[98:99], -v[96:97]
	;; [unrolled: 1-line block ×5, first 2 shown]
	v_add_f64 v[76:77], v[76:77], v[92:93]
	v_add_f64 v[92:93], v[96:97], -v[80:81]
	v_add_f64 v[74:75], v[74:75], -v[92:93]
	;; [unrolled: 1-line block ×4, first 2 shown]
	v_add_f64 v[74:75], v[74:75], v[92:93]
	v_add_f64 v[82:83], v[90:91], -v[82:83]
	v_add_f64 v[74:75], v[74:75], v[76:77]
	v_fma_f64 v[72:73], v[72:73], v[78:79], -v[80:81]
	v_add_f64 v[90:91], v[82:83], v[98:99]
	v_add_f64 v[72:73], v[72:73], v[74:75]
	v_ldexp_f64 v[74:75], v[94:95], 2
	v_add_f64 v[76:77], v[90:91], v[74:75]
	v_cmp_gt_f64_e32 vcc, 0, v[76:77]
	v_cndmask_b32_e32 v19, 0, v23, vcc
	v_add_f64 v[74:75], v[74:75], v[18:19]
	v_add_f64 v[76:77], v[90:91], v[74:75]
	v_cvt_i32_f64_e32 v19, v[76:77]
	v_cvt_f64_i32_e32 v[76:77], v19
	v_add_f64 v[74:75], v[74:75], -v[76:77]
	v_add_f64 v[82:83], v[90:91], -v[82:83]
	v_add_f64 v[76:77], v[90:91], v[74:75]
	v_add_f64 v[82:83], v[98:99], -v[82:83]
	v_add_f64 v[74:75], v[76:77], -v[74:75]
	v_cmp_le_f64_e32 vcc, 0.5, v[76:77]
	v_add_f64 v[72:73], v[82:83], v[72:73]
	v_add_f64 v[74:75], v[90:91], -v[74:75]
	v_addc_co_u32_e64 v90, s[0:1], 0, v19, vcc
	v_cndmask_b32_e32 v19, 0, v84, vcc
	v_add_f64 v[72:73], v[72:73], v[74:75]
	v_add_f64 v[74:75], v[76:77], -v[18:19]
	v_add_f64 v[76:77], v[74:75], v[72:73]
	v_add_f64 v[74:75], v[76:77], -v[74:75]
	s_mov_b32 s24, s26
	v_add_f64 v[72:73], v[72:73], -v[74:75]
	v_mul_f64 v[74:75], v[76:77], s[24:25]
	v_fma_f64 v[78:79], v[76:77], s[24:25], -v[74:75]
	s_mov_b32 s31, s29
	v_fmac_f64_e32 v[78:79], s[30:31], v[76:77]
	v_fmac_f64_e32 v[78:79], s[24:25], v[72:73]
	v_add_f64 v[80:81], v[74:75], v[78:79]
	v_add_f64 v[72:73], v[80:81], -v[74:75]
	v_add_f64 v[82:83], v[78:79], -v[72:73]
	s_andn2_saveexec_b64 s[0:1], s[54:55]
	s_cbranch_execnz .LBB156_41
	s_branch .LBB156_42
.LBB156_40:                             ;   in Loop: Header=BB156_7 Depth=1
	s_andn2_saveexec_b64 s[0:1], s[54:55]
	s_cbranch_execz .LBB156_42
.LBB156_41:                             ;   in Loop: Header=BB156_7 Depth=1
	v_mul_f64 v[72:73], |v[16:17]|, s[34:35]
	v_rndne_f64_e32 v[72:73], v[72:73]
	v_fma_f64 v[74:75], v[72:73], s[26:27], |v[16:17]|
	v_mul_f64 v[78:79], v[72:73], s[36:37]
	v_add_f64 v[82:83], v[74:75], v[78:79]
	v_fma_f64 v[76:77], s[36:37], v[72:73], v[74:75]
	s_mov_b32 s28, s36
	v_add_f64 v[74:75], v[74:75], -v[82:83]
	v_fma_f64 v[80:81], s[28:29], v[72:73], v[78:79]
	v_add_f64 v[74:75], v[74:75], v[78:79]
	v_add_f64 v[78:79], v[82:83], -v[76:77]
	v_add_f64 v[74:75], v[78:79], v[74:75]
	v_add_f64 v[74:75], v[74:75], -v[80:81]
	v_fmac_f64_e32 v[74:75], s[38:39], v[72:73]
	v_add_f64 v[80:81], v[76:77], v[74:75]
	v_add_f64 v[76:77], v[80:81], -v[76:77]
	v_add_f64 v[82:83], v[74:75], -v[76:77]
	v_cvt_i32_f64_e32 v90, v[72:73]
.LBB156_42:                             ;   in Loop: Header=BB156_7 Depth=1
	s_or_b64 exec, exec, s[0:1]
	v_mul_f64 v[72:73], v[68:69], v[68:69]
	v_pk_mov_b32 v[92:93], s[70:71], s[70:71] op_sel:[0,1]
	v_mul_f64 v[74:75], v[72:73], 0.5
	v_fma_f64 v[94:95], s[72:73], v[72:73], v[92:93]
	v_add_f64 v[76:77], -v[74:75], 1.0
	v_fma_f64 v[94:95], v[72:73], v[94:95], s[74:75]
	v_add_f64 v[78:79], -v[76:77], 1.0
	v_fma_f64 v[94:95], v[72:73], v[94:95], s[76:77]
	v_add_f64 v[74:75], v[78:79], -v[74:75]
	v_fma_f64 v[94:95], v[72:73], v[94:95], s[78:79]
	v_mul_f64 v[78:79], v[72:73], v[72:73]
	v_fma_f64 v[94:95], v[72:73], v[94:95], s[62:63]
	v_fma_f64 v[74:75], v[68:69], -v[70:71], v[74:75]
	v_fmac_f64_e32 v[74:75], v[78:79], v[94:95]
	v_add_f64 v[74:75], v[76:77], v[74:75]
	v_pk_mov_b32 v[76:77], s[80:81], s[80:81] op_sel:[0,1]
	v_fma_f64 v[78:79], s[82:83], v[72:73], v[76:77]
	v_fma_f64 v[78:79], v[72:73], v[78:79], s[84:85]
	;; [unrolled: 1-line block ×4, first 2 shown]
	v_mul_f64 v[94:95], v[68:69], -v[72:73]
	v_mul_f64 v[96:97], v[70:71], 0.5
	v_fmac_f64_e32 v[96:97], v[94:95], v[78:79]
	v_fma_f64 v[70:71], v[72:73], v[96:97], -v[70:71]
	s_mov_b32 s88, s62
	v_fmac_f64_e32 v[70:71], s[88:89], v[94:95]
	v_and_b32_e32 v19, 1, v88
	v_add_f64 v[68:69], v[68:69], -v[70:71]
	v_cmp_eq_u32_e32 vcc, 0, v19
	v_cndmask_b32_e32 v19, v74, v68, vcc
	v_cndmask_b32_e32 v68, v75, v69, vcc
	v_lshlrev_b32_e32 v69, 30, v88
	v_xor_b32_e32 v69, v69, v17
	v_and_b32_e32 v69, 0x80000000, v69
	v_xor_b32_e32 v68, v68, v69
	v_cmp_class_f64_e64 vcc, v[16:17], s90
	v_cndmask_b32_e32 v17, v87, v68, vcc
	v_mul_f64 v[68:69], v[80:81], v[80:81]
	v_mul_f64 v[70:71], v[68:69], 0.5
	v_fmac_f64_e32 v[92:93], s[72:73], v[68:69]
	v_add_f64 v[72:73], -v[70:71], 1.0
	v_fma_f64 v[78:79], v[68:69], v[92:93], s[74:75]
	v_add_f64 v[74:75], -v[72:73], 1.0
	v_fma_f64 v[78:79], v[68:69], v[78:79], s[76:77]
	v_add_f64 v[70:71], v[74:75], -v[70:71]
	v_fma_f64 v[78:79], v[68:69], v[78:79], s[78:79]
	v_mul_f64 v[74:75], v[68:69], v[68:69]
	v_fma_f64 v[78:79], v[68:69], v[78:79], s[62:63]
	v_fma_f64 v[70:71], v[80:81], -v[82:83], v[70:71]
	v_fmac_f64_e32 v[70:71], v[74:75], v[78:79]
	v_fmac_f64_e32 v[76:77], s[82:83], v[68:69]
	v_add_f64 v[70:71], v[72:73], v[70:71]
	v_fma_f64 v[72:73], v[68:69], v[76:77], s[84:85]
	v_fma_f64 v[72:73], v[68:69], v[72:73], s[86:87]
	;; [unrolled: 1-line block ×3, first 2 shown]
	v_mul_f64 v[74:75], v[80:81], -v[68:69]
	v_mul_f64 v[76:77], v[82:83], 0.5
	v_fmac_f64_e32 v[76:77], v[74:75], v[72:73]
	v_fma_f64 v[68:69], v[68:69], v[76:77], -v[82:83]
	v_fmac_f64_e32 v[68:69], s[88:89], v[74:75]
	v_add_f64 v[68:69], v[80:81], -v[68:69]
	v_cndmask_b32_e32 v16, 0, v19, vcc
	v_xor_b32_e32 v19, 0x80000000, v69
	v_and_b32_e32 v69, 1, v90
	v_cmp_eq_u32_e64 s[0:1], 0, v69
	v_lshlrev_b32_e32 v69, 30, v90
	v_cndmask_b32_e64 v19, v19, v71, s[0:1]
	v_and_b32_e32 v69, 0x80000000, v69
	v_cndmask_b32_e64 v68, v68, v70, s[0:1]
	v_xor_b32_e32 v19, v19, v69
	v_cndmask_b32_e32 v68, 0, v68, vcc
	v_cndmask_b32_e32 v69, v87, v19, vcc
	v_mul_f64 v[16:17], v[16:17], v[68:69]
.LBB156_43:                             ;   in Loop: Header=BB156_7 Depth=1
	s_or_b64 exec, exec, s[94:95]
	v_add_co_u32_e32 v14, vcc, 0, v14
	v_bfi_b32 v19, s68, 0, v17
	v_addc_co_u32_e32 v15, vcc, -2.0, v15, vcc
	v_pk_mov_b32 v[16:17], v[18:19], v[18:19] op_sel:[0,1]
.LBB156_44:                             ;   in Loop: Header=BB156_7 Depth=1
	s_or_b64 exec, exec, s[40:41]
.LBB156_45:                             ;   in Loop: Header=BB156_7 Depth=1
	s_or_b64 exec, exec, s[14:15]
	v_and_b32_e32 v19, 0x7fffffff, v11
	v_cmp_gt_u32_e32 vcc, s69, v19
	s_and_saveexec_b64 s[0:1], vcc
	s_xor_b64 s[94:95], exec, s[0:1]
	s_cbranch_execz .LBB156_67
; %bb.46:                               ;   in Loop: Header=BB156_7 Depth=1
	v_cmp_class_f64_e64 s[0:1], v[12:13], s90
	s_and_saveexec_b64 s[14:15], s[0:1]
	s_xor_b64 s[14:15], exec, s[14:15]
	s_cbranch_execz .LBB156_64
; %bb.47:                               ;   in Loop: Header=BB156_7 Depth=1
	v_cmp_gt_u32_e32 vcc, s91, v19
	s_and_saveexec_b64 s[0:1], vcc
	s_xor_b64 s[40:41], exec, s[0:1]
	s_cbranch_execz .LBB156_53
; %bb.48:                               ;   in Loop: Header=BB156_7 Depth=1
	v_cmp_nlt_f64_e64 s[0:1], |v[12:13]|, s[18:19]
                                        ; implicit-def: $vgpr72
                                        ; implicit-def: $vgpr68_vgpr69
                                        ; implicit-def: $vgpr70_vgpr71
	s_and_saveexec_b64 s[54:55], s[0:1]
	s_xor_b64 s[54:55], exec, s[54:55]
	s_cbranch_execz .LBB156_50
; %bb.49:                               ;   in Loop: Header=BB156_7 Depth=1
	v_and_b32_e32 v19, 0x7fffffff, v13
	v_ldexp_f64 v[72:73], |v[12:13]|, s2
	v_cmp_ge_f64_e64 vcc, |v[12:13]|, s[20:21]
	v_trig_preop_f64 v[68:69], |v[12:13]|, 0
	v_cndmask_b32_e32 v73, v19, v73, vcc
	v_cndmask_b32_e32 v72, v12, v72, vcc
	v_trig_preop_f64 v[70:71], |v[12:13]|, 1
	v_mul_f64 v[76:77], v[68:69], v[72:73]
	v_mul_f64 v[74:75], v[70:71], v[72:73]
	v_fma_f64 v[68:69], v[68:69], v[72:73], -v[76:77]
	v_add_f64 v[78:79], v[74:75], v[68:69]
	v_add_f64 v[80:81], v[76:77], v[78:79]
	v_ldexp_f64 v[82:83], v[80:81], -2
	v_fract_f64_e32 v[88:89], v[82:83]
	v_cmp_neq_f64_e64 vcc, |v[82:83]|, s[22:23]
	v_cndmask_b32_e32 v83, 0, v89, vcc
	v_cndmask_b32_e32 v82, 0, v88, vcc
	v_add_f64 v[88:89], v[78:79], -v[74:75]
	v_add_f64 v[68:69], v[68:69], -v[88:89]
	;; [unrolled: 1-line block ×4, first 2 shown]
	v_fma_f64 v[70:71], v[70:71], v[72:73], -v[74:75]
	v_trig_preop_f64 v[74:75], |v[12:13]|, 2
	v_add_f64 v[68:69], v[68:69], v[88:89]
	v_mul_f64 v[88:89], v[74:75], v[72:73]
	v_add_f64 v[90:91], v[88:89], v[70:71]
	v_add_f64 v[92:93], v[90:91], v[68:69]
	v_add_f64 v[76:77], v[80:81], -v[76:77]
	v_add_f64 v[80:81], v[92:93], -v[90:91]
	;; [unrolled: 1-line block ×5, first 2 shown]
	v_add_f64 v[68:69], v[68:69], v[80:81]
	v_add_f64 v[80:81], v[90:91], -v[88:89]
	v_add_f64 v[70:71], v[70:71], -v[80:81]
	;; [unrolled: 1-line block ×4, first 2 shown]
	v_add_f64 v[70:71], v[70:71], v[80:81]
	v_add_f64 v[76:77], v[78:79], -v[76:77]
	v_add_f64 v[68:69], v[70:71], v[68:69]
	v_fma_f64 v[70:71], v[74:75], v[72:73], -v[88:89]
	v_add_f64 v[78:79], v[76:77], v[92:93]
	v_add_f64 v[68:69], v[70:71], v[68:69]
	v_ldexp_f64 v[70:71], v[82:83], 2
	v_add_f64 v[72:73], v[78:79], v[70:71]
	v_cmp_gt_f64_e32 vcc, 0, v[72:73]
	v_cndmask_b32_e32 v19, 0, v23, vcc
	v_add_f64 v[70:71], v[70:71], v[18:19]
	v_add_f64 v[72:73], v[78:79], v[70:71]
	v_cvt_i32_f64_e32 v19, v[72:73]
	v_cvt_f64_i32_e32 v[72:73], v19
	v_add_f64 v[70:71], v[70:71], -v[72:73]
	v_add_f64 v[76:77], v[78:79], -v[76:77]
	v_add_f64 v[74:75], v[78:79], v[70:71]
	v_add_f64 v[76:77], v[92:93], -v[76:77]
	v_add_f64 v[70:71], v[74:75], -v[70:71]
	v_cmp_le_f64_e32 vcc, 0.5, v[74:75]
	v_add_f64 v[68:69], v[76:77], v[68:69]
	v_add_f64 v[70:71], v[78:79], -v[70:71]
	v_addc_co_u32_e64 v72, s[0:1], 0, v19, vcc
	v_cndmask_b32_e32 v19, 0, v84, vcc
	v_add_f64 v[68:69], v[68:69], v[70:71]
	v_add_f64 v[70:71], v[74:75], -v[18:19]
	v_add_f64 v[74:75], v[70:71], v[68:69]
	v_add_f64 v[70:71], v[74:75], -v[70:71]
	s_mov_b32 s24, s26
	v_add_f64 v[68:69], v[68:69], -v[70:71]
	v_mul_f64 v[70:71], v[74:75], s[24:25]
	v_fma_f64 v[76:77], v[74:75], s[24:25], -v[70:71]
	s_mov_b32 s31, s29
	v_fmac_f64_e32 v[76:77], s[30:31], v[74:75]
	v_fmac_f64_e32 v[76:77], s[24:25], v[68:69]
	v_add_f64 v[68:69], v[70:71], v[76:77]
	v_add_f64 v[70:71], v[68:69], -v[70:71]
	v_add_f64 v[70:71], v[76:77], -v[70:71]
.LBB156_50:                             ;   in Loop: Header=BB156_7 Depth=1
	s_andn2_saveexec_b64 s[0:1], s[54:55]
	s_cbranch_execz .LBB156_52
; %bb.51:                               ;   in Loop: Header=BB156_7 Depth=1
	v_mul_f64 v[68:69], |v[12:13]|, s[34:35]
	v_rndne_f64_e32 v[72:73], v[68:69]
	v_fma_f64 v[68:69], v[72:73], s[26:27], |v[12:13]|
	v_mul_f64 v[74:75], v[72:73], s[36:37]
	v_add_f64 v[78:79], v[68:69], v[74:75]
	v_fma_f64 v[70:71], s[36:37], v[72:73], v[68:69]
	s_mov_b32 s28, s36
	v_add_f64 v[68:69], v[68:69], -v[78:79]
	v_fma_f64 v[76:77], s[28:29], v[72:73], v[74:75]
	v_add_f64 v[68:69], v[68:69], v[74:75]
	v_add_f64 v[74:75], v[78:79], -v[70:71]
	v_add_f64 v[68:69], v[74:75], v[68:69]
	v_add_f64 v[74:75], v[68:69], -v[76:77]
	v_fmac_f64_e32 v[74:75], s[38:39], v[72:73]
	v_add_f64 v[68:69], v[70:71], v[74:75]
	v_add_f64 v[70:71], v[68:69], -v[70:71]
	v_add_f64 v[70:71], v[74:75], -v[70:71]
	v_cvt_i32_f64_e32 v72, v[72:73]
.LBB156_52:                             ;   in Loop: Header=BB156_7 Depth=1
	s_or_b64 exec, exec, s[0:1]
	v_mul_f64 v[74:75], v[68:69], v[68:69]
	v_fma_f64 v[76:77], v[68:69], v[68:69], -v[74:75]
	v_add_f64 v[78:79], v[70:71], v[70:71]
	v_fmac_f64_e32 v[76:77], v[68:69], v[78:79]
	s_mov_b32 s0, 0xc751c08c
	v_add_f64 v[74:75], v[74:75], v[76:77]
	v_pk_mov_b32 v[76:77], v[24:25], v[24:25] op_sel:[0,1]
	s_mov_b32 s1, 0x3ef5e089
	v_fmac_f64_e32 v[76:77], s[0:1], v[74:75]
	v_pk_mov_b32 v[78:79], v[26:27], v[26:27] op_sel:[0,1]
	v_fmac_f64_e32 v[78:79], v[74:75], v[76:77]
	v_pk_mov_b32 v[76:77], v[28:29], v[28:29] op_sel:[0,1]
	;; [unrolled: 2-line block ×12, first 2 shown]
	v_fmac_f64_e32 v[76:77], v[74:75], v[78:79]
	v_mul_f64 v[74:75], v[74:75], v[76:77]
	v_mul_f64 v[76:77], v[68:69], v[74:75]
	v_add_f64 v[78:79], v[68:69], v[76:77]
	v_fma_f64 v[74:75], v[68:69], v[74:75], -v[76:77]
	v_add_f64 v[68:69], v[78:79], -v[68:69]
	v_add_f64 v[68:69], v[76:77], -v[68:69]
	v_add_f64 v[70:71], v[70:71], v[74:75]
	v_add_f64 v[68:69], v[70:71], v[68:69]
	;; [unrolled: 1-line block ×3, first 2 shown]
	v_rcp_f64_e32 v[74:75], v[70:71]
	v_and_b32_e32 v12, 1, v72
	v_add_f64 v[72:73], v[70:71], -v[78:79]
	v_add_f64 v[68:69], v[68:69], -v[72:73]
	v_fma_f64 v[72:73], -v[70:71], v[74:75], 1.0
	v_fmac_f64_e32 v[74:75], v[72:73], v[74:75]
	v_fma_f64 v[72:73], -v[70:71], v[74:75], 1.0
	v_fmac_f64_e32 v[74:75], v[72:73], v[74:75]
	v_mul_f64 v[72:73], v[70:71], v[74:75]
	v_fma_f64 v[76:77], v[74:75], v[70:71], -v[72:73]
	v_fmac_f64_e32 v[76:77], v[74:75], v[68:69]
	v_add_f64 v[68:69], v[72:73], v[76:77]
	v_add_f64 v[78:79], -v[68:69], 1.0
	v_add_f64 v[72:73], v[68:69], -v[72:73]
	v_add_f64 v[80:81], -v[78:79], 1.0
	v_add_f64 v[68:69], v[80:81], -v[68:69]
	v_add_f64 v[72:73], v[72:73], -v[76:77]
	v_add_f64 v[68:69], v[72:73], v[68:69]
	v_add_f64 v[68:69], v[78:79], v[68:69]
	v_mul_f64 v[68:69], v[74:75], v[68:69]
	v_add_f64 v[68:69], v[74:75], v[68:69]
	v_cmp_eq_u32_e32 vcc, 0, v12
	v_xor_b32_e32 v19, 0x80000000, v69
	v_cndmask_b32_e32 v12, v68, v70, vcc
	v_add_f64 v[68:69], |v[10:11]|, s[42:43]
	v_cndmask_b32_e32 v19, v19, v71, vcc
	v_add_f64 v[70:71], v[68:69], -|v[10:11]|
	v_add_f64 v[72:73], v[70:71], -v[68:69]
	s_mov_b32 s44, s42
	v_add_f64 v[72:73], |v[10:11]|, v[72:73]
	v_add_f64 v[70:71], v[70:71], s[44:45]
	v_add_f64 v[70:71], v[72:73], -v[70:71]
	v_add_f64 v[70:71], v[70:71], s[46:47]
	v_add_f64 v[72:73], v[68:69], v[70:71]
	v_add_f64 v[68:69], v[68:69], -v[72:73]
	s_mov_b32 s48, s50
	v_add_f64 v[68:69], v[70:71], v[68:69]
	v_mul_f64 v[70:71], v[72:73], s[48:49]
	v_rndne_f64_e32 v[70:71], v[70:71]
	s_mov_b32 s53, s43
	v_fmac_f64_e32 v[72:73], s[52:53], v[70:71]
	v_add_f64 v[74:75], v[68:69], v[72:73]
	s_mov_b32 s0, 0xf278e000
	v_add_f64 v[72:73], v[72:73], -v[74:75]
	s_mov_b32 s1, 0xbd53de6a
	v_add_f64 v[68:69], v[68:69], v[72:73]
	v_mul_f64 v[72:73], v[70:71], s[0:1]
	v_add_f64 v[76:77], v[74:75], v[72:73]
	v_add_f64 v[74:75], v[74:75], -v[76:77]
	v_add_f64 v[72:73], v[74:75], v[72:73]
	v_add_f64 v[68:69], v[68:69], v[72:73]
	;; [unrolled: 1-line block ×3, first 2 shown]
	s_mov_b32 s0, 0xf97b57a0
	v_add_f64 v[74:75], v[76:77], -v[72:73]
	s_mov_b32 s1, 0xbac9cc01
	v_add_f64 v[68:69], v[68:69], v[74:75]
	v_mul_f64 v[74:75], v[70:71], s[0:1]
	v_add_f64 v[76:77], v[72:73], v[74:75]
	v_add_f64 v[72:73], v[72:73], -v[76:77]
	v_add_f64 v[72:73], v[72:73], v[74:75]
	v_add_f64 v[68:69], v[68:69], v[72:73]
	;; [unrolled: 1-line block ×3, first 2 shown]
	v_add_f64 v[74:75], v[76:77], -v[72:73]
	v_add_f64 v[68:69], v[68:69], v[74:75]
	v_pk_mov_b32 v[74:75], v[50:51], v[50:51] op_sel:[0,1]
	v_fmac_f64_e32 v[74:75], s[58:59], v[72:73]
	v_pk_mov_b32 v[76:77], v[52:53], v[52:53] op_sel:[0,1]
	v_fmac_f64_e32 v[76:77], v[72:73], v[74:75]
	;; [unrolled: 2-line block ×9, first 2 shown]
	v_mul_f64 v[76:77], v[72:73], v[72:73]
	v_fma_f64 v[78:79], v[72:73], v[72:73], -v[76:77]
	v_add_f64 v[80:81], v[68:69], v[68:69]
	v_fmac_f64_e32 v[78:79], v[72:73], v[80:81]
	v_add_f64 v[80:81], v[76:77], v[78:79]
	v_add_f64 v[76:77], v[80:81], -v[76:77]
	v_add_f64 v[76:77], v[78:79], -v[76:77]
	v_mul_f64 v[78:79], v[80:81], v[74:75]
	v_fma_f64 v[80:81], v[80:81], v[74:75], -v[78:79]
	v_fmac_f64_e32 v[80:81], v[76:77], v[74:75]
	v_add_f64 v[74:75], v[78:79], v[80:81]
	v_add_f64 v[76:77], v[74:75], -v[78:79]
	v_add_f64 v[78:79], v[72:73], v[74:75]
	v_add_f64 v[76:77], v[80:81], -v[76:77]
	v_add_f64 v[72:73], v[78:79], -v[72:73]
	;; [unrolled: 1-line block ×3, first 2 shown]
	v_add_f64 v[68:69], v[68:69], v[76:77]
	v_add_f64 v[68:69], v[68:69], v[72:73]
	;; [unrolled: 1-line block ×3, first 2 shown]
	v_add_f64 v[74:75], v[72:73], -v[78:79]
	v_add_f64 v[68:69], v[68:69], -v[74:75]
	v_add_f64 v[74:75], v[72:73], 1.0
	v_add_f64 v[76:77], v[74:75], -1.0
	v_add_f64 v[72:73], v[72:73], -v[76:77]
	v_add_f64 v[68:69], v[68:69], v[72:73]
	v_add_f64 v[72:73], v[74:75], v[68:69]
	v_cvt_i32_f64_e32 v78, v[70:71]
	v_ldexp_f64 v[70:71], v[72:73], v78
	v_rcp_f64_e32 v[76:77], v[70:71]
	v_add_f64 v[72:73], v[72:73], -v[74:75]
	v_add_f64 v[68:69], v[68:69], -v[72:73]
	v_ldexp_f64 v[68:69], v[68:69], v78
	v_fma_f64 v[72:73], -v[70:71], v[76:77], 1.0
	v_fmac_f64_e32 v[76:77], v[72:73], v[76:77]
	v_fma_f64 v[72:73], -v[70:71], v[76:77], 1.0
	v_fmac_f64_e32 v[76:77], v[72:73], v[76:77]
	v_mul_f64 v[72:73], v[70:71], v[76:77]
	v_fma_f64 v[74:75], v[76:77], v[70:71], -v[72:73]
	v_fmac_f64_e32 v[74:75], v[76:77], v[68:69]
	v_add_f64 v[78:79], v[72:73], v[74:75]
	v_add_f64 v[80:81], -v[78:79], 1.0
	v_add_f64 v[72:73], v[78:79], -v[72:73]
	v_add_f64 v[82:83], -v[80:81], 1.0
	v_add_f64 v[78:79], v[82:83], -v[78:79]
	v_add_f64 v[72:73], v[72:73], -v[74:75]
	v_add_f64 v[72:73], v[72:73], v[78:79]
	v_add_f64 v[74:75], v[80:81], v[72:73]
	v_add_f64 v[78:79], v[80:81], -v[74:75]
	v_add_f64 v[72:73], v[72:73], v[78:79]
	v_mul_f64 v[78:79], v[76:77], v[74:75]
	v_mul_f64 v[80:81], v[70:71], v[78:79]
	v_fma_f64 v[82:83], v[78:79], v[70:71], -v[80:81]
	v_fmac_f64_e32 v[82:83], v[78:79], v[68:69]
	v_add_f64 v[88:89], v[80:81], v[82:83]
	v_add_f64 v[90:91], v[74:75], -v[88:89]
	v_add_f64 v[74:75], v[74:75], -v[90:91]
	;; [unrolled: 1-line block ×4, first 2 shown]
	v_add_f64 v[72:73], v[72:73], v[74:75]
	v_add_f64 v[74:75], v[80:81], -v[82:83]
	v_add_f64 v[72:73], v[74:75], v[72:73]
	v_add_f64 v[72:73], v[90:91], v[72:73]
	;; [unrolled: 1-line block ×3, first 2 shown]
	v_mul_f64 v[72:73], v[76:77], v[72:73]
	v_add_f64 v[76:77], v[74:75], -v[76:77]
	v_add_f64 v[76:77], v[78:79], -v[76:77]
	v_add_f64 v[72:73], v[76:77], v[72:73]
	v_add_f64 v[76:77], v[74:75], v[72:73]
	v_add_f64 v[74:75], v[76:77], -v[74:75]
	v_add_f64 v[72:73], v[72:73], -v[74:75]
	v_ldexp_f64 v[74:75], v[76:77], -2
	v_add_f64 v[76:77], v[70:71], -v[74:75]
	v_add_f64 v[70:71], v[70:71], -v[76:77]
	;; [unrolled: 1-line block ×3, first 2 shown]
	s_mov_b32 s0, 0x8fb9f87e
	v_ldexp_f64 v[72:73], v[72:73], -2
	v_add_f64 v[68:69], v[68:69], v[70:71]
	s_mov_b32 s1, 0x408633ce
	v_add_f64 v[68:69], v[68:69], -v[72:73]
	v_cmp_nge_f64_e64 vcc, |v[10:11]|, s[0:1]
	s_mov_b32 s0, 0
	v_add_f64 v[68:69], v[76:77], v[68:69]
	s_mov_b32 s1, 0x3e400000
	v_and_b32_e32 v92, 0x7fffffff, v11
	v_cndmask_b32_e32 v69, v85, v69, vcc
	v_cndmask_b32_e32 v68, 0, v68, vcc
	v_cmp_lt_f64_e64 vcc, |v[10:11]|, s[0:1]
	v_cndmask_b32_e32 v10, v68, v10, vcc
	v_cndmask_b32_e32 v68, v69, v92, vcc
	v_bfi_b32 v11, s68, v68, v11
	s_mov_b32 s0, 0
	v_fma_f64 v[68:69], v[10:11], v[10:11], 1.0
	s_brev_b32 s1, 8
	v_cmp_gt_f64_e32 vcc, s[0:1], v[68:69]
	v_cndmask_b32_e64 v70, 0, 1, vcc
	v_lshlrev_b32_e32 v70, 8, v70
	v_ldexp_f64 v[68:69], v[68:69], v70
	v_rsq_f64_e32 v[70:71], v[68:69]
	v_and_b32_e32 v13, 0x80000000, v13
	v_xor_b32_e32 v13, v19, v13
	v_cndmask_b32_e32 v19, 0, v86, vcc
	v_mul_f64 v[74:75], v[68:69], v[70:71]
	v_mul_f64 v[70:71], v[70:71], 0.5
	v_fma_f64 v[76:77], -v[70:71], v[74:75], 0.5
	v_fmac_f64_e32 v[74:75], v[74:75], v[76:77]
	v_fma_f64 v[78:79], -v[74:75], v[74:75], v[68:69]
	v_fmac_f64_e32 v[70:71], v[70:71], v[76:77]
	v_fmac_f64_e32 v[74:75], v[78:79], v[70:71]
	v_fma_f64 v[76:77], -v[74:75], v[74:75], v[68:69]
	v_fmac_f64_e32 v[74:75], v[76:77], v[70:71]
	v_ldexp_f64 v[70:71], v[74:75], v19
	v_cmp_class_f64_e32 vcc, v[68:69], v1
	v_fma_f64 v[72:73], v[12:13], v[12:13], 1.0
	v_cndmask_b32_e32 v69, v71, v69, vcc
	v_cndmask_b32_e32 v68, v70, v68, vcc
	v_mul_f64 v[70:71], v[10:11], v[72:73]
	v_mul_f64 v[68:69], v[68:69], v[72:73]
	v_fma_f64 v[70:71], v[10:11], v[70:71], 1.0
	v_mul_f64 v[10:11], v[10:11], v[68:69]
	v_div_scale_f64 v[68:69], s[0:1], v[70:71], v[70:71], v[10:11]
	v_rcp_f64_e32 v[72:73], v[68:69]
	v_fma_f64 v[74:75], -v[68:69], v[72:73], 1.0
	v_fmac_f64_e32 v[72:73], v[72:73], v[74:75]
	v_fma_f64 v[74:75], -v[68:69], v[72:73], 1.0
	v_fmac_f64_e32 v[72:73], v[72:73], v[74:75]
	v_div_scale_f64 v[74:75], vcc, v[10:11], v[70:71], v[10:11]
	v_mul_f64 v[76:77], v[74:75], v[72:73]
	v_fma_f64 v[68:69], -v[68:69], v[76:77], v[74:75]
	v_div_scale_f64 v[74:75], s[0:1], v[70:71], v[70:71], v[12:13]
	v_rcp_f64_e32 v[78:79], v[74:75]
	v_div_fmas_f64 v[68:69], v[68:69], v[72:73], v[76:77]
	v_div_fixup_f64 v[10:11], v[68:69], v[70:71], v[10:11]
	v_fma_f64 v[68:69], -v[74:75], v[78:79], 1.0
	v_fmac_f64_e32 v[78:79], v[78:79], v[68:69]
	v_fma_f64 v[68:69], -v[74:75], v[78:79], 1.0
	v_fmac_f64_e32 v[78:79], v[78:79], v[68:69]
	v_div_scale_f64 v[68:69], vcc, v[12:13], v[70:71], v[12:13]
	v_mul_f64 v[72:73], v[68:69], v[78:79]
	v_fma_f64 v[68:69], -v[74:75], v[72:73], v[68:69]
	s_nop 1
	v_div_fmas_f64 v[68:69], v[68:69], v[78:79], v[72:73]
	v_div_fixup_f64 v[12:13], v[68:69], v[70:71], v[12:13]
.LBB156_53:                             ;   in Loop: Header=BB156_7 Depth=1
	s_andn2_saveexec_b64 s[40:41], s[40:41]
	s_cbranch_execz .LBB156_63
; %bb.54:                               ;   in Loop: Header=BB156_7 Depth=1
	v_cmp_nlt_f64_e64 s[54:55], |v[12:13]|, s[18:19]
                                        ; implicit-def: $vgpr76
                                        ; implicit-def: $vgpr68_vgpr69
                                        ; implicit-def: $vgpr70_vgpr71
	s_and_saveexec_b64 s[0:1], s[54:55]
	s_xor_b64 s[56:57], exec, s[0:1]
	s_cbranch_execz .LBB156_56
; %bb.55:                               ;   in Loop: Header=BB156_7 Depth=1
	v_and_b32_e32 v19, 0x7fffffff, v13
	v_ldexp_f64 v[72:73], |v[12:13]|, s2
	v_cmp_ge_f64_e64 vcc, |v[12:13]|, s[20:21]
	v_trig_preop_f64 v[68:69], |v[12:13]|, 0
	v_cndmask_b32_e32 v73, v19, v73, vcc
	v_cndmask_b32_e32 v72, v12, v72, vcc
	v_trig_preop_f64 v[70:71], |v[12:13]|, 1
	v_mul_f64 v[76:77], v[68:69], v[72:73]
	v_mul_f64 v[74:75], v[70:71], v[72:73]
	v_fma_f64 v[68:69], v[68:69], v[72:73], -v[76:77]
	v_add_f64 v[78:79], v[74:75], v[68:69]
	v_add_f64 v[80:81], v[76:77], v[78:79]
	v_ldexp_f64 v[82:83], v[80:81], -2
	v_fract_f64_e32 v[88:89], v[82:83]
	v_cmp_neq_f64_e64 vcc, |v[82:83]|, s[22:23]
	v_cndmask_b32_e32 v83, 0, v89, vcc
	v_cndmask_b32_e32 v82, 0, v88, vcc
	v_add_f64 v[88:89], v[78:79], -v[74:75]
	v_add_f64 v[68:69], v[68:69], -v[88:89]
	;; [unrolled: 1-line block ×4, first 2 shown]
	v_fma_f64 v[70:71], v[70:71], v[72:73], -v[74:75]
	v_trig_preop_f64 v[74:75], |v[12:13]|, 2
	v_add_f64 v[68:69], v[68:69], v[88:89]
	v_mul_f64 v[88:89], v[74:75], v[72:73]
	v_add_f64 v[90:91], v[88:89], v[70:71]
	v_add_f64 v[92:93], v[90:91], v[68:69]
	v_add_f64 v[76:77], v[80:81], -v[76:77]
	v_add_f64 v[80:81], v[92:93], -v[90:91]
	;; [unrolled: 1-line block ×5, first 2 shown]
	v_add_f64 v[68:69], v[68:69], v[80:81]
	v_add_f64 v[80:81], v[90:91], -v[88:89]
	v_add_f64 v[70:71], v[70:71], -v[80:81]
	;; [unrolled: 1-line block ×4, first 2 shown]
	v_add_f64 v[70:71], v[70:71], v[80:81]
	v_add_f64 v[76:77], v[78:79], -v[76:77]
	v_add_f64 v[68:69], v[70:71], v[68:69]
	v_fma_f64 v[70:71], v[74:75], v[72:73], -v[88:89]
	v_add_f64 v[78:79], v[76:77], v[92:93]
	v_add_f64 v[68:69], v[70:71], v[68:69]
	v_ldexp_f64 v[70:71], v[82:83], 2
	v_add_f64 v[72:73], v[78:79], v[70:71]
	v_cmp_gt_f64_e32 vcc, 0, v[72:73]
	v_cndmask_b32_e32 v19, 0, v23, vcc
	v_add_f64 v[70:71], v[70:71], v[18:19]
	v_add_f64 v[72:73], v[78:79], v[70:71]
	v_cvt_i32_f64_e32 v19, v[72:73]
	v_cvt_f64_i32_e32 v[72:73], v19
	v_add_f64 v[70:71], v[70:71], -v[72:73]
	v_add_f64 v[76:77], v[78:79], -v[76:77]
	v_add_f64 v[72:73], v[78:79], v[70:71]
	v_add_f64 v[76:77], v[92:93], -v[76:77]
	v_add_f64 v[70:71], v[72:73], -v[70:71]
	v_cmp_le_f64_e32 vcc, 0.5, v[72:73]
	v_add_f64 v[68:69], v[76:77], v[68:69]
	v_add_f64 v[70:71], v[78:79], -v[70:71]
	v_addc_co_u32_e64 v76, s[0:1], 0, v19, vcc
	v_cndmask_b32_e32 v19, 0, v84, vcc
	v_add_f64 v[68:69], v[68:69], v[70:71]
	v_add_f64 v[70:71], v[72:73], -v[18:19]
	v_add_f64 v[72:73], v[70:71], v[68:69]
	v_add_f64 v[70:71], v[72:73], -v[70:71]
	s_mov_b32 s24, s26
	v_add_f64 v[68:69], v[68:69], -v[70:71]
	v_mul_f64 v[70:71], v[72:73], s[24:25]
	v_fma_f64 v[74:75], v[72:73], s[24:25], -v[70:71]
	s_mov_b32 s31, s29
	v_fmac_f64_e32 v[74:75], s[30:31], v[72:73]
	v_fmac_f64_e32 v[74:75], s[24:25], v[68:69]
	v_add_f64 v[68:69], v[70:71], v[74:75]
	v_add_f64 v[70:71], v[68:69], -v[70:71]
	v_add_f64 v[70:71], v[74:75], -v[70:71]
	s_andn2_saveexec_b64 s[0:1], s[56:57]
	s_cbranch_execz .LBB156_58
	s_branch .LBB156_57
.LBB156_56:                             ;   in Loop: Header=BB156_7 Depth=1
	s_andn2_saveexec_b64 s[0:1], s[56:57]
	s_cbranch_execz .LBB156_58
.LBB156_57:                             ;   in Loop: Header=BB156_7 Depth=1
	v_mul_f64 v[68:69], |v[12:13]|, s[34:35]
	v_rndne_f64_e32 v[72:73], v[68:69]
	v_fma_f64 v[68:69], v[72:73], s[26:27], |v[12:13]|
	v_mul_f64 v[74:75], v[72:73], s[36:37]
	v_add_f64 v[78:79], v[68:69], v[74:75]
	v_fma_f64 v[70:71], s[36:37], v[72:73], v[68:69]
	s_mov_b32 s28, s36
	v_add_f64 v[68:69], v[68:69], -v[78:79]
	v_fma_f64 v[76:77], s[28:29], v[72:73], v[74:75]
	v_add_f64 v[68:69], v[68:69], v[74:75]
	v_add_f64 v[74:75], v[78:79], -v[70:71]
	v_add_f64 v[68:69], v[74:75], v[68:69]
	v_add_f64 v[74:75], v[68:69], -v[76:77]
	v_fmac_f64_e32 v[74:75], s[38:39], v[72:73]
	v_add_f64 v[68:69], v[70:71], v[74:75]
	v_add_f64 v[70:71], v[68:69], -v[70:71]
	v_add_f64 v[70:71], v[74:75], -v[70:71]
	v_cvt_i32_f64_e32 v76, v[72:73]
.LBB156_58:                             ;   in Loop: Header=BB156_7 Depth=1
	s_or_b64 exec, exec, s[0:1]
                                        ; implicit-def: $vgpr77
                                        ; implicit-def: $vgpr72_vgpr73
                                        ; implicit-def: $vgpr74_vgpr75
	s_and_saveexec_b64 s[0:1], s[54:55]
	s_xor_b64 s[54:55], exec, s[0:1]
	s_cbranch_execz .LBB156_60
; %bb.59:                               ;   in Loop: Header=BB156_7 Depth=1
	v_and_b32_e32 v19, 0x7fffffff, v13
	v_ldexp_f64 v[78:79], |v[12:13]|, s2
	v_cmp_ge_f64_e64 vcc, |v[12:13]|, s[20:21]
	v_trig_preop_f64 v[72:73], |v[12:13]|, 0
	v_cndmask_b32_e32 v79, v19, v79, vcc
	v_cndmask_b32_e32 v78, v12, v78, vcc
	v_trig_preop_f64 v[74:75], |v[12:13]|, 1
	v_mul_f64 v[82:83], v[72:73], v[78:79]
	v_mul_f64 v[80:81], v[74:75], v[78:79]
	v_fma_f64 v[72:73], v[72:73], v[78:79], -v[82:83]
	v_add_f64 v[88:89], v[80:81], v[72:73]
	v_add_f64 v[90:91], v[82:83], v[88:89]
	v_ldexp_f64 v[92:93], v[90:91], -2
	v_fract_f64_e32 v[94:95], v[92:93]
	v_cmp_neq_f64_e64 vcc, |v[92:93]|, s[22:23]
	v_cndmask_b32_e32 v93, 0, v95, vcc
	v_cndmask_b32_e32 v92, 0, v94, vcc
	v_add_f64 v[94:95], v[88:89], -v[80:81]
	v_add_f64 v[72:73], v[72:73], -v[94:95]
	;; [unrolled: 1-line block ×4, first 2 shown]
	v_fma_f64 v[74:75], v[74:75], v[78:79], -v[80:81]
	v_trig_preop_f64 v[80:81], |v[12:13]|, 2
	v_add_f64 v[72:73], v[72:73], v[94:95]
	v_mul_f64 v[94:95], v[80:81], v[78:79]
	v_add_f64 v[96:97], v[94:95], v[74:75]
	v_add_f64 v[98:99], v[96:97], v[72:73]
	v_add_f64 v[82:83], v[90:91], -v[82:83]
	v_add_f64 v[90:91], v[98:99], -v[96:97]
	;; [unrolled: 1-line block ×5, first 2 shown]
	v_add_f64 v[72:73], v[72:73], v[90:91]
	v_add_f64 v[90:91], v[96:97], -v[94:95]
	v_add_f64 v[74:75], v[74:75], -v[90:91]
	;; [unrolled: 1-line block ×4, first 2 shown]
	v_add_f64 v[74:75], v[74:75], v[90:91]
	v_add_f64 v[82:83], v[88:89], -v[82:83]
	v_add_f64 v[72:73], v[74:75], v[72:73]
	v_fma_f64 v[74:75], v[80:81], v[78:79], -v[94:95]
	v_add_f64 v[88:89], v[82:83], v[98:99]
	v_add_f64 v[72:73], v[74:75], v[72:73]
	v_ldexp_f64 v[74:75], v[92:93], 2
	v_add_f64 v[78:79], v[88:89], v[74:75]
	v_cmp_gt_f64_e32 vcc, 0, v[78:79]
	v_cndmask_b32_e32 v19, 0, v23, vcc
	v_add_f64 v[74:75], v[74:75], v[18:19]
	v_add_f64 v[78:79], v[88:89], v[74:75]
	v_cvt_i32_f64_e32 v19, v[78:79]
	v_cvt_f64_i32_e32 v[78:79], v19
	v_add_f64 v[74:75], v[74:75], -v[78:79]
	v_add_f64 v[82:83], v[88:89], -v[82:83]
	v_add_f64 v[78:79], v[88:89], v[74:75]
	v_add_f64 v[82:83], v[98:99], -v[82:83]
	v_add_f64 v[74:75], v[78:79], -v[74:75]
	v_cmp_le_f64_e32 vcc, 0.5, v[78:79]
	v_add_f64 v[72:73], v[82:83], v[72:73]
	v_add_f64 v[74:75], v[88:89], -v[74:75]
	v_addc_co_u32_e64 v77, s[0:1], 0, v19, vcc
	v_cndmask_b32_e32 v19, 0, v84, vcc
	v_add_f64 v[72:73], v[72:73], v[74:75]
	v_add_f64 v[74:75], v[78:79], -v[18:19]
	v_add_f64 v[78:79], v[74:75], v[72:73]
	v_add_f64 v[74:75], v[78:79], -v[74:75]
	s_mov_b32 s24, s26
	v_add_f64 v[72:73], v[72:73], -v[74:75]
	v_mul_f64 v[74:75], v[78:79], s[24:25]
	v_fma_f64 v[80:81], v[78:79], s[24:25], -v[74:75]
	s_mov_b32 s31, s29
	v_fmac_f64_e32 v[80:81], s[30:31], v[78:79]
	v_fmac_f64_e32 v[80:81], s[24:25], v[72:73]
	v_add_f64 v[72:73], v[74:75], v[80:81]
	v_add_f64 v[74:75], v[72:73], -v[74:75]
	v_add_f64 v[74:75], v[80:81], -v[74:75]
	s_andn2_saveexec_b64 s[0:1], s[54:55]
	s_cbranch_execnz .LBB156_61
	s_branch .LBB156_62
.LBB156_60:                             ;   in Loop: Header=BB156_7 Depth=1
	s_andn2_saveexec_b64 s[0:1], s[54:55]
	s_cbranch_execz .LBB156_62
.LBB156_61:                             ;   in Loop: Header=BB156_7 Depth=1
	v_mul_f64 v[72:73], |v[12:13]|, s[34:35]
	v_rndne_f64_e32 v[78:79], v[72:73]
	v_fma_f64 v[72:73], v[78:79], s[26:27], |v[12:13]|
	v_mul_f64 v[80:81], v[78:79], s[36:37]
	v_add_f64 v[88:89], v[72:73], v[80:81]
	v_fma_f64 v[74:75], s[36:37], v[78:79], v[72:73]
	s_mov_b32 s28, s36
	v_add_f64 v[72:73], v[72:73], -v[88:89]
	v_fma_f64 v[82:83], s[28:29], v[78:79], v[80:81]
	v_add_f64 v[72:73], v[72:73], v[80:81]
	v_add_f64 v[80:81], v[88:89], -v[74:75]
	v_add_f64 v[72:73], v[80:81], v[72:73]
	v_add_f64 v[80:81], v[72:73], -v[82:83]
	v_fmac_f64_e32 v[80:81], s[38:39], v[78:79]
	v_add_f64 v[72:73], v[74:75], v[80:81]
	v_add_f64 v[74:75], v[72:73], -v[74:75]
	v_add_f64 v[74:75], v[80:81], -v[74:75]
	v_cvt_i32_f64_e32 v77, v[78:79]
.LBB156_62:                             ;   in Loop: Header=BB156_7 Depth=1
	s_or_b64 exec, exec, s[0:1]
	v_mul_f64 v[78:79], v[68:69], v[68:69]
	v_pk_mov_b32 v[90:91], s[70:71], s[70:71] op_sel:[0,1]
	v_mul_f64 v[80:81], v[78:79], 0.5
	v_fma_f64 v[92:93], s[72:73], v[78:79], v[90:91]
	v_add_f64 v[82:83], -v[80:81], 1.0
	v_fma_f64 v[92:93], v[78:79], v[92:93], s[74:75]
	v_add_f64 v[88:89], -v[82:83], 1.0
	v_fma_f64 v[92:93], v[78:79], v[92:93], s[76:77]
	v_add_f64 v[80:81], v[88:89], -v[80:81]
	v_fma_f64 v[92:93], v[78:79], v[92:93], s[78:79]
	v_mul_f64 v[88:89], v[78:79], v[78:79]
	v_fma_f64 v[92:93], v[78:79], v[92:93], s[62:63]
	v_fma_f64 v[80:81], v[68:69], -v[70:71], v[80:81]
	v_fmac_f64_e32 v[80:81], v[88:89], v[92:93]
	v_add_f64 v[80:81], v[82:83], v[80:81]
	v_pk_mov_b32 v[82:83], s[80:81], s[80:81] op_sel:[0,1]
	v_fma_f64 v[88:89], s[82:83], v[78:79], v[82:83]
	v_fma_f64 v[88:89], v[78:79], v[88:89], s[84:85]
	;; [unrolled: 1-line block ×4, first 2 shown]
	v_mul_f64 v[92:93], v[68:69], -v[78:79]
	v_mul_f64 v[94:95], v[70:71], 0.5
	v_fmac_f64_e32 v[94:95], v[92:93], v[88:89]
	v_fma_f64 v[70:71], v[78:79], v[94:95], -v[70:71]
	s_mov_b32 s88, s62
	v_fmac_f64_e32 v[70:71], s[88:89], v[92:93]
	v_and_b32_e32 v12, 1, v76
	v_add_f64 v[68:69], v[68:69], -v[70:71]
	v_cmp_eq_u32_e32 vcc, 0, v12
	v_cndmask_b32_e32 v12, v80, v68, vcc
	v_lshlrev_b32_e32 v68, 30, v76
	v_cndmask_b32_e32 v19, v81, v69, vcc
	v_xor_b32_e32 v13, v68, v13
	v_mul_f64 v[68:69], |v[10:11]|, s[50:51]
	v_rndne_f64_e32 v[68:69], v[68:69]
	v_fma_f64 v[70:71], v[68:69], s[42:43], -|v[10:11]|
	v_fmac_f64_e32 v[70:71], s[46:47], v[68:69]
	v_pk_mov_b32 v[78:79], v[50:51], v[50:51] op_sel:[0,1]
	v_fmac_f64_e32 v[78:79], s[58:59], v[70:71]
	v_pk_mov_b32 v[80:81], v[52:53], v[52:53] op_sel:[0,1]
	;; [unrolled: 2-line block ×9, first 2 shown]
	v_fmac_f64_e32 v[78:79], v[70:71], v[80:81]
	v_and_b32_e32 v13, 0x80000000, v13
	v_fma_f64 v[78:79], v[70:71], v[78:79], 1.0
	s_mov_b32 s0, 0
	v_xor_b32_e32 v13, v19, v13
	v_fma_f64 v[70:71], v[70:71], v[78:79], 1.0
	v_cvt_i32_f64_e32 v19, v[68:69]
	s_mov_b32 s1, 0x4090cc00
	v_ldexp_f64 v[68:69], v[70:71], v19
	v_cmp_ngt_f64_e64 vcc, |v[10:11]|, s[0:1]
	v_bfi_b32 v19, s68, v84, v11
	v_mul_f64 v[10:11], v[72:73], v[72:73]
	v_mul_f64 v[70:71], v[10:11], 0.5
	v_fmac_f64_e32 v[90:91], s[72:73], v[10:11]
	v_add_f64 v[78:79], -v[70:71], 1.0
	v_fma_f64 v[88:89], v[10:11], v[90:91], s[74:75]
	v_add_f64 v[80:81], -v[78:79], 1.0
	v_fma_f64 v[88:89], v[10:11], v[88:89], s[76:77]
	v_add_f64 v[70:71], v[80:81], -v[70:71]
	v_fma_f64 v[88:89], v[10:11], v[88:89], s[78:79]
	v_mul_f64 v[80:81], v[10:11], v[10:11]
	v_fma_f64 v[88:89], v[10:11], v[88:89], s[62:63]
	v_fma_f64 v[70:71], v[72:73], -v[74:75], v[70:71]
	v_fmac_f64_e32 v[70:71], v[80:81], v[88:89]
	v_fmac_f64_e32 v[82:83], s[82:83], v[10:11]
	v_add_f64 v[70:71], v[78:79], v[70:71]
	v_fma_f64 v[78:79], v[10:11], v[82:83], s[84:85]
	v_fma_f64 v[78:79], v[10:11], v[78:79], s[86:87]
	;; [unrolled: 1-line block ×3, first 2 shown]
	v_mul_f64 v[80:81], v[72:73], -v[10:11]
	v_mul_f64 v[82:83], v[74:75], 0.5
	v_fmac_f64_e32 v[82:83], v[80:81], v[78:79]
	v_fma_f64 v[10:11], v[10:11], v[82:83], -v[74:75]
	v_fmac_f64_e32 v[10:11], s[88:89], v[80:81]
	v_add_f64 v[10:11], v[72:73], -v[10:11]
	v_and_b32_e32 v72, 1, v77
	v_cndmask_b32_e32 v69, 0, v69, vcc
	v_cndmask_b32_e32 v68, 0, v68, vcc
	v_cmp_eq_u32_e32 vcc, 0, v72
	v_xor_b32_e32 v11, 0x80000000, v11
	v_cndmask_b32_e32 v10, v10, v70, vcc
	v_lshlrev_b32_e32 v70, 30, v77
	v_cndmask_b32_e32 v11, v11, v71, vcc
	v_and_b32_e32 v70, 0x80000000, v70
	v_mul_f64 v[12:13], v[12:13], 4.0
	v_xor_b32_e32 v11, v11, v70
	v_mul_f64 v[10:11], v[12:13], v[10:11]
	v_mul_f64 v[10:11], v[68:69], v[10:11]
	;; [unrolled: 1-line block ×3, first 2 shown]
	v_pk_mov_b32 v[10:11], v[18:19], v[18:19] op_sel:[0,1]
.LBB156_63:                             ;   in Loop: Header=BB156_7 Depth=1
	s_or_b64 exec, exec, s[40:41]
.LBB156_64:                             ;   in Loop: Header=BB156_7 Depth=1
	s_andn2_saveexec_b64 s[0:1], s[14:15]
; %bb.65:                               ;   in Loop: Header=BB156_7 Depth=1
	v_add_f64 v[12:13], v[12:13], -v[12:13]
	v_pk_mov_b32 v[10:11], v[12:13], v[12:13] op_sel:[0,1]
; %bb.66:                               ;   in Loop: Header=BB156_7 Depth=1
	s_or_b64 exec, exec, s[0:1]
.LBB156_67:                             ;   in Loop: Header=BB156_7 Depth=1
	s_andn2_saveexec_b64 s[14:15], s[94:95]
	s_cbranch_execz .LBB156_83
; %bb.68:                               ;   in Loop: Header=BB156_7 Depth=1
	v_and_or_b32 v19, v11, s3, v10
	v_cmp_ne_u32_e32 vcc, 0, v19
	s_and_saveexec_b64 s[0:1], vcc
	s_xor_b64 s[0:1], exec, s[0:1]
; %bb.69:                               ;   in Loop: Header=BB156_7 Depth=1
	v_mul_f64 v[68:69], v[10:11], v[12:13]
	v_cmp_eq_f64_e32 vcc, 0, v[12:13]
	v_cndmask_b32_e32 v13, v69, v13, vcc
	v_cndmask_b32_e32 v12, v68, v12, vcc
; %bb.70:                               ;   in Loop: Header=BB156_7 Depth=1
	s_andn2_saveexec_b64 s[40:41], s[0:1]
	s_cbranch_execz .LBB156_82
; %bb.71:                               ;   in Loop: Header=BB156_7 Depth=1
	v_cmp_neq_f64_e64 s[0:1], |v[12:13]|, s[22:23]
	s_and_saveexec_b64 s[94:95], s[0:1]
	s_cbranch_execz .LBB156_81
; %bb.72:                               ;   in Loop: Header=BB156_7 Depth=1
	v_cmp_nlt_f64_e64 s[54:55], |v[12:13]|, s[18:19]
	v_trig_preop_f64 v[76:77], |v[12:13]|, 0
	v_trig_preop_f64 v[74:75], |v[12:13]|, 1
	v_ldexp_f64 v[78:79], |v[12:13]|, s2
	v_trig_preop_f64 v[72:73], |v[12:13]|, 2
	v_and_b32_e32 v89, 0x7fffffff, v13
                                        ; implicit-def: $vgpr88
                                        ; implicit-def: $vgpr68_vgpr69
                                        ; implicit-def: $vgpr70_vgpr71
	s_and_saveexec_b64 s[0:1], s[54:55]
	s_xor_b64 s[56:57], exec, s[0:1]
	s_cbranch_execz .LBB156_74
; %bb.73:                               ;   in Loop: Header=BB156_7 Depth=1
	v_cmp_ge_f64_e64 vcc, |v[12:13]|, s[20:21]
	v_cndmask_b32_e32 v69, v89, v79, vcc
	v_cndmask_b32_e32 v68, v12, v78, vcc
	v_mul_f64 v[80:81], v[76:77], v[68:69]
	v_mul_f64 v[70:71], v[74:75], v[68:69]
	v_fma_f64 v[82:83], v[76:77], v[68:69], -v[80:81]
	v_add_f64 v[90:91], v[70:71], v[82:83]
	v_add_f64 v[92:93], v[80:81], v[90:91]
	v_ldexp_f64 v[94:95], v[92:93], -2
	v_fract_f64_e32 v[96:97], v[94:95]
	v_cmp_neq_f64_e64 vcc, |v[94:95]|, s[22:23]
	v_cndmask_b32_e32 v95, 0, v97, vcc
	v_cndmask_b32_e32 v94, 0, v96, vcc
	v_add_f64 v[96:97], v[90:91], -v[70:71]
	v_add_f64 v[82:83], v[82:83], -v[96:97]
	;; [unrolled: 1-line block ×4, first 2 shown]
	v_add_f64 v[82:83], v[82:83], v[96:97]
	v_fma_f64 v[70:71], v[74:75], v[68:69], -v[70:71]
	v_mul_f64 v[96:97], v[72:73], v[68:69]
	v_add_f64 v[98:99], v[96:97], v[70:71]
	v_add_f64 v[100:101], v[98:99], v[82:83]
	v_add_f64 v[80:81], v[92:93], -v[80:81]
	v_add_f64 v[92:93], v[100:101], -v[98:99]
	;; [unrolled: 1-line block ×5, first 2 shown]
	v_add_f64 v[82:83], v[82:83], v[92:93]
	v_add_f64 v[92:93], v[98:99], -v[96:97]
	v_add_f64 v[70:71], v[70:71], -v[92:93]
	;; [unrolled: 1-line block ×5, first 2 shown]
	v_add_f64 v[90:91], v[80:81], v[100:101]
	v_add_f64 v[70:71], v[70:71], v[92:93]
	v_add_f64 v[80:81], v[90:91], -v[80:81]
	v_add_f64 v[70:71], v[70:71], v[82:83]
	v_fma_f64 v[68:69], v[72:73], v[68:69], -v[96:97]
	v_add_f64 v[80:81], v[100:101], -v[80:81]
	v_add_f64 v[68:69], v[68:69], v[70:71]
	v_ldexp_f64 v[70:71], v[94:95], 2
	v_add_f64 v[68:69], v[80:81], v[68:69]
	v_add_f64 v[80:81], v[90:91], v[70:71]
	v_cmp_gt_f64_e32 vcc, 0, v[80:81]
	v_cndmask_b32_e32 v19, 0, v23, vcc
	v_add_f64 v[70:71], v[70:71], v[18:19]
	v_add_f64 v[80:81], v[90:91], v[70:71]
	v_cvt_i32_f64_e32 v19, v[80:81]
	v_cvt_f64_i32_e32 v[80:81], v19
	v_add_f64 v[70:71], v[70:71], -v[80:81]
	v_add_f64 v[80:81], v[90:91], v[70:71]
	v_add_f64 v[70:71], v[80:81], -v[70:71]
	v_cmp_le_f64_e32 vcc, 0.5, v[80:81]
	v_add_f64 v[70:71], v[90:91], -v[70:71]
	v_addc_co_u32_e64 v88, s[0:1], 0, v19, vcc
	v_cndmask_b32_e32 v19, 0, v84, vcc
	v_add_f64 v[68:69], v[68:69], v[70:71]
	v_add_f64 v[70:71], v[80:81], -v[18:19]
	v_add_f64 v[80:81], v[70:71], v[68:69]
	v_add_f64 v[70:71], v[80:81], -v[70:71]
	s_mov_b32 s24, s26
	v_add_f64 v[68:69], v[68:69], -v[70:71]
	v_mul_f64 v[70:71], v[80:81], s[24:25]
	v_fma_f64 v[82:83], v[80:81], s[24:25], -v[70:71]
	s_mov_b32 s31, s29
	v_fmac_f64_e32 v[82:83], s[30:31], v[80:81]
	v_fmac_f64_e32 v[82:83], s[24:25], v[68:69]
	v_add_f64 v[68:69], v[70:71], v[82:83]
	v_add_f64 v[70:71], v[68:69], -v[70:71]
	v_add_f64 v[70:71], v[82:83], -v[70:71]
	s_andn2_saveexec_b64 s[0:1], s[56:57]
	s_cbranch_execz .LBB156_76
	s_branch .LBB156_75
.LBB156_74:                             ;   in Loop: Header=BB156_7 Depth=1
	s_andn2_saveexec_b64 s[0:1], s[56:57]
	s_cbranch_execz .LBB156_76
.LBB156_75:                             ;   in Loop: Header=BB156_7 Depth=1
	v_mul_f64 v[68:69], |v[12:13]|, s[34:35]
	v_rndne_f64_e32 v[80:81], v[68:69]
	v_fma_f64 v[68:69], v[80:81], s[26:27], |v[12:13]|
	v_mul_f64 v[82:83], v[80:81], s[36:37]
	v_add_f64 v[92:93], v[68:69], v[82:83]
	v_fma_f64 v[70:71], s[36:37], v[80:81], v[68:69]
	s_mov_b32 s28, s36
	v_add_f64 v[68:69], v[68:69], -v[92:93]
	v_fma_f64 v[90:91], s[28:29], v[80:81], v[82:83]
	v_add_f64 v[68:69], v[68:69], v[82:83]
	v_add_f64 v[82:83], v[92:93], -v[70:71]
	v_add_f64 v[68:69], v[82:83], v[68:69]
	v_add_f64 v[82:83], v[68:69], -v[90:91]
	v_fmac_f64_e32 v[82:83], s[38:39], v[80:81]
	v_add_f64 v[68:69], v[70:71], v[82:83]
	v_add_f64 v[70:71], v[68:69], -v[70:71]
	v_add_f64 v[70:71], v[82:83], -v[70:71]
	v_cvt_i32_f64_e32 v88, v[80:81]
.LBB156_76:                             ;   in Loop: Header=BB156_7 Depth=1
	s_or_b64 exec, exec, s[0:1]
                                        ; implicit-def: $vgpr90
                                        ; implicit-def: $vgpr80_vgpr81
                                        ; implicit-def: $vgpr82_vgpr83
	s_and_saveexec_b64 s[0:1], s[54:55]
	s_xor_b64 s[54:55], exec, s[0:1]
	s_cbranch_execz .LBB156_78
; %bb.77:                               ;   in Loop: Header=BB156_7 Depth=1
	v_cmp_ge_f64_e64 vcc, |v[12:13]|, s[20:21]
	v_cndmask_b32_e32 v79, v89, v79, vcc
	v_cndmask_b32_e32 v78, v12, v78, vcc
	v_mul_f64 v[82:83], v[76:77], v[78:79]
	v_mul_f64 v[80:81], v[74:75], v[78:79]
	v_fma_f64 v[76:77], v[76:77], v[78:79], -v[82:83]
	v_add_f64 v[90:91], v[80:81], v[76:77]
	v_add_f64 v[92:93], v[82:83], v[90:91]
	v_ldexp_f64 v[94:95], v[92:93], -2
	v_fract_f64_e32 v[96:97], v[94:95]
	v_cmp_neq_f64_e64 vcc, |v[94:95]|, s[22:23]
	v_cndmask_b32_e32 v95, 0, v97, vcc
	v_cndmask_b32_e32 v94, 0, v96, vcc
	v_add_f64 v[96:97], v[90:91], -v[80:81]
	v_add_f64 v[76:77], v[76:77], -v[96:97]
	;; [unrolled: 1-line block ×4, first 2 shown]
	v_fma_f64 v[74:75], v[74:75], v[78:79], -v[80:81]
	v_mul_f64 v[80:81], v[72:73], v[78:79]
	v_add_f64 v[76:77], v[76:77], v[96:97]
	v_add_f64 v[96:97], v[80:81], v[74:75]
	;; [unrolled: 1-line block ×3, first 2 shown]
	v_add_f64 v[82:83], v[92:93], -v[82:83]
	v_add_f64 v[92:93], v[98:99], -v[96:97]
	;; [unrolled: 1-line block ×5, first 2 shown]
	v_add_f64 v[76:77], v[76:77], v[92:93]
	v_add_f64 v[92:93], v[96:97], -v[80:81]
	v_add_f64 v[74:75], v[74:75], -v[92:93]
	;; [unrolled: 1-line block ×4, first 2 shown]
	v_add_f64 v[74:75], v[74:75], v[92:93]
	v_add_f64 v[82:83], v[90:91], -v[82:83]
	v_add_f64 v[74:75], v[74:75], v[76:77]
	v_fma_f64 v[72:73], v[72:73], v[78:79], -v[80:81]
	v_add_f64 v[90:91], v[82:83], v[98:99]
	v_add_f64 v[72:73], v[72:73], v[74:75]
	v_ldexp_f64 v[74:75], v[94:95], 2
	v_add_f64 v[76:77], v[90:91], v[74:75]
	v_cmp_gt_f64_e32 vcc, 0, v[76:77]
	v_cndmask_b32_e32 v19, 0, v23, vcc
	v_add_f64 v[74:75], v[74:75], v[18:19]
	v_add_f64 v[76:77], v[90:91], v[74:75]
	v_cvt_i32_f64_e32 v19, v[76:77]
	v_cvt_f64_i32_e32 v[76:77], v19
	v_add_f64 v[74:75], v[74:75], -v[76:77]
	v_add_f64 v[82:83], v[90:91], -v[82:83]
	v_add_f64 v[76:77], v[90:91], v[74:75]
	v_add_f64 v[82:83], v[98:99], -v[82:83]
	v_add_f64 v[74:75], v[76:77], -v[74:75]
	v_cmp_le_f64_e32 vcc, 0.5, v[76:77]
	v_add_f64 v[72:73], v[82:83], v[72:73]
	v_add_f64 v[74:75], v[90:91], -v[74:75]
	v_addc_co_u32_e64 v90, s[0:1], 0, v19, vcc
	v_cndmask_b32_e32 v19, 0, v84, vcc
	v_add_f64 v[72:73], v[72:73], v[74:75]
	v_add_f64 v[74:75], v[76:77], -v[18:19]
	v_add_f64 v[76:77], v[74:75], v[72:73]
	v_add_f64 v[74:75], v[76:77], -v[74:75]
	s_mov_b32 s24, s26
	v_add_f64 v[72:73], v[72:73], -v[74:75]
	v_mul_f64 v[74:75], v[76:77], s[24:25]
	v_fma_f64 v[78:79], v[76:77], s[24:25], -v[74:75]
	s_mov_b32 s31, s29
	v_fmac_f64_e32 v[78:79], s[30:31], v[76:77]
	v_fmac_f64_e32 v[78:79], s[24:25], v[72:73]
	v_add_f64 v[80:81], v[74:75], v[78:79]
	v_add_f64 v[72:73], v[80:81], -v[74:75]
	v_add_f64 v[82:83], v[78:79], -v[72:73]
	s_andn2_saveexec_b64 s[0:1], s[54:55]
	s_cbranch_execnz .LBB156_79
	s_branch .LBB156_80
.LBB156_78:                             ;   in Loop: Header=BB156_7 Depth=1
	s_andn2_saveexec_b64 s[0:1], s[54:55]
	s_cbranch_execz .LBB156_80
.LBB156_79:                             ;   in Loop: Header=BB156_7 Depth=1
	v_mul_f64 v[72:73], |v[12:13]|, s[34:35]
	v_rndne_f64_e32 v[72:73], v[72:73]
	v_fma_f64 v[74:75], v[72:73], s[26:27], |v[12:13]|
	v_mul_f64 v[78:79], v[72:73], s[36:37]
	v_add_f64 v[82:83], v[74:75], v[78:79]
	v_fma_f64 v[76:77], s[36:37], v[72:73], v[74:75]
	s_mov_b32 s28, s36
	v_add_f64 v[74:75], v[74:75], -v[82:83]
	v_fma_f64 v[80:81], s[28:29], v[72:73], v[78:79]
	v_add_f64 v[74:75], v[74:75], v[78:79]
	v_add_f64 v[78:79], v[82:83], -v[76:77]
	v_add_f64 v[74:75], v[78:79], v[74:75]
	v_add_f64 v[74:75], v[74:75], -v[80:81]
	v_fmac_f64_e32 v[74:75], s[38:39], v[72:73]
	v_add_f64 v[80:81], v[76:77], v[74:75]
	v_add_f64 v[76:77], v[80:81], -v[76:77]
	v_add_f64 v[82:83], v[74:75], -v[76:77]
	v_cvt_i32_f64_e32 v90, v[72:73]
.LBB156_80:                             ;   in Loop: Header=BB156_7 Depth=1
	s_or_b64 exec, exec, s[0:1]
	v_mul_f64 v[72:73], v[68:69], v[68:69]
	v_pk_mov_b32 v[92:93], s[70:71], s[70:71] op_sel:[0,1]
	v_mul_f64 v[74:75], v[72:73], 0.5
	v_fma_f64 v[94:95], s[72:73], v[72:73], v[92:93]
	v_add_f64 v[76:77], -v[74:75], 1.0
	v_fma_f64 v[94:95], v[72:73], v[94:95], s[74:75]
	v_add_f64 v[78:79], -v[76:77], 1.0
	v_fma_f64 v[94:95], v[72:73], v[94:95], s[76:77]
	v_add_f64 v[74:75], v[78:79], -v[74:75]
	v_fma_f64 v[94:95], v[72:73], v[94:95], s[78:79]
	v_mul_f64 v[78:79], v[72:73], v[72:73]
	v_fma_f64 v[94:95], v[72:73], v[94:95], s[62:63]
	v_fma_f64 v[74:75], v[68:69], -v[70:71], v[74:75]
	v_fmac_f64_e32 v[74:75], v[78:79], v[94:95]
	v_add_f64 v[74:75], v[76:77], v[74:75]
	v_pk_mov_b32 v[76:77], s[80:81], s[80:81] op_sel:[0,1]
	v_fma_f64 v[78:79], s[82:83], v[72:73], v[76:77]
	v_fma_f64 v[78:79], v[72:73], v[78:79], s[84:85]
	;; [unrolled: 1-line block ×4, first 2 shown]
	v_mul_f64 v[94:95], v[68:69], -v[72:73]
	v_mul_f64 v[96:97], v[70:71], 0.5
	v_fmac_f64_e32 v[96:97], v[94:95], v[78:79]
	v_fma_f64 v[70:71], v[72:73], v[96:97], -v[70:71]
	s_mov_b32 s88, s62
	v_fmac_f64_e32 v[70:71], s[88:89], v[94:95]
	v_and_b32_e32 v19, 1, v88
	v_add_f64 v[68:69], v[68:69], -v[70:71]
	v_cmp_eq_u32_e32 vcc, 0, v19
	v_cndmask_b32_e32 v19, v74, v68, vcc
	v_cndmask_b32_e32 v68, v75, v69, vcc
	v_lshlrev_b32_e32 v69, 30, v88
	v_xor_b32_e32 v69, v69, v13
	v_and_b32_e32 v69, 0x80000000, v69
	v_xor_b32_e32 v68, v68, v69
	v_cmp_class_f64_e64 vcc, v[12:13], s90
	v_cndmask_b32_e32 v13, v87, v68, vcc
	v_mul_f64 v[68:69], v[80:81], v[80:81]
	v_mul_f64 v[70:71], v[68:69], 0.5
	v_fmac_f64_e32 v[92:93], s[72:73], v[68:69]
	v_add_f64 v[72:73], -v[70:71], 1.0
	v_fma_f64 v[78:79], v[68:69], v[92:93], s[74:75]
	v_add_f64 v[74:75], -v[72:73], 1.0
	v_fma_f64 v[78:79], v[68:69], v[78:79], s[76:77]
	v_add_f64 v[70:71], v[74:75], -v[70:71]
	v_fma_f64 v[78:79], v[68:69], v[78:79], s[78:79]
	v_mul_f64 v[74:75], v[68:69], v[68:69]
	v_fma_f64 v[78:79], v[68:69], v[78:79], s[62:63]
	v_fma_f64 v[70:71], v[80:81], -v[82:83], v[70:71]
	v_fmac_f64_e32 v[70:71], v[74:75], v[78:79]
	v_fmac_f64_e32 v[76:77], s[82:83], v[68:69]
	v_add_f64 v[70:71], v[72:73], v[70:71]
	v_fma_f64 v[72:73], v[68:69], v[76:77], s[84:85]
	v_fma_f64 v[72:73], v[68:69], v[72:73], s[86:87]
	;; [unrolled: 1-line block ×3, first 2 shown]
	v_mul_f64 v[74:75], v[80:81], -v[68:69]
	v_mul_f64 v[76:77], v[82:83], 0.5
	v_fmac_f64_e32 v[76:77], v[74:75], v[72:73]
	v_fma_f64 v[68:69], v[68:69], v[76:77], -v[82:83]
	v_fmac_f64_e32 v[68:69], s[88:89], v[74:75]
	v_add_f64 v[68:69], v[80:81], -v[68:69]
	v_cndmask_b32_e32 v12, 0, v19, vcc
	v_xor_b32_e32 v19, 0x80000000, v69
	v_and_b32_e32 v69, 1, v90
	v_cmp_eq_u32_e64 s[0:1], 0, v69
	v_lshlrev_b32_e32 v69, 30, v90
	v_cndmask_b32_e64 v19, v19, v71, s[0:1]
	v_and_b32_e32 v69, 0x80000000, v69
	v_cndmask_b32_e64 v68, v68, v70, s[0:1]
	v_xor_b32_e32 v19, v19, v69
	v_cndmask_b32_e32 v68, 0, v68, vcc
	v_cndmask_b32_e32 v69, v87, v19, vcc
	v_mul_f64 v[12:13], v[12:13], v[68:69]
.LBB156_81:                             ;   in Loop: Header=BB156_7 Depth=1
	s_or_b64 exec, exec, s[94:95]
	v_add_co_u32_e32 v10, vcc, 0, v10
	v_bfi_b32 v19, s68, 0, v13
	v_addc_co_u32_e32 v11, vcc, -2.0, v11, vcc
	v_pk_mov_b32 v[12:13], v[18:19], v[18:19] op_sel:[0,1]
.LBB156_82:                             ;   in Loop: Header=BB156_7 Depth=1
	s_or_b64 exec, exec, s[40:41]
.LBB156_83:                             ;   in Loop: Header=BB156_7 Depth=1
	s_or_b64 exec, exec, s[14:15]
	s_waitcnt vmcnt(0)
	v_and_b32_e32 v19, 0x7fffffff, v7
	v_cmp_gt_u32_e32 vcc, s69, v19
	s_and_saveexec_b64 s[0:1], vcc
	s_xor_b64 s[94:95], exec, s[0:1]
	s_cbranch_execz .LBB156_105
; %bb.84:                               ;   in Loop: Header=BB156_7 Depth=1
	v_cmp_class_f64_e64 s[0:1], v[8:9], s90
	s_and_saveexec_b64 s[14:15], s[0:1]
	s_xor_b64 s[14:15], exec, s[14:15]
	s_cbranch_execz .LBB156_102
; %bb.85:                               ;   in Loop: Header=BB156_7 Depth=1
	v_cmp_gt_u32_e32 vcc, s91, v19
	s_and_saveexec_b64 s[0:1], vcc
	s_xor_b64 s[40:41], exec, s[0:1]
	s_cbranch_execz .LBB156_91
; %bb.86:                               ;   in Loop: Header=BB156_7 Depth=1
	v_cmp_nlt_f64_e64 s[0:1], |v[8:9]|, s[18:19]
                                        ; implicit-def: $vgpr72
                                        ; implicit-def: $vgpr68_vgpr69
                                        ; implicit-def: $vgpr70_vgpr71
	s_and_saveexec_b64 s[54:55], s[0:1]
	s_xor_b64 s[54:55], exec, s[54:55]
	s_cbranch_execz .LBB156_88
; %bb.87:                               ;   in Loop: Header=BB156_7 Depth=1
	v_and_b32_e32 v19, 0x7fffffff, v9
	v_ldexp_f64 v[72:73], |v[8:9]|, s2
	v_cmp_ge_f64_e64 vcc, |v[8:9]|, s[20:21]
	v_trig_preop_f64 v[68:69], |v[8:9]|, 0
	v_cndmask_b32_e32 v73, v19, v73, vcc
	v_cndmask_b32_e32 v72, v8, v72, vcc
	v_trig_preop_f64 v[70:71], |v[8:9]|, 1
	v_mul_f64 v[76:77], v[68:69], v[72:73]
	v_mul_f64 v[74:75], v[70:71], v[72:73]
	v_fma_f64 v[68:69], v[68:69], v[72:73], -v[76:77]
	v_add_f64 v[78:79], v[74:75], v[68:69]
	v_add_f64 v[80:81], v[76:77], v[78:79]
	v_ldexp_f64 v[82:83], v[80:81], -2
	v_fract_f64_e32 v[88:89], v[82:83]
	v_cmp_neq_f64_e64 vcc, |v[82:83]|, s[22:23]
	v_cndmask_b32_e32 v83, 0, v89, vcc
	v_cndmask_b32_e32 v82, 0, v88, vcc
	v_add_f64 v[88:89], v[78:79], -v[74:75]
	v_add_f64 v[68:69], v[68:69], -v[88:89]
	;; [unrolled: 1-line block ×4, first 2 shown]
	v_fma_f64 v[70:71], v[70:71], v[72:73], -v[74:75]
	v_trig_preop_f64 v[74:75], |v[8:9]|, 2
	v_add_f64 v[68:69], v[68:69], v[88:89]
	v_mul_f64 v[88:89], v[74:75], v[72:73]
	v_add_f64 v[90:91], v[88:89], v[70:71]
	v_add_f64 v[92:93], v[90:91], v[68:69]
	v_add_f64 v[76:77], v[80:81], -v[76:77]
	v_add_f64 v[80:81], v[92:93], -v[90:91]
	;; [unrolled: 1-line block ×5, first 2 shown]
	v_add_f64 v[68:69], v[68:69], v[80:81]
	v_add_f64 v[80:81], v[90:91], -v[88:89]
	v_add_f64 v[70:71], v[70:71], -v[80:81]
	;; [unrolled: 1-line block ×4, first 2 shown]
	v_add_f64 v[70:71], v[70:71], v[80:81]
	v_add_f64 v[76:77], v[78:79], -v[76:77]
	v_add_f64 v[68:69], v[70:71], v[68:69]
	v_fma_f64 v[70:71], v[74:75], v[72:73], -v[88:89]
	v_add_f64 v[78:79], v[76:77], v[92:93]
	v_add_f64 v[68:69], v[70:71], v[68:69]
	v_ldexp_f64 v[70:71], v[82:83], 2
	v_add_f64 v[72:73], v[78:79], v[70:71]
	v_cmp_gt_f64_e32 vcc, 0, v[72:73]
	v_cndmask_b32_e32 v19, 0, v23, vcc
	v_add_f64 v[70:71], v[70:71], v[18:19]
	v_add_f64 v[72:73], v[78:79], v[70:71]
	v_cvt_i32_f64_e32 v19, v[72:73]
	v_cvt_f64_i32_e32 v[72:73], v19
	v_add_f64 v[70:71], v[70:71], -v[72:73]
	v_add_f64 v[76:77], v[78:79], -v[76:77]
	v_add_f64 v[74:75], v[78:79], v[70:71]
	v_add_f64 v[76:77], v[92:93], -v[76:77]
	v_add_f64 v[70:71], v[74:75], -v[70:71]
	v_cmp_le_f64_e32 vcc, 0.5, v[74:75]
	v_add_f64 v[68:69], v[76:77], v[68:69]
	v_add_f64 v[70:71], v[78:79], -v[70:71]
	v_addc_co_u32_e64 v72, s[0:1], 0, v19, vcc
	v_cndmask_b32_e32 v19, 0, v84, vcc
	v_add_f64 v[68:69], v[68:69], v[70:71]
	v_add_f64 v[70:71], v[74:75], -v[18:19]
	v_add_f64 v[74:75], v[70:71], v[68:69]
	v_add_f64 v[70:71], v[74:75], -v[70:71]
	s_mov_b32 s24, s26
	v_add_f64 v[68:69], v[68:69], -v[70:71]
	v_mul_f64 v[70:71], v[74:75], s[24:25]
	v_fma_f64 v[76:77], v[74:75], s[24:25], -v[70:71]
	s_mov_b32 s31, s29
	v_fmac_f64_e32 v[76:77], s[30:31], v[74:75]
	v_fmac_f64_e32 v[76:77], s[24:25], v[68:69]
	v_add_f64 v[68:69], v[70:71], v[76:77]
	v_add_f64 v[70:71], v[68:69], -v[70:71]
	v_add_f64 v[70:71], v[76:77], -v[70:71]
.LBB156_88:                             ;   in Loop: Header=BB156_7 Depth=1
	s_andn2_saveexec_b64 s[0:1], s[54:55]
	s_cbranch_execz .LBB156_90
; %bb.89:                               ;   in Loop: Header=BB156_7 Depth=1
	v_mul_f64 v[68:69], |v[8:9]|, s[34:35]
	v_rndne_f64_e32 v[72:73], v[68:69]
	v_fma_f64 v[68:69], v[72:73], s[26:27], |v[8:9]|
	v_mul_f64 v[74:75], v[72:73], s[36:37]
	v_add_f64 v[78:79], v[68:69], v[74:75]
	v_fma_f64 v[70:71], s[36:37], v[72:73], v[68:69]
	s_mov_b32 s28, s36
	v_add_f64 v[68:69], v[68:69], -v[78:79]
	v_fma_f64 v[76:77], s[28:29], v[72:73], v[74:75]
	v_add_f64 v[68:69], v[68:69], v[74:75]
	v_add_f64 v[74:75], v[78:79], -v[70:71]
	v_add_f64 v[68:69], v[74:75], v[68:69]
	v_add_f64 v[74:75], v[68:69], -v[76:77]
	v_fmac_f64_e32 v[74:75], s[38:39], v[72:73]
	v_add_f64 v[68:69], v[70:71], v[74:75]
	v_add_f64 v[70:71], v[68:69], -v[70:71]
	v_add_f64 v[70:71], v[74:75], -v[70:71]
	v_cvt_i32_f64_e32 v72, v[72:73]
.LBB156_90:                             ;   in Loop: Header=BB156_7 Depth=1
	s_or_b64 exec, exec, s[0:1]
	v_mul_f64 v[74:75], v[68:69], v[68:69]
	v_fma_f64 v[76:77], v[68:69], v[68:69], -v[74:75]
	v_add_f64 v[78:79], v[70:71], v[70:71]
	v_fmac_f64_e32 v[76:77], v[68:69], v[78:79]
	s_mov_b32 s0, 0xc751c08c
	v_add_f64 v[74:75], v[74:75], v[76:77]
	v_pk_mov_b32 v[76:77], v[24:25], v[24:25] op_sel:[0,1]
	s_mov_b32 s1, 0x3ef5e089
	v_fmac_f64_e32 v[76:77], s[0:1], v[74:75]
	v_pk_mov_b32 v[78:79], v[26:27], v[26:27] op_sel:[0,1]
	v_fmac_f64_e32 v[78:79], v[74:75], v[76:77]
	v_pk_mov_b32 v[76:77], v[28:29], v[28:29] op_sel:[0,1]
	;; [unrolled: 2-line block ×12, first 2 shown]
	v_fmac_f64_e32 v[76:77], v[74:75], v[78:79]
	v_mul_f64 v[74:75], v[74:75], v[76:77]
	v_mul_f64 v[76:77], v[68:69], v[74:75]
	v_add_f64 v[78:79], v[68:69], v[76:77]
	v_fma_f64 v[74:75], v[68:69], v[74:75], -v[76:77]
	v_add_f64 v[68:69], v[78:79], -v[68:69]
	v_add_f64 v[68:69], v[76:77], -v[68:69]
	v_add_f64 v[70:71], v[70:71], v[74:75]
	v_add_f64 v[68:69], v[70:71], v[68:69]
	;; [unrolled: 1-line block ×3, first 2 shown]
	v_rcp_f64_e32 v[74:75], v[70:71]
	v_and_b32_e32 v8, 1, v72
	v_add_f64 v[72:73], v[70:71], -v[78:79]
	v_add_f64 v[68:69], v[68:69], -v[72:73]
	v_fma_f64 v[72:73], -v[70:71], v[74:75], 1.0
	v_fmac_f64_e32 v[74:75], v[72:73], v[74:75]
	v_fma_f64 v[72:73], -v[70:71], v[74:75], 1.0
	v_fmac_f64_e32 v[74:75], v[72:73], v[74:75]
	v_mul_f64 v[72:73], v[70:71], v[74:75]
	v_fma_f64 v[76:77], v[74:75], v[70:71], -v[72:73]
	v_fmac_f64_e32 v[76:77], v[74:75], v[68:69]
	v_add_f64 v[68:69], v[72:73], v[76:77]
	v_add_f64 v[78:79], -v[68:69], 1.0
	v_add_f64 v[72:73], v[68:69], -v[72:73]
	v_add_f64 v[80:81], -v[78:79], 1.0
	v_add_f64 v[68:69], v[80:81], -v[68:69]
	v_add_f64 v[72:73], v[72:73], -v[76:77]
	v_add_f64 v[68:69], v[72:73], v[68:69]
	v_add_f64 v[68:69], v[78:79], v[68:69]
	v_mul_f64 v[68:69], v[74:75], v[68:69]
	v_add_f64 v[68:69], v[74:75], v[68:69]
	v_cmp_eq_u32_e32 vcc, 0, v8
	v_xor_b32_e32 v19, 0x80000000, v69
	v_cndmask_b32_e32 v8, v68, v70, vcc
	v_add_f64 v[68:69], |v[6:7]|, s[42:43]
	v_cndmask_b32_e32 v19, v19, v71, vcc
	v_add_f64 v[70:71], v[68:69], -|v[6:7]|
	v_add_f64 v[72:73], v[70:71], -v[68:69]
	s_mov_b32 s44, s42
	v_add_f64 v[72:73], |v[6:7]|, v[72:73]
	v_add_f64 v[70:71], v[70:71], s[44:45]
	v_add_f64 v[70:71], v[72:73], -v[70:71]
	v_add_f64 v[70:71], v[70:71], s[46:47]
	v_add_f64 v[72:73], v[68:69], v[70:71]
	v_add_f64 v[68:69], v[68:69], -v[72:73]
	s_mov_b32 s48, s50
	v_add_f64 v[68:69], v[70:71], v[68:69]
	v_mul_f64 v[70:71], v[72:73], s[48:49]
	v_rndne_f64_e32 v[70:71], v[70:71]
	s_mov_b32 s53, s43
	v_fmac_f64_e32 v[72:73], s[52:53], v[70:71]
	v_add_f64 v[74:75], v[68:69], v[72:73]
	s_mov_b32 s0, 0xf278e000
	v_add_f64 v[72:73], v[72:73], -v[74:75]
	s_mov_b32 s1, 0xbd53de6a
	v_add_f64 v[68:69], v[68:69], v[72:73]
	v_mul_f64 v[72:73], v[70:71], s[0:1]
	v_add_f64 v[76:77], v[74:75], v[72:73]
	v_add_f64 v[74:75], v[74:75], -v[76:77]
	v_add_f64 v[72:73], v[74:75], v[72:73]
	v_add_f64 v[68:69], v[68:69], v[72:73]
	;; [unrolled: 1-line block ×3, first 2 shown]
	s_mov_b32 s0, 0xf97b57a0
	v_add_f64 v[74:75], v[76:77], -v[72:73]
	s_mov_b32 s1, 0xbac9cc01
	v_add_f64 v[68:69], v[68:69], v[74:75]
	v_mul_f64 v[74:75], v[70:71], s[0:1]
	v_add_f64 v[76:77], v[72:73], v[74:75]
	v_add_f64 v[72:73], v[72:73], -v[76:77]
	v_add_f64 v[72:73], v[72:73], v[74:75]
	v_add_f64 v[68:69], v[68:69], v[72:73]
	;; [unrolled: 1-line block ×3, first 2 shown]
	v_add_f64 v[74:75], v[76:77], -v[72:73]
	v_add_f64 v[68:69], v[68:69], v[74:75]
	v_pk_mov_b32 v[74:75], v[50:51], v[50:51] op_sel:[0,1]
	v_fmac_f64_e32 v[74:75], s[58:59], v[72:73]
	v_pk_mov_b32 v[76:77], v[52:53], v[52:53] op_sel:[0,1]
	v_fmac_f64_e32 v[76:77], v[72:73], v[74:75]
	;; [unrolled: 2-line block ×9, first 2 shown]
	v_mul_f64 v[76:77], v[72:73], v[72:73]
	v_fma_f64 v[78:79], v[72:73], v[72:73], -v[76:77]
	v_add_f64 v[80:81], v[68:69], v[68:69]
	v_fmac_f64_e32 v[78:79], v[72:73], v[80:81]
	v_add_f64 v[80:81], v[76:77], v[78:79]
	v_add_f64 v[76:77], v[80:81], -v[76:77]
	v_add_f64 v[76:77], v[78:79], -v[76:77]
	v_mul_f64 v[78:79], v[80:81], v[74:75]
	v_fma_f64 v[80:81], v[80:81], v[74:75], -v[78:79]
	v_fmac_f64_e32 v[80:81], v[76:77], v[74:75]
	v_add_f64 v[74:75], v[78:79], v[80:81]
	v_add_f64 v[76:77], v[74:75], -v[78:79]
	v_add_f64 v[78:79], v[72:73], v[74:75]
	v_add_f64 v[76:77], v[80:81], -v[76:77]
	v_add_f64 v[72:73], v[78:79], -v[72:73]
	;; [unrolled: 1-line block ×3, first 2 shown]
	v_add_f64 v[68:69], v[68:69], v[76:77]
	v_add_f64 v[68:69], v[68:69], v[72:73]
	;; [unrolled: 1-line block ×3, first 2 shown]
	v_add_f64 v[74:75], v[72:73], -v[78:79]
	v_add_f64 v[68:69], v[68:69], -v[74:75]
	v_add_f64 v[74:75], v[72:73], 1.0
	v_add_f64 v[76:77], v[74:75], -1.0
	v_add_f64 v[72:73], v[72:73], -v[76:77]
	v_add_f64 v[68:69], v[68:69], v[72:73]
	v_add_f64 v[72:73], v[74:75], v[68:69]
	v_cvt_i32_f64_e32 v78, v[70:71]
	v_ldexp_f64 v[70:71], v[72:73], v78
	v_rcp_f64_e32 v[76:77], v[70:71]
	v_add_f64 v[72:73], v[72:73], -v[74:75]
	v_add_f64 v[68:69], v[68:69], -v[72:73]
	v_ldexp_f64 v[68:69], v[68:69], v78
	v_fma_f64 v[72:73], -v[70:71], v[76:77], 1.0
	v_fmac_f64_e32 v[76:77], v[72:73], v[76:77]
	v_fma_f64 v[72:73], -v[70:71], v[76:77], 1.0
	v_fmac_f64_e32 v[76:77], v[72:73], v[76:77]
	v_mul_f64 v[72:73], v[70:71], v[76:77]
	v_fma_f64 v[74:75], v[76:77], v[70:71], -v[72:73]
	v_fmac_f64_e32 v[74:75], v[76:77], v[68:69]
	v_add_f64 v[78:79], v[72:73], v[74:75]
	v_add_f64 v[80:81], -v[78:79], 1.0
	v_add_f64 v[72:73], v[78:79], -v[72:73]
	v_add_f64 v[82:83], -v[80:81], 1.0
	v_add_f64 v[78:79], v[82:83], -v[78:79]
	v_add_f64 v[72:73], v[72:73], -v[74:75]
	v_add_f64 v[72:73], v[72:73], v[78:79]
	v_add_f64 v[74:75], v[80:81], v[72:73]
	v_add_f64 v[78:79], v[80:81], -v[74:75]
	v_add_f64 v[72:73], v[72:73], v[78:79]
	v_mul_f64 v[78:79], v[76:77], v[74:75]
	v_mul_f64 v[80:81], v[70:71], v[78:79]
	v_fma_f64 v[82:83], v[78:79], v[70:71], -v[80:81]
	v_fmac_f64_e32 v[82:83], v[78:79], v[68:69]
	v_add_f64 v[88:89], v[80:81], v[82:83]
	v_add_f64 v[90:91], v[74:75], -v[88:89]
	v_add_f64 v[74:75], v[74:75], -v[90:91]
	;; [unrolled: 1-line block ×4, first 2 shown]
	v_add_f64 v[72:73], v[72:73], v[74:75]
	v_add_f64 v[74:75], v[80:81], -v[82:83]
	v_add_f64 v[72:73], v[74:75], v[72:73]
	v_add_f64 v[72:73], v[90:91], v[72:73]
	;; [unrolled: 1-line block ×3, first 2 shown]
	v_mul_f64 v[72:73], v[76:77], v[72:73]
	v_add_f64 v[76:77], v[74:75], -v[76:77]
	v_add_f64 v[76:77], v[78:79], -v[76:77]
	v_add_f64 v[72:73], v[76:77], v[72:73]
	v_add_f64 v[76:77], v[74:75], v[72:73]
	v_add_f64 v[74:75], v[76:77], -v[74:75]
	v_add_f64 v[72:73], v[72:73], -v[74:75]
	v_ldexp_f64 v[74:75], v[76:77], -2
	v_add_f64 v[76:77], v[70:71], -v[74:75]
	v_add_f64 v[70:71], v[70:71], -v[76:77]
	;; [unrolled: 1-line block ×3, first 2 shown]
	s_mov_b32 s0, 0x8fb9f87e
	v_ldexp_f64 v[72:73], v[72:73], -2
	v_add_f64 v[68:69], v[68:69], v[70:71]
	s_mov_b32 s1, 0x408633ce
	v_add_f64 v[68:69], v[68:69], -v[72:73]
	v_cmp_nge_f64_e64 vcc, |v[6:7]|, s[0:1]
	s_mov_b32 s0, 0
	v_add_f64 v[68:69], v[76:77], v[68:69]
	s_mov_b32 s1, 0x3e400000
	v_and_b32_e32 v92, 0x7fffffff, v7
	v_cndmask_b32_e32 v69, v85, v69, vcc
	v_cndmask_b32_e32 v68, 0, v68, vcc
	v_cmp_lt_f64_e64 vcc, |v[6:7]|, s[0:1]
	v_cndmask_b32_e32 v6, v68, v6, vcc
	v_cndmask_b32_e32 v68, v69, v92, vcc
	v_bfi_b32 v7, s68, v68, v7
	s_mov_b32 s0, 0
	v_fma_f64 v[68:69], v[6:7], v[6:7], 1.0
	s_brev_b32 s1, 8
	v_cmp_gt_f64_e32 vcc, s[0:1], v[68:69]
	v_cndmask_b32_e64 v70, 0, 1, vcc
	v_lshlrev_b32_e32 v70, 8, v70
	v_ldexp_f64 v[68:69], v[68:69], v70
	v_rsq_f64_e32 v[70:71], v[68:69]
	v_and_b32_e32 v9, 0x80000000, v9
	v_xor_b32_e32 v9, v19, v9
	v_cndmask_b32_e32 v19, 0, v86, vcc
	v_mul_f64 v[74:75], v[68:69], v[70:71]
	v_mul_f64 v[70:71], v[70:71], 0.5
	v_fma_f64 v[76:77], -v[70:71], v[74:75], 0.5
	v_fmac_f64_e32 v[74:75], v[74:75], v[76:77]
	v_fma_f64 v[78:79], -v[74:75], v[74:75], v[68:69]
	v_fmac_f64_e32 v[70:71], v[70:71], v[76:77]
	v_fmac_f64_e32 v[74:75], v[78:79], v[70:71]
	v_fma_f64 v[76:77], -v[74:75], v[74:75], v[68:69]
	v_fmac_f64_e32 v[74:75], v[76:77], v[70:71]
	v_ldexp_f64 v[70:71], v[74:75], v19
	v_cmp_class_f64_e32 vcc, v[68:69], v1
	v_fma_f64 v[72:73], v[8:9], v[8:9], 1.0
	v_cndmask_b32_e32 v69, v71, v69, vcc
	v_cndmask_b32_e32 v68, v70, v68, vcc
	v_mul_f64 v[70:71], v[6:7], v[72:73]
	v_mul_f64 v[68:69], v[68:69], v[72:73]
	v_fma_f64 v[70:71], v[6:7], v[70:71], 1.0
	v_mul_f64 v[6:7], v[6:7], v[68:69]
	v_div_scale_f64 v[68:69], s[0:1], v[70:71], v[70:71], v[6:7]
	v_rcp_f64_e32 v[72:73], v[68:69]
	v_fma_f64 v[74:75], -v[68:69], v[72:73], 1.0
	v_fmac_f64_e32 v[72:73], v[72:73], v[74:75]
	v_fma_f64 v[74:75], -v[68:69], v[72:73], 1.0
	v_fmac_f64_e32 v[72:73], v[72:73], v[74:75]
	v_div_scale_f64 v[74:75], vcc, v[6:7], v[70:71], v[6:7]
	v_mul_f64 v[76:77], v[74:75], v[72:73]
	v_fma_f64 v[68:69], -v[68:69], v[76:77], v[74:75]
	v_div_scale_f64 v[74:75], s[0:1], v[70:71], v[70:71], v[8:9]
	v_rcp_f64_e32 v[78:79], v[74:75]
	v_div_fmas_f64 v[68:69], v[68:69], v[72:73], v[76:77]
	v_div_fixup_f64 v[6:7], v[68:69], v[70:71], v[6:7]
	v_fma_f64 v[68:69], -v[74:75], v[78:79], 1.0
	v_fmac_f64_e32 v[78:79], v[78:79], v[68:69]
	v_fma_f64 v[68:69], -v[74:75], v[78:79], 1.0
	v_fmac_f64_e32 v[78:79], v[78:79], v[68:69]
	v_div_scale_f64 v[68:69], vcc, v[8:9], v[70:71], v[8:9]
	v_mul_f64 v[72:73], v[68:69], v[78:79]
	v_fma_f64 v[68:69], -v[74:75], v[72:73], v[68:69]
	s_nop 1
	v_div_fmas_f64 v[68:69], v[68:69], v[78:79], v[72:73]
	v_div_fixup_f64 v[8:9], v[68:69], v[70:71], v[8:9]
.LBB156_91:                             ;   in Loop: Header=BB156_7 Depth=1
	s_andn2_saveexec_b64 s[40:41], s[40:41]
	s_cbranch_execz .LBB156_101
; %bb.92:                               ;   in Loop: Header=BB156_7 Depth=1
	v_cmp_nlt_f64_e64 s[54:55], |v[8:9]|, s[18:19]
                                        ; implicit-def: $vgpr76
                                        ; implicit-def: $vgpr68_vgpr69
                                        ; implicit-def: $vgpr70_vgpr71
	s_and_saveexec_b64 s[0:1], s[54:55]
	s_xor_b64 s[56:57], exec, s[0:1]
	s_cbranch_execz .LBB156_94
; %bb.93:                               ;   in Loop: Header=BB156_7 Depth=1
	v_and_b32_e32 v19, 0x7fffffff, v9
	v_ldexp_f64 v[72:73], |v[8:9]|, s2
	v_cmp_ge_f64_e64 vcc, |v[8:9]|, s[20:21]
	v_trig_preop_f64 v[68:69], |v[8:9]|, 0
	v_cndmask_b32_e32 v73, v19, v73, vcc
	v_cndmask_b32_e32 v72, v8, v72, vcc
	v_trig_preop_f64 v[70:71], |v[8:9]|, 1
	v_mul_f64 v[76:77], v[68:69], v[72:73]
	v_mul_f64 v[74:75], v[70:71], v[72:73]
	v_fma_f64 v[68:69], v[68:69], v[72:73], -v[76:77]
	v_add_f64 v[78:79], v[74:75], v[68:69]
	v_add_f64 v[80:81], v[76:77], v[78:79]
	v_ldexp_f64 v[82:83], v[80:81], -2
	v_fract_f64_e32 v[88:89], v[82:83]
	v_cmp_neq_f64_e64 vcc, |v[82:83]|, s[22:23]
	v_cndmask_b32_e32 v83, 0, v89, vcc
	v_cndmask_b32_e32 v82, 0, v88, vcc
	v_add_f64 v[88:89], v[78:79], -v[74:75]
	v_add_f64 v[68:69], v[68:69], -v[88:89]
	;; [unrolled: 1-line block ×4, first 2 shown]
	v_fma_f64 v[70:71], v[70:71], v[72:73], -v[74:75]
	v_trig_preop_f64 v[74:75], |v[8:9]|, 2
	v_add_f64 v[68:69], v[68:69], v[88:89]
	v_mul_f64 v[88:89], v[74:75], v[72:73]
	v_add_f64 v[90:91], v[88:89], v[70:71]
	v_add_f64 v[92:93], v[90:91], v[68:69]
	v_add_f64 v[76:77], v[80:81], -v[76:77]
	v_add_f64 v[80:81], v[92:93], -v[90:91]
	;; [unrolled: 1-line block ×5, first 2 shown]
	v_add_f64 v[68:69], v[68:69], v[80:81]
	v_add_f64 v[80:81], v[90:91], -v[88:89]
	v_add_f64 v[70:71], v[70:71], -v[80:81]
	;; [unrolled: 1-line block ×4, first 2 shown]
	v_add_f64 v[70:71], v[70:71], v[80:81]
	v_add_f64 v[76:77], v[78:79], -v[76:77]
	v_add_f64 v[68:69], v[70:71], v[68:69]
	v_fma_f64 v[70:71], v[74:75], v[72:73], -v[88:89]
	v_add_f64 v[78:79], v[76:77], v[92:93]
	v_add_f64 v[68:69], v[70:71], v[68:69]
	v_ldexp_f64 v[70:71], v[82:83], 2
	v_add_f64 v[72:73], v[78:79], v[70:71]
	v_cmp_gt_f64_e32 vcc, 0, v[72:73]
	v_cndmask_b32_e32 v19, 0, v23, vcc
	v_add_f64 v[70:71], v[70:71], v[18:19]
	v_add_f64 v[72:73], v[78:79], v[70:71]
	v_cvt_i32_f64_e32 v19, v[72:73]
	v_cvt_f64_i32_e32 v[72:73], v19
	v_add_f64 v[70:71], v[70:71], -v[72:73]
	v_add_f64 v[76:77], v[78:79], -v[76:77]
	v_add_f64 v[72:73], v[78:79], v[70:71]
	v_add_f64 v[76:77], v[92:93], -v[76:77]
	v_add_f64 v[70:71], v[72:73], -v[70:71]
	v_cmp_le_f64_e32 vcc, 0.5, v[72:73]
	v_add_f64 v[68:69], v[76:77], v[68:69]
	v_add_f64 v[70:71], v[78:79], -v[70:71]
	v_addc_co_u32_e64 v76, s[0:1], 0, v19, vcc
	v_cndmask_b32_e32 v19, 0, v84, vcc
	v_add_f64 v[68:69], v[68:69], v[70:71]
	v_add_f64 v[70:71], v[72:73], -v[18:19]
	v_add_f64 v[72:73], v[70:71], v[68:69]
	v_add_f64 v[70:71], v[72:73], -v[70:71]
	s_mov_b32 s24, s26
	v_add_f64 v[68:69], v[68:69], -v[70:71]
	v_mul_f64 v[70:71], v[72:73], s[24:25]
	v_fma_f64 v[74:75], v[72:73], s[24:25], -v[70:71]
	s_mov_b32 s31, s29
	v_fmac_f64_e32 v[74:75], s[30:31], v[72:73]
	v_fmac_f64_e32 v[74:75], s[24:25], v[68:69]
	v_add_f64 v[68:69], v[70:71], v[74:75]
	v_add_f64 v[70:71], v[68:69], -v[70:71]
	v_add_f64 v[70:71], v[74:75], -v[70:71]
	s_andn2_saveexec_b64 s[0:1], s[56:57]
	s_cbranch_execz .LBB156_96
	s_branch .LBB156_95
.LBB156_94:                             ;   in Loop: Header=BB156_7 Depth=1
	s_andn2_saveexec_b64 s[0:1], s[56:57]
	s_cbranch_execz .LBB156_96
.LBB156_95:                             ;   in Loop: Header=BB156_7 Depth=1
	v_mul_f64 v[68:69], |v[8:9]|, s[34:35]
	v_rndne_f64_e32 v[72:73], v[68:69]
	v_fma_f64 v[68:69], v[72:73], s[26:27], |v[8:9]|
	v_mul_f64 v[74:75], v[72:73], s[36:37]
	v_add_f64 v[78:79], v[68:69], v[74:75]
	v_fma_f64 v[70:71], s[36:37], v[72:73], v[68:69]
	s_mov_b32 s28, s36
	v_add_f64 v[68:69], v[68:69], -v[78:79]
	v_fma_f64 v[76:77], s[28:29], v[72:73], v[74:75]
	v_add_f64 v[68:69], v[68:69], v[74:75]
	v_add_f64 v[74:75], v[78:79], -v[70:71]
	v_add_f64 v[68:69], v[74:75], v[68:69]
	v_add_f64 v[74:75], v[68:69], -v[76:77]
	v_fmac_f64_e32 v[74:75], s[38:39], v[72:73]
	v_add_f64 v[68:69], v[70:71], v[74:75]
	v_add_f64 v[70:71], v[68:69], -v[70:71]
	v_add_f64 v[70:71], v[74:75], -v[70:71]
	v_cvt_i32_f64_e32 v76, v[72:73]
.LBB156_96:                             ;   in Loop: Header=BB156_7 Depth=1
	s_or_b64 exec, exec, s[0:1]
                                        ; implicit-def: $vgpr77
                                        ; implicit-def: $vgpr72_vgpr73
                                        ; implicit-def: $vgpr74_vgpr75
	s_and_saveexec_b64 s[0:1], s[54:55]
	s_xor_b64 s[54:55], exec, s[0:1]
	s_cbranch_execz .LBB156_98
; %bb.97:                               ;   in Loop: Header=BB156_7 Depth=1
	v_and_b32_e32 v19, 0x7fffffff, v9
	v_ldexp_f64 v[78:79], |v[8:9]|, s2
	v_cmp_ge_f64_e64 vcc, |v[8:9]|, s[20:21]
	v_trig_preop_f64 v[72:73], |v[8:9]|, 0
	v_cndmask_b32_e32 v79, v19, v79, vcc
	v_cndmask_b32_e32 v78, v8, v78, vcc
	v_trig_preop_f64 v[74:75], |v[8:9]|, 1
	v_mul_f64 v[82:83], v[72:73], v[78:79]
	v_mul_f64 v[80:81], v[74:75], v[78:79]
	v_fma_f64 v[72:73], v[72:73], v[78:79], -v[82:83]
	v_add_f64 v[88:89], v[80:81], v[72:73]
	v_add_f64 v[90:91], v[82:83], v[88:89]
	v_ldexp_f64 v[92:93], v[90:91], -2
	v_fract_f64_e32 v[94:95], v[92:93]
	v_cmp_neq_f64_e64 vcc, |v[92:93]|, s[22:23]
	v_cndmask_b32_e32 v93, 0, v95, vcc
	v_cndmask_b32_e32 v92, 0, v94, vcc
	v_add_f64 v[94:95], v[88:89], -v[80:81]
	v_add_f64 v[72:73], v[72:73], -v[94:95]
	;; [unrolled: 1-line block ×4, first 2 shown]
	v_fma_f64 v[74:75], v[74:75], v[78:79], -v[80:81]
	v_trig_preop_f64 v[80:81], |v[8:9]|, 2
	v_add_f64 v[72:73], v[72:73], v[94:95]
	v_mul_f64 v[94:95], v[80:81], v[78:79]
	v_add_f64 v[96:97], v[94:95], v[74:75]
	v_add_f64 v[98:99], v[96:97], v[72:73]
	v_add_f64 v[82:83], v[90:91], -v[82:83]
	v_add_f64 v[90:91], v[98:99], -v[96:97]
	;; [unrolled: 1-line block ×5, first 2 shown]
	v_add_f64 v[72:73], v[72:73], v[90:91]
	v_add_f64 v[90:91], v[96:97], -v[94:95]
	v_add_f64 v[74:75], v[74:75], -v[90:91]
	v_add_f64 v[90:91], v[96:97], -v[90:91]
	v_add_f64 v[90:91], v[94:95], -v[90:91]
	v_add_f64 v[74:75], v[74:75], v[90:91]
	v_add_f64 v[82:83], v[88:89], -v[82:83]
	v_add_f64 v[72:73], v[74:75], v[72:73]
	v_fma_f64 v[74:75], v[80:81], v[78:79], -v[94:95]
	v_add_f64 v[88:89], v[82:83], v[98:99]
	v_add_f64 v[72:73], v[74:75], v[72:73]
	v_ldexp_f64 v[74:75], v[92:93], 2
	v_add_f64 v[78:79], v[88:89], v[74:75]
	v_cmp_gt_f64_e32 vcc, 0, v[78:79]
	v_cndmask_b32_e32 v19, 0, v23, vcc
	v_add_f64 v[74:75], v[74:75], v[18:19]
	v_add_f64 v[78:79], v[88:89], v[74:75]
	v_cvt_i32_f64_e32 v19, v[78:79]
	v_cvt_f64_i32_e32 v[78:79], v19
	v_add_f64 v[74:75], v[74:75], -v[78:79]
	v_add_f64 v[82:83], v[88:89], -v[82:83]
	v_add_f64 v[78:79], v[88:89], v[74:75]
	v_add_f64 v[82:83], v[98:99], -v[82:83]
	v_add_f64 v[74:75], v[78:79], -v[74:75]
	v_cmp_le_f64_e32 vcc, 0.5, v[78:79]
	v_add_f64 v[72:73], v[82:83], v[72:73]
	v_add_f64 v[74:75], v[88:89], -v[74:75]
	v_addc_co_u32_e64 v77, s[0:1], 0, v19, vcc
	v_cndmask_b32_e32 v19, 0, v84, vcc
	v_add_f64 v[72:73], v[72:73], v[74:75]
	v_add_f64 v[74:75], v[78:79], -v[18:19]
	v_add_f64 v[78:79], v[74:75], v[72:73]
	v_add_f64 v[74:75], v[78:79], -v[74:75]
	s_mov_b32 s24, s26
	v_add_f64 v[72:73], v[72:73], -v[74:75]
	v_mul_f64 v[74:75], v[78:79], s[24:25]
	v_fma_f64 v[80:81], v[78:79], s[24:25], -v[74:75]
	s_mov_b32 s31, s29
	v_fmac_f64_e32 v[80:81], s[30:31], v[78:79]
	v_fmac_f64_e32 v[80:81], s[24:25], v[72:73]
	v_add_f64 v[72:73], v[74:75], v[80:81]
	v_add_f64 v[74:75], v[72:73], -v[74:75]
	v_add_f64 v[74:75], v[80:81], -v[74:75]
	s_andn2_saveexec_b64 s[0:1], s[54:55]
	s_cbranch_execnz .LBB156_99
	s_branch .LBB156_100
.LBB156_98:                             ;   in Loop: Header=BB156_7 Depth=1
	s_andn2_saveexec_b64 s[0:1], s[54:55]
	s_cbranch_execz .LBB156_100
.LBB156_99:                             ;   in Loop: Header=BB156_7 Depth=1
	v_mul_f64 v[72:73], |v[8:9]|, s[34:35]
	v_rndne_f64_e32 v[78:79], v[72:73]
	v_fma_f64 v[72:73], v[78:79], s[26:27], |v[8:9]|
	v_mul_f64 v[80:81], v[78:79], s[36:37]
	v_add_f64 v[88:89], v[72:73], v[80:81]
	v_fma_f64 v[74:75], s[36:37], v[78:79], v[72:73]
	s_mov_b32 s28, s36
	v_add_f64 v[72:73], v[72:73], -v[88:89]
	v_fma_f64 v[82:83], s[28:29], v[78:79], v[80:81]
	v_add_f64 v[72:73], v[72:73], v[80:81]
	v_add_f64 v[80:81], v[88:89], -v[74:75]
	v_add_f64 v[72:73], v[80:81], v[72:73]
	v_add_f64 v[80:81], v[72:73], -v[82:83]
	v_fmac_f64_e32 v[80:81], s[38:39], v[78:79]
	v_add_f64 v[72:73], v[74:75], v[80:81]
	v_add_f64 v[74:75], v[72:73], -v[74:75]
	v_add_f64 v[74:75], v[80:81], -v[74:75]
	v_cvt_i32_f64_e32 v77, v[78:79]
.LBB156_100:                            ;   in Loop: Header=BB156_7 Depth=1
	s_or_b64 exec, exec, s[0:1]
	v_mul_f64 v[78:79], v[68:69], v[68:69]
	v_pk_mov_b32 v[90:91], s[70:71], s[70:71] op_sel:[0,1]
	v_mul_f64 v[80:81], v[78:79], 0.5
	v_fma_f64 v[92:93], s[72:73], v[78:79], v[90:91]
	v_add_f64 v[82:83], -v[80:81], 1.0
	v_fma_f64 v[92:93], v[78:79], v[92:93], s[74:75]
	v_add_f64 v[88:89], -v[82:83], 1.0
	v_fma_f64 v[92:93], v[78:79], v[92:93], s[76:77]
	v_add_f64 v[80:81], v[88:89], -v[80:81]
	v_fma_f64 v[92:93], v[78:79], v[92:93], s[78:79]
	v_mul_f64 v[88:89], v[78:79], v[78:79]
	v_fma_f64 v[92:93], v[78:79], v[92:93], s[62:63]
	v_fma_f64 v[80:81], v[68:69], -v[70:71], v[80:81]
	v_fmac_f64_e32 v[80:81], v[88:89], v[92:93]
	v_add_f64 v[80:81], v[82:83], v[80:81]
	v_pk_mov_b32 v[82:83], s[80:81], s[80:81] op_sel:[0,1]
	v_fma_f64 v[88:89], s[82:83], v[78:79], v[82:83]
	v_fma_f64 v[88:89], v[78:79], v[88:89], s[84:85]
	;; [unrolled: 1-line block ×4, first 2 shown]
	v_mul_f64 v[92:93], v[68:69], -v[78:79]
	v_mul_f64 v[94:95], v[70:71], 0.5
	v_fmac_f64_e32 v[94:95], v[92:93], v[88:89]
	v_fma_f64 v[70:71], v[78:79], v[94:95], -v[70:71]
	s_mov_b32 s88, s62
	v_fmac_f64_e32 v[70:71], s[88:89], v[92:93]
	v_and_b32_e32 v8, 1, v76
	v_add_f64 v[68:69], v[68:69], -v[70:71]
	v_cmp_eq_u32_e32 vcc, 0, v8
	v_cndmask_b32_e32 v8, v80, v68, vcc
	v_lshlrev_b32_e32 v68, 30, v76
	v_cndmask_b32_e32 v19, v81, v69, vcc
	v_xor_b32_e32 v9, v68, v9
	v_mul_f64 v[68:69], |v[6:7]|, s[50:51]
	v_rndne_f64_e32 v[68:69], v[68:69]
	v_fma_f64 v[70:71], v[68:69], s[42:43], -|v[6:7]|
	v_fmac_f64_e32 v[70:71], s[46:47], v[68:69]
	v_pk_mov_b32 v[78:79], v[50:51], v[50:51] op_sel:[0,1]
	v_fmac_f64_e32 v[78:79], s[58:59], v[70:71]
	v_pk_mov_b32 v[80:81], v[52:53], v[52:53] op_sel:[0,1]
	;; [unrolled: 2-line block ×9, first 2 shown]
	v_fmac_f64_e32 v[78:79], v[70:71], v[80:81]
	v_and_b32_e32 v9, 0x80000000, v9
	v_fma_f64 v[78:79], v[70:71], v[78:79], 1.0
	s_mov_b32 s0, 0
	v_xor_b32_e32 v9, v19, v9
	v_fma_f64 v[70:71], v[70:71], v[78:79], 1.0
	v_cvt_i32_f64_e32 v19, v[68:69]
	s_mov_b32 s1, 0x4090cc00
	v_ldexp_f64 v[68:69], v[70:71], v19
	v_cmp_ngt_f64_e64 vcc, |v[6:7]|, s[0:1]
	v_bfi_b32 v19, s68, v84, v7
	v_mul_f64 v[6:7], v[72:73], v[72:73]
	v_mul_f64 v[70:71], v[6:7], 0.5
	v_fmac_f64_e32 v[90:91], s[72:73], v[6:7]
	v_add_f64 v[78:79], -v[70:71], 1.0
	v_fma_f64 v[88:89], v[6:7], v[90:91], s[74:75]
	v_add_f64 v[80:81], -v[78:79], 1.0
	v_fma_f64 v[88:89], v[6:7], v[88:89], s[76:77]
	v_add_f64 v[70:71], v[80:81], -v[70:71]
	v_fma_f64 v[88:89], v[6:7], v[88:89], s[78:79]
	v_mul_f64 v[80:81], v[6:7], v[6:7]
	v_fma_f64 v[88:89], v[6:7], v[88:89], s[62:63]
	v_fma_f64 v[70:71], v[72:73], -v[74:75], v[70:71]
	v_fmac_f64_e32 v[70:71], v[80:81], v[88:89]
	v_fmac_f64_e32 v[82:83], s[82:83], v[6:7]
	v_add_f64 v[70:71], v[78:79], v[70:71]
	v_fma_f64 v[78:79], v[6:7], v[82:83], s[84:85]
	v_fma_f64 v[78:79], v[6:7], v[78:79], s[86:87]
	;; [unrolled: 1-line block ×3, first 2 shown]
	v_mul_f64 v[80:81], v[72:73], -v[6:7]
	v_mul_f64 v[82:83], v[74:75], 0.5
	v_fmac_f64_e32 v[82:83], v[80:81], v[78:79]
	v_fma_f64 v[6:7], v[6:7], v[82:83], -v[74:75]
	v_fmac_f64_e32 v[6:7], s[88:89], v[80:81]
	v_add_f64 v[6:7], v[72:73], -v[6:7]
	v_and_b32_e32 v72, 1, v77
	v_cndmask_b32_e32 v69, 0, v69, vcc
	v_cndmask_b32_e32 v68, 0, v68, vcc
	v_cmp_eq_u32_e32 vcc, 0, v72
	v_xor_b32_e32 v7, 0x80000000, v7
	v_cndmask_b32_e32 v6, v6, v70, vcc
	v_lshlrev_b32_e32 v70, 30, v77
	v_cndmask_b32_e32 v7, v7, v71, vcc
	v_and_b32_e32 v70, 0x80000000, v70
	v_mul_f64 v[8:9], v[8:9], 4.0
	v_xor_b32_e32 v7, v7, v70
	v_mul_f64 v[6:7], v[8:9], v[6:7]
	v_mul_f64 v[6:7], v[68:69], v[6:7]
	;; [unrolled: 1-line block ×3, first 2 shown]
	v_pk_mov_b32 v[6:7], v[18:19], v[18:19] op_sel:[0,1]
.LBB156_101:                            ;   in Loop: Header=BB156_7 Depth=1
	s_or_b64 exec, exec, s[40:41]
.LBB156_102:                            ;   in Loop: Header=BB156_7 Depth=1
	s_andn2_saveexec_b64 s[0:1], s[14:15]
; %bb.103:                              ;   in Loop: Header=BB156_7 Depth=1
	v_add_f64 v[8:9], v[8:9], -v[8:9]
	v_pk_mov_b32 v[6:7], v[8:9], v[8:9] op_sel:[0,1]
; %bb.104:                              ;   in Loop: Header=BB156_7 Depth=1
	s_or_b64 exec, exec, s[0:1]
.LBB156_105:                            ;   in Loop: Header=BB156_7 Depth=1
	s_andn2_saveexec_b64 s[14:15], s[94:95]
	s_cbranch_execz .LBB156_121
; %bb.106:                              ;   in Loop: Header=BB156_7 Depth=1
	v_and_or_b32 v19, v7, s3, v6
	v_cmp_ne_u32_e32 vcc, 0, v19
	s_and_saveexec_b64 s[0:1], vcc
	s_xor_b64 s[0:1], exec, s[0:1]
; %bb.107:                              ;   in Loop: Header=BB156_7 Depth=1
	v_mul_f64 v[68:69], v[6:7], v[8:9]
	v_cmp_eq_f64_e32 vcc, 0, v[8:9]
	v_cndmask_b32_e32 v9, v69, v9, vcc
	v_cndmask_b32_e32 v8, v68, v8, vcc
; %bb.108:                              ;   in Loop: Header=BB156_7 Depth=1
	s_andn2_saveexec_b64 s[40:41], s[0:1]
	s_cbranch_execz .LBB156_120
; %bb.109:                              ;   in Loop: Header=BB156_7 Depth=1
	v_cmp_neq_f64_e64 s[0:1], |v[8:9]|, s[22:23]
	s_and_saveexec_b64 s[94:95], s[0:1]
	s_cbranch_execz .LBB156_119
; %bb.110:                              ;   in Loop: Header=BB156_7 Depth=1
	v_cmp_nlt_f64_e64 s[54:55], |v[8:9]|, s[18:19]
	v_trig_preop_f64 v[76:77], |v[8:9]|, 0
	v_trig_preop_f64 v[74:75], |v[8:9]|, 1
	v_ldexp_f64 v[78:79], |v[8:9]|, s2
	v_trig_preop_f64 v[72:73], |v[8:9]|, 2
	v_and_b32_e32 v89, 0x7fffffff, v9
                                        ; implicit-def: $vgpr88
                                        ; implicit-def: $vgpr68_vgpr69
                                        ; implicit-def: $vgpr70_vgpr71
	s_and_saveexec_b64 s[0:1], s[54:55]
	s_xor_b64 s[56:57], exec, s[0:1]
	s_cbranch_execz .LBB156_112
; %bb.111:                              ;   in Loop: Header=BB156_7 Depth=1
	v_cmp_ge_f64_e64 vcc, |v[8:9]|, s[20:21]
	v_cndmask_b32_e32 v69, v89, v79, vcc
	v_cndmask_b32_e32 v68, v8, v78, vcc
	v_mul_f64 v[80:81], v[76:77], v[68:69]
	v_mul_f64 v[70:71], v[74:75], v[68:69]
	v_fma_f64 v[82:83], v[76:77], v[68:69], -v[80:81]
	v_add_f64 v[90:91], v[70:71], v[82:83]
	v_add_f64 v[92:93], v[80:81], v[90:91]
	v_ldexp_f64 v[94:95], v[92:93], -2
	v_fract_f64_e32 v[96:97], v[94:95]
	v_cmp_neq_f64_e64 vcc, |v[94:95]|, s[22:23]
	v_cndmask_b32_e32 v95, 0, v97, vcc
	v_cndmask_b32_e32 v94, 0, v96, vcc
	v_add_f64 v[96:97], v[90:91], -v[70:71]
	v_add_f64 v[82:83], v[82:83], -v[96:97]
	;; [unrolled: 1-line block ×4, first 2 shown]
	v_add_f64 v[82:83], v[82:83], v[96:97]
	v_fma_f64 v[70:71], v[74:75], v[68:69], -v[70:71]
	v_mul_f64 v[96:97], v[72:73], v[68:69]
	v_add_f64 v[98:99], v[96:97], v[70:71]
	v_add_f64 v[100:101], v[98:99], v[82:83]
	v_add_f64 v[80:81], v[92:93], -v[80:81]
	v_add_f64 v[92:93], v[100:101], -v[98:99]
	v_add_f64 v[82:83], v[82:83], -v[92:93]
	v_add_f64 v[92:93], v[100:101], -v[92:93]
	v_add_f64 v[92:93], v[98:99], -v[92:93]
	v_add_f64 v[82:83], v[82:83], v[92:93]
	v_add_f64 v[92:93], v[98:99], -v[96:97]
	v_add_f64 v[70:71], v[70:71], -v[92:93]
	;; [unrolled: 1-line block ×5, first 2 shown]
	v_add_f64 v[90:91], v[80:81], v[100:101]
	v_add_f64 v[70:71], v[70:71], v[92:93]
	v_add_f64 v[80:81], v[90:91], -v[80:81]
	v_add_f64 v[70:71], v[70:71], v[82:83]
	v_fma_f64 v[68:69], v[72:73], v[68:69], -v[96:97]
	v_add_f64 v[80:81], v[100:101], -v[80:81]
	v_add_f64 v[68:69], v[68:69], v[70:71]
	v_ldexp_f64 v[70:71], v[94:95], 2
	v_add_f64 v[68:69], v[80:81], v[68:69]
	v_add_f64 v[80:81], v[90:91], v[70:71]
	v_cmp_gt_f64_e32 vcc, 0, v[80:81]
	v_cndmask_b32_e32 v19, 0, v23, vcc
	v_add_f64 v[70:71], v[70:71], v[18:19]
	v_add_f64 v[80:81], v[90:91], v[70:71]
	v_cvt_i32_f64_e32 v19, v[80:81]
	v_cvt_f64_i32_e32 v[80:81], v19
	v_add_f64 v[70:71], v[70:71], -v[80:81]
	v_add_f64 v[80:81], v[90:91], v[70:71]
	v_add_f64 v[70:71], v[80:81], -v[70:71]
	v_cmp_le_f64_e32 vcc, 0.5, v[80:81]
	v_add_f64 v[70:71], v[90:91], -v[70:71]
	v_addc_co_u32_e64 v88, s[0:1], 0, v19, vcc
	v_cndmask_b32_e32 v19, 0, v84, vcc
	v_add_f64 v[68:69], v[68:69], v[70:71]
	v_add_f64 v[70:71], v[80:81], -v[18:19]
	v_add_f64 v[80:81], v[70:71], v[68:69]
	v_add_f64 v[70:71], v[80:81], -v[70:71]
	s_mov_b32 s24, s26
	v_add_f64 v[68:69], v[68:69], -v[70:71]
	v_mul_f64 v[70:71], v[80:81], s[24:25]
	v_fma_f64 v[82:83], v[80:81], s[24:25], -v[70:71]
	s_mov_b32 s31, s29
	v_fmac_f64_e32 v[82:83], s[30:31], v[80:81]
	v_fmac_f64_e32 v[82:83], s[24:25], v[68:69]
	v_add_f64 v[68:69], v[70:71], v[82:83]
	v_add_f64 v[70:71], v[68:69], -v[70:71]
	v_add_f64 v[70:71], v[82:83], -v[70:71]
	s_andn2_saveexec_b64 s[0:1], s[56:57]
	s_cbranch_execz .LBB156_114
	s_branch .LBB156_113
.LBB156_112:                            ;   in Loop: Header=BB156_7 Depth=1
	s_andn2_saveexec_b64 s[0:1], s[56:57]
	s_cbranch_execz .LBB156_114
.LBB156_113:                            ;   in Loop: Header=BB156_7 Depth=1
	v_mul_f64 v[68:69], |v[8:9]|, s[34:35]
	v_rndne_f64_e32 v[80:81], v[68:69]
	v_fma_f64 v[68:69], v[80:81], s[26:27], |v[8:9]|
	v_mul_f64 v[82:83], v[80:81], s[36:37]
	v_add_f64 v[92:93], v[68:69], v[82:83]
	v_fma_f64 v[70:71], s[36:37], v[80:81], v[68:69]
	s_mov_b32 s28, s36
	v_add_f64 v[68:69], v[68:69], -v[92:93]
	v_fma_f64 v[90:91], s[28:29], v[80:81], v[82:83]
	v_add_f64 v[68:69], v[68:69], v[82:83]
	v_add_f64 v[82:83], v[92:93], -v[70:71]
	v_add_f64 v[68:69], v[82:83], v[68:69]
	v_add_f64 v[82:83], v[68:69], -v[90:91]
	v_fmac_f64_e32 v[82:83], s[38:39], v[80:81]
	v_add_f64 v[68:69], v[70:71], v[82:83]
	v_add_f64 v[70:71], v[68:69], -v[70:71]
	v_add_f64 v[70:71], v[82:83], -v[70:71]
	v_cvt_i32_f64_e32 v88, v[80:81]
.LBB156_114:                            ;   in Loop: Header=BB156_7 Depth=1
	s_or_b64 exec, exec, s[0:1]
                                        ; implicit-def: $vgpr90
                                        ; implicit-def: $vgpr80_vgpr81
                                        ; implicit-def: $vgpr82_vgpr83
	s_and_saveexec_b64 s[0:1], s[54:55]
	s_xor_b64 s[54:55], exec, s[0:1]
	s_cbranch_execz .LBB156_116
; %bb.115:                              ;   in Loop: Header=BB156_7 Depth=1
	v_cmp_ge_f64_e64 vcc, |v[8:9]|, s[20:21]
	v_cndmask_b32_e32 v79, v89, v79, vcc
	v_cndmask_b32_e32 v78, v8, v78, vcc
	v_mul_f64 v[82:83], v[76:77], v[78:79]
	v_mul_f64 v[80:81], v[74:75], v[78:79]
	v_fma_f64 v[76:77], v[76:77], v[78:79], -v[82:83]
	v_add_f64 v[90:91], v[80:81], v[76:77]
	v_add_f64 v[92:93], v[82:83], v[90:91]
	v_ldexp_f64 v[94:95], v[92:93], -2
	v_fract_f64_e32 v[96:97], v[94:95]
	v_cmp_neq_f64_e64 vcc, |v[94:95]|, s[22:23]
	v_cndmask_b32_e32 v95, 0, v97, vcc
	v_cndmask_b32_e32 v94, 0, v96, vcc
	v_add_f64 v[96:97], v[90:91], -v[80:81]
	v_add_f64 v[76:77], v[76:77], -v[96:97]
	;; [unrolled: 1-line block ×4, first 2 shown]
	v_fma_f64 v[74:75], v[74:75], v[78:79], -v[80:81]
	v_mul_f64 v[80:81], v[72:73], v[78:79]
	v_add_f64 v[76:77], v[76:77], v[96:97]
	v_add_f64 v[96:97], v[80:81], v[74:75]
	;; [unrolled: 1-line block ×3, first 2 shown]
	v_add_f64 v[82:83], v[92:93], -v[82:83]
	v_add_f64 v[92:93], v[98:99], -v[96:97]
	;; [unrolled: 1-line block ×5, first 2 shown]
	v_add_f64 v[76:77], v[76:77], v[92:93]
	v_add_f64 v[92:93], v[96:97], -v[80:81]
	v_add_f64 v[74:75], v[74:75], -v[92:93]
	;; [unrolled: 1-line block ×4, first 2 shown]
	v_add_f64 v[74:75], v[74:75], v[92:93]
	v_add_f64 v[82:83], v[90:91], -v[82:83]
	v_add_f64 v[74:75], v[74:75], v[76:77]
	v_fma_f64 v[72:73], v[72:73], v[78:79], -v[80:81]
	v_add_f64 v[90:91], v[82:83], v[98:99]
	v_add_f64 v[72:73], v[72:73], v[74:75]
	v_ldexp_f64 v[74:75], v[94:95], 2
	v_add_f64 v[76:77], v[90:91], v[74:75]
	v_cmp_gt_f64_e32 vcc, 0, v[76:77]
	v_cndmask_b32_e32 v19, 0, v23, vcc
	v_add_f64 v[74:75], v[74:75], v[18:19]
	v_add_f64 v[76:77], v[90:91], v[74:75]
	v_cvt_i32_f64_e32 v19, v[76:77]
	v_cvt_f64_i32_e32 v[76:77], v19
	v_add_f64 v[74:75], v[74:75], -v[76:77]
	v_add_f64 v[82:83], v[90:91], -v[82:83]
	v_add_f64 v[76:77], v[90:91], v[74:75]
	v_add_f64 v[82:83], v[98:99], -v[82:83]
	v_add_f64 v[74:75], v[76:77], -v[74:75]
	v_cmp_le_f64_e32 vcc, 0.5, v[76:77]
	v_add_f64 v[72:73], v[82:83], v[72:73]
	v_add_f64 v[74:75], v[90:91], -v[74:75]
	v_addc_co_u32_e64 v90, s[0:1], 0, v19, vcc
	v_cndmask_b32_e32 v19, 0, v84, vcc
	v_add_f64 v[72:73], v[72:73], v[74:75]
	v_add_f64 v[74:75], v[76:77], -v[18:19]
	v_add_f64 v[76:77], v[74:75], v[72:73]
	v_add_f64 v[74:75], v[76:77], -v[74:75]
	s_mov_b32 s24, s26
	v_add_f64 v[72:73], v[72:73], -v[74:75]
	v_mul_f64 v[74:75], v[76:77], s[24:25]
	v_fma_f64 v[78:79], v[76:77], s[24:25], -v[74:75]
	s_mov_b32 s31, s29
	v_fmac_f64_e32 v[78:79], s[30:31], v[76:77]
	v_fmac_f64_e32 v[78:79], s[24:25], v[72:73]
	v_add_f64 v[80:81], v[74:75], v[78:79]
	v_add_f64 v[72:73], v[80:81], -v[74:75]
	v_add_f64 v[82:83], v[78:79], -v[72:73]
	s_andn2_saveexec_b64 s[0:1], s[54:55]
	s_cbranch_execnz .LBB156_117
	s_branch .LBB156_118
.LBB156_116:                            ;   in Loop: Header=BB156_7 Depth=1
	s_andn2_saveexec_b64 s[0:1], s[54:55]
	s_cbranch_execz .LBB156_118
.LBB156_117:                            ;   in Loop: Header=BB156_7 Depth=1
	v_mul_f64 v[72:73], |v[8:9]|, s[34:35]
	v_rndne_f64_e32 v[72:73], v[72:73]
	v_fma_f64 v[74:75], v[72:73], s[26:27], |v[8:9]|
	v_mul_f64 v[78:79], v[72:73], s[36:37]
	v_add_f64 v[82:83], v[74:75], v[78:79]
	v_fma_f64 v[76:77], s[36:37], v[72:73], v[74:75]
	s_mov_b32 s28, s36
	v_add_f64 v[74:75], v[74:75], -v[82:83]
	v_fma_f64 v[80:81], s[28:29], v[72:73], v[78:79]
	v_add_f64 v[74:75], v[74:75], v[78:79]
	v_add_f64 v[78:79], v[82:83], -v[76:77]
	v_add_f64 v[74:75], v[78:79], v[74:75]
	v_add_f64 v[74:75], v[74:75], -v[80:81]
	v_fmac_f64_e32 v[74:75], s[38:39], v[72:73]
	v_add_f64 v[80:81], v[76:77], v[74:75]
	v_add_f64 v[76:77], v[80:81], -v[76:77]
	v_add_f64 v[82:83], v[74:75], -v[76:77]
	v_cvt_i32_f64_e32 v90, v[72:73]
.LBB156_118:                            ;   in Loop: Header=BB156_7 Depth=1
	s_or_b64 exec, exec, s[0:1]
	v_mul_f64 v[72:73], v[68:69], v[68:69]
	v_pk_mov_b32 v[92:93], s[70:71], s[70:71] op_sel:[0,1]
	v_mul_f64 v[74:75], v[72:73], 0.5
	v_fma_f64 v[94:95], s[72:73], v[72:73], v[92:93]
	v_add_f64 v[76:77], -v[74:75], 1.0
	v_fma_f64 v[94:95], v[72:73], v[94:95], s[74:75]
	v_add_f64 v[78:79], -v[76:77], 1.0
	v_fma_f64 v[94:95], v[72:73], v[94:95], s[76:77]
	v_add_f64 v[74:75], v[78:79], -v[74:75]
	v_fma_f64 v[94:95], v[72:73], v[94:95], s[78:79]
	v_mul_f64 v[78:79], v[72:73], v[72:73]
	v_fma_f64 v[94:95], v[72:73], v[94:95], s[62:63]
	v_fma_f64 v[74:75], v[68:69], -v[70:71], v[74:75]
	v_fmac_f64_e32 v[74:75], v[78:79], v[94:95]
	v_add_f64 v[74:75], v[76:77], v[74:75]
	v_pk_mov_b32 v[76:77], s[80:81], s[80:81] op_sel:[0,1]
	v_fma_f64 v[78:79], s[82:83], v[72:73], v[76:77]
	v_fma_f64 v[78:79], v[72:73], v[78:79], s[84:85]
	;; [unrolled: 1-line block ×4, first 2 shown]
	v_mul_f64 v[94:95], v[68:69], -v[72:73]
	v_mul_f64 v[96:97], v[70:71], 0.5
	v_fmac_f64_e32 v[96:97], v[94:95], v[78:79]
	v_fma_f64 v[70:71], v[72:73], v[96:97], -v[70:71]
	s_mov_b32 s88, s62
	v_fmac_f64_e32 v[70:71], s[88:89], v[94:95]
	v_and_b32_e32 v19, 1, v88
	v_add_f64 v[68:69], v[68:69], -v[70:71]
	v_cmp_eq_u32_e32 vcc, 0, v19
	v_cndmask_b32_e32 v19, v74, v68, vcc
	v_cndmask_b32_e32 v68, v75, v69, vcc
	v_lshlrev_b32_e32 v69, 30, v88
	v_xor_b32_e32 v69, v69, v9
	v_and_b32_e32 v69, 0x80000000, v69
	v_xor_b32_e32 v68, v68, v69
	v_cmp_class_f64_e64 vcc, v[8:9], s90
	v_cndmask_b32_e32 v9, v87, v68, vcc
	v_mul_f64 v[68:69], v[80:81], v[80:81]
	v_mul_f64 v[70:71], v[68:69], 0.5
	v_fmac_f64_e32 v[92:93], s[72:73], v[68:69]
	v_add_f64 v[72:73], -v[70:71], 1.0
	v_fma_f64 v[78:79], v[68:69], v[92:93], s[74:75]
	v_add_f64 v[74:75], -v[72:73], 1.0
	v_fma_f64 v[78:79], v[68:69], v[78:79], s[76:77]
	v_add_f64 v[70:71], v[74:75], -v[70:71]
	v_fma_f64 v[78:79], v[68:69], v[78:79], s[78:79]
	v_mul_f64 v[74:75], v[68:69], v[68:69]
	v_fma_f64 v[78:79], v[68:69], v[78:79], s[62:63]
	v_fma_f64 v[70:71], v[80:81], -v[82:83], v[70:71]
	v_fmac_f64_e32 v[70:71], v[74:75], v[78:79]
	v_fmac_f64_e32 v[76:77], s[82:83], v[68:69]
	v_add_f64 v[70:71], v[72:73], v[70:71]
	v_fma_f64 v[72:73], v[68:69], v[76:77], s[84:85]
	v_fma_f64 v[72:73], v[68:69], v[72:73], s[86:87]
	;; [unrolled: 1-line block ×3, first 2 shown]
	v_mul_f64 v[74:75], v[80:81], -v[68:69]
	v_mul_f64 v[76:77], v[82:83], 0.5
	v_fmac_f64_e32 v[76:77], v[74:75], v[72:73]
	v_fma_f64 v[68:69], v[68:69], v[76:77], -v[82:83]
	v_fmac_f64_e32 v[68:69], s[88:89], v[74:75]
	v_add_f64 v[68:69], v[80:81], -v[68:69]
	v_cndmask_b32_e32 v8, 0, v19, vcc
	v_xor_b32_e32 v19, 0x80000000, v69
	v_and_b32_e32 v69, 1, v90
	v_cmp_eq_u32_e64 s[0:1], 0, v69
	v_lshlrev_b32_e32 v69, 30, v90
	v_cndmask_b32_e64 v19, v19, v71, s[0:1]
	v_and_b32_e32 v69, 0x80000000, v69
	v_cndmask_b32_e64 v68, v68, v70, s[0:1]
	v_xor_b32_e32 v19, v19, v69
	v_cndmask_b32_e32 v68, 0, v68, vcc
	v_cndmask_b32_e32 v69, v87, v19, vcc
	v_mul_f64 v[8:9], v[8:9], v[68:69]
.LBB156_119:                            ;   in Loop: Header=BB156_7 Depth=1
	s_or_b64 exec, exec, s[94:95]
	v_add_co_u32_e32 v6, vcc, 0, v6
	v_bfi_b32 v19, s68, 0, v9
	v_addc_co_u32_e32 v7, vcc, -2.0, v7, vcc
	v_pk_mov_b32 v[8:9], v[18:19], v[18:19] op_sel:[0,1]
.LBB156_120:                            ;   in Loop: Header=BB156_7 Depth=1
	s_or_b64 exec, exec, s[40:41]
.LBB156_121:                            ;   in Loop: Header=BB156_7 Depth=1
	s_or_b64 exec, exec, s[14:15]
	v_and_b32_e32 v19, 0x7fffffff, v3
	v_cmp_gt_u32_e32 vcc, s69, v19
	s_and_saveexec_b64 s[0:1], vcc
	s_xor_b64 s[94:95], exec, s[0:1]
	s_cbranch_execz .LBB156_143
; %bb.122:                              ;   in Loop: Header=BB156_7 Depth=1
	v_cmp_class_f64_e64 s[0:1], v[4:5], s90
	s_and_saveexec_b64 s[14:15], s[0:1]
	s_xor_b64 s[14:15], exec, s[14:15]
	s_cbranch_execz .LBB156_140
; %bb.123:                              ;   in Loop: Header=BB156_7 Depth=1
	v_cmp_gt_u32_e32 vcc, s91, v19
	s_and_saveexec_b64 s[0:1], vcc
	s_xor_b64 s[40:41], exec, s[0:1]
	s_cbranch_execz .LBB156_129
; %bb.124:                              ;   in Loop: Header=BB156_7 Depth=1
	v_cmp_nlt_f64_e64 s[0:1], |v[4:5]|, s[18:19]
                                        ; implicit-def: $vgpr72
                                        ; implicit-def: $vgpr68_vgpr69
                                        ; implicit-def: $vgpr70_vgpr71
	s_and_saveexec_b64 s[54:55], s[0:1]
	s_xor_b64 s[54:55], exec, s[54:55]
	s_cbranch_execz .LBB156_126
; %bb.125:                              ;   in Loop: Header=BB156_7 Depth=1
	v_and_b32_e32 v19, 0x7fffffff, v5
	v_ldexp_f64 v[72:73], |v[4:5]|, s2
	v_cmp_ge_f64_e64 vcc, |v[4:5]|, s[20:21]
	v_trig_preop_f64 v[68:69], |v[4:5]|, 0
	v_cndmask_b32_e32 v73, v19, v73, vcc
	v_cndmask_b32_e32 v72, v4, v72, vcc
	v_trig_preop_f64 v[70:71], |v[4:5]|, 1
	v_mul_f64 v[76:77], v[68:69], v[72:73]
	v_mul_f64 v[74:75], v[70:71], v[72:73]
	v_fma_f64 v[68:69], v[68:69], v[72:73], -v[76:77]
	v_add_f64 v[78:79], v[74:75], v[68:69]
	v_add_f64 v[80:81], v[76:77], v[78:79]
	v_ldexp_f64 v[82:83], v[80:81], -2
	v_fract_f64_e32 v[88:89], v[82:83]
	v_cmp_neq_f64_e64 vcc, |v[82:83]|, s[22:23]
	v_cndmask_b32_e32 v83, 0, v89, vcc
	v_cndmask_b32_e32 v82, 0, v88, vcc
	v_add_f64 v[88:89], v[78:79], -v[74:75]
	v_add_f64 v[68:69], v[68:69], -v[88:89]
	v_add_f64 v[88:89], v[78:79], -v[88:89]
	v_add_f64 v[88:89], v[74:75], -v[88:89]
	v_fma_f64 v[70:71], v[70:71], v[72:73], -v[74:75]
	v_trig_preop_f64 v[74:75], |v[4:5]|, 2
	v_add_f64 v[68:69], v[68:69], v[88:89]
	v_mul_f64 v[88:89], v[74:75], v[72:73]
	v_add_f64 v[90:91], v[88:89], v[70:71]
	v_add_f64 v[92:93], v[90:91], v[68:69]
	v_add_f64 v[76:77], v[80:81], -v[76:77]
	v_add_f64 v[80:81], v[92:93], -v[90:91]
	;; [unrolled: 1-line block ×5, first 2 shown]
	v_add_f64 v[68:69], v[68:69], v[80:81]
	v_add_f64 v[80:81], v[90:91], -v[88:89]
	v_add_f64 v[70:71], v[70:71], -v[80:81]
	;; [unrolled: 1-line block ×4, first 2 shown]
	v_add_f64 v[70:71], v[70:71], v[80:81]
	v_add_f64 v[76:77], v[78:79], -v[76:77]
	v_add_f64 v[68:69], v[70:71], v[68:69]
	v_fma_f64 v[70:71], v[74:75], v[72:73], -v[88:89]
	v_add_f64 v[78:79], v[76:77], v[92:93]
	v_add_f64 v[68:69], v[70:71], v[68:69]
	v_ldexp_f64 v[70:71], v[82:83], 2
	v_add_f64 v[72:73], v[78:79], v[70:71]
	v_cmp_gt_f64_e32 vcc, 0, v[72:73]
	v_cndmask_b32_e32 v19, 0, v23, vcc
	v_add_f64 v[70:71], v[70:71], v[18:19]
	v_add_f64 v[72:73], v[78:79], v[70:71]
	v_cvt_i32_f64_e32 v19, v[72:73]
	v_cvt_f64_i32_e32 v[72:73], v19
	v_add_f64 v[70:71], v[70:71], -v[72:73]
	v_add_f64 v[76:77], v[78:79], -v[76:77]
	v_add_f64 v[74:75], v[78:79], v[70:71]
	v_add_f64 v[76:77], v[92:93], -v[76:77]
	v_add_f64 v[70:71], v[74:75], -v[70:71]
	v_cmp_le_f64_e32 vcc, 0.5, v[74:75]
	v_add_f64 v[68:69], v[76:77], v[68:69]
	v_add_f64 v[70:71], v[78:79], -v[70:71]
	v_addc_co_u32_e64 v72, s[0:1], 0, v19, vcc
	v_cndmask_b32_e32 v19, 0, v84, vcc
	v_add_f64 v[68:69], v[68:69], v[70:71]
	v_add_f64 v[70:71], v[74:75], -v[18:19]
	v_add_f64 v[74:75], v[70:71], v[68:69]
	v_add_f64 v[70:71], v[74:75], -v[70:71]
	s_mov_b32 s24, s26
	v_add_f64 v[68:69], v[68:69], -v[70:71]
	v_mul_f64 v[70:71], v[74:75], s[24:25]
	v_fma_f64 v[76:77], v[74:75], s[24:25], -v[70:71]
	s_mov_b32 s31, s29
	v_fmac_f64_e32 v[76:77], s[30:31], v[74:75]
	v_fmac_f64_e32 v[76:77], s[24:25], v[68:69]
	v_add_f64 v[68:69], v[70:71], v[76:77]
	v_add_f64 v[70:71], v[68:69], -v[70:71]
	v_add_f64 v[70:71], v[76:77], -v[70:71]
.LBB156_126:                            ;   in Loop: Header=BB156_7 Depth=1
	s_andn2_saveexec_b64 s[0:1], s[54:55]
	s_cbranch_execz .LBB156_128
; %bb.127:                              ;   in Loop: Header=BB156_7 Depth=1
	v_mul_f64 v[68:69], |v[4:5]|, s[34:35]
	v_rndne_f64_e32 v[72:73], v[68:69]
	v_fma_f64 v[68:69], v[72:73], s[26:27], |v[4:5]|
	v_mul_f64 v[74:75], v[72:73], s[36:37]
	v_add_f64 v[78:79], v[68:69], v[74:75]
	v_fma_f64 v[70:71], s[36:37], v[72:73], v[68:69]
	s_mov_b32 s28, s36
	v_add_f64 v[68:69], v[68:69], -v[78:79]
	v_fma_f64 v[76:77], s[28:29], v[72:73], v[74:75]
	v_add_f64 v[68:69], v[68:69], v[74:75]
	v_add_f64 v[74:75], v[78:79], -v[70:71]
	v_add_f64 v[68:69], v[74:75], v[68:69]
	v_add_f64 v[74:75], v[68:69], -v[76:77]
	v_fmac_f64_e32 v[74:75], s[38:39], v[72:73]
	v_add_f64 v[68:69], v[70:71], v[74:75]
	v_add_f64 v[70:71], v[68:69], -v[70:71]
	v_add_f64 v[70:71], v[74:75], -v[70:71]
	v_cvt_i32_f64_e32 v72, v[72:73]
.LBB156_128:                            ;   in Loop: Header=BB156_7 Depth=1
	s_or_b64 exec, exec, s[0:1]
	v_mul_f64 v[74:75], v[68:69], v[68:69]
	v_fma_f64 v[76:77], v[68:69], v[68:69], -v[74:75]
	v_add_f64 v[78:79], v[70:71], v[70:71]
	v_fmac_f64_e32 v[76:77], v[68:69], v[78:79]
	s_mov_b32 s0, 0xc751c08c
	v_add_f64 v[74:75], v[74:75], v[76:77]
	v_pk_mov_b32 v[76:77], v[24:25], v[24:25] op_sel:[0,1]
	s_mov_b32 s1, 0x3ef5e089
	v_fmac_f64_e32 v[76:77], s[0:1], v[74:75]
	v_pk_mov_b32 v[78:79], v[26:27], v[26:27] op_sel:[0,1]
	v_fmac_f64_e32 v[78:79], v[74:75], v[76:77]
	v_pk_mov_b32 v[76:77], v[28:29], v[28:29] op_sel:[0,1]
	;; [unrolled: 2-line block ×12, first 2 shown]
	v_fmac_f64_e32 v[76:77], v[74:75], v[78:79]
	v_mul_f64 v[74:75], v[74:75], v[76:77]
	v_mul_f64 v[76:77], v[68:69], v[74:75]
	v_add_f64 v[78:79], v[68:69], v[76:77]
	v_fma_f64 v[74:75], v[68:69], v[74:75], -v[76:77]
	v_add_f64 v[68:69], v[78:79], -v[68:69]
	v_add_f64 v[68:69], v[76:77], -v[68:69]
	v_add_f64 v[70:71], v[70:71], v[74:75]
	v_add_f64 v[68:69], v[70:71], v[68:69]
	;; [unrolled: 1-line block ×3, first 2 shown]
	v_rcp_f64_e32 v[74:75], v[70:71]
	v_and_b32_e32 v4, 1, v72
	v_add_f64 v[72:73], v[70:71], -v[78:79]
	v_add_f64 v[68:69], v[68:69], -v[72:73]
	v_fma_f64 v[72:73], -v[70:71], v[74:75], 1.0
	v_fmac_f64_e32 v[74:75], v[72:73], v[74:75]
	v_fma_f64 v[72:73], -v[70:71], v[74:75], 1.0
	v_fmac_f64_e32 v[74:75], v[72:73], v[74:75]
	v_mul_f64 v[72:73], v[70:71], v[74:75]
	v_fma_f64 v[76:77], v[74:75], v[70:71], -v[72:73]
	v_fmac_f64_e32 v[76:77], v[74:75], v[68:69]
	v_add_f64 v[68:69], v[72:73], v[76:77]
	v_add_f64 v[78:79], -v[68:69], 1.0
	v_add_f64 v[72:73], v[68:69], -v[72:73]
	v_add_f64 v[80:81], -v[78:79], 1.0
	v_add_f64 v[68:69], v[80:81], -v[68:69]
	v_add_f64 v[72:73], v[72:73], -v[76:77]
	v_add_f64 v[68:69], v[72:73], v[68:69]
	v_add_f64 v[68:69], v[78:79], v[68:69]
	v_mul_f64 v[68:69], v[74:75], v[68:69]
	v_add_f64 v[68:69], v[74:75], v[68:69]
	v_cmp_eq_u32_e32 vcc, 0, v4
	v_xor_b32_e32 v19, 0x80000000, v69
	v_cndmask_b32_e32 v4, v68, v70, vcc
	v_add_f64 v[68:69], |v[2:3]|, s[42:43]
	v_cndmask_b32_e32 v19, v19, v71, vcc
	v_add_f64 v[70:71], v[68:69], -|v[2:3]|
	v_add_f64 v[72:73], v[70:71], -v[68:69]
	s_mov_b32 s44, s42
	v_add_f64 v[72:73], |v[2:3]|, v[72:73]
	v_add_f64 v[70:71], v[70:71], s[44:45]
	v_add_f64 v[70:71], v[72:73], -v[70:71]
	v_add_f64 v[70:71], v[70:71], s[46:47]
	v_add_f64 v[72:73], v[68:69], v[70:71]
	v_add_f64 v[68:69], v[68:69], -v[72:73]
	s_mov_b32 s48, s50
	v_add_f64 v[68:69], v[70:71], v[68:69]
	v_mul_f64 v[70:71], v[72:73], s[48:49]
	v_rndne_f64_e32 v[70:71], v[70:71]
	s_mov_b32 s53, s43
	v_fmac_f64_e32 v[72:73], s[52:53], v[70:71]
	v_add_f64 v[74:75], v[68:69], v[72:73]
	s_mov_b32 s0, 0xf278e000
	v_add_f64 v[72:73], v[72:73], -v[74:75]
	s_mov_b32 s1, 0xbd53de6a
	v_add_f64 v[68:69], v[68:69], v[72:73]
	v_mul_f64 v[72:73], v[70:71], s[0:1]
	v_add_f64 v[76:77], v[74:75], v[72:73]
	v_add_f64 v[74:75], v[74:75], -v[76:77]
	v_add_f64 v[72:73], v[74:75], v[72:73]
	v_add_f64 v[68:69], v[68:69], v[72:73]
	v_add_f64 v[72:73], v[76:77], v[68:69]
	s_mov_b32 s0, 0xf97b57a0
	v_add_f64 v[74:75], v[76:77], -v[72:73]
	s_mov_b32 s1, 0xbac9cc01
	v_add_f64 v[68:69], v[68:69], v[74:75]
	v_mul_f64 v[74:75], v[70:71], s[0:1]
	v_add_f64 v[76:77], v[72:73], v[74:75]
	v_add_f64 v[72:73], v[72:73], -v[76:77]
	v_add_f64 v[72:73], v[72:73], v[74:75]
	v_add_f64 v[68:69], v[68:69], v[72:73]
	;; [unrolled: 1-line block ×3, first 2 shown]
	v_add_f64 v[74:75], v[76:77], -v[72:73]
	v_add_f64 v[68:69], v[68:69], v[74:75]
	v_pk_mov_b32 v[74:75], v[50:51], v[50:51] op_sel:[0,1]
	v_fmac_f64_e32 v[74:75], s[58:59], v[72:73]
	v_pk_mov_b32 v[76:77], v[52:53], v[52:53] op_sel:[0,1]
	v_fmac_f64_e32 v[76:77], v[72:73], v[74:75]
	;; [unrolled: 2-line block ×9, first 2 shown]
	v_mul_f64 v[76:77], v[72:73], v[72:73]
	v_fma_f64 v[78:79], v[72:73], v[72:73], -v[76:77]
	v_add_f64 v[80:81], v[68:69], v[68:69]
	v_fmac_f64_e32 v[78:79], v[72:73], v[80:81]
	v_add_f64 v[80:81], v[76:77], v[78:79]
	v_add_f64 v[76:77], v[80:81], -v[76:77]
	v_add_f64 v[76:77], v[78:79], -v[76:77]
	v_mul_f64 v[78:79], v[80:81], v[74:75]
	v_fma_f64 v[80:81], v[80:81], v[74:75], -v[78:79]
	v_fmac_f64_e32 v[80:81], v[76:77], v[74:75]
	v_add_f64 v[74:75], v[78:79], v[80:81]
	v_add_f64 v[76:77], v[74:75], -v[78:79]
	v_add_f64 v[78:79], v[72:73], v[74:75]
	v_add_f64 v[76:77], v[80:81], -v[76:77]
	v_add_f64 v[72:73], v[78:79], -v[72:73]
	v_add_f64 v[72:73], v[74:75], -v[72:73]
	v_add_f64 v[68:69], v[68:69], v[76:77]
	v_add_f64 v[68:69], v[68:69], v[72:73]
	;; [unrolled: 1-line block ×3, first 2 shown]
	v_add_f64 v[74:75], v[72:73], -v[78:79]
	v_add_f64 v[68:69], v[68:69], -v[74:75]
	v_add_f64 v[74:75], v[72:73], 1.0
	v_add_f64 v[76:77], v[74:75], -1.0
	v_add_f64 v[72:73], v[72:73], -v[76:77]
	v_add_f64 v[68:69], v[68:69], v[72:73]
	v_add_f64 v[72:73], v[74:75], v[68:69]
	v_cvt_i32_f64_e32 v78, v[70:71]
	v_ldexp_f64 v[70:71], v[72:73], v78
	v_rcp_f64_e32 v[76:77], v[70:71]
	v_add_f64 v[72:73], v[72:73], -v[74:75]
	v_add_f64 v[68:69], v[68:69], -v[72:73]
	v_ldexp_f64 v[68:69], v[68:69], v78
	v_fma_f64 v[72:73], -v[70:71], v[76:77], 1.0
	v_fmac_f64_e32 v[76:77], v[72:73], v[76:77]
	v_fma_f64 v[72:73], -v[70:71], v[76:77], 1.0
	v_fmac_f64_e32 v[76:77], v[72:73], v[76:77]
	v_mul_f64 v[72:73], v[70:71], v[76:77]
	v_fma_f64 v[74:75], v[76:77], v[70:71], -v[72:73]
	v_fmac_f64_e32 v[74:75], v[76:77], v[68:69]
	v_add_f64 v[78:79], v[72:73], v[74:75]
	v_add_f64 v[80:81], -v[78:79], 1.0
	v_add_f64 v[72:73], v[78:79], -v[72:73]
	v_add_f64 v[82:83], -v[80:81], 1.0
	v_add_f64 v[78:79], v[82:83], -v[78:79]
	v_add_f64 v[72:73], v[72:73], -v[74:75]
	v_add_f64 v[72:73], v[72:73], v[78:79]
	v_add_f64 v[74:75], v[80:81], v[72:73]
	v_add_f64 v[78:79], v[80:81], -v[74:75]
	v_add_f64 v[72:73], v[72:73], v[78:79]
	v_mul_f64 v[78:79], v[76:77], v[74:75]
	v_mul_f64 v[80:81], v[70:71], v[78:79]
	v_fma_f64 v[82:83], v[78:79], v[70:71], -v[80:81]
	v_fmac_f64_e32 v[82:83], v[78:79], v[68:69]
	v_add_f64 v[88:89], v[80:81], v[82:83]
	v_add_f64 v[90:91], v[74:75], -v[88:89]
	v_add_f64 v[74:75], v[74:75], -v[90:91]
	;; [unrolled: 1-line block ×4, first 2 shown]
	v_add_f64 v[72:73], v[72:73], v[74:75]
	v_add_f64 v[74:75], v[80:81], -v[82:83]
	v_add_f64 v[72:73], v[74:75], v[72:73]
	v_add_f64 v[72:73], v[90:91], v[72:73]
	;; [unrolled: 1-line block ×3, first 2 shown]
	v_mul_f64 v[72:73], v[76:77], v[72:73]
	v_add_f64 v[76:77], v[74:75], -v[76:77]
	v_add_f64 v[76:77], v[78:79], -v[76:77]
	v_add_f64 v[72:73], v[76:77], v[72:73]
	v_add_f64 v[76:77], v[74:75], v[72:73]
	v_add_f64 v[74:75], v[76:77], -v[74:75]
	v_add_f64 v[72:73], v[72:73], -v[74:75]
	v_ldexp_f64 v[74:75], v[76:77], -2
	v_add_f64 v[76:77], v[70:71], -v[74:75]
	v_add_f64 v[70:71], v[70:71], -v[76:77]
	;; [unrolled: 1-line block ×3, first 2 shown]
	s_mov_b32 s0, 0x8fb9f87e
	v_ldexp_f64 v[72:73], v[72:73], -2
	v_add_f64 v[68:69], v[68:69], v[70:71]
	s_mov_b32 s1, 0x408633ce
	v_add_f64 v[68:69], v[68:69], -v[72:73]
	v_cmp_nge_f64_e64 vcc, |v[2:3]|, s[0:1]
	s_mov_b32 s0, 0
	v_add_f64 v[68:69], v[76:77], v[68:69]
	s_mov_b32 s1, 0x3e400000
	v_and_b32_e32 v92, 0x7fffffff, v3
	v_cndmask_b32_e32 v69, v85, v69, vcc
	v_cndmask_b32_e32 v68, 0, v68, vcc
	v_cmp_lt_f64_e64 vcc, |v[2:3]|, s[0:1]
	v_cndmask_b32_e32 v2, v68, v2, vcc
	v_cndmask_b32_e32 v68, v69, v92, vcc
	v_bfi_b32 v3, s68, v68, v3
	s_mov_b32 s0, 0
	v_fma_f64 v[68:69], v[2:3], v[2:3], 1.0
	s_brev_b32 s1, 8
	v_cmp_gt_f64_e32 vcc, s[0:1], v[68:69]
	v_cndmask_b32_e64 v70, 0, 1, vcc
	v_lshlrev_b32_e32 v70, 8, v70
	v_ldexp_f64 v[68:69], v[68:69], v70
	v_rsq_f64_e32 v[70:71], v[68:69]
	v_and_b32_e32 v5, 0x80000000, v5
	v_xor_b32_e32 v5, v19, v5
	v_cndmask_b32_e32 v19, 0, v86, vcc
	v_mul_f64 v[74:75], v[68:69], v[70:71]
	v_mul_f64 v[70:71], v[70:71], 0.5
	v_fma_f64 v[76:77], -v[70:71], v[74:75], 0.5
	v_fmac_f64_e32 v[74:75], v[74:75], v[76:77]
	v_fma_f64 v[78:79], -v[74:75], v[74:75], v[68:69]
	v_fmac_f64_e32 v[70:71], v[70:71], v[76:77]
	v_fmac_f64_e32 v[74:75], v[78:79], v[70:71]
	v_fma_f64 v[76:77], -v[74:75], v[74:75], v[68:69]
	v_fmac_f64_e32 v[74:75], v[76:77], v[70:71]
	v_ldexp_f64 v[70:71], v[74:75], v19
	v_cmp_class_f64_e32 vcc, v[68:69], v1
	v_fma_f64 v[72:73], v[4:5], v[4:5], 1.0
	v_cndmask_b32_e32 v69, v71, v69, vcc
	v_cndmask_b32_e32 v68, v70, v68, vcc
	v_mul_f64 v[70:71], v[2:3], v[72:73]
	v_mul_f64 v[68:69], v[68:69], v[72:73]
	v_fma_f64 v[70:71], v[2:3], v[70:71], 1.0
	v_mul_f64 v[2:3], v[2:3], v[68:69]
	v_div_scale_f64 v[68:69], s[0:1], v[70:71], v[70:71], v[2:3]
	v_rcp_f64_e32 v[72:73], v[68:69]
	v_fma_f64 v[74:75], -v[68:69], v[72:73], 1.0
	v_fmac_f64_e32 v[72:73], v[72:73], v[74:75]
	v_fma_f64 v[74:75], -v[68:69], v[72:73], 1.0
	v_fmac_f64_e32 v[72:73], v[72:73], v[74:75]
	v_div_scale_f64 v[74:75], vcc, v[2:3], v[70:71], v[2:3]
	v_mul_f64 v[76:77], v[74:75], v[72:73]
	v_fma_f64 v[68:69], -v[68:69], v[76:77], v[74:75]
	v_div_scale_f64 v[74:75], s[0:1], v[70:71], v[70:71], v[4:5]
	v_rcp_f64_e32 v[78:79], v[74:75]
	v_div_fmas_f64 v[68:69], v[68:69], v[72:73], v[76:77]
	v_div_fixup_f64 v[2:3], v[68:69], v[70:71], v[2:3]
	v_fma_f64 v[68:69], -v[74:75], v[78:79], 1.0
	v_fmac_f64_e32 v[78:79], v[78:79], v[68:69]
	v_fma_f64 v[68:69], -v[74:75], v[78:79], 1.0
	v_fmac_f64_e32 v[78:79], v[78:79], v[68:69]
	v_div_scale_f64 v[68:69], vcc, v[4:5], v[70:71], v[4:5]
	v_mul_f64 v[72:73], v[68:69], v[78:79]
	v_fma_f64 v[68:69], -v[74:75], v[72:73], v[68:69]
	s_nop 1
	v_div_fmas_f64 v[68:69], v[68:69], v[78:79], v[72:73]
	v_div_fixup_f64 v[4:5], v[68:69], v[70:71], v[4:5]
.LBB156_129:                            ;   in Loop: Header=BB156_7 Depth=1
	s_andn2_saveexec_b64 s[40:41], s[40:41]
	s_cbranch_execz .LBB156_139
; %bb.130:                              ;   in Loop: Header=BB156_7 Depth=1
	v_cmp_nlt_f64_e64 s[54:55], |v[4:5]|, s[18:19]
                                        ; implicit-def: $vgpr76
                                        ; implicit-def: $vgpr68_vgpr69
                                        ; implicit-def: $vgpr70_vgpr71
	s_and_saveexec_b64 s[0:1], s[54:55]
	s_xor_b64 s[56:57], exec, s[0:1]
	s_cbranch_execz .LBB156_132
; %bb.131:                              ;   in Loop: Header=BB156_7 Depth=1
	v_and_b32_e32 v19, 0x7fffffff, v5
	v_ldexp_f64 v[72:73], |v[4:5]|, s2
	v_cmp_ge_f64_e64 vcc, |v[4:5]|, s[20:21]
	v_trig_preop_f64 v[68:69], |v[4:5]|, 0
	v_cndmask_b32_e32 v73, v19, v73, vcc
	v_cndmask_b32_e32 v72, v4, v72, vcc
	v_trig_preop_f64 v[70:71], |v[4:5]|, 1
	v_mul_f64 v[76:77], v[68:69], v[72:73]
	v_mul_f64 v[74:75], v[70:71], v[72:73]
	v_fma_f64 v[68:69], v[68:69], v[72:73], -v[76:77]
	v_add_f64 v[78:79], v[74:75], v[68:69]
	v_add_f64 v[80:81], v[76:77], v[78:79]
	v_ldexp_f64 v[82:83], v[80:81], -2
	v_fract_f64_e32 v[88:89], v[82:83]
	v_cmp_neq_f64_e64 vcc, |v[82:83]|, s[22:23]
	v_cndmask_b32_e32 v83, 0, v89, vcc
	v_cndmask_b32_e32 v82, 0, v88, vcc
	v_add_f64 v[88:89], v[78:79], -v[74:75]
	v_add_f64 v[68:69], v[68:69], -v[88:89]
	;; [unrolled: 1-line block ×4, first 2 shown]
	v_fma_f64 v[70:71], v[70:71], v[72:73], -v[74:75]
	v_trig_preop_f64 v[74:75], |v[4:5]|, 2
	v_add_f64 v[68:69], v[68:69], v[88:89]
	v_mul_f64 v[88:89], v[74:75], v[72:73]
	v_add_f64 v[90:91], v[88:89], v[70:71]
	v_add_f64 v[92:93], v[90:91], v[68:69]
	v_add_f64 v[76:77], v[80:81], -v[76:77]
	v_add_f64 v[80:81], v[92:93], -v[90:91]
	;; [unrolled: 1-line block ×5, first 2 shown]
	v_add_f64 v[68:69], v[68:69], v[80:81]
	v_add_f64 v[80:81], v[90:91], -v[88:89]
	v_add_f64 v[70:71], v[70:71], -v[80:81]
	;; [unrolled: 1-line block ×4, first 2 shown]
	v_add_f64 v[70:71], v[70:71], v[80:81]
	v_add_f64 v[76:77], v[78:79], -v[76:77]
	v_add_f64 v[68:69], v[70:71], v[68:69]
	v_fma_f64 v[70:71], v[74:75], v[72:73], -v[88:89]
	v_add_f64 v[78:79], v[76:77], v[92:93]
	v_add_f64 v[68:69], v[70:71], v[68:69]
	v_ldexp_f64 v[70:71], v[82:83], 2
	v_add_f64 v[72:73], v[78:79], v[70:71]
	v_cmp_gt_f64_e32 vcc, 0, v[72:73]
	v_cndmask_b32_e32 v19, 0, v23, vcc
	v_add_f64 v[70:71], v[70:71], v[18:19]
	v_add_f64 v[72:73], v[78:79], v[70:71]
	v_cvt_i32_f64_e32 v19, v[72:73]
	v_cvt_f64_i32_e32 v[72:73], v19
	v_add_f64 v[70:71], v[70:71], -v[72:73]
	v_add_f64 v[76:77], v[78:79], -v[76:77]
	v_add_f64 v[72:73], v[78:79], v[70:71]
	v_add_f64 v[76:77], v[92:93], -v[76:77]
	v_add_f64 v[70:71], v[72:73], -v[70:71]
	v_cmp_le_f64_e32 vcc, 0.5, v[72:73]
	v_add_f64 v[68:69], v[76:77], v[68:69]
	v_add_f64 v[70:71], v[78:79], -v[70:71]
	v_addc_co_u32_e64 v76, s[0:1], 0, v19, vcc
	v_cndmask_b32_e32 v19, 0, v84, vcc
	v_add_f64 v[68:69], v[68:69], v[70:71]
	v_add_f64 v[70:71], v[72:73], -v[18:19]
	v_add_f64 v[72:73], v[70:71], v[68:69]
	v_add_f64 v[70:71], v[72:73], -v[70:71]
	s_mov_b32 s24, s26
	v_add_f64 v[68:69], v[68:69], -v[70:71]
	v_mul_f64 v[70:71], v[72:73], s[24:25]
	v_fma_f64 v[74:75], v[72:73], s[24:25], -v[70:71]
	s_mov_b32 s31, s29
	v_fmac_f64_e32 v[74:75], s[30:31], v[72:73]
	v_fmac_f64_e32 v[74:75], s[24:25], v[68:69]
	v_add_f64 v[68:69], v[70:71], v[74:75]
	v_add_f64 v[70:71], v[68:69], -v[70:71]
	v_add_f64 v[70:71], v[74:75], -v[70:71]
	s_andn2_saveexec_b64 s[0:1], s[56:57]
	s_cbranch_execz .LBB156_134
	s_branch .LBB156_133
.LBB156_132:                            ;   in Loop: Header=BB156_7 Depth=1
	s_andn2_saveexec_b64 s[0:1], s[56:57]
	s_cbranch_execz .LBB156_134
.LBB156_133:                            ;   in Loop: Header=BB156_7 Depth=1
	v_mul_f64 v[68:69], |v[4:5]|, s[34:35]
	v_rndne_f64_e32 v[72:73], v[68:69]
	v_fma_f64 v[68:69], v[72:73], s[26:27], |v[4:5]|
	v_mul_f64 v[74:75], v[72:73], s[36:37]
	v_add_f64 v[78:79], v[68:69], v[74:75]
	v_fma_f64 v[70:71], s[36:37], v[72:73], v[68:69]
	s_mov_b32 s28, s36
	v_add_f64 v[68:69], v[68:69], -v[78:79]
	v_fma_f64 v[76:77], s[28:29], v[72:73], v[74:75]
	v_add_f64 v[68:69], v[68:69], v[74:75]
	v_add_f64 v[74:75], v[78:79], -v[70:71]
	v_add_f64 v[68:69], v[74:75], v[68:69]
	v_add_f64 v[74:75], v[68:69], -v[76:77]
	v_fmac_f64_e32 v[74:75], s[38:39], v[72:73]
	v_add_f64 v[68:69], v[70:71], v[74:75]
	v_add_f64 v[70:71], v[68:69], -v[70:71]
	v_add_f64 v[70:71], v[74:75], -v[70:71]
	v_cvt_i32_f64_e32 v76, v[72:73]
.LBB156_134:                            ;   in Loop: Header=BB156_7 Depth=1
	s_or_b64 exec, exec, s[0:1]
                                        ; implicit-def: $vgpr77
                                        ; implicit-def: $vgpr72_vgpr73
                                        ; implicit-def: $vgpr74_vgpr75
	s_and_saveexec_b64 s[0:1], s[54:55]
	s_xor_b64 s[54:55], exec, s[0:1]
	s_cbranch_execz .LBB156_136
; %bb.135:                              ;   in Loop: Header=BB156_7 Depth=1
	v_and_b32_e32 v19, 0x7fffffff, v5
	v_ldexp_f64 v[78:79], |v[4:5]|, s2
	v_cmp_ge_f64_e64 vcc, |v[4:5]|, s[20:21]
	v_trig_preop_f64 v[72:73], |v[4:5]|, 0
	v_cndmask_b32_e32 v79, v19, v79, vcc
	v_cndmask_b32_e32 v78, v4, v78, vcc
	v_trig_preop_f64 v[74:75], |v[4:5]|, 1
	v_mul_f64 v[82:83], v[72:73], v[78:79]
	v_mul_f64 v[80:81], v[74:75], v[78:79]
	v_fma_f64 v[72:73], v[72:73], v[78:79], -v[82:83]
	v_add_f64 v[88:89], v[80:81], v[72:73]
	v_add_f64 v[90:91], v[82:83], v[88:89]
	v_ldexp_f64 v[92:93], v[90:91], -2
	v_fract_f64_e32 v[94:95], v[92:93]
	v_cmp_neq_f64_e64 vcc, |v[92:93]|, s[22:23]
	v_cndmask_b32_e32 v93, 0, v95, vcc
	v_cndmask_b32_e32 v92, 0, v94, vcc
	v_add_f64 v[94:95], v[88:89], -v[80:81]
	v_add_f64 v[72:73], v[72:73], -v[94:95]
	;; [unrolled: 1-line block ×4, first 2 shown]
	v_fma_f64 v[74:75], v[74:75], v[78:79], -v[80:81]
	v_trig_preop_f64 v[80:81], |v[4:5]|, 2
	v_add_f64 v[72:73], v[72:73], v[94:95]
	v_mul_f64 v[94:95], v[80:81], v[78:79]
	v_add_f64 v[96:97], v[94:95], v[74:75]
	v_add_f64 v[98:99], v[96:97], v[72:73]
	v_add_f64 v[82:83], v[90:91], -v[82:83]
	v_add_f64 v[90:91], v[98:99], -v[96:97]
	;; [unrolled: 1-line block ×5, first 2 shown]
	v_add_f64 v[72:73], v[72:73], v[90:91]
	v_add_f64 v[90:91], v[96:97], -v[94:95]
	v_add_f64 v[74:75], v[74:75], -v[90:91]
	;; [unrolled: 1-line block ×4, first 2 shown]
	v_add_f64 v[74:75], v[74:75], v[90:91]
	v_add_f64 v[82:83], v[88:89], -v[82:83]
	v_add_f64 v[72:73], v[74:75], v[72:73]
	v_fma_f64 v[74:75], v[80:81], v[78:79], -v[94:95]
	v_add_f64 v[88:89], v[82:83], v[98:99]
	v_add_f64 v[72:73], v[74:75], v[72:73]
	v_ldexp_f64 v[74:75], v[92:93], 2
	v_add_f64 v[78:79], v[88:89], v[74:75]
	v_cmp_gt_f64_e32 vcc, 0, v[78:79]
	v_cndmask_b32_e32 v19, 0, v23, vcc
	v_add_f64 v[74:75], v[74:75], v[18:19]
	v_add_f64 v[78:79], v[88:89], v[74:75]
	v_cvt_i32_f64_e32 v19, v[78:79]
	v_cvt_f64_i32_e32 v[78:79], v19
	v_add_f64 v[74:75], v[74:75], -v[78:79]
	v_add_f64 v[82:83], v[88:89], -v[82:83]
	v_add_f64 v[78:79], v[88:89], v[74:75]
	v_add_f64 v[82:83], v[98:99], -v[82:83]
	v_add_f64 v[74:75], v[78:79], -v[74:75]
	v_cmp_le_f64_e32 vcc, 0.5, v[78:79]
	v_add_f64 v[72:73], v[82:83], v[72:73]
	v_add_f64 v[74:75], v[88:89], -v[74:75]
	v_addc_co_u32_e64 v77, s[0:1], 0, v19, vcc
	v_cndmask_b32_e32 v19, 0, v84, vcc
	v_add_f64 v[72:73], v[72:73], v[74:75]
	v_add_f64 v[74:75], v[78:79], -v[18:19]
	v_add_f64 v[78:79], v[74:75], v[72:73]
	v_add_f64 v[74:75], v[78:79], -v[74:75]
	s_mov_b32 s24, s26
	v_add_f64 v[72:73], v[72:73], -v[74:75]
	v_mul_f64 v[74:75], v[78:79], s[24:25]
	v_fma_f64 v[80:81], v[78:79], s[24:25], -v[74:75]
	s_mov_b32 s31, s29
	v_fmac_f64_e32 v[80:81], s[30:31], v[78:79]
	v_fmac_f64_e32 v[80:81], s[24:25], v[72:73]
	v_add_f64 v[72:73], v[74:75], v[80:81]
	v_add_f64 v[74:75], v[72:73], -v[74:75]
	v_add_f64 v[74:75], v[80:81], -v[74:75]
	s_andn2_saveexec_b64 s[0:1], s[54:55]
	s_cbranch_execnz .LBB156_137
	s_branch .LBB156_138
.LBB156_136:                            ;   in Loop: Header=BB156_7 Depth=1
	s_andn2_saveexec_b64 s[0:1], s[54:55]
	s_cbranch_execz .LBB156_138
.LBB156_137:                            ;   in Loop: Header=BB156_7 Depth=1
	v_mul_f64 v[72:73], |v[4:5]|, s[34:35]
	v_rndne_f64_e32 v[78:79], v[72:73]
	v_fma_f64 v[72:73], v[78:79], s[26:27], |v[4:5]|
	v_mul_f64 v[80:81], v[78:79], s[36:37]
	v_add_f64 v[88:89], v[72:73], v[80:81]
	v_fma_f64 v[74:75], s[36:37], v[78:79], v[72:73]
	s_mov_b32 s28, s36
	v_add_f64 v[72:73], v[72:73], -v[88:89]
	v_fma_f64 v[82:83], s[28:29], v[78:79], v[80:81]
	v_add_f64 v[72:73], v[72:73], v[80:81]
	v_add_f64 v[80:81], v[88:89], -v[74:75]
	v_add_f64 v[72:73], v[80:81], v[72:73]
	v_add_f64 v[80:81], v[72:73], -v[82:83]
	v_fmac_f64_e32 v[80:81], s[38:39], v[78:79]
	v_add_f64 v[72:73], v[74:75], v[80:81]
	v_add_f64 v[74:75], v[72:73], -v[74:75]
	v_add_f64 v[74:75], v[80:81], -v[74:75]
	v_cvt_i32_f64_e32 v77, v[78:79]
.LBB156_138:                            ;   in Loop: Header=BB156_7 Depth=1
	s_or_b64 exec, exec, s[0:1]
	v_mul_f64 v[78:79], v[68:69], v[68:69]
	v_pk_mov_b32 v[90:91], s[70:71], s[70:71] op_sel:[0,1]
	v_mul_f64 v[80:81], v[78:79], 0.5
	v_fma_f64 v[92:93], s[72:73], v[78:79], v[90:91]
	v_add_f64 v[82:83], -v[80:81], 1.0
	v_fma_f64 v[92:93], v[78:79], v[92:93], s[74:75]
	v_add_f64 v[88:89], -v[82:83], 1.0
	v_fma_f64 v[92:93], v[78:79], v[92:93], s[76:77]
	v_add_f64 v[80:81], v[88:89], -v[80:81]
	v_fma_f64 v[92:93], v[78:79], v[92:93], s[78:79]
	v_mul_f64 v[88:89], v[78:79], v[78:79]
	v_fma_f64 v[92:93], v[78:79], v[92:93], s[62:63]
	v_fma_f64 v[80:81], v[68:69], -v[70:71], v[80:81]
	v_fmac_f64_e32 v[80:81], v[88:89], v[92:93]
	v_add_f64 v[80:81], v[82:83], v[80:81]
	v_pk_mov_b32 v[82:83], s[80:81], s[80:81] op_sel:[0,1]
	v_fma_f64 v[88:89], s[82:83], v[78:79], v[82:83]
	v_fma_f64 v[88:89], v[78:79], v[88:89], s[84:85]
	;; [unrolled: 1-line block ×4, first 2 shown]
	v_mul_f64 v[92:93], v[68:69], -v[78:79]
	v_mul_f64 v[94:95], v[70:71], 0.5
	v_fmac_f64_e32 v[94:95], v[92:93], v[88:89]
	v_fma_f64 v[70:71], v[78:79], v[94:95], -v[70:71]
	s_mov_b32 s88, s62
	v_fmac_f64_e32 v[70:71], s[88:89], v[92:93]
	v_and_b32_e32 v4, 1, v76
	v_add_f64 v[68:69], v[68:69], -v[70:71]
	v_cmp_eq_u32_e32 vcc, 0, v4
	v_cndmask_b32_e32 v4, v80, v68, vcc
	v_lshlrev_b32_e32 v68, 30, v76
	v_cndmask_b32_e32 v19, v81, v69, vcc
	v_xor_b32_e32 v5, v68, v5
	v_mul_f64 v[68:69], |v[2:3]|, s[50:51]
	v_rndne_f64_e32 v[68:69], v[68:69]
	v_fma_f64 v[70:71], v[68:69], s[42:43], -|v[2:3]|
	v_fmac_f64_e32 v[70:71], s[46:47], v[68:69]
	v_pk_mov_b32 v[78:79], v[50:51], v[50:51] op_sel:[0,1]
	v_fmac_f64_e32 v[78:79], s[58:59], v[70:71]
	v_pk_mov_b32 v[80:81], v[52:53], v[52:53] op_sel:[0,1]
	;; [unrolled: 2-line block ×9, first 2 shown]
	v_fmac_f64_e32 v[78:79], v[70:71], v[80:81]
	v_and_b32_e32 v5, 0x80000000, v5
	v_fma_f64 v[78:79], v[70:71], v[78:79], 1.0
	s_mov_b32 s0, 0
	v_xor_b32_e32 v5, v19, v5
	v_fma_f64 v[70:71], v[70:71], v[78:79], 1.0
	v_cvt_i32_f64_e32 v19, v[68:69]
	s_mov_b32 s1, 0x4090cc00
	v_ldexp_f64 v[68:69], v[70:71], v19
	v_cmp_ngt_f64_e64 vcc, |v[2:3]|, s[0:1]
	v_bfi_b32 v19, s68, v84, v3
	v_mul_f64 v[2:3], v[72:73], v[72:73]
	v_mul_f64 v[70:71], v[2:3], 0.5
	v_fmac_f64_e32 v[90:91], s[72:73], v[2:3]
	v_add_f64 v[78:79], -v[70:71], 1.0
	v_fma_f64 v[88:89], v[2:3], v[90:91], s[74:75]
	v_add_f64 v[80:81], -v[78:79], 1.0
	v_fma_f64 v[88:89], v[2:3], v[88:89], s[76:77]
	v_add_f64 v[70:71], v[80:81], -v[70:71]
	v_fma_f64 v[88:89], v[2:3], v[88:89], s[78:79]
	v_mul_f64 v[80:81], v[2:3], v[2:3]
	v_fma_f64 v[88:89], v[2:3], v[88:89], s[62:63]
	v_fma_f64 v[70:71], v[72:73], -v[74:75], v[70:71]
	v_fmac_f64_e32 v[70:71], v[80:81], v[88:89]
	v_fmac_f64_e32 v[82:83], s[82:83], v[2:3]
	v_add_f64 v[70:71], v[78:79], v[70:71]
	v_fma_f64 v[78:79], v[2:3], v[82:83], s[84:85]
	v_fma_f64 v[78:79], v[2:3], v[78:79], s[86:87]
	;; [unrolled: 1-line block ×3, first 2 shown]
	v_mul_f64 v[80:81], v[72:73], -v[2:3]
	v_mul_f64 v[82:83], v[74:75], 0.5
	v_fmac_f64_e32 v[82:83], v[80:81], v[78:79]
	v_fma_f64 v[2:3], v[2:3], v[82:83], -v[74:75]
	v_fmac_f64_e32 v[2:3], s[88:89], v[80:81]
	v_add_f64 v[2:3], v[72:73], -v[2:3]
	v_and_b32_e32 v72, 1, v77
	v_cndmask_b32_e32 v69, 0, v69, vcc
	v_cndmask_b32_e32 v68, 0, v68, vcc
	v_cmp_eq_u32_e32 vcc, 0, v72
	v_xor_b32_e32 v3, 0x80000000, v3
	v_cndmask_b32_e32 v2, v2, v70, vcc
	v_lshlrev_b32_e32 v70, 30, v77
	v_cndmask_b32_e32 v3, v3, v71, vcc
	v_and_b32_e32 v70, 0x80000000, v70
	v_mul_f64 v[4:5], v[4:5], 4.0
	v_xor_b32_e32 v3, v3, v70
	v_mul_f64 v[2:3], v[4:5], v[2:3]
	v_mul_f64 v[2:3], v[68:69], v[2:3]
	;; [unrolled: 1-line block ×3, first 2 shown]
	v_pk_mov_b32 v[2:3], v[18:19], v[18:19] op_sel:[0,1]
.LBB156_139:                            ;   in Loop: Header=BB156_7 Depth=1
	s_or_b64 exec, exec, s[40:41]
.LBB156_140:                            ;   in Loop: Header=BB156_7 Depth=1
	s_andn2_saveexec_b64 s[0:1], s[14:15]
; %bb.141:                              ;   in Loop: Header=BB156_7 Depth=1
	v_add_f64 v[4:5], v[4:5], -v[4:5]
	v_pk_mov_b32 v[2:3], v[4:5], v[4:5] op_sel:[0,1]
; %bb.142:                              ;   in Loop: Header=BB156_7 Depth=1
	s_or_b64 exec, exec, s[0:1]
.LBB156_143:                            ;   in Loop: Header=BB156_7 Depth=1
	s_andn2_saveexec_b64 s[14:15], s[94:95]
	s_cbranch_execz .LBB156_6
; %bb.144:                              ;   in Loop: Header=BB156_7 Depth=1
	v_and_or_b32 v19, v3, s3, v2
	v_cmp_ne_u32_e32 vcc, 0, v19
	s_and_saveexec_b64 s[0:1], vcc
	s_xor_b64 s[0:1], exec, s[0:1]
; %bb.145:                              ;   in Loop: Header=BB156_7 Depth=1
	v_mul_f64 v[68:69], v[2:3], v[4:5]
	v_cmp_eq_f64_e32 vcc, 0, v[4:5]
	v_cndmask_b32_e32 v5, v69, v5, vcc
	v_cndmask_b32_e32 v4, v68, v4, vcc
; %bb.146:                              ;   in Loop: Header=BB156_7 Depth=1
	s_andn2_saveexec_b64 s[40:41], s[0:1]
	s_cbranch_execz .LBB156_5
; %bb.147:                              ;   in Loop: Header=BB156_7 Depth=1
	v_cmp_neq_f64_e64 s[0:1], |v[4:5]|, s[22:23]
	s_and_saveexec_b64 s[94:95], s[0:1]
	s_cbranch_execz .LBB156_4
; %bb.148:                              ;   in Loop: Header=BB156_7 Depth=1
	v_cmp_nlt_f64_e64 s[54:55], |v[4:5]|, s[18:19]
	v_trig_preop_f64 v[76:77], |v[4:5]|, 0
	v_trig_preop_f64 v[74:75], |v[4:5]|, 1
	v_ldexp_f64 v[78:79], |v[4:5]|, s2
	v_trig_preop_f64 v[72:73], |v[4:5]|, 2
	v_and_b32_e32 v89, 0x7fffffff, v5
                                        ; implicit-def: $vgpr88
                                        ; implicit-def: $vgpr68_vgpr69
                                        ; implicit-def: $vgpr70_vgpr71
	s_and_saveexec_b64 s[0:1], s[54:55]
	s_xor_b64 s[56:57], exec, s[0:1]
	s_cbranch_execz .LBB156_150
; %bb.149:                              ;   in Loop: Header=BB156_7 Depth=1
	v_cmp_ge_f64_e64 vcc, |v[4:5]|, s[20:21]
	v_cndmask_b32_e32 v69, v89, v79, vcc
	v_cndmask_b32_e32 v68, v4, v78, vcc
	v_mul_f64 v[80:81], v[76:77], v[68:69]
	v_mul_f64 v[70:71], v[74:75], v[68:69]
	v_fma_f64 v[82:83], v[76:77], v[68:69], -v[80:81]
	v_add_f64 v[90:91], v[70:71], v[82:83]
	v_add_f64 v[92:93], v[80:81], v[90:91]
	v_ldexp_f64 v[94:95], v[92:93], -2
	v_fract_f64_e32 v[96:97], v[94:95]
	v_cmp_neq_f64_e64 vcc, |v[94:95]|, s[22:23]
	v_cndmask_b32_e32 v95, 0, v97, vcc
	v_cndmask_b32_e32 v94, 0, v96, vcc
	v_add_f64 v[96:97], v[90:91], -v[70:71]
	v_add_f64 v[82:83], v[82:83], -v[96:97]
	;; [unrolled: 1-line block ×4, first 2 shown]
	v_add_f64 v[82:83], v[82:83], v[96:97]
	v_fma_f64 v[70:71], v[74:75], v[68:69], -v[70:71]
	v_mul_f64 v[96:97], v[72:73], v[68:69]
	v_add_f64 v[98:99], v[96:97], v[70:71]
	v_add_f64 v[100:101], v[98:99], v[82:83]
	v_add_f64 v[80:81], v[92:93], -v[80:81]
	v_add_f64 v[92:93], v[100:101], -v[98:99]
	;; [unrolled: 1-line block ×5, first 2 shown]
	v_add_f64 v[82:83], v[82:83], v[92:93]
	v_add_f64 v[92:93], v[98:99], -v[96:97]
	v_add_f64 v[70:71], v[70:71], -v[92:93]
	;; [unrolled: 1-line block ×5, first 2 shown]
	v_add_f64 v[90:91], v[80:81], v[100:101]
	v_add_f64 v[70:71], v[70:71], v[92:93]
	v_add_f64 v[80:81], v[90:91], -v[80:81]
	v_add_f64 v[70:71], v[70:71], v[82:83]
	v_fma_f64 v[68:69], v[72:73], v[68:69], -v[96:97]
	v_add_f64 v[80:81], v[100:101], -v[80:81]
	v_add_f64 v[68:69], v[68:69], v[70:71]
	v_ldexp_f64 v[70:71], v[94:95], 2
	v_add_f64 v[68:69], v[80:81], v[68:69]
	v_add_f64 v[80:81], v[90:91], v[70:71]
	v_cmp_gt_f64_e32 vcc, 0, v[80:81]
	v_cndmask_b32_e32 v19, 0, v23, vcc
	v_add_f64 v[70:71], v[70:71], v[18:19]
	v_add_f64 v[80:81], v[90:91], v[70:71]
	v_cvt_i32_f64_e32 v19, v[80:81]
	v_cvt_f64_i32_e32 v[80:81], v19
	v_add_f64 v[70:71], v[70:71], -v[80:81]
	v_add_f64 v[80:81], v[90:91], v[70:71]
	v_add_f64 v[70:71], v[80:81], -v[70:71]
	v_cmp_le_f64_e32 vcc, 0.5, v[80:81]
	v_add_f64 v[70:71], v[90:91], -v[70:71]
	v_addc_co_u32_e64 v88, s[0:1], 0, v19, vcc
	v_cndmask_b32_e32 v19, 0, v84, vcc
	v_add_f64 v[68:69], v[68:69], v[70:71]
	v_add_f64 v[70:71], v[80:81], -v[18:19]
	v_add_f64 v[80:81], v[70:71], v[68:69]
	v_add_f64 v[70:71], v[80:81], -v[70:71]
	s_mov_b32 s24, s26
	v_add_f64 v[68:69], v[68:69], -v[70:71]
	v_mul_f64 v[70:71], v[80:81], s[24:25]
	v_fma_f64 v[82:83], v[80:81], s[24:25], -v[70:71]
	s_mov_b32 s31, s29
	v_fmac_f64_e32 v[82:83], s[30:31], v[80:81]
	v_fmac_f64_e32 v[82:83], s[24:25], v[68:69]
	v_add_f64 v[68:69], v[70:71], v[82:83]
	v_add_f64 v[70:71], v[68:69], -v[70:71]
	v_add_f64 v[70:71], v[82:83], -v[70:71]
	s_andn2_saveexec_b64 s[0:1], s[56:57]
	s_cbranch_execz .LBB156_152
	s_branch .LBB156_151
.LBB156_150:                            ;   in Loop: Header=BB156_7 Depth=1
	s_andn2_saveexec_b64 s[0:1], s[56:57]
	s_cbranch_execz .LBB156_152
.LBB156_151:                            ;   in Loop: Header=BB156_7 Depth=1
	v_mul_f64 v[68:69], |v[4:5]|, s[34:35]
	v_rndne_f64_e32 v[80:81], v[68:69]
	v_fma_f64 v[68:69], v[80:81], s[26:27], |v[4:5]|
	v_mul_f64 v[82:83], v[80:81], s[36:37]
	v_add_f64 v[92:93], v[68:69], v[82:83]
	v_fma_f64 v[70:71], s[36:37], v[80:81], v[68:69]
	s_mov_b32 s28, s36
	v_add_f64 v[68:69], v[68:69], -v[92:93]
	v_fma_f64 v[90:91], s[28:29], v[80:81], v[82:83]
	v_add_f64 v[68:69], v[68:69], v[82:83]
	v_add_f64 v[82:83], v[92:93], -v[70:71]
	v_add_f64 v[68:69], v[82:83], v[68:69]
	v_add_f64 v[82:83], v[68:69], -v[90:91]
	v_fmac_f64_e32 v[82:83], s[38:39], v[80:81]
	v_add_f64 v[68:69], v[70:71], v[82:83]
	v_add_f64 v[70:71], v[68:69], -v[70:71]
	v_add_f64 v[70:71], v[82:83], -v[70:71]
	v_cvt_i32_f64_e32 v88, v[80:81]
.LBB156_152:                            ;   in Loop: Header=BB156_7 Depth=1
	s_or_b64 exec, exec, s[0:1]
                                        ; implicit-def: $vgpr90
                                        ; implicit-def: $vgpr80_vgpr81
                                        ; implicit-def: $vgpr82_vgpr83
	s_and_saveexec_b64 s[0:1], s[54:55]
	s_xor_b64 s[54:55], exec, s[0:1]
	s_cbranch_execz .LBB156_154
; %bb.153:                              ;   in Loop: Header=BB156_7 Depth=1
	v_cmp_ge_f64_e64 vcc, |v[4:5]|, s[20:21]
	v_cndmask_b32_e32 v79, v89, v79, vcc
	v_cndmask_b32_e32 v78, v4, v78, vcc
	v_mul_f64 v[82:83], v[76:77], v[78:79]
	v_mul_f64 v[80:81], v[74:75], v[78:79]
	v_fma_f64 v[76:77], v[76:77], v[78:79], -v[82:83]
	v_add_f64 v[90:91], v[80:81], v[76:77]
	v_add_f64 v[92:93], v[82:83], v[90:91]
	v_ldexp_f64 v[94:95], v[92:93], -2
	v_fract_f64_e32 v[96:97], v[94:95]
	v_cmp_neq_f64_e64 vcc, |v[94:95]|, s[22:23]
	v_cndmask_b32_e32 v95, 0, v97, vcc
	v_cndmask_b32_e32 v94, 0, v96, vcc
	v_add_f64 v[96:97], v[90:91], -v[80:81]
	v_add_f64 v[76:77], v[76:77], -v[96:97]
	;; [unrolled: 1-line block ×4, first 2 shown]
	v_fma_f64 v[74:75], v[74:75], v[78:79], -v[80:81]
	v_mul_f64 v[80:81], v[72:73], v[78:79]
	v_add_f64 v[76:77], v[76:77], v[96:97]
	v_add_f64 v[96:97], v[80:81], v[74:75]
	;; [unrolled: 1-line block ×3, first 2 shown]
	v_add_f64 v[82:83], v[92:93], -v[82:83]
	v_add_f64 v[92:93], v[98:99], -v[96:97]
	;; [unrolled: 1-line block ×5, first 2 shown]
	v_add_f64 v[76:77], v[76:77], v[92:93]
	v_add_f64 v[92:93], v[96:97], -v[80:81]
	v_add_f64 v[74:75], v[74:75], -v[92:93]
	v_add_f64 v[92:93], v[96:97], -v[92:93]
	v_add_f64 v[92:93], v[80:81], -v[92:93]
	v_add_f64 v[74:75], v[74:75], v[92:93]
	v_add_f64 v[82:83], v[90:91], -v[82:83]
	v_add_f64 v[74:75], v[74:75], v[76:77]
	v_fma_f64 v[72:73], v[72:73], v[78:79], -v[80:81]
	v_add_f64 v[90:91], v[82:83], v[98:99]
	v_add_f64 v[72:73], v[72:73], v[74:75]
	v_ldexp_f64 v[74:75], v[94:95], 2
	v_add_f64 v[76:77], v[90:91], v[74:75]
	v_cmp_gt_f64_e32 vcc, 0, v[76:77]
	v_cndmask_b32_e32 v19, 0, v23, vcc
	v_add_f64 v[74:75], v[74:75], v[18:19]
	v_add_f64 v[76:77], v[90:91], v[74:75]
	v_cvt_i32_f64_e32 v19, v[76:77]
	v_cvt_f64_i32_e32 v[76:77], v19
	v_add_f64 v[74:75], v[74:75], -v[76:77]
	v_add_f64 v[82:83], v[90:91], -v[82:83]
	v_add_f64 v[76:77], v[90:91], v[74:75]
	v_add_f64 v[82:83], v[98:99], -v[82:83]
	v_add_f64 v[74:75], v[76:77], -v[74:75]
	v_cmp_le_f64_e32 vcc, 0.5, v[76:77]
	v_add_f64 v[72:73], v[82:83], v[72:73]
	v_add_f64 v[74:75], v[90:91], -v[74:75]
	v_addc_co_u32_e64 v90, s[0:1], 0, v19, vcc
	v_cndmask_b32_e32 v19, 0, v84, vcc
	v_add_f64 v[72:73], v[72:73], v[74:75]
	v_add_f64 v[74:75], v[76:77], -v[18:19]
	v_add_f64 v[76:77], v[74:75], v[72:73]
	v_add_f64 v[74:75], v[76:77], -v[74:75]
	s_mov_b32 s24, s26
	v_add_f64 v[72:73], v[72:73], -v[74:75]
	v_mul_f64 v[74:75], v[76:77], s[24:25]
	v_fma_f64 v[78:79], v[76:77], s[24:25], -v[74:75]
	s_mov_b32 s31, s29
	v_fmac_f64_e32 v[78:79], s[30:31], v[76:77]
	v_fmac_f64_e32 v[78:79], s[24:25], v[72:73]
	v_add_f64 v[80:81], v[74:75], v[78:79]
	v_add_f64 v[72:73], v[80:81], -v[74:75]
	v_add_f64 v[82:83], v[78:79], -v[72:73]
	s_andn2_saveexec_b64 s[0:1], s[54:55]
	s_cbranch_execz .LBB156_3
	s_branch .LBB156_155
.LBB156_154:                            ;   in Loop: Header=BB156_7 Depth=1
	s_andn2_saveexec_b64 s[0:1], s[54:55]
	s_cbranch_execz .LBB156_3
.LBB156_155:                            ;   in Loop: Header=BB156_7 Depth=1
	v_mul_f64 v[72:73], |v[4:5]|, s[34:35]
	v_rndne_f64_e32 v[72:73], v[72:73]
	v_fma_f64 v[74:75], v[72:73], s[26:27], |v[4:5]|
	v_mul_f64 v[78:79], v[72:73], s[36:37]
	v_add_f64 v[82:83], v[74:75], v[78:79]
	v_fma_f64 v[76:77], s[36:37], v[72:73], v[74:75]
	s_mov_b32 s28, s36
	v_add_f64 v[74:75], v[74:75], -v[82:83]
	v_fma_f64 v[80:81], s[28:29], v[72:73], v[78:79]
	v_add_f64 v[74:75], v[74:75], v[78:79]
	v_add_f64 v[78:79], v[82:83], -v[76:77]
	v_add_f64 v[74:75], v[78:79], v[74:75]
	v_add_f64 v[74:75], v[74:75], -v[80:81]
	v_fmac_f64_e32 v[74:75], s[38:39], v[72:73]
	v_add_f64 v[80:81], v[76:77], v[74:75]
	v_add_f64 v[76:77], v[80:81], -v[76:77]
	v_add_f64 v[82:83], v[74:75], -v[76:77]
	v_cvt_i32_f64_e32 v90, v[72:73]
	s_branch .LBB156_3
.LBB156_156:
	v_readlane_b32 s0, v114, 2
	v_readlane_b32 s1, v114, 3
	s_or_b64 exec, exec, s[0:1]
	s_mov_b64 s[0:1], 0
.LBB156_157:
	s_andn2_b64 vcc, exec, s[0:1]
	s_cbranch_vccnz .LBB156_329
; %bb.158:
	v_cmp_lt_i64_e64 s[0:1], s[12:13], 1
	s_and_b64 vcc, exec, s[0:1]
	s_cbranch_vccnz .LBB156_329
; %bb.159:
	s_load_dword s0, s[4:5], 0xc5c
	v_mov_b32_e32 v2, 0x10000
	v_mov_b32_e32 v3, 0
	v_cmp_lt_u64_e32 vcc, s[12:13], v[2:3]
	v_lshl_or_b32 v2, v0, 4, 8
	s_waitcnt lgkmcnt(0)
	s_and_b32 s66, s0, 0xffff
	s_and_b64 s[0:1], vcc, exec
	v_mov_b32_e32 v7, s7
	v_add_co_u32_e32 v20, vcc, s6, v2
	v_mov_b32_e32 v18, 0
	v_addc_co_u32_e32 v21, vcc, 0, v7, vcc
	v_add_lshl_u32 v8, v0, s66, 4
	v_mov_b32_e32 v3, v18
	v_readlane_b32 s2, v114, 0
	v_add_co_u32_e32 v22, vcc, s6, v8
	v_readlane_b32 s3, v114, 1
	v_addc_co_u32_e32 v23, vcc, 0, v7, vcc
	v_mad_u64_u32 v[4:5], s[0:1], s66, 48, v[2:3]
	v_mov_b32_e32 v6, s3
	v_add_co_u32_e32 v24, vcc, s2, v4
	v_addc_co_u32_e32 v25, vcc, v6, v5, vcc
	v_add_co_u32_e32 v26, vcc, s6, v4
	s_cselect_b32 s15, s13, 0
	s_cselect_b32 s14, s12, 0x10000
	v_addc_co_u32_e32 v27, vcc, v7, v5, vcc
	s_lshl_b32 s0, s66, 5
	v_add_co_u32_e32 v3, vcc, s0, v2
	v_addc_co_u32_e64 v4, s[0:1], 0, 0, vcc
	v_add_co_u32_e32 v28, vcc, s6, v3
	v_addc_co_u32_e32 v29, vcc, v7, v4, vcc
	v_add_co_u32_e32 v74, vcc, s2, v3
	v_addc_co_u32_e32 v75, vcc, v6, v4, vcc
	v_add_co_u32_e32 v76, vcc, s2, v2
	s_mov_b32 s69, 0
	v_addc_co_u32_e32 v77, vcc, 0, v6, vcc
	s_lshl_b32 s16, s66, 2
	s_mov_b32 s17, s69
	s_mov_b32 s18, 0
	;; [unrolled: 1-line block ×20, first 2 shown]
	v_add_co_u32_e32 v78, vcc, s2, v8
	v_mov_b32_e32 v1, v18
	s_lshl_b32 s67, s66, 1
	s_mov_b32 s33, s69
	s_mul_i32 s51, s66, 3
	s_mov_b32 s68, s69
	s_lshl_b32 s91, s66, 6
	s_mov_b32 s90, s69
	s_brev_b32 s46, -2
	s_mov_b32 s47, 0x7ff00000
	s_movk_i32 s58, 0x1f8
	s_mov_b32 s19, 0x41d00000
	s_mov_b32 s21, 0x7b000000
	s_movk_i32 s59, 0xff80
	s_mov_b32 s23, 0x7ff00000
	s_mov_b32 s25, 0x3ff921fb
	;; [unrolled: 1-line block ×16, first 2 shown]
	v_mov_b32_e32 v30, 0xa9a29f71
	v_mov_b32_e32 v32, 0x90a8aae0
	v_mov_b32_e32 v34, 0xa6fbf144
	v_mov_b32_e32 v36, 0xa7943acf
	v_mov_b32_e32 v38, 0xdeb68feb
	v_mov_b32_e32 v40, 0xb58c4d95
	v_mov_b32_e32 v42, 0x15120e2c
	v_mov_b32_e32 v44, 0xe09491df
	v_mov_b32_e32 v46, 0x2033784d
	v_mov_b32_e32 v48, 0x9ac36ae2
	v_mov_b32_e32 v50, 0x1b451c21
	v_mov_b32_e32 v52, 0x111185b7
	v_mov_b32_e32 v54, 0x555554ee
	v_mov_b32_e32 v56, 0xfca7ab0c
	v_mov_b32_e32 v58, 0x623fde64
	v_mov_b32_e32 v60, 0x7c89e6b0
	s_mov_b32 s75, 0xbe927e4f
	v_mov_b32_e32 v62, 0x14761f6e
	s_mov_b32 s77, 0x3efa01a0
	v_mov_b32_e32 v64, 0x1852b7b0
	;; [unrolled: 2-line block ×7, first 2 shown]
	v_mov_b32_e32 v33, 0x3f17746f
	v_mov_b32_e32 v35, 0xbefbb44d
	;; [unrolled: 1-line block ×21, first 2 shown]
	s_mov_b32 s89, 0xbfc55555
	v_addc_co_u32_e32 v79, vcc, 0, v6, vcc
	v_mov_b32_e32 v88, 0x260
	v_mov_b32_e32 v89, 0x40100000
	;; [unrolled: 1-line block ×6, first 2 shown]
	s_mov_b32 s50, 0xfffff
	s_mov_b64 s[92:93], s[16:17]
	s_branch .LBB156_161
.LBB156_160:                            ;   in Loop: Header=BB156_161 Depth=1
	s_or_b64 exec, exec, s[0:1]
	v_pk_mov_b32 v[2:3], s[12:13], s[12:13] op_sel:[0,1]
	v_cmp_ge_i64_e32 vcc, s[92:93], v[2:3]
	v_mov_b32_e32 v2, 0xffff
	v_mov_b32_e32 v3, 0
	v_cmp_gt_u64_e64 s[0:1], s[92:93], v[2:3]
	s_or_b64 s[0:1], vcc, s[0:1]
	v_mov_b32_e32 v2, s17
	v_add_co_u32_e32 v0, vcc, s16, v0
	v_addc_co_u32_e32 v1, vcc, v1, v2, vcc
	v_mov_b32_e32 v2, s90
	v_add_co_u32_e32 v76, vcc, s91, v76
	v_addc_co_u32_e32 v77, vcc, v77, v2, vcc
	v_add_co_u32_e32 v20, vcc, s91, v20
	v_addc_co_u32_e32 v21, vcc, v21, v2, vcc
	;; [unrolled: 2-line block ×7, first 2 shown]
	v_add_co_u32_e32 v28, vcc, s91, v28
	s_add_u32 s92, s92, s16
	v_addc_co_u32_e32 v29, vcc, v29, v2, vcc
	s_addc_u32 s93, s93, 0
	s_and_b64 vcc, exec, s[0:1]
	s_cbranch_vccnz .LBB156_329
.LBB156_161:                            ; =>This Inner Loop Header: Depth=1
	v_pk_mov_b32 v[4:5], 0, 0
	v_cmp_gt_u64_e64 s[0:1], s[14:15], v[0:1]
	v_pk_mov_b32 v[8:9], v[4:5], v[4:5] op_sel:[0,1]
	v_pk_mov_b32 v[6:7], v[4:5], v[4:5] op_sel:[0,1]
	s_and_saveexec_b64 s[2:3], s[0:1]
	s_cbranch_execz .LBB156_163
; %bb.162:                              ;   in Loop: Header=BB156_161 Depth=1
	v_mov_b32_e32 v3, s11
	v_add_co_u32_e32 v2, vcc, s10, v76
	v_addc_co_u32_e32 v3, vcc, v77, v3, vcc
	global_load_dwordx4 v[6:9], v[2:3], off offset:-8
.LBB156_163:                            ;   in Loop: Header=BB156_161 Depth=1
	s_or_b64 exec, exec, s[2:3]
	v_mov_b32_e32 v3, s69
	v_add_co_u32_e32 v2, vcc, s66, v0
	v_addc_co_u32_e32 v3, vcc, v3, v1, vcc
	v_cmp_gt_u64_e64 s[2:3], s[14:15], v[2:3]
	v_pk_mov_b32 v[2:3], v[4:5], v[4:5] op_sel:[0,1]
	s_and_saveexec_b64 s[4:5], s[2:3]
	s_cbranch_execz .LBB156_165
; %bb.164:                              ;   in Loop: Header=BB156_161 Depth=1
	v_mov_b32_e32 v3, s11
	v_add_co_u32_e32 v2, vcc, s10, v78
	v_addc_co_u32_e32 v3, vcc, v79, v3, vcc
	global_load_dwordx4 v[2:5], v[2:3], off
.LBB156_165:                            ;   in Loop: Header=BB156_161 Depth=1
	s_or_b64 exec, exec, s[4:5]
	v_mov_b32_e32 v11, s33
	v_add_co_u32_e32 v10, vcc, s67, v0
	v_addc_co_u32_e32 v11, vcc, v11, v1, vcc
	v_pk_mov_b32 v[12:13], 0, 0
	v_cmp_gt_u64_e64 s[4:5], s[14:15], v[10:11]
	v_pk_mov_b32 v[16:17], v[12:13], v[12:13] op_sel:[0,1]
	v_pk_mov_b32 v[14:15], v[12:13], v[12:13] op_sel:[0,1]
	s_and_saveexec_b64 s[6:7], s[4:5]
	s_cbranch_execz .LBB156_167
; %bb.166:                              ;   in Loop: Header=BB156_161 Depth=1
	v_mov_b32_e32 v11, s11
	v_add_co_u32_e32 v10, vcc, s10, v74
	v_addc_co_u32_e32 v11, vcc, v75, v11, vcc
	global_load_dwordx4 v[14:17], v[10:11], off offset:-8
.LBB156_167:                            ;   in Loop: Header=BB156_161 Depth=1
	s_or_b64 exec, exec, s[6:7]
	v_mov_b32_e32 v11, s68
	v_add_co_u32_e32 v10, vcc, s51, v0
	v_addc_co_u32_e32 v11, vcc, v11, v1, vcc
	v_cmp_gt_u64_e64 s[6:7], s[14:15], v[10:11]
	v_pk_mov_b32 v[10:11], v[12:13], v[12:13] op_sel:[0,1]
	s_and_saveexec_b64 s[8:9], s[6:7]
	s_cbranch_execz .LBB156_169
; %bb.168:                              ;   in Loop: Header=BB156_161 Depth=1
	v_mov_b32_e32 v11, s11
	v_add_co_u32_e32 v10, vcc, s10, v24
	v_addc_co_u32_e32 v11, vcc, v25, v11, vcc
	global_load_dwordx4 v[10:13], v[10:11], off offset:-8
.LBB156_169:                            ;   in Loop: Header=BB156_161 Depth=1
	s_or_b64 exec, exec, s[8:9]
	s_waitcnt vmcnt(0)
	v_and_b32_e32 v84, 0x7fffffff, v7
	v_cmp_gt_u32_e32 vcc, s47, v84
	s_and_saveexec_b64 s[8:9], vcc
	s_xor_b64 s[94:95], exec, s[8:9]
	s_cbranch_execz .LBB156_190
; %bb.170:                              ;   in Loop: Header=BB156_161 Depth=1
	v_cmp_class_f64_e64 s[8:9], v[8:9], s58
	s_and_saveexec_b64 s[40:41], s[8:9]
	s_xor_b64 s[40:41], exec, s[40:41]
	s_cbranch_execz .LBB156_187
; %bb.171:                              ;   in Loop: Header=BB156_161 Depth=1
	s_mov_b32 s8, 0x40360000
	v_cmp_gt_u32_e32 vcc, s8, v84
	s_and_saveexec_b64 s[8:9], vcc
	s_xor_b64 s[54:55], exec, s[8:9]
	s_cbranch_execz .LBB156_177
; %bb.172:                              ;   in Loop: Header=BB156_161 Depth=1
	v_cmp_nlt_f64_e64 s[8:9], |v[8:9]|, s[18:19]
                                        ; implicit-def: $vgpr85
                                        ; implicit-def: $vgpr80_vgpr81
                                        ; implicit-def: $vgpr82_vgpr83
	s_and_saveexec_b64 s[56:57], s[8:9]
	s_xor_b64 s[56:57], exec, s[56:57]
	s_cbranch_execz .LBB156_174
; %bb.173:                              ;   in Loop: Header=BB156_161 Depth=1
	v_and_b32_e32 v19, 0x7fffffff, v9
	v_ldexp_f64 v[86:87], |v[8:9]|, s59
	v_cmp_ge_f64_e64 vcc, |v[8:9]|, s[20:21]
	v_trig_preop_f64 v[80:81], |v[8:9]|, 0
	v_cndmask_b32_e32 v87, v19, v87, vcc
	v_cndmask_b32_e32 v86, v8, v86, vcc
	v_trig_preop_f64 v[82:83], |v[8:9]|, 1
	v_mul_f64 v[96:97], v[80:81], v[86:87]
	v_mul_f64 v[94:95], v[82:83], v[86:87]
	v_fma_f64 v[80:81], v[80:81], v[86:87], -v[96:97]
	v_add_f64 v[98:99], v[94:95], v[80:81]
	v_add_f64 v[100:101], v[96:97], v[98:99]
	v_ldexp_f64 v[102:103], v[100:101], -2
	v_fract_f64_e32 v[104:105], v[102:103]
	v_cmp_neq_f64_e64 vcc, |v[102:103]|, s[22:23]
	v_cndmask_b32_e32 v103, 0, v105, vcc
	v_cndmask_b32_e32 v102, 0, v104, vcc
	v_add_f64 v[104:105], v[98:99], -v[94:95]
	v_add_f64 v[80:81], v[80:81], -v[104:105]
	;; [unrolled: 1-line block ×4, first 2 shown]
	v_fma_f64 v[82:83], v[82:83], v[86:87], -v[94:95]
	v_trig_preop_f64 v[94:95], |v[8:9]|, 2
	v_add_f64 v[80:81], v[80:81], v[104:105]
	v_mul_f64 v[104:105], v[94:95], v[86:87]
	v_add_f64 v[106:107], v[104:105], v[82:83]
	v_add_f64 v[108:109], v[106:107], v[80:81]
	v_add_f64 v[96:97], v[100:101], -v[96:97]
	v_add_f64 v[100:101], v[108:109], -v[106:107]
	;; [unrolled: 1-line block ×5, first 2 shown]
	v_add_f64 v[80:81], v[80:81], v[100:101]
	v_add_f64 v[100:101], v[106:107], -v[104:105]
	v_add_f64 v[82:83], v[82:83], -v[100:101]
	;; [unrolled: 1-line block ×4, first 2 shown]
	v_add_f64 v[82:83], v[82:83], v[100:101]
	v_add_f64 v[96:97], v[98:99], -v[96:97]
	v_add_f64 v[80:81], v[82:83], v[80:81]
	v_fma_f64 v[82:83], v[94:95], v[86:87], -v[104:105]
	v_add_f64 v[98:99], v[96:97], v[108:109]
	v_add_f64 v[80:81], v[82:83], v[80:81]
	v_ldexp_f64 v[82:83], v[102:103], 2
	v_add_f64 v[86:87], v[98:99], v[82:83]
	v_cmp_gt_f64_e32 vcc, 0, v[86:87]
	v_cndmask_b32_e32 v19, 0, v89, vcc
	v_add_f64 v[82:83], v[82:83], v[18:19]
	v_add_f64 v[86:87], v[98:99], v[82:83]
	v_cvt_i32_f64_e32 v19, v[86:87]
	v_cvt_f64_i32_e32 v[86:87], v19
	v_add_f64 v[82:83], v[82:83], -v[86:87]
	v_add_f64 v[96:97], v[98:99], -v[96:97]
	v_add_f64 v[86:87], v[98:99], v[82:83]
	v_add_f64 v[96:97], v[108:109], -v[96:97]
	v_add_f64 v[82:83], v[86:87], -v[82:83]
	v_cmp_le_f64_e32 vcc, 0.5, v[86:87]
	v_add_f64 v[80:81], v[96:97], v[80:81]
	v_add_f64 v[82:83], v[98:99], -v[82:83]
	v_addc_co_u32_e64 v85, s[8:9], 0, v19, vcc
	v_cndmask_b32_e32 v19, 0, v90, vcc
	v_add_f64 v[80:81], v[80:81], v[82:83]
	v_add_f64 v[82:83], v[86:87], -v[18:19]
	v_add_f64 v[86:87], v[82:83], v[80:81]
	v_add_f64 v[82:83], v[86:87], -v[82:83]
	s_mov_b32 s24, s26
	v_add_f64 v[80:81], v[80:81], -v[82:83]
	v_mul_f64 v[82:83], v[86:87], s[24:25]
	v_fma_f64 v[94:95], v[86:87], s[24:25], -v[82:83]
	s_mov_b32 s31, s29
	v_fmac_f64_e32 v[94:95], s[30:31], v[86:87]
	v_fmac_f64_e32 v[94:95], s[24:25], v[80:81]
	v_add_f64 v[80:81], v[82:83], v[94:95]
	v_add_f64 v[82:83], v[80:81], -v[82:83]
	v_add_f64 v[82:83], v[94:95], -v[82:83]
.LBB156_174:                            ;   in Loop: Header=BB156_161 Depth=1
	s_andn2_saveexec_b64 s[8:9], s[56:57]
	s_cbranch_execz .LBB156_176
; %bb.175:                              ;   in Loop: Header=BB156_161 Depth=1
	v_mul_f64 v[80:81], |v[8:9]|, s[34:35]
	v_rndne_f64_e32 v[86:87], v[80:81]
	v_fma_f64 v[80:81], v[86:87], s[26:27], |v[8:9]|
	v_mul_f64 v[94:95], v[86:87], s[36:37]
	v_add_f64 v[98:99], v[80:81], v[94:95]
	v_fma_f64 v[82:83], s[36:37], v[86:87], v[80:81]
	s_mov_b32 s28, s36
	v_add_f64 v[80:81], v[80:81], -v[98:99]
	v_fma_f64 v[96:97], s[28:29], v[86:87], v[94:95]
	v_add_f64 v[80:81], v[80:81], v[94:95]
	v_add_f64 v[94:95], v[98:99], -v[82:83]
	v_add_f64 v[80:81], v[94:95], v[80:81]
	v_add_f64 v[94:95], v[80:81], -v[96:97]
	v_fmac_f64_e32 v[94:95], s[38:39], v[86:87]
	v_add_f64 v[80:81], v[82:83], v[94:95]
	v_add_f64 v[82:83], v[80:81], -v[82:83]
	v_add_f64 v[82:83], v[94:95], -v[82:83]
	v_cvt_i32_f64_e32 v85, v[86:87]
.LBB156_176:                            ;   in Loop: Header=BB156_161 Depth=1
	s_or_b64 exec, exec, s[8:9]
	v_mul_f64 v[86:87], v[80:81], v[80:81]
	v_fma_f64 v[94:95], v[80:81], v[80:81], -v[86:87]
	v_add_f64 v[96:97], v[82:83], v[82:83]
	v_fmac_f64_e32 v[94:95], v[80:81], v[96:97]
	s_mov_b32 s8, 0xc751c08c
	v_add_f64 v[86:87], v[86:87], v[94:95]
	v_pk_mov_b32 v[94:95], v[30:31], v[30:31] op_sel:[0,1]
	s_mov_b32 s9, 0x3ef5e089
	v_fmac_f64_e32 v[94:95], s[8:9], v[86:87]
	v_pk_mov_b32 v[96:97], v[32:33], v[32:33] op_sel:[0,1]
	v_fmac_f64_e32 v[96:97], v[86:87], v[94:95]
	v_pk_mov_b32 v[94:95], v[34:35], v[34:35] op_sel:[0,1]
	;; [unrolled: 2-line block ×12, first 2 shown]
	v_fmac_f64_e32 v[94:95], v[86:87], v[96:97]
	v_mul_f64 v[86:87], v[86:87], v[94:95]
	v_mul_f64 v[94:95], v[80:81], v[86:87]
	v_add_f64 v[96:97], v[80:81], v[94:95]
	v_fma_f64 v[86:87], v[80:81], v[86:87], -v[94:95]
	v_add_f64 v[80:81], v[96:97], -v[80:81]
	v_add_f64 v[80:81], v[94:95], -v[80:81]
	v_add_f64 v[82:83], v[82:83], v[86:87]
	v_add_f64 v[80:81], v[82:83], v[80:81]
	;; [unrolled: 1-line block ×3, first 2 shown]
	v_rcp_f64_e32 v[86:87], v[82:83]
	v_add_f64 v[94:95], v[82:83], -v[96:97]
	v_add_f64 v[80:81], v[80:81], -v[94:95]
	v_and_b32_e32 v8, 1, v85
	v_fma_f64 v[94:95], -v[82:83], v[86:87], 1.0
	v_fmac_f64_e32 v[86:87], v[94:95], v[86:87]
	v_fma_f64 v[94:95], -v[82:83], v[86:87], 1.0
	v_fmac_f64_e32 v[86:87], v[94:95], v[86:87]
	v_mul_f64 v[94:95], v[82:83], v[86:87]
	v_fma_f64 v[96:97], v[86:87], v[82:83], -v[94:95]
	v_fmac_f64_e32 v[96:97], v[86:87], v[80:81]
	v_add_f64 v[80:81], v[94:95], v[96:97]
	v_add_f64 v[98:99], -v[80:81], 1.0
	v_add_f64 v[94:95], v[80:81], -v[94:95]
	v_add_f64 v[100:101], -v[98:99], 1.0
	v_add_f64 v[80:81], v[100:101], -v[80:81]
	v_add_f64 v[94:95], v[94:95], -v[96:97]
	v_add_f64 v[80:81], v[94:95], v[80:81]
	v_add_f64 v[80:81], v[98:99], v[80:81]
	v_mul_f64 v[80:81], v[86:87], v[80:81]
	v_add_f64 v[80:81], v[86:87], v[80:81]
	v_cmp_eq_u32_e32 vcc, 0, v8
	v_xor_b32_e32 v19, 0x80000000, v81
	v_cndmask_b32_e32 v8, v80, v82, vcc
	v_add_f64 v[80:81], |v[6:7]|, s[42:43]
	v_cndmask_b32_e32 v19, v19, v83, vcc
	v_add_f64 v[82:83], v[80:81], -|v[6:7]|
	v_add_f64 v[86:87], v[82:83], -v[80:81]
	s_mov_b32 s44, s42
	v_add_f64 v[86:87], |v[6:7]|, v[86:87]
	v_add_f64 v[82:83], v[82:83], s[44:45]
	s_mov_b32 s8, 0x3b39803f
	v_add_f64 v[82:83], v[86:87], -v[82:83]
	s_mov_b32 s9, 0xbc7abc9e
	v_add_f64 v[82:83], v[82:83], s[8:9]
	v_add_f64 v[86:87], v[80:81], v[82:83]
	s_mov_b32 s8, 0x652b82fe
	v_add_f64 v[80:81], v[80:81], -v[86:87]
	s_mov_b32 s9, 0xbff71547
	s_mov_b32 s48, s8
	v_add_f64 v[80:81], v[82:83], v[80:81]
	v_mul_f64 v[82:83], v[86:87], s[48:49]
	v_rndne_f64_e32 v[82:83], v[82:83]
	s_mov_b32 s53, s43
	v_fmac_f64_e32 v[86:87], s[52:53], v[82:83]
	v_add_f64 v[94:95], v[80:81], v[86:87]
	s_mov_b32 s8, 0xf278e000
	v_add_f64 v[86:87], v[86:87], -v[94:95]
	s_mov_b32 s9, 0xbd53de6a
	v_add_f64 v[80:81], v[80:81], v[86:87]
	v_mul_f64 v[86:87], v[82:83], s[8:9]
	v_add_f64 v[96:97], v[94:95], v[86:87]
	v_add_f64 v[94:95], v[94:95], -v[96:97]
	v_add_f64 v[86:87], v[94:95], v[86:87]
	v_add_f64 v[80:81], v[80:81], v[86:87]
	;; [unrolled: 1-line block ×3, first 2 shown]
	s_mov_b32 s8, 0xf97b57a0
	v_add_f64 v[94:95], v[96:97], -v[86:87]
	s_mov_b32 s9, 0xbac9cc01
	v_add_f64 v[80:81], v[80:81], v[94:95]
	v_mul_f64 v[94:95], v[82:83], s[8:9]
	v_add_f64 v[96:97], v[86:87], v[94:95]
	v_add_f64 v[86:87], v[86:87], -v[96:97]
	v_add_f64 v[86:87], v[86:87], v[94:95]
	v_add_f64 v[80:81], v[80:81], v[86:87]
	;; [unrolled: 1-line block ×3, first 2 shown]
	v_add_f64 v[94:95], v[96:97], -v[86:87]
	s_mov_b32 s8, 0x6a5dcb37
	v_add_f64 v[80:81], v[80:81], v[94:95]
	v_pk_mov_b32 v[94:95], v[56:57], v[56:57] op_sel:[0,1]
	s_mov_b32 s9, 0x3e5ade15
	v_fmac_f64_e32 v[94:95], s[8:9], v[86:87]
	v_pk_mov_b32 v[96:97], v[58:59], v[58:59] op_sel:[0,1]
	v_fmac_f64_e32 v[96:97], v[86:87], v[94:95]
	v_pk_mov_b32 v[94:95], v[60:61], v[60:61] op_sel:[0,1]
	;; [unrolled: 2-line block ×8, first 2 shown]
	v_fmac_f64_e32 v[94:95], v[86:87], v[96:97]
	v_mul_f64 v[96:97], v[86:87], v[86:87]
	v_fma_f64 v[98:99], v[86:87], v[86:87], -v[96:97]
	v_add_f64 v[100:101], v[80:81], v[80:81]
	v_fmac_f64_e32 v[98:99], v[86:87], v[100:101]
	v_add_f64 v[100:101], v[96:97], v[98:99]
	v_add_f64 v[96:97], v[100:101], -v[96:97]
	v_add_f64 v[96:97], v[98:99], -v[96:97]
	v_mul_f64 v[98:99], v[100:101], v[94:95]
	v_fma_f64 v[100:101], v[100:101], v[94:95], -v[98:99]
	v_fmac_f64_e32 v[100:101], v[96:97], v[94:95]
	v_add_f64 v[94:95], v[98:99], v[100:101]
	v_add_f64 v[96:97], v[94:95], -v[98:99]
	v_add_f64 v[98:99], v[86:87], v[94:95]
	v_add_f64 v[96:97], v[100:101], -v[96:97]
	v_add_f64 v[86:87], v[98:99], -v[86:87]
	;; [unrolled: 1-line block ×3, first 2 shown]
	v_add_f64 v[80:81], v[80:81], v[96:97]
	v_add_f64 v[80:81], v[80:81], v[86:87]
	;; [unrolled: 1-line block ×3, first 2 shown]
	v_add_f64 v[94:95], v[86:87], -v[98:99]
	v_add_f64 v[80:81], v[80:81], -v[94:95]
	v_add_f64 v[94:95], v[86:87], 1.0
	v_add_f64 v[96:97], v[94:95], -1.0
	v_add_f64 v[86:87], v[86:87], -v[96:97]
	v_add_f64 v[80:81], v[80:81], v[86:87]
	v_add_f64 v[86:87], v[94:95], v[80:81]
	v_cvt_i32_f64_e32 v85, v[82:83]
	v_ldexp_f64 v[82:83], v[86:87], v85
	v_rcp_f64_e32 v[96:97], v[82:83]
	v_add_f64 v[86:87], v[86:87], -v[94:95]
	v_add_f64 v[80:81], v[80:81], -v[86:87]
	v_ldexp_f64 v[80:81], v[80:81], v85
	v_fma_f64 v[86:87], -v[82:83], v[96:97], 1.0
	v_fmac_f64_e32 v[96:97], v[86:87], v[96:97]
	v_fma_f64 v[86:87], -v[82:83], v[96:97], 1.0
	v_fmac_f64_e32 v[96:97], v[86:87], v[96:97]
	v_mul_f64 v[86:87], v[82:83], v[96:97]
	v_fma_f64 v[94:95], v[96:97], v[82:83], -v[86:87]
	v_fmac_f64_e32 v[94:95], v[96:97], v[80:81]
	v_add_f64 v[98:99], v[86:87], v[94:95]
	v_add_f64 v[100:101], -v[98:99], 1.0
	v_add_f64 v[86:87], v[98:99], -v[86:87]
	v_add_f64 v[102:103], -v[100:101], 1.0
	v_add_f64 v[98:99], v[102:103], -v[98:99]
	v_add_f64 v[86:87], v[86:87], -v[94:95]
	v_add_f64 v[86:87], v[86:87], v[98:99]
	v_add_f64 v[94:95], v[100:101], v[86:87]
	v_add_f64 v[98:99], v[100:101], -v[94:95]
	v_add_f64 v[86:87], v[86:87], v[98:99]
	v_mul_f64 v[98:99], v[96:97], v[94:95]
	v_mul_f64 v[100:101], v[82:83], v[98:99]
	v_fma_f64 v[102:103], v[98:99], v[82:83], -v[100:101]
	v_fmac_f64_e32 v[102:103], v[98:99], v[80:81]
	v_add_f64 v[104:105], v[100:101], v[102:103]
	v_add_f64 v[106:107], v[94:95], -v[104:105]
	v_add_f64 v[94:95], v[94:95], -v[106:107]
	;; [unrolled: 1-line block ×4, first 2 shown]
	v_add_f64 v[86:87], v[86:87], v[94:95]
	v_add_f64 v[94:95], v[100:101], -v[102:103]
	v_add_f64 v[86:87], v[94:95], v[86:87]
	v_add_f64 v[86:87], v[106:107], v[86:87]
	;; [unrolled: 1-line block ×3, first 2 shown]
	v_mul_f64 v[86:87], v[96:97], v[86:87]
	v_add_f64 v[96:97], v[94:95], -v[96:97]
	v_add_f64 v[96:97], v[98:99], -v[96:97]
	v_add_f64 v[86:87], v[96:97], v[86:87]
	v_add_f64 v[96:97], v[94:95], v[86:87]
	v_add_f64 v[94:95], v[96:97], -v[94:95]
	v_add_f64 v[86:87], v[86:87], -v[94:95]
	v_ldexp_f64 v[94:95], v[96:97], -2
	v_add_f64 v[96:97], v[82:83], -v[94:95]
	v_add_f64 v[82:83], v[82:83], -v[96:97]
	;; [unrolled: 1-line block ×3, first 2 shown]
	s_mov_b32 s8, 0x8fb9f87e
	v_ldexp_f64 v[86:87], v[86:87], -2
	v_add_f64 v[80:81], v[80:81], v[82:83]
	s_mov_b32 s9, 0x408633ce
	v_add_f64 v[80:81], v[80:81], -v[86:87]
	v_cmp_nge_f64_e64 vcc, |v[6:7]|, s[8:9]
	s_mov_b32 s8, 0
	v_add_f64 v[80:81], v[96:97], v[80:81]
	s_mov_b32 s9, 0x3e400000
	v_cndmask_b32_e32 v81, v91, v81, vcc
	v_cndmask_b32_e32 v80, 0, v80, vcc
	v_cmp_lt_f64_e64 vcc, |v[6:7]|, s[8:9]
	v_cndmask_b32_e32 v6, v80, v6, vcc
	v_cndmask_b32_e32 v80, v81, v84, vcc
	v_bfi_b32 v7, s46, v80, v7
	s_mov_b32 s8, 0
	v_fma_f64 v[80:81], v[6:7], v[6:7], 1.0
	s_brev_b32 s9, 8
	v_cmp_gt_f64_e32 vcc, s[8:9], v[80:81]
	v_cndmask_b32_e64 v82, 0, 1, vcc
	v_lshlrev_b32_e32 v82, 8, v82
	v_ldexp_f64 v[80:81], v[80:81], v82
	v_rsq_f64_e32 v[82:83], v[80:81]
	v_and_b32_e32 v9, 0x80000000, v9
	v_xor_b32_e32 v9, v19, v9
	v_cndmask_b32_e32 v19, 0, v92, vcc
	v_mul_f64 v[86:87], v[80:81], v[82:83]
	v_mul_f64 v[82:83], v[82:83], 0.5
	v_fma_f64 v[94:95], -v[82:83], v[86:87], 0.5
	v_fmac_f64_e32 v[86:87], v[86:87], v[94:95]
	v_fma_f64 v[96:97], -v[86:87], v[86:87], v[80:81]
	v_fmac_f64_e32 v[82:83], v[82:83], v[94:95]
	v_fmac_f64_e32 v[86:87], v[96:97], v[82:83]
	v_fma_f64 v[94:95], -v[86:87], v[86:87], v[80:81]
	v_fmac_f64_e32 v[86:87], v[94:95], v[82:83]
	v_ldexp_f64 v[82:83], v[86:87], v19
	v_cmp_class_f64_e32 vcc, v[80:81], v88
	v_fma_f64 v[84:85], v[8:9], v[8:9], 1.0
	v_cndmask_b32_e32 v81, v83, v81, vcc
	v_cndmask_b32_e32 v80, v82, v80, vcc
	v_mul_f64 v[82:83], v[6:7], v[84:85]
	v_mul_f64 v[80:81], v[80:81], v[84:85]
	v_fma_f64 v[82:83], v[6:7], v[82:83], 1.0
	v_mul_f64 v[6:7], v[6:7], v[80:81]
	v_div_scale_f64 v[80:81], s[8:9], v[82:83], v[82:83], v[6:7]
	v_rcp_f64_e32 v[84:85], v[80:81]
	v_fma_f64 v[86:87], -v[80:81], v[84:85], 1.0
	v_fmac_f64_e32 v[84:85], v[84:85], v[86:87]
	v_fma_f64 v[86:87], -v[80:81], v[84:85], 1.0
	v_fmac_f64_e32 v[84:85], v[84:85], v[86:87]
	v_div_scale_f64 v[86:87], vcc, v[6:7], v[82:83], v[6:7]
	v_mul_f64 v[94:95], v[86:87], v[84:85]
	v_fma_f64 v[80:81], -v[80:81], v[94:95], v[86:87]
	v_div_scale_f64 v[86:87], s[8:9], v[82:83], v[82:83], v[8:9]
	v_rcp_f64_e32 v[96:97], v[86:87]
	v_div_fmas_f64 v[80:81], v[80:81], v[84:85], v[94:95]
	v_div_fixup_f64 v[6:7], v[80:81], v[82:83], v[6:7]
	v_fma_f64 v[80:81], -v[86:87], v[96:97], 1.0
	v_fmac_f64_e32 v[96:97], v[96:97], v[80:81]
	v_fma_f64 v[80:81], -v[86:87], v[96:97], 1.0
	v_fmac_f64_e32 v[96:97], v[96:97], v[80:81]
	v_div_scale_f64 v[80:81], vcc, v[8:9], v[82:83], v[8:9]
	v_mul_f64 v[84:85], v[80:81], v[96:97]
	v_fma_f64 v[80:81], -v[86:87], v[84:85], v[80:81]
	s_nop 1
	v_div_fmas_f64 v[80:81], v[80:81], v[96:97], v[84:85]
	v_div_fixup_f64 v[8:9], v[80:81], v[82:83], v[8:9]
.LBB156_177:                            ;   in Loop: Header=BB156_161 Depth=1
	s_andn2_saveexec_b64 s[54:55], s[54:55]
	s_cbranch_execz .LBB156_197
; %bb.178:                              ;   in Loop: Header=BB156_161 Depth=1
	v_cmp_nlt_f64_e64 s[56:57], |v[8:9]|, s[18:19]
                                        ; implicit-def: $vgpr94
                                        ; implicit-def: $vgpr80_vgpr81
                                        ; implicit-def: $vgpr82_vgpr83
	s_and_saveexec_b64 s[8:9], s[56:57]
	s_xor_b64 s[64:65], exec, s[8:9]
	s_cbranch_execz .LBB156_180
; %bb.179:                              ;   in Loop: Header=BB156_161 Depth=1
	v_and_b32_e32 v19, 0x7fffffff, v9
	v_ldexp_f64 v[84:85], |v[8:9]|, s59
	v_cmp_ge_f64_e64 vcc, |v[8:9]|, s[20:21]
	v_trig_preop_f64 v[80:81], |v[8:9]|, 0
	v_cndmask_b32_e32 v85, v19, v85, vcc
	v_cndmask_b32_e32 v84, v8, v84, vcc
	v_trig_preop_f64 v[82:83], |v[8:9]|, 1
	v_mul_f64 v[94:95], v[80:81], v[84:85]
	v_mul_f64 v[86:87], v[82:83], v[84:85]
	v_fma_f64 v[80:81], v[80:81], v[84:85], -v[94:95]
	v_add_f64 v[96:97], v[86:87], v[80:81]
	v_add_f64 v[98:99], v[94:95], v[96:97]
	v_ldexp_f64 v[100:101], v[98:99], -2
	v_fract_f64_e32 v[102:103], v[100:101]
	v_cmp_neq_f64_e64 vcc, |v[100:101]|, s[22:23]
	v_cndmask_b32_e32 v101, 0, v103, vcc
	v_cndmask_b32_e32 v100, 0, v102, vcc
	v_add_f64 v[102:103], v[96:97], -v[86:87]
	v_add_f64 v[80:81], v[80:81], -v[102:103]
	;; [unrolled: 1-line block ×4, first 2 shown]
	v_fma_f64 v[82:83], v[82:83], v[84:85], -v[86:87]
	v_trig_preop_f64 v[86:87], |v[8:9]|, 2
	v_add_f64 v[80:81], v[80:81], v[102:103]
	v_mul_f64 v[102:103], v[86:87], v[84:85]
	v_add_f64 v[104:105], v[102:103], v[82:83]
	v_add_f64 v[106:107], v[104:105], v[80:81]
	v_add_f64 v[94:95], v[98:99], -v[94:95]
	v_add_f64 v[98:99], v[106:107], -v[104:105]
	v_add_f64 v[80:81], v[80:81], -v[98:99]
	v_add_f64 v[98:99], v[106:107], -v[98:99]
	v_add_f64 v[98:99], v[104:105], -v[98:99]
	v_add_f64 v[80:81], v[80:81], v[98:99]
	v_add_f64 v[98:99], v[104:105], -v[102:103]
	v_add_f64 v[82:83], v[82:83], -v[98:99]
	;; [unrolled: 1-line block ×4, first 2 shown]
	v_add_f64 v[82:83], v[82:83], v[98:99]
	v_add_f64 v[94:95], v[96:97], -v[94:95]
	v_add_f64 v[80:81], v[82:83], v[80:81]
	v_fma_f64 v[82:83], v[86:87], v[84:85], -v[102:103]
	v_add_f64 v[96:97], v[94:95], v[106:107]
	v_add_f64 v[80:81], v[82:83], v[80:81]
	v_ldexp_f64 v[82:83], v[100:101], 2
	v_add_f64 v[84:85], v[96:97], v[82:83]
	v_cmp_gt_f64_e32 vcc, 0, v[84:85]
	v_cndmask_b32_e32 v19, 0, v89, vcc
	v_add_f64 v[82:83], v[82:83], v[18:19]
	v_add_f64 v[84:85], v[96:97], v[82:83]
	v_cvt_i32_f64_e32 v19, v[84:85]
	v_cvt_f64_i32_e32 v[84:85], v19
	v_add_f64 v[82:83], v[82:83], -v[84:85]
	v_add_f64 v[94:95], v[96:97], -v[94:95]
	v_add_f64 v[84:85], v[96:97], v[82:83]
	v_add_f64 v[94:95], v[106:107], -v[94:95]
	v_add_f64 v[82:83], v[84:85], -v[82:83]
	v_cmp_le_f64_e32 vcc, 0.5, v[84:85]
	v_add_f64 v[80:81], v[94:95], v[80:81]
	v_add_f64 v[82:83], v[96:97], -v[82:83]
	v_addc_co_u32_e64 v94, s[8:9], 0, v19, vcc
	v_cndmask_b32_e32 v19, 0, v90, vcc
	v_add_f64 v[80:81], v[80:81], v[82:83]
	v_add_f64 v[82:83], v[84:85], -v[18:19]
	v_add_f64 v[84:85], v[82:83], v[80:81]
	v_add_f64 v[82:83], v[84:85], -v[82:83]
	s_mov_b32 s24, s26
	v_add_f64 v[80:81], v[80:81], -v[82:83]
	v_mul_f64 v[82:83], v[84:85], s[24:25]
	v_fma_f64 v[86:87], v[84:85], s[24:25], -v[82:83]
	s_mov_b32 s31, s29
	v_fmac_f64_e32 v[86:87], s[30:31], v[84:85]
	v_fmac_f64_e32 v[86:87], s[24:25], v[80:81]
	v_add_f64 v[80:81], v[82:83], v[86:87]
	v_add_f64 v[82:83], v[80:81], -v[82:83]
	v_add_f64 v[82:83], v[86:87], -v[82:83]
	s_andn2_saveexec_b64 s[8:9], s[64:65]
	s_cbranch_execz .LBB156_182
	s_branch .LBB156_181
.LBB156_180:                            ;   in Loop: Header=BB156_161 Depth=1
	s_andn2_saveexec_b64 s[8:9], s[64:65]
	s_cbranch_execz .LBB156_182
.LBB156_181:                            ;   in Loop: Header=BB156_161 Depth=1
	v_mul_f64 v[80:81], |v[8:9]|, s[34:35]
	v_rndne_f64_e32 v[84:85], v[80:81]
	v_fma_f64 v[80:81], v[84:85], s[26:27], |v[8:9]|
	v_mul_f64 v[86:87], v[84:85], s[36:37]
	v_add_f64 v[96:97], v[80:81], v[86:87]
	v_fma_f64 v[82:83], s[36:37], v[84:85], v[80:81]
	s_mov_b32 s28, s36
	v_add_f64 v[80:81], v[80:81], -v[96:97]
	v_fma_f64 v[94:95], s[28:29], v[84:85], v[86:87]
	v_add_f64 v[80:81], v[80:81], v[86:87]
	v_add_f64 v[86:87], v[96:97], -v[82:83]
	v_add_f64 v[80:81], v[86:87], v[80:81]
	v_add_f64 v[86:87], v[80:81], -v[94:95]
	v_fmac_f64_e32 v[86:87], s[38:39], v[84:85]
	v_add_f64 v[80:81], v[82:83], v[86:87]
	v_add_f64 v[82:83], v[80:81], -v[82:83]
	v_add_f64 v[82:83], v[86:87], -v[82:83]
	v_cvt_i32_f64_e32 v94, v[84:85]
.LBB156_182:                            ;   in Loop: Header=BB156_161 Depth=1
	s_or_b64 exec, exec, s[8:9]
                                        ; implicit-def: $vgpr95
                                        ; implicit-def: $vgpr84_vgpr85
                                        ; implicit-def: $vgpr86_vgpr87
	s_and_saveexec_b64 s[8:9], s[56:57]
	s_xor_b64 s[56:57], exec, s[8:9]
	s_cbranch_execz .LBB156_184
; %bb.183:                              ;   in Loop: Header=BB156_161 Depth=1
	v_and_b32_e32 v19, 0x7fffffff, v9
	v_ldexp_f64 v[96:97], |v[8:9]|, s59
	v_cmp_ge_f64_e64 vcc, |v[8:9]|, s[20:21]
	v_trig_preop_f64 v[84:85], |v[8:9]|, 0
	v_cndmask_b32_e32 v97, v19, v97, vcc
	v_cndmask_b32_e32 v96, v8, v96, vcc
	v_trig_preop_f64 v[86:87], |v[8:9]|, 1
	v_mul_f64 v[100:101], v[84:85], v[96:97]
	v_mul_f64 v[98:99], v[86:87], v[96:97]
	v_fma_f64 v[84:85], v[84:85], v[96:97], -v[100:101]
	v_add_f64 v[102:103], v[98:99], v[84:85]
	v_add_f64 v[104:105], v[100:101], v[102:103]
	v_ldexp_f64 v[106:107], v[104:105], -2
	v_fract_f64_e32 v[108:109], v[106:107]
	v_cmp_neq_f64_e64 vcc, |v[106:107]|, s[22:23]
	v_cndmask_b32_e32 v107, 0, v109, vcc
	v_cndmask_b32_e32 v106, 0, v108, vcc
	v_add_f64 v[108:109], v[102:103], -v[98:99]
	v_add_f64 v[84:85], v[84:85], -v[108:109]
	;; [unrolled: 1-line block ×4, first 2 shown]
	v_fma_f64 v[86:87], v[86:87], v[96:97], -v[98:99]
	v_trig_preop_f64 v[98:99], |v[8:9]|, 2
	v_add_f64 v[84:85], v[84:85], v[108:109]
	v_mul_f64 v[108:109], v[98:99], v[96:97]
	v_add_f64 v[110:111], v[108:109], v[86:87]
	v_add_f64 v[112:113], v[110:111], v[84:85]
	v_add_f64 v[100:101], v[104:105], -v[100:101]
	v_add_f64 v[104:105], v[112:113], -v[110:111]
	;; [unrolled: 1-line block ×5, first 2 shown]
	v_add_f64 v[84:85], v[84:85], v[104:105]
	v_add_f64 v[104:105], v[110:111], -v[108:109]
	v_add_f64 v[86:87], v[86:87], -v[104:105]
	v_add_f64 v[104:105], v[110:111], -v[104:105]
	v_add_f64 v[104:105], v[108:109], -v[104:105]
	v_add_f64 v[86:87], v[86:87], v[104:105]
	v_add_f64 v[100:101], v[102:103], -v[100:101]
	v_add_f64 v[84:85], v[86:87], v[84:85]
	v_fma_f64 v[86:87], v[98:99], v[96:97], -v[108:109]
	v_add_f64 v[102:103], v[100:101], v[112:113]
	v_add_f64 v[84:85], v[86:87], v[84:85]
	v_ldexp_f64 v[86:87], v[106:107], 2
	v_add_f64 v[96:97], v[102:103], v[86:87]
	v_cmp_gt_f64_e32 vcc, 0, v[96:97]
	v_cndmask_b32_e32 v19, 0, v89, vcc
	v_add_f64 v[86:87], v[86:87], v[18:19]
	v_add_f64 v[96:97], v[102:103], v[86:87]
	v_cvt_i32_f64_e32 v19, v[96:97]
	v_cvt_f64_i32_e32 v[96:97], v19
	v_add_f64 v[86:87], v[86:87], -v[96:97]
	v_add_f64 v[100:101], v[102:103], -v[100:101]
	v_add_f64 v[96:97], v[102:103], v[86:87]
	v_add_f64 v[100:101], v[112:113], -v[100:101]
	v_add_f64 v[86:87], v[96:97], -v[86:87]
	v_cmp_le_f64_e32 vcc, 0.5, v[96:97]
	v_add_f64 v[84:85], v[100:101], v[84:85]
	v_add_f64 v[86:87], v[102:103], -v[86:87]
	v_addc_co_u32_e64 v95, s[8:9], 0, v19, vcc
	v_cndmask_b32_e32 v19, 0, v90, vcc
	v_add_f64 v[84:85], v[84:85], v[86:87]
	v_add_f64 v[86:87], v[96:97], -v[18:19]
	v_add_f64 v[96:97], v[86:87], v[84:85]
	v_add_f64 v[86:87], v[96:97], -v[86:87]
	s_mov_b32 s24, s26
	v_add_f64 v[84:85], v[84:85], -v[86:87]
	v_mul_f64 v[86:87], v[96:97], s[24:25]
	v_fma_f64 v[98:99], v[96:97], s[24:25], -v[86:87]
	s_mov_b32 s31, s29
	v_fmac_f64_e32 v[98:99], s[30:31], v[96:97]
	v_fmac_f64_e32 v[98:99], s[24:25], v[84:85]
	v_add_f64 v[84:85], v[86:87], v[98:99]
	v_add_f64 v[86:87], v[84:85], -v[86:87]
	v_add_f64 v[86:87], v[98:99], -v[86:87]
	s_andn2_saveexec_b64 s[8:9], s[56:57]
	s_cbranch_execnz .LBB156_185
	s_branch .LBB156_186
.LBB156_184:                            ;   in Loop: Header=BB156_161 Depth=1
	s_andn2_saveexec_b64 s[8:9], s[56:57]
	s_cbranch_execz .LBB156_186
.LBB156_185:                            ;   in Loop: Header=BB156_161 Depth=1
	v_mul_f64 v[84:85], |v[8:9]|, s[34:35]
	v_rndne_f64_e32 v[96:97], v[84:85]
	v_fma_f64 v[84:85], v[96:97], s[26:27], |v[8:9]|
	v_mul_f64 v[98:99], v[96:97], s[36:37]
	v_add_f64 v[102:103], v[84:85], v[98:99]
	v_fma_f64 v[86:87], s[36:37], v[96:97], v[84:85]
	s_mov_b32 s28, s36
	v_add_f64 v[84:85], v[84:85], -v[102:103]
	v_fma_f64 v[100:101], s[28:29], v[96:97], v[98:99]
	v_add_f64 v[84:85], v[84:85], v[98:99]
	v_add_f64 v[98:99], v[102:103], -v[86:87]
	v_add_f64 v[84:85], v[98:99], v[84:85]
	v_add_f64 v[98:99], v[84:85], -v[100:101]
	v_fmac_f64_e32 v[98:99], s[38:39], v[96:97]
	v_add_f64 v[84:85], v[86:87], v[98:99]
	v_add_f64 v[86:87], v[84:85], -v[86:87]
	v_add_f64 v[86:87], v[98:99], -v[86:87]
	v_cvt_i32_f64_e32 v95, v[96:97]
.LBB156_186:                            ;   in Loop: Header=BB156_161 Depth=1
	s_or_b64 exec, exec, s[8:9]
	v_mul_f64 v[96:97], v[80:81], v[80:81]
	v_pk_mov_b32 v[104:105], s[70:71], s[70:71] op_sel:[0,1]
	v_mul_f64 v[98:99], v[96:97], 0.5
	v_fma_f64 v[106:107], s[72:73], v[96:97], v[104:105]
	v_add_f64 v[100:101], -v[98:99], 1.0
	v_fma_f64 v[106:107], v[96:97], v[106:107], s[74:75]
	v_add_f64 v[102:103], -v[100:101], 1.0
	v_fma_f64 v[106:107], v[96:97], v[106:107], s[76:77]
	v_add_f64 v[98:99], v[102:103], -v[98:99]
	v_fma_f64 v[106:107], v[96:97], v[106:107], s[78:79]
	v_mul_f64 v[102:103], v[96:97], v[96:97]
	v_fma_f64 v[106:107], v[96:97], v[106:107], s[62:63]
	v_fma_f64 v[98:99], v[80:81], -v[82:83], v[98:99]
	v_fmac_f64_e32 v[98:99], v[102:103], v[106:107]
	v_add_f64 v[98:99], v[100:101], v[98:99]
	v_pk_mov_b32 v[100:101], s[80:81], s[80:81] op_sel:[0,1]
	v_fma_f64 v[102:103], s[82:83], v[96:97], v[100:101]
	v_fma_f64 v[102:103], v[96:97], v[102:103], s[84:85]
	;; [unrolled: 1-line block ×4, first 2 shown]
	v_mul_f64 v[106:107], v[80:81], -v[96:97]
	v_mul_f64 v[108:109], v[82:83], 0.5
	v_fmac_f64_e32 v[108:109], v[106:107], v[102:103]
	v_fma_f64 v[82:83], v[96:97], v[108:109], -v[82:83]
	s_mov_b32 s88, s62
	v_fmac_f64_e32 v[82:83], s[88:89], v[106:107]
	v_and_b32_e32 v8, 1, v94
	v_add_f64 v[80:81], v[80:81], -v[82:83]
	v_cmp_eq_u32_e32 vcc, 0, v8
	s_mov_b32 s8, 0x652b82fe
	v_cndmask_b32_e32 v8, v98, v80, vcc
	v_lshlrev_b32_e32 v80, 30, v94
	s_mov_b32 s9, 0xbff71547
	v_cndmask_b32_e32 v19, v99, v81, vcc
	v_xor_b32_e32 v9, v80, v9
	v_mul_f64 v[80:81], |v[6:7]|, s[8:9]
	v_rndne_f64_e32 v[80:81], v[80:81]
	s_mov_b32 s8, 0x3b39803f
	v_fma_f64 v[82:83], v[80:81], s[42:43], -|v[6:7]|
	s_mov_b32 s9, 0xbc7abc9e
	v_fmac_f64_e32 v[82:83], s[8:9], v[80:81]
	s_mov_b32 s8, 0x6a5dcb37
	v_pk_mov_b32 v[96:97], v[56:57], v[56:57] op_sel:[0,1]
	s_mov_b32 s9, 0x3e5ade15
	v_fmac_f64_e32 v[96:97], s[8:9], v[82:83]
	v_pk_mov_b32 v[98:99], v[58:59], v[58:59] op_sel:[0,1]
	v_fmac_f64_e32 v[98:99], v[82:83], v[96:97]
	v_pk_mov_b32 v[96:97], v[60:61], v[60:61] op_sel:[0,1]
	;; [unrolled: 2-line block ×8, first 2 shown]
	v_fmac_f64_e32 v[96:97], v[82:83], v[98:99]
	v_and_b32_e32 v9, 0x80000000, v9
	v_fma_f64 v[96:97], v[82:83], v[96:97], 1.0
	s_mov_b32 s8, 0
	v_xor_b32_e32 v9, v19, v9
	v_fma_f64 v[82:83], v[82:83], v[96:97], 1.0
	v_cvt_i32_f64_e32 v19, v[80:81]
	s_mov_b32 s9, 0x4090cc00
	v_ldexp_f64 v[80:81], v[82:83], v19
	v_cmp_ngt_f64_e64 vcc, |v[6:7]|, s[8:9]
	v_bfi_b32 v19, s46, v90, v7
	v_mul_f64 v[6:7], v[84:85], v[84:85]
	v_mul_f64 v[82:83], v[6:7], 0.5
	v_fmac_f64_e32 v[104:105], s[72:73], v[6:7]
	v_add_f64 v[96:97], -v[82:83], 1.0
	v_fma_f64 v[102:103], v[6:7], v[104:105], s[74:75]
	v_add_f64 v[98:99], -v[96:97], 1.0
	v_fma_f64 v[102:103], v[6:7], v[102:103], s[76:77]
	v_add_f64 v[82:83], v[98:99], -v[82:83]
	v_fma_f64 v[102:103], v[6:7], v[102:103], s[78:79]
	v_mul_f64 v[98:99], v[6:7], v[6:7]
	v_fma_f64 v[102:103], v[6:7], v[102:103], s[62:63]
	v_fma_f64 v[82:83], v[84:85], -v[86:87], v[82:83]
	v_fmac_f64_e32 v[82:83], v[98:99], v[102:103]
	v_fmac_f64_e32 v[100:101], s[82:83], v[6:7]
	v_add_f64 v[82:83], v[96:97], v[82:83]
	v_fma_f64 v[96:97], v[6:7], v[100:101], s[84:85]
	v_fma_f64 v[96:97], v[6:7], v[96:97], s[86:87]
	;; [unrolled: 1-line block ×3, first 2 shown]
	v_mul_f64 v[98:99], v[84:85], -v[6:7]
	v_mul_f64 v[100:101], v[86:87], 0.5
	v_fmac_f64_e32 v[100:101], v[98:99], v[96:97]
	v_fma_f64 v[6:7], v[6:7], v[100:101], -v[86:87]
	v_fmac_f64_e32 v[6:7], s[88:89], v[98:99]
	v_add_f64 v[6:7], v[84:85], -v[6:7]
	v_and_b32_e32 v84, 1, v95
	v_cndmask_b32_e32 v81, 0, v81, vcc
	v_cndmask_b32_e32 v80, 0, v80, vcc
	v_cmp_eq_u32_e32 vcc, 0, v84
	v_xor_b32_e32 v7, 0x80000000, v7
	v_cndmask_b32_e32 v6, v6, v82, vcc
	v_lshlrev_b32_e32 v82, 30, v95
	v_cndmask_b32_e32 v7, v7, v83, vcc
	v_and_b32_e32 v82, 0x80000000, v82
	v_mul_f64 v[8:9], v[8:9], 4.0
	v_xor_b32_e32 v7, v7, v82
	v_mul_f64 v[6:7], v[8:9], v[6:7]
	v_mul_f64 v[6:7], v[80:81], v[6:7]
	;; [unrolled: 1-line block ×3, first 2 shown]
	v_pk_mov_b32 v[6:7], v[18:19], v[18:19] op_sel:[0,1]
	s_or_b64 exec, exec, s[54:55]
.LBB156_187:                            ;   in Loop: Header=BB156_161 Depth=1
	s_andn2_saveexec_b64 s[8:9], s[40:41]
.LBB156_188:                            ;   in Loop: Header=BB156_161 Depth=1
	v_add_f64 v[8:9], v[8:9], -v[8:9]
	v_pk_mov_b32 v[6:7], v[8:9], v[8:9] op_sel:[0,1]
.LBB156_189:                            ;   in Loop: Header=BB156_161 Depth=1
	s_or_b64 exec, exec, s[8:9]
.LBB156_190:                            ;   in Loop: Header=BB156_161 Depth=1
	s_andn2_saveexec_b64 s[40:41], s[94:95]
	s_cbranch_execz .LBB156_207
; %bb.191:                              ;   in Loop: Header=BB156_161 Depth=1
	v_and_or_b32 v19, v7, s50, v6
	v_cmp_ne_u32_e32 vcc, 0, v19
	s_and_saveexec_b64 s[8:9], vcc
	s_xor_b64 s[8:9], exec, s[8:9]
; %bb.192:                              ;   in Loop: Header=BB156_161 Depth=1
	v_mul_f64 v[80:81], v[8:9], v[6:7]
	v_cmp_eq_f64_e32 vcc, 0, v[8:9]
	v_cndmask_b32_e32 v9, v81, v9, vcc
	v_cndmask_b32_e32 v8, v80, v8, vcc
; %bb.193:                              ;   in Loop: Header=BB156_161 Depth=1
	s_andn2_saveexec_b64 s[54:55], s[8:9]
	s_cbranch_execz .LBB156_206
; %bb.194:                              ;   in Loop: Header=BB156_161 Depth=1
	v_cmp_neq_f64_e64 s[8:9], |v[8:9]|, s[22:23]
	s_and_saveexec_b64 s[94:95], s[8:9]
	s_cbranch_execz .LBB156_205
; %bb.195:                              ;   in Loop: Header=BB156_161 Depth=1
	v_cmp_nlt_f64_e64 s[56:57], |v[8:9]|, s[18:19]
                                        ; implicit-def: $vgpr94
                                        ; implicit-def: $vgpr80_vgpr81
                                        ; implicit-def: $vgpr82_vgpr83
	s_and_saveexec_b64 s[8:9], s[56:57]
	s_xor_b64 s[64:65], exec, s[8:9]
	s_cbranch_execz .LBB156_198
; %bb.196:                              ;   in Loop: Header=BB156_161 Depth=1
	v_and_b32_e32 v19, 0x7fffffff, v9
	v_ldexp_f64 v[84:85], |v[8:9]|, s59
	v_cmp_ge_f64_e64 vcc, |v[8:9]|, s[20:21]
	v_trig_preop_f64 v[80:81], |v[8:9]|, 0
	v_cndmask_b32_e32 v85, v19, v85, vcc
	v_cndmask_b32_e32 v84, v8, v84, vcc
	v_trig_preop_f64 v[82:83], |v[8:9]|, 1
	v_mul_f64 v[94:95], v[80:81], v[84:85]
	v_mul_f64 v[86:87], v[82:83], v[84:85]
	v_fma_f64 v[80:81], v[80:81], v[84:85], -v[94:95]
	v_add_f64 v[96:97], v[86:87], v[80:81]
	v_add_f64 v[98:99], v[94:95], v[96:97]
	v_ldexp_f64 v[100:101], v[98:99], -2
	v_fract_f64_e32 v[102:103], v[100:101]
	v_cmp_neq_f64_e64 vcc, |v[100:101]|, s[22:23]
	v_cndmask_b32_e32 v101, 0, v103, vcc
	v_cndmask_b32_e32 v100, 0, v102, vcc
	v_add_f64 v[102:103], v[96:97], -v[86:87]
	v_add_f64 v[80:81], v[80:81], -v[102:103]
	;; [unrolled: 1-line block ×4, first 2 shown]
	v_fma_f64 v[82:83], v[82:83], v[84:85], -v[86:87]
	v_trig_preop_f64 v[86:87], |v[8:9]|, 2
	v_add_f64 v[80:81], v[80:81], v[102:103]
	v_mul_f64 v[102:103], v[86:87], v[84:85]
	v_add_f64 v[104:105], v[102:103], v[82:83]
	v_add_f64 v[106:107], v[104:105], v[80:81]
	v_add_f64 v[94:95], v[98:99], -v[94:95]
	v_add_f64 v[98:99], v[106:107], -v[104:105]
	;; [unrolled: 1-line block ×5, first 2 shown]
	v_add_f64 v[80:81], v[80:81], v[98:99]
	v_add_f64 v[98:99], v[104:105], -v[102:103]
	v_add_f64 v[82:83], v[82:83], -v[98:99]
	v_add_f64 v[98:99], v[104:105], -v[98:99]
	v_add_f64 v[98:99], v[102:103], -v[98:99]
	v_add_f64 v[82:83], v[82:83], v[98:99]
	v_add_f64 v[94:95], v[96:97], -v[94:95]
	v_add_f64 v[80:81], v[82:83], v[80:81]
	v_fma_f64 v[82:83], v[86:87], v[84:85], -v[102:103]
	v_add_f64 v[96:97], v[94:95], v[106:107]
	v_add_f64 v[80:81], v[82:83], v[80:81]
	v_ldexp_f64 v[82:83], v[100:101], 2
	v_add_f64 v[84:85], v[96:97], v[82:83]
	v_cmp_gt_f64_e32 vcc, 0, v[84:85]
	v_cndmask_b32_e32 v19, 0, v89, vcc
	v_add_f64 v[82:83], v[82:83], v[18:19]
	v_add_f64 v[84:85], v[96:97], v[82:83]
	v_cvt_i32_f64_e32 v19, v[84:85]
	v_cvt_f64_i32_e32 v[84:85], v19
	v_add_f64 v[82:83], v[82:83], -v[84:85]
	v_add_f64 v[94:95], v[96:97], -v[94:95]
	v_add_f64 v[84:85], v[96:97], v[82:83]
	v_add_f64 v[94:95], v[106:107], -v[94:95]
	v_add_f64 v[82:83], v[84:85], -v[82:83]
	v_cmp_le_f64_e32 vcc, 0.5, v[84:85]
	v_add_f64 v[80:81], v[94:95], v[80:81]
	v_add_f64 v[82:83], v[96:97], -v[82:83]
	v_addc_co_u32_e64 v94, s[8:9], 0, v19, vcc
	v_cndmask_b32_e32 v19, 0, v90, vcc
	v_add_f64 v[80:81], v[80:81], v[82:83]
	v_add_f64 v[82:83], v[84:85], -v[18:19]
	v_add_f64 v[84:85], v[82:83], v[80:81]
	v_add_f64 v[82:83], v[84:85], -v[82:83]
	s_mov_b32 s24, s26
	v_add_f64 v[80:81], v[80:81], -v[82:83]
	v_mul_f64 v[82:83], v[84:85], s[24:25]
	v_fma_f64 v[86:87], v[84:85], s[24:25], -v[82:83]
	s_mov_b32 s31, s29
	v_fmac_f64_e32 v[86:87], s[30:31], v[84:85]
	v_fmac_f64_e32 v[86:87], s[24:25], v[80:81]
	v_add_f64 v[80:81], v[82:83], v[86:87]
	v_add_f64 v[82:83], v[80:81], -v[82:83]
	v_add_f64 v[82:83], v[86:87], -v[82:83]
	s_andn2_saveexec_b64 s[8:9], s[64:65]
	s_cbranch_execz .LBB156_200
	s_branch .LBB156_199
.LBB156_197:                            ;   in Loop: Header=BB156_161 Depth=1
	s_or_b64 exec, exec, s[54:55]
	s_andn2_saveexec_b64 s[8:9], s[40:41]
	s_cbranch_execnz .LBB156_188
	s_branch .LBB156_189
.LBB156_198:                            ;   in Loop: Header=BB156_161 Depth=1
	s_andn2_saveexec_b64 s[8:9], s[64:65]
	s_cbranch_execz .LBB156_200
.LBB156_199:                            ;   in Loop: Header=BB156_161 Depth=1
	v_mul_f64 v[80:81], |v[8:9]|, s[34:35]
	v_rndne_f64_e32 v[84:85], v[80:81]
	v_fma_f64 v[80:81], v[84:85], s[26:27], |v[8:9]|
	v_mul_f64 v[86:87], v[84:85], s[36:37]
	v_add_f64 v[96:97], v[80:81], v[86:87]
	v_fma_f64 v[82:83], s[36:37], v[84:85], v[80:81]
	s_mov_b32 s28, s36
	v_add_f64 v[80:81], v[80:81], -v[96:97]
	v_fma_f64 v[94:95], s[28:29], v[84:85], v[86:87]
	v_add_f64 v[80:81], v[80:81], v[86:87]
	v_add_f64 v[86:87], v[96:97], -v[82:83]
	v_add_f64 v[80:81], v[86:87], v[80:81]
	v_add_f64 v[86:87], v[80:81], -v[94:95]
	v_fmac_f64_e32 v[86:87], s[38:39], v[84:85]
	v_add_f64 v[80:81], v[82:83], v[86:87]
	v_add_f64 v[82:83], v[80:81], -v[82:83]
	v_add_f64 v[82:83], v[86:87], -v[82:83]
	v_cvt_i32_f64_e32 v94, v[84:85]
.LBB156_200:                            ;   in Loop: Header=BB156_161 Depth=1
	s_or_b64 exec, exec, s[8:9]
                                        ; implicit-def: $vgpr95
                                        ; implicit-def: $vgpr84_vgpr85
                                        ; implicit-def: $vgpr86_vgpr87
	s_and_saveexec_b64 s[8:9], s[56:57]
	s_xor_b64 s[56:57], exec, s[8:9]
	s_cbranch_execz .LBB156_202
; %bb.201:                              ;   in Loop: Header=BB156_161 Depth=1
	v_and_b32_e32 v19, 0x7fffffff, v9
	v_ldexp_f64 v[96:97], |v[8:9]|, s59
	v_cmp_ge_f64_e64 vcc, |v[8:9]|, s[20:21]
	v_trig_preop_f64 v[84:85], |v[8:9]|, 0
	v_cndmask_b32_e32 v97, v19, v97, vcc
	v_cndmask_b32_e32 v96, v8, v96, vcc
	v_trig_preop_f64 v[86:87], |v[8:9]|, 1
	v_mul_f64 v[100:101], v[84:85], v[96:97]
	v_mul_f64 v[98:99], v[86:87], v[96:97]
	v_fma_f64 v[84:85], v[84:85], v[96:97], -v[100:101]
	v_add_f64 v[102:103], v[98:99], v[84:85]
	v_add_f64 v[104:105], v[100:101], v[102:103]
	v_ldexp_f64 v[106:107], v[104:105], -2
	v_fract_f64_e32 v[108:109], v[106:107]
	v_cmp_neq_f64_e64 vcc, |v[106:107]|, s[22:23]
	v_cndmask_b32_e32 v107, 0, v109, vcc
	v_cndmask_b32_e32 v106, 0, v108, vcc
	v_add_f64 v[108:109], v[102:103], -v[98:99]
	v_add_f64 v[84:85], v[84:85], -v[108:109]
	;; [unrolled: 1-line block ×4, first 2 shown]
	v_fma_f64 v[86:87], v[86:87], v[96:97], -v[98:99]
	v_trig_preop_f64 v[98:99], |v[8:9]|, 2
	v_add_f64 v[84:85], v[84:85], v[108:109]
	v_mul_f64 v[108:109], v[98:99], v[96:97]
	v_add_f64 v[110:111], v[108:109], v[86:87]
	v_add_f64 v[112:113], v[110:111], v[84:85]
	v_add_f64 v[100:101], v[104:105], -v[100:101]
	v_add_f64 v[104:105], v[112:113], -v[110:111]
	;; [unrolled: 1-line block ×5, first 2 shown]
	v_add_f64 v[84:85], v[84:85], v[104:105]
	v_add_f64 v[104:105], v[110:111], -v[108:109]
	v_add_f64 v[86:87], v[86:87], -v[104:105]
	;; [unrolled: 1-line block ×4, first 2 shown]
	v_add_f64 v[86:87], v[86:87], v[104:105]
	v_add_f64 v[100:101], v[102:103], -v[100:101]
	v_add_f64 v[84:85], v[86:87], v[84:85]
	v_fma_f64 v[86:87], v[98:99], v[96:97], -v[108:109]
	v_add_f64 v[102:103], v[100:101], v[112:113]
	v_add_f64 v[84:85], v[86:87], v[84:85]
	v_ldexp_f64 v[86:87], v[106:107], 2
	v_add_f64 v[96:97], v[102:103], v[86:87]
	v_cmp_gt_f64_e32 vcc, 0, v[96:97]
	v_cndmask_b32_e32 v19, 0, v89, vcc
	v_add_f64 v[86:87], v[86:87], v[18:19]
	v_add_f64 v[96:97], v[102:103], v[86:87]
	v_cvt_i32_f64_e32 v19, v[96:97]
	v_cvt_f64_i32_e32 v[96:97], v19
	v_add_f64 v[86:87], v[86:87], -v[96:97]
	v_add_f64 v[100:101], v[102:103], -v[100:101]
	v_add_f64 v[96:97], v[102:103], v[86:87]
	v_add_f64 v[100:101], v[112:113], -v[100:101]
	v_add_f64 v[86:87], v[96:97], -v[86:87]
	v_cmp_le_f64_e32 vcc, 0.5, v[96:97]
	v_add_f64 v[84:85], v[100:101], v[84:85]
	v_add_f64 v[86:87], v[102:103], -v[86:87]
	v_addc_co_u32_e64 v95, s[8:9], 0, v19, vcc
	v_cndmask_b32_e32 v19, 0, v90, vcc
	v_add_f64 v[84:85], v[84:85], v[86:87]
	v_add_f64 v[86:87], v[96:97], -v[18:19]
	v_add_f64 v[96:97], v[86:87], v[84:85]
	v_add_f64 v[86:87], v[96:97], -v[86:87]
	s_mov_b32 s24, s26
	v_add_f64 v[84:85], v[84:85], -v[86:87]
	v_mul_f64 v[86:87], v[96:97], s[24:25]
	v_fma_f64 v[98:99], v[96:97], s[24:25], -v[86:87]
	s_mov_b32 s31, s29
	v_fmac_f64_e32 v[98:99], s[30:31], v[96:97]
	v_fmac_f64_e32 v[98:99], s[24:25], v[84:85]
	v_add_f64 v[84:85], v[86:87], v[98:99]
	v_add_f64 v[86:87], v[84:85], -v[86:87]
	v_add_f64 v[86:87], v[98:99], -v[86:87]
	s_andn2_saveexec_b64 s[8:9], s[56:57]
	s_cbranch_execnz .LBB156_203
	s_branch .LBB156_204
.LBB156_202:                            ;   in Loop: Header=BB156_161 Depth=1
	s_andn2_saveexec_b64 s[8:9], s[56:57]
	s_cbranch_execz .LBB156_204
.LBB156_203:                            ;   in Loop: Header=BB156_161 Depth=1
	v_mul_f64 v[84:85], |v[8:9]|, s[34:35]
	v_rndne_f64_e32 v[96:97], v[84:85]
	v_fma_f64 v[84:85], v[96:97], s[26:27], |v[8:9]|
	v_mul_f64 v[98:99], v[96:97], s[36:37]
	v_add_f64 v[102:103], v[84:85], v[98:99]
	v_fma_f64 v[86:87], s[36:37], v[96:97], v[84:85]
	s_mov_b32 s28, s36
	v_add_f64 v[84:85], v[84:85], -v[102:103]
	v_fma_f64 v[100:101], s[28:29], v[96:97], v[98:99]
	v_add_f64 v[84:85], v[84:85], v[98:99]
	v_add_f64 v[98:99], v[102:103], -v[86:87]
	v_add_f64 v[84:85], v[98:99], v[84:85]
	v_add_f64 v[98:99], v[84:85], -v[100:101]
	v_fmac_f64_e32 v[98:99], s[38:39], v[96:97]
	v_add_f64 v[84:85], v[86:87], v[98:99]
	v_add_f64 v[86:87], v[84:85], -v[86:87]
	v_add_f64 v[86:87], v[98:99], -v[86:87]
	v_cvt_i32_f64_e32 v95, v[96:97]
.LBB156_204:                            ;   in Loop: Header=BB156_161 Depth=1
	s_or_b64 exec, exec, s[8:9]
	v_mul_f64 v[96:97], v[80:81], v[80:81]
	v_pk_mov_b32 v[104:105], s[70:71], s[70:71] op_sel:[0,1]
	v_mul_f64 v[98:99], v[96:97], 0.5
	v_fma_f64 v[106:107], s[72:73], v[96:97], v[104:105]
	v_add_f64 v[100:101], -v[98:99], 1.0
	v_fma_f64 v[106:107], v[96:97], v[106:107], s[74:75]
	v_add_f64 v[102:103], -v[100:101], 1.0
	v_fma_f64 v[106:107], v[96:97], v[106:107], s[76:77]
	v_add_f64 v[98:99], v[102:103], -v[98:99]
	v_fma_f64 v[106:107], v[96:97], v[106:107], s[78:79]
	v_mul_f64 v[102:103], v[96:97], v[96:97]
	v_fma_f64 v[106:107], v[96:97], v[106:107], s[62:63]
	v_fma_f64 v[98:99], v[80:81], -v[82:83], v[98:99]
	v_fmac_f64_e32 v[98:99], v[102:103], v[106:107]
	v_add_f64 v[98:99], v[100:101], v[98:99]
	v_pk_mov_b32 v[100:101], s[80:81], s[80:81] op_sel:[0,1]
	v_fma_f64 v[102:103], s[82:83], v[96:97], v[100:101]
	v_fma_f64 v[102:103], v[96:97], v[102:103], s[84:85]
	;; [unrolled: 1-line block ×4, first 2 shown]
	v_mul_f64 v[106:107], v[80:81], -v[96:97]
	v_mul_f64 v[108:109], v[82:83], 0.5
	v_fmac_f64_e32 v[108:109], v[106:107], v[102:103]
	v_fma_f64 v[82:83], v[96:97], v[108:109], -v[82:83]
	s_mov_b32 s88, s62
	v_fmac_f64_e32 v[82:83], s[88:89], v[106:107]
	v_and_b32_e32 v19, 1, v94
	v_add_f64 v[80:81], v[80:81], -v[82:83]
	v_cmp_eq_u32_e32 vcc, 0, v19
	v_cndmask_b32_e32 v19, v98, v80, vcc
	v_cndmask_b32_e32 v80, v99, v81, vcc
	v_lshlrev_b32_e32 v81, 30, v94
	v_xor_b32_e32 v81, v81, v9
	v_and_b32_e32 v81, 0x80000000, v81
	v_xor_b32_e32 v80, v80, v81
	v_cmp_class_f64_e64 vcc, v[8:9], s58
	v_cndmask_b32_e32 v9, v93, v80, vcc
	v_mul_f64 v[80:81], v[84:85], v[84:85]
	v_mul_f64 v[82:83], v[80:81], 0.5
	v_fmac_f64_e32 v[104:105], s[72:73], v[80:81]
	v_add_f64 v[96:97], -v[82:83], 1.0
	v_fma_f64 v[102:103], v[80:81], v[104:105], s[74:75]
	v_add_f64 v[98:99], -v[96:97], 1.0
	v_fma_f64 v[102:103], v[80:81], v[102:103], s[76:77]
	v_add_f64 v[82:83], v[98:99], -v[82:83]
	v_fma_f64 v[102:103], v[80:81], v[102:103], s[78:79]
	v_mul_f64 v[98:99], v[80:81], v[80:81]
	v_fma_f64 v[102:103], v[80:81], v[102:103], s[62:63]
	v_fma_f64 v[82:83], v[84:85], -v[86:87], v[82:83]
	v_fmac_f64_e32 v[82:83], v[98:99], v[102:103]
	v_fmac_f64_e32 v[100:101], s[82:83], v[80:81]
	v_add_f64 v[82:83], v[96:97], v[82:83]
	v_fma_f64 v[96:97], v[80:81], v[100:101], s[84:85]
	v_fma_f64 v[96:97], v[80:81], v[96:97], s[86:87]
	;; [unrolled: 1-line block ×3, first 2 shown]
	v_mul_f64 v[98:99], v[84:85], -v[80:81]
	v_mul_f64 v[100:101], v[86:87], 0.5
	v_fmac_f64_e32 v[100:101], v[98:99], v[96:97]
	v_fma_f64 v[80:81], v[80:81], v[100:101], -v[86:87]
	v_fmac_f64_e32 v[80:81], s[88:89], v[98:99]
	v_add_f64 v[80:81], v[84:85], -v[80:81]
	v_cndmask_b32_e32 v8, 0, v19, vcc
	v_xor_b32_e32 v19, 0x80000000, v81
	v_and_b32_e32 v81, 1, v95
	v_cmp_eq_u32_e64 s[8:9], 0, v81
	v_lshlrev_b32_e32 v81, 30, v95
	v_cndmask_b32_e64 v19, v19, v83, s[8:9]
	v_and_b32_e32 v81, 0x80000000, v81
	v_cndmask_b32_e64 v80, v80, v82, s[8:9]
	v_xor_b32_e32 v19, v19, v81
	v_cndmask_b32_e32 v80, 0, v80, vcc
	v_cndmask_b32_e32 v81, v93, v19, vcc
	v_mul_f64 v[8:9], v[8:9], v[80:81]
.LBB156_205:                            ;   in Loop: Header=BB156_161 Depth=1
	s_or_b64 exec, exec, s[94:95]
	v_add_co_u32_e32 v6, vcc, 0, v6
	v_bfi_b32 v19, s46, 0, v9
	v_addc_co_u32_e32 v7, vcc, -2.0, v7, vcc
	v_pk_mov_b32 v[8:9], v[18:19], v[18:19] op_sel:[0,1]
.LBB156_206:                            ;   in Loop: Header=BB156_161 Depth=1
	s_or_b64 exec, exec, s[54:55]
.LBB156_207:                            ;   in Loop: Header=BB156_161 Depth=1
	s_or_b64 exec, exec, s[40:41]
	v_and_b32_e32 v84, 0x7fffffff, v3
	v_cmp_gt_u32_e32 vcc, s47, v84
	s_and_saveexec_b64 s[8:9], vcc
	s_xor_b64 s[94:95], exec, s[8:9]
	s_cbranch_execz .LBB156_229
; %bb.208:                              ;   in Loop: Header=BB156_161 Depth=1
	v_cmp_class_f64_e64 s[8:9], v[4:5], s58
	s_and_saveexec_b64 s[40:41], s[8:9]
	s_xor_b64 s[40:41], exec, s[40:41]
	s_cbranch_execz .LBB156_226
; %bb.209:                              ;   in Loop: Header=BB156_161 Depth=1
	s_mov_b32 s8, 0x40360000
	v_cmp_gt_u32_e32 vcc, s8, v84
	s_and_saveexec_b64 s[8:9], vcc
	s_xor_b64 s[54:55], exec, s[8:9]
	s_cbranch_execz .LBB156_215
; %bb.210:                              ;   in Loop: Header=BB156_161 Depth=1
	v_cmp_nlt_f64_e64 s[8:9], |v[4:5]|, s[18:19]
                                        ; implicit-def: $vgpr85
                                        ; implicit-def: $vgpr80_vgpr81
                                        ; implicit-def: $vgpr82_vgpr83
	s_and_saveexec_b64 s[56:57], s[8:9]
	s_xor_b64 s[56:57], exec, s[56:57]
	s_cbranch_execz .LBB156_212
; %bb.211:                              ;   in Loop: Header=BB156_161 Depth=1
	v_and_b32_e32 v19, 0x7fffffff, v5
	v_ldexp_f64 v[86:87], |v[4:5]|, s59
	v_cmp_ge_f64_e64 vcc, |v[4:5]|, s[20:21]
	v_trig_preop_f64 v[80:81], |v[4:5]|, 0
	v_cndmask_b32_e32 v87, v19, v87, vcc
	v_cndmask_b32_e32 v86, v4, v86, vcc
	v_trig_preop_f64 v[82:83], |v[4:5]|, 1
	v_mul_f64 v[96:97], v[80:81], v[86:87]
	v_mul_f64 v[94:95], v[82:83], v[86:87]
	v_fma_f64 v[80:81], v[80:81], v[86:87], -v[96:97]
	v_add_f64 v[98:99], v[94:95], v[80:81]
	v_add_f64 v[100:101], v[96:97], v[98:99]
	v_ldexp_f64 v[102:103], v[100:101], -2
	v_fract_f64_e32 v[104:105], v[102:103]
	v_cmp_neq_f64_e64 vcc, |v[102:103]|, s[22:23]
	v_cndmask_b32_e32 v103, 0, v105, vcc
	v_cndmask_b32_e32 v102, 0, v104, vcc
	v_add_f64 v[104:105], v[98:99], -v[94:95]
	v_add_f64 v[80:81], v[80:81], -v[104:105]
	;; [unrolled: 1-line block ×4, first 2 shown]
	v_fma_f64 v[82:83], v[82:83], v[86:87], -v[94:95]
	v_trig_preop_f64 v[94:95], |v[4:5]|, 2
	v_add_f64 v[80:81], v[80:81], v[104:105]
	v_mul_f64 v[104:105], v[94:95], v[86:87]
	v_add_f64 v[106:107], v[104:105], v[82:83]
	v_add_f64 v[108:109], v[106:107], v[80:81]
	v_add_f64 v[96:97], v[100:101], -v[96:97]
	v_add_f64 v[100:101], v[108:109], -v[106:107]
	;; [unrolled: 1-line block ×5, first 2 shown]
	v_add_f64 v[80:81], v[80:81], v[100:101]
	v_add_f64 v[100:101], v[106:107], -v[104:105]
	v_add_f64 v[82:83], v[82:83], -v[100:101]
	v_add_f64 v[100:101], v[106:107], -v[100:101]
	v_add_f64 v[100:101], v[104:105], -v[100:101]
	v_add_f64 v[82:83], v[82:83], v[100:101]
	v_add_f64 v[96:97], v[98:99], -v[96:97]
	v_add_f64 v[80:81], v[82:83], v[80:81]
	v_fma_f64 v[82:83], v[94:95], v[86:87], -v[104:105]
	v_add_f64 v[98:99], v[96:97], v[108:109]
	v_add_f64 v[80:81], v[82:83], v[80:81]
	v_ldexp_f64 v[82:83], v[102:103], 2
	v_add_f64 v[86:87], v[98:99], v[82:83]
	v_cmp_gt_f64_e32 vcc, 0, v[86:87]
	v_cndmask_b32_e32 v19, 0, v89, vcc
	v_add_f64 v[82:83], v[82:83], v[18:19]
	v_add_f64 v[86:87], v[98:99], v[82:83]
	v_cvt_i32_f64_e32 v19, v[86:87]
	v_cvt_f64_i32_e32 v[86:87], v19
	v_add_f64 v[82:83], v[82:83], -v[86:87]
	v_add_f64 v[96:97], v[98:99], -v[96:97]
	v_add_f64 v[86:87], v[98:99], v[82:83]
	v_add_f64 v[96:97], v[108:109], -v[96:97]
	v_add_f64 v[82:83], v[86:87], -v[82:83]
	v_cmp_le_f64_e32 vcc, 0.5, v[86:87]
	v_add_f64 v[80:81], v[96:97], v[80:81]
	v_add_f64 v[82:83], v[98:99], -v[82:83]
	v_addc_co_u32_e64 v85, s[8:9], 0, v19, vcc
	v_cndmask_b32_e32 v19, 0, v90, vcc
	v_add_f64 v[80:81], v[80:81], v[82:83]
	v_add_f64 v[82:83], v[86:87], -v[18:19]
	v_add_f64 v[86:87], v[82:83], v[80:81]
	v_add_f64 v[82:83], v[86:87], -v[82:83]
	s_mov_b32 s24, s26
	v_add_f64 v[80:81], v[80:81], -v[82:83]
	v_mul_f64 v[82:83], v[86:87], s[24:25]
	v_fma_f64 v[94:95], v[86:87], s[24:25], -v[82:83]
	s_mov_b32 s31, s29
	v_fmac_f64_e32 v[94:95], s[30:31], v[86:87]
	v_fmac_f64_e32 v[94:95], s[24:25], v[80:81]
	v_add_f64 v[80:81], v[82:83], v[94:95]
	v_add_f64 v[82:83], v[80:81], -v[82:83]
	v_add_f64 v[82:83], v[94:95], -v[82:83]
.LBB156_212:                            ;   in Loop: Header=BB156_161 Depth=1
	s_andn2_saveexec_b64 s[8:9], s[56:57]
	s_cbranch_execz .LBB156_214
; %bb.213:                              ;   in Loop: Header=BB156_161 Depth=1
	v_mul_f64 v[80:81], |v[4:5]|, s[34:35]
	v_rndne_f64_e32 v[86:87], v[80:81]
	v_fma_f64 v[80:81], v[86:87], s[26:27], |v[4:5]|
	v_mul_f64 v[94:95], v[86:87], s[36:37]
	v_add_f64 v[98:99], v[80:81], v[94:95]
	v_fma_f64 v[82:83], s[36:37], v[86:87], v[80:81]
	s_mov_b32 s28, s36
	v_add_f64 v[80:81], v[80:81], -v[98:99]
	v_fma_f64 v[96:97], s[28:29], v[86:87], v[94:95]
	v_add_f64 v[80:81], v[80:81], v[94:95]
	v_add_f64 v[94:95], v[98:99], -v[82:83]
	v_add_f64 v[80:81], v[94:95], v[80:81]
	v_add_f64 v[94:95], v[80:81], -v[96:97]
	v_fmac_f64_e32 v[94:95], s[38:39], v[86:87]
	v_add_f64 v[80:81], v[82:83], v[94:95]
	v_add_f64 v[82:83], v[80:81], -v[82:83]
	v_add_f64 v[82:83], v[94:95], -v[82:83]
	v_cvt_i32_f64_e32 v85, v[86:87]
.LBB156_214:                            ;   in Loop: Header=BB156_161 Depth=1
	s_or_b64 exec, exec, s[8:9]
	v_mul_f64 v[86:87], v[80:81], v[80:81]
	v_fma_f64 v[94:95], v[80:81], v[80:81], -v[86:87]
	v_add_f64 v[96:97], v[82:83], v[82:83]
	v_fmac_f64_e32 v[94:95], v[80:81], v[96:97]
	s_mov_b32 s8, 0xc751c08c
	v_add_f64 v[86:87], v[86:87], v[94:95]
	v_pk_mov_b32 v[94:95], v[30:31], v[30:31] op_sel:[0,1]
	s_mov_b32 s9, 0x3ef5e089
	v_fmac_f64_e32 v[94:95], s[8:9], v[86:87]
	v_pk_mov_b32 v[96:97], v[32:33], v[32:33] op_sel:[0,1]
	v_fmac_f64_e32 v[96:97], v[86:87], v[94:95]
	v_pk_mov_b32 v[94:95], v[34:35], v[34:35] op_sel:[0,1]
	;; [unrolled: 2-line block ×12, first 2 shown]
	v_fmac_f64_e32 v[94:95], v[86:87], v[96:97]
	v_mul_f64 v[86:87], v[86:87], v[94:95]
	v_mul_f64 v[94:95], v[80:81], v[86:87]
	v_add_f64 v[96:97], v[80:81], v[94:95]
	v_fma_f64 v[86:87], v[80:81], v[86:87], -v[94:95]
	v_add_f64 v[80:81], v[96:97], -v[80:81]
	v_add_f64 v[80:81], v[94:95], -v[80:81]
	v_add_f64 v[82:83], v[82:83], v[86:87]
	v_add_f64 v[80:81], v[82:83], v[80:81]
	v_add_f64 v[82:83], v[96:97], v[80:81]
	v_rcp_f64_e32 v[86:87], v[82:83]
	v_add_f64 v[94:95], v[82:83], -v[96:97]
	v_add_f64 v[80:81], v[80:81], -v[94:95]
	v_and_b32_e32 v4, 1, v85
	v_fma_f64 v[94:95], -v[82:83], v[86:87], 1.0
	v_fmac_f64_e32 v[86:87], v[94:95], v[86:87]
	v_fma_f64 v[94:95], -v[82:83], v[86:87], 1.0
	v_fmac_f64_e32 v[86:87], v[94:95], v[86:87]
	v_mul_f64 v[94:95], v[82:83], v[86:87]
	v_fma_f64 v[96:97], v[86:87], v[82:83], -v[94:95]
	v_fmac_f64_e32 v[96:97], v[86:87], v[80:81]
	v_add_f64 v[80:81], v[94:95], v[96:97]
	v_add_f64 v[98:99], -v[80:81], 1.0
	v_add_f64 v[94:95], v[80:81], -v[94:95]
	v_add_f64 v[100:101], -v[98:99], 1.0
	v_add_f64 v[80:81], v[100:101], -v[80:81]
	v_add_f64 v[94:95], v[94:95], -v[96:97]
	v_add_f64 v[80:81], v[94:95], v[80:81]
	v_add_f64 v[80:81], v[98:99], v[80:81]
	v_mul_f64 v[80:81], v[86:87], v[80:81]
	v_add_f64 v[80:81], v[86:87], v[80:81]
	v_cmp_eq_u32_e32 vcc, 0, v4
	v_xor_b32_e32 v19, 0x80000000, v81
	v_cndmask_b32_e32 v4, v80, v82, vcc
	v_add_f64 v[80:81], |v[2:3]|, s[42:43]
	v_cndmask_b32_e32 v19, v19, v83, vcc
	v_add_f64 v[82:83], v[80:81], -|v[2:3]|
	v_add_f64 v[86:87], v[82:83], -v[80:81]
	s_mov_b32 s44, s42
	v_add_f64 v[86:87], |v[2:3]|, v[86:87]
	v_add_f64 v[82:83], v[82:83], s[44:45]
	s_mov_b32 s8, 0x3b39803f
	v_add_f64 v[82:83], v[86:87], -v[82:83]
	s_mov_b32 s9, 0xbc7abc9e
	v_add_f64 v[82:83], v[82:83], s[8:9]
	v_add_f64 v[86:87], v[80:81], v[82:83]
	s_mov_b32 s8, 0x652b82fe
	v_add_f64 v[80:81], v[80:81], -v[86:87]
	s_mov_b32 s9, 0xbff71547
	s_mov_b32 s48, s8
	v_add_f64 v[80:81], v[82:83], v[80:81]
	v_mul_f64 v[82:83], v[86:87], s[48:49]
	v_rndne_f64_e32 v[82:83], v[82:83]
	s_mov_b32 s53, s43
	v_fmac_f64_e32 v[86:87], s[52:53], v[82:83]
	v_add_f64 v[94:95], v[80:81], v[86:87]
	s_mov_b32 s8, 0xf278e000
	v_add_f64 v[86:87], v[86:87], -v[94:95]
	s_mov_b32 s9, 0xbd53de6a
	v_add_f64 v[80:81], v[80:81], v[86:87]
	v_mul_f64 v[86:87], v[82:83], s[8:9]
	v_add_f64 v[96:97], v[94:95], v[86:87]
	v_add_f64 v[94:95], v[94:95], -v[96:97]
	v_add_f64 v[86:87], v[94:95], v[86:87]
	v_add_f64 v[80:81], v[80:81], v[86:87]
	;; [unrolled: 1-line block ×3, first 2 shown]
	s_mov_b32 s8, 0xf97b57a0
	v_add_f64 v[94:95], v[96:97], -v[86:87]
	s_mov_b32 s9, 0xbac9cc01
	v_add_f64 v[80:81], v[80:81], v[94:95]
	v_mul_f64 v[94:95], v[82:83], s[8:9]
	v_add_f64 v[96:97], v[86:87], v[94:95]
	v_add_f64 v[86:87], v[86:87], -v[96:97]
	v_add_f64 v[86:87], v[86:87], v[94:95]
	v_add_f64 v[80:81], v[80:81], v[86:87]
	;; [unrolled: 1-line block ×3, first 2 shown]
	v_add_f64 v[94:95], v[96:97], -v[86:87]
	s_mov_b32 s8, 0x6a5dcb37
	v_add_f64 v[80:81], v[80:81], v[94:95]
	v_pk_mov_b32 v[94:95], v[56:57], v[56:57] op_sel:[0,1]
	s_mov_b32 s9, 0x3e5ade15
	v_fmac_f64_e32 v[94:95], s[8:9], v[86:87]
	v_pk_mov_b32 v[96:97], v[58:59], v[58:59] op_sel:[0,1]
	v_fmac_f64_e32 v[96:97], v[86:87], v[94:95]
	v_pk_mov_b32 v[94:95], v[60:61], v[60:61] op_sel:[0,1]
	v_fmac_f64_e32 v[94:95], v[86:87], v[96:97]
	v_pk_mov_b32 v[96:97], v[62:63], v[62:63] op_sel:[0,1]
	v_fmac_f64_e32 v[96:97], v[86:87], v[94:95]
	v_pk_mov_b32 v[94:95], v[64:65], v[64:65] op_sel:[0,1]
	v_fmac_f64_e32 v[94:95], v[86:87], v[96:97]
	v_pk_mov_b32 v[96:97], v[66:67], v[66:67] op_sel:[0,1]
	v_fmac_f64_e32 v[96:97], v[86:87], v[94:95]
	v_pk_mov_b32 v[94:95], v[68:69], v[68:69] op_sel:[0,1]
	v_fmac_f64_e32 v[94:95], v[86:87], v[96:97]
	v_pk_mov_b32 v[96:97], v[70:71], v[70:71] op_sel:[0,1]
	v_fmac_f64_e32 v[96:97], v[86:87], v[94:95]
	v_pk_mov_b32 v[94:95], v[72:73], v[72:73] op_sel:[0,1]
	v_fmac_f64_e32 v[94:95], v[86:87], v[96:97]
	v_mul_f64 v[96:97], v[86:87], v[86:87]
	v_fma_f64 v[98:99], v[86:87], v[86:87], -v[96:97]
	v_add_f64 v[100:101], v[80:81], v[80:81]
	v_fmac_f64_e32 v[98:99], v[86:87], v[100:101]
	v_add_f64 v[100:101], v[96:97], v[98:99]
	v_add_f64 v[96:97], v[100:101], -v[96:97]
	v_add_f64 v[96:97], v[98:99], -v[96:97]
	v_mul_f64 v[98:99], v[100:101], v[94:95]
	v_fma_f64 v[100:101], v[100:101], v[94:95], -v[98:99]
	v_fmac_f64_e32 v[100:101], v[96:97], v[94:95]
	v_add_f64 v[94:95], v[98:99], v[100:101]
	v_add_f64 v[96:97], v[94:95], -v[98:99]
	v_add_f64 v[98:99], v[86:87], v[94:95]
	v_add_f64 v[96:97], v[100:101], -v[96:97]
	v_add_f64 v[86:87], v[98:99], -v[86:87]
	;; [unrolled: 1-line block ×3, first 2 shown]
	v_add_f64 v[80:81], v[80:81], v[96:97]
	v_add_f64 v[80:81], v[80:81], v[86:87]
	;; [unrolled: 1-line block ×3, first 2 shown]
	v_add_f64 v[94:95], v[86:87], -v[98:99]
	v_add_f64 v[80:81], v[80:81], -v[94:95]
	v_add_f64 v[94:95], v[86:87], 1.0
	v_add_f64 v[96:97], v[94:95], -1.0
	v_add_f64 v[86:87], v[86:87], -v[96:97]
	v_add_f64 v[80:81], v[80:81], v[86:87]
	v_add_f64 v[86:87], v[94:95], v[80:81]
	v_cvt_i32_f64_e32 v85, v[82:83]
	v_ldexp_f64 v[82:83], v[86:87], v85
	v_rcp_f64_e32 v[96:97], v[82:83]
	v_add_f64 v[86:87], v[86:87], -v[94:95]
	v_add_f64 v[80:81], v[80:81], -v[86:87]
	v_ldexp_f64 v[80:81], v[80:81], v85
	v_fma_f64 v[86:87], -v[82:83], v[96:97], 1.0
	v_fmac_f64_e32 v[96:97], v[86:87], v[96:97]
	v_fma_f64 v[86:87], -v[82:83], v[96:97], 1.0
	v_fmac_f64_e32 v[96:97], v[86:87], v[96:97]
	v_mul_f64 v[86:87], v[82:83], v[96:97]
	v_fma_f64 v[94:95], v[96:97], v[82:83], -v[86:87]
	v_fmac_f64_e32 v[94:95], v[96:97], v[80:81]
	v_add_f64 v[98:99], v[86:87], v[94:95]
	v_add_f64 v[100:101], -v[98:99], 1.0
	v_add_f64 v[86:87], v[98:99], -v[86:87]
	v_add_f64 v[102:103], -v[100:101], 1.0
	v_add_f64 v[98:99], v[102:103], -v[98:99]
	v_add_f64 v[86:87], v[86:87], -v[94:95]
	v_add_f64 v[86:87], v[86:87], v[98:99]
	v_add_f64 v[94:95], v[100:101], v[86:87]
	v_add_f64 v[98:99], v[100:101], -v[94:95]
	v_add_f64 v[86:87], v[86:87], v[98:99]
	v_mul_f64 v[98:99], v[96:97], v[94:95]
	v_mul_f64 v[100:101], v[82:83], v[98:99]
	v_fma_f64 v[102:103], v[98:99], v[82:83], -v[100:101]
	v_fmac_f64_e32 v[102:103], v[98:99], v[80:81]
	v_add_f64 v[104:105], v[100:101], v[102:103]
	v_add_f64 v[106:107], v[94:95], -v[104:105]
	v_add_f64 v[94:95], v[94:95], -v[106:107]
	;; [unrolled: 1-line block ×4, first 2 shown]
	v_add_f64 v[86:87], v[86:87], v[94:95]
	v_add_f64 v[94:95], v[100:101], -v[102:103]
	v_add_f64 v[86:87], v[94:95], v[86:87]
	v_add_f64 v[86:87], v[106:107], v[86:87]
	;; [unrolled: 1-line block ×3, first 2 shown]
	v_mul_f64 v[86:87], v[96:97], v[86:87]
	v_add_f64 v[96:97], v[94:95], -v[96:97]
	v_add_f64 v[96:97], v[98:99], -v[96:97]
	v_add_f64 v[86:87], v[96:97], v[86:87]
	v_add_f64 v[96:97], v[94:95], v[86:87]
	v_add_f64 v[94:95], v[96:97], -v[94:95]
	v_add_f64 v[86:87], v[86:87], -v[94:95]
	v_ldexp_f64 v[94:95], v[96:97], -2
	v_add_f64 v[96:97], v[82:83], -v[94:95]
	v_add_f64 v[82:83], v[82:83], -v[96:97]
	;; [unrolled: 1-line block ×3, first 2 shown]
	s_mov_b32 s8, 0x8fb9f87e
	v_ldexp_f64 v[86:87], v[86:87], -2
	v_add_f64 v[80:81], v[80:81], v[82:83]
	s_mov_b32 s9, 0x408633ce
	v_add_f64 v[80:81], v[80:81], -v[86:87]
	v_cmp_nge_f64_e64 vcc, |v[2:3]|, s[8:9]
	s_mov_b32 s8, 0
	v_add_f64 v[80:81], v[96:97], v[80:81]
	s_mov_b32 s9, 0x3e400000
	v_cndmask_b32_e32 v81, v91, v81, vcc
	v_cndmask_b32_e32 v80, 0, v80, vcc
	v_cmp_lt_f64_e64 vcc, |v[2:3]|, s[8:9]
	v_cndmask_b32_e32 v2, v80, v2, vcc
	v_cndmask_b32_e32 v80, v81, v84, vcc
	v_bfi_b32 v3, s46, v80, v3
	s_mov_b32 s8, 0
	v_fma_f64 v[80:81], v[2:3], v[2:3], 1.0
	s_brev_b32 s9, 8
	v_cmp_gt_f64_e32 vcc, s[8:9], v[80:81]
	v_cndmask_b32_e64 v82, 0, 1, vcc
	v_lshlrev_b32_e32 v82, 8, v82
	v_ldexp_f64 v[80:81], v[80:81], v82
	v_rsq_f64_e32 v[82:83], v[80:81]
	v_and_b32_e32 v5, 0x80000000, v5
	v_xor_b32_e32 v5, v19, v5
	v_cndmask_b32_e32 v19, 0, v92, vcc
	v_mul_f64 v[86:87], v[80:81], v[82:83]
	v_mul_f64 v[82:83], v[82:83], 0.5
	v_fma_f64 v[94:95], -v[82:83], v[86:87], 0.5
	v_fmac_f64_e32 v[86:87], v[86:87], v[94:95]
	v_fma_f64 v[96:97], -v[86:87], v[86:87], v[80:81]
	v_fmac_f64_e32 v[82:83], v[82:83], v[94:95]
	v_fmac_f64_e32 v[86:87], v[96:97], v[82:83]
	v_fma_f64 v[94:95], -v[86:87], v[86:87], v[80:81]
	v_fmac_f64_e32 v[86:87], v[94:95], v[82:83]
	v_ldexp_f64 v[82:83], v[86:87], v19
	v_cmp_class_f64_e32 vcc, v[80:81], v88
	v_fma_f64 v[84:85], v[4:5], v[4:5], 1.0
	v_cndmask_b32_e32 v81, v83, v81, vcc
	v_cndmask_b32_e32 v80, v82, v80, vcc
	v_mul_f64 v[82:83], v[2:3], v[84:85]
	v_mul_f64 v[80:81], v[80:81], v[84:85]
	v_fma_f64 v[82:83], v[2:3], v[82:83], 1.0
	v_mul_f64 v[2:3], v[2:3], v[80:81]
	v_div_scale_f64 v[80:81], s[8:9], v[82:83], v[82:83], v[2:3]
	v_rcp_f64_e32 v[84:85], v[80:81]
	v_fma_f64 v[86:87], -v[80:81], v[84:85], 1.0
	v_fmac_f64_e32 v[84:85], v[84:85], v[86:87]
	v_fma_f64 v[86:87], -v[80:81], v[84:85], 1.0
	v_fmac_f64_e32 v[84:85], v[84:85], v[86:87]
	v_div_scale_f64 v[86:87], vcc, v[2:3], v[82:83], v[2:3]
	v_mul_f64 v[94:95], v[86:87], v[84:85]
	v_fma_f64 v[80:81], -v[80:81], v[94:95], v[86:87]
	v_div_scale_f64 v[86:87], s[8:9], v[82:83], v[82:83], v[4:5]
	v_rcp_f64_e32 v[96:97], v[86:87]
	v_div_fmas_f64 v[80:81], v[80:81], v[84:85], v[94:95]
	v_div_fixup_f64 v[2:3], v[80:81], v[82:83], v[2:3]
	v_fma_f64 v[80:81], -v[86:87], v[96:97], 1.0
	v_fmac_f64_e32 v[96:97], v[96:97], v[80:81]
	v_fma_f64 v[80:81], -v[86:87], v[96:97], 1.0
	v_fmac_f64_e32 v[96:97], v[96:97], v[80:81]
	v_div_scale_f64 v[80:81], vcc, v[4:5], v[82:83], v[4:5]
	v_mul_f64 v[84:85], v[80:81], v[96:97]
	v_fma_f64 v[80:81], -v[86:87], v[84:85], v[80:81]
	s_nop 1
	v_div_fmas_f64 v[80:81], v[80:81], v[96:97], v[84:85]
	v_div_fixup_f64 v[4:5], v[80:81], v[82:83], v[4:5]
.LBB156_215:                            ;   in Loop: Header=BB156_161 Depth=1
	s_andn2_saveexec_b64 s[54:55], s[54:55]
	s_cbranch_execz .LBB156_225
; %bb.216:                              ;   in Loop: Header=BB156_161 Depth=1
	v_cmp_nlt_f64_e64 s[56:57], |v[4:5]|, s[18:19]
                                        ; implicit-def: $vgpr94
                                        ; implicit-def: $vgpr80_vgpr81
                                        ; implicit-def: $vgpr82_vgpr83
	s_and_saveexec_b64 s[8:9], s[56:57]
	s_xor_b64 s[64:65], exec, s[8:9]
	s_cbranch_execz .LBB156_218
; %bb.217:                              ;   in Loop: Header=BB156_161 Depth=1
	v_and_b32_e32 v19, 0x7fffffff, v5
	v_ldexp_f64 v[84:85], |v[4:5]|, s59
	v_cmp_ge_f64_e64 vcc, |v[4:5]|, s[20:21]
	v_trig_preop_f64 v[80:81], |v[4:5]|, 0
	v_cndmask_b32_e32 v85, v19, v85, vcc
	v_cndmask_b32_e32 v84, v4, v84, vcc
	v_trig_preop_f64 v[82:83], |v[4:5]|, 1
	v_mul_f64 v[94:95], v[80:81], v[84:85]
	v_mul_f64 v[86:87], v[82:83], v[84:85]
	v_fma_f64 v[80:81], v[80:81], v[84:85], -v[94:95]
	v_add_f64 v[96:97], v[86:87], v[80:81]
	v_add_f64 v[98:99], v[94:95], v[96:97]
	v_ldexp_f64 v[100:101], v[98:99], -2
	v_fract_f64_e32 v[102:103], v[100:101]
	v_cmp_neq_f64_e64 vcc, |v[100:101]|, s[22:23]
	v_cndmask_b32_e32 v101, 0, v103, vcc
	v_cndmask_b32_e32 v100, 0, v102, vcc
	v_add_f64 v[102:103], v[96:97], -v[86:87]
	v_add_f64 v[80:81], v[80:81], -v[102:103]
	v_add_f64 v[102:103], v[96:97], -v[102:103]
	v_add_f64 v[102:103], v[86:87], -v[102:103]
	v_fma_f64 v[82:83], v[82:83], v[84:85], -v[86:87]
	v_trig_preop_f64 v[86:87], |v[4:5]|, 2
	v_add_f64 v[80:81], v[80:81], v[102:103]
	v_mul_f64 v[102:103], v[86:87], v[84:85]
	v_add_f64 v[104:105], v[102:103], v[82:83]
	v_add_f64 v[106:107], v[104:105], v[80:81]
	v_add_f64 v[94:95], v[98:99], -v[94:95]
	v_add_f64 v[98:99], v[106:107], -v[104:105]
	;; [unrolled: 1-line block ×5, first 2 shown]
	v_add_f64 v[80:81], v[80:81], v[98:99]
	v_add_f64 v[98:99], v[104:105], -v[102:103]
	v_add_f64 v[82:83], v[82:83], -v[98:99]
	v_add_f64 v[98:99], v[104:105], -v[98:99]
	v_add_f64 v[98:99], v[102:103], -v[98:99]
	v_add_f64 v[82:83], v[82:83], v[98:99]
	v_add_f64 v[94:95], v[96:97], -v[94:95]
	v_add_f64 v[80:81], v[82:83], v[80:81]
	v_fma_f64 v[82:83], v[86:87], v[84:85], -v[102:103]
	v_add_f64 v[96:97], v[94:95], v[106:107]
	v_add_f64 v[80:81], v[82:83], v[80:81]
	v_ldexp_f64 v[82:83], v[100:101], 2
	v_add_f64 v[84:85], v[96:97], v[82:83]
	v_cmp_gt_f64_e32 vcc, 0, v[84:85]
	v_cndmask_b32_e32 v19, 0, v89, vcc
	v_add_f64 v[82:83], v[82:83], v[18:19]
	v_add_f64 v[84:85], v[96:97], v[82:83]
	v_cvt_i32_f64_e32 v19, v[84:85]
	v_cvt_f64_i32_e32 v[84:85], v19
	v_add_f64 v[82:83], v[82:83], -v[84:85]
	v_add_f64 v[94:95], v[96:97], -v[94:95]
	v_add_f64 v[84:85], v[96:97], v[82:83]
	v_add_f64 v[94:95], v[106:107], -v[94:95]
	v_add_f64 v[82:83], v[84:85], -v[82:83]
	v_cmp_le_f64_e32 vcc, 0.5, v[84:85]
	v_add_f64 v[80:81], v[94:95], v[80:81]
	v_add_f64 v[82:83], v[96:97], -v[82:83]
	v_addc_co_u32_e64 v94, s[8:9], 0, v19, vcc
	v_cndmask_b32_e32 v19, 0, v90, vcc
	v_add_f64 v[80:81], v[80:81], v[82:83]
	v_add_f64 v[82:83], v[84:85], -v[18:19]
	v_add_f64 v[84:85], v[82:83], v[80:81]
	v_add_f64 v[82:83], v[84:85], -v[82:83]
	s_mov_b32 s24, s26
	v_add_f64 v[80:81], v[80:81], -v[82:83]
	v_mul_f64 v[82:83], v[84:85], s[24:25]
	v_fma_f64 v[86:87], v[84:85], s[24:25], -v[82:83]
	s_mov_b32 s31, s29
	v_fmac_f64_e32 v[86:87], s[30:31], v[84:85]
	v_fmac_f64_e32 v[86:87], s[24:25], v[80:81]
	v_add_f64 v[80:81], v[82:83], v[86:87]
	v_add_f64 v[82:83], v[80:81], -v[82:83]
	v_add_f64 v[82:83], v[86:87], -v[82:83]
	s_andn2_saveexec_b64 s[8:9], s[64:65]
	s_cbranch_execz .LBB156_220
	s_branch .LBB156_219
.LBB156_218:                            ;   in Loop: Header=BB156_161 Depth=1
	s_andn2_saveexec_b64 s[8:9], s[64:65]
	s_cbranch_execz .LBB156_220
.LBB156_219:                            ;   in Loop: Header=BB156_161 Depth=1
	v_mul_f64 v[80:81], |v[4:5]|, s[34:35]
	v_rndne_f64_e32 v[84:85], v[80:81]
	v_fma_f64 v[80:81], v[84:85], s[26:27], |v[4:5]|
	v_mul_f64 v[86:87], v[84:85], s[36:37]
	v_add_f64 v[96:97], v[80:81], v[86:87]
	v_fma_f64 v[82:83], s[36:37], v[84:85], v[80:81]
	s_mov_b32 s28, s36
	v_add_f64 v[80:81], v[80:81], -v[96:97]
	v_fma_f64 v[94:95], s[28:29], v[84:85], v[86:87]
	v_add_f64 v[80:81], v[80:81], v[86:87]
	v_add_f64 v[86:87], v[96:97], -v[82:83]
	v_add_f64 v[80:81], v[86:87], v[80:81]
	v_add_f64 v[86:87], v[80:81], -v[94:95]
	v_fmac_f64_e32 v[86:87], s[38:39], v[84:85]
	v_add_f64 v[80:81], v[82:83], v[86:87]
	v_add_f64 v[82:83], v[80:81], -v[82:83]
	v_add_f64 v[82:83], v[86:87], -v[82:83]
	v_cvt_i32_f64_e32 v94, v[84:85]
.LBB156_220:                            ;   in Loop: Header=BB156_161 Depth=1
	s_or_b64 exec, exec, s[8:9]
                                        ; implicit-def: $vgpr95
                                        ; implicit-def: $vgpr84_vgpr85
                                        ; implicit-def: $vgpr86_vgpr87
	s_and_saveexec_b64 s[8:9], s[56:57]
	s_xor_b64 s[56:57], exec, s[8:9]
	s_cbranch_execz .LBB156_222
; %bb.221:                              ;   in Loop: Header=BB156_161 Depth=1
	v_and_b32_e32 v19, 0x7fffffff, v5
	v_ldexp_f64 v[96:97], |v[4:5]|, s59
	v_cmp_ge_f64_e64 vcc, |v[4:5]|, s[20:21]
	v_trig_preop_f64 v[84:85], |v[4:5]|, 0
	v_cndmask_b32_e32 v97, v19, v97, vcc
	v_cndmask_b32_e32 v96, v4, v96, vcc
	v_trig_preop_f64 v[86:87], |v[4:5]|, 1
	v_mul_f64 v[100:101], v[84:85], v[96:97]
	v_mul_f64 v[98:99], v[86:87], v[96:97]
	v_fma_f64 v[84:85], v[84:85], v[96:97], -v[100:101]
	v_add_f64 v[102:103], v[98:99], v[84:85]
	v_add_f64 v[104:105], v[100:101], v[102:103]
	v_ldexp_f64 v[106:107], v[104:105], -2
	v_fract_f64_e32 v[108:109], v[106:107]
	v_cmp_neq_f64_e64 vcc, |v[106:107]|, s[22:23]
	v_cndmask_b32_e32 v107, 0, v109, vcc
	v_cndmask_b32_e32 v106, 0, v108, vcc
	v_add_f64 v[108:109], v[102:103], -v[98:99]
	v_add_f64 v[84:85], v[84:85], -v[108:109]
	;; [unrolled: 1-line block ×4, first 2 shown]
	v_fma_f64 v[86:87], v[86:87], v[96:97], -v[98:99]
	v_trig_preop_f64 v[98:99], |v[4:5]|, 2
	v_add_f64 v[84:85], v[84:85], v[108:109]
	v_mul_f64 v[108:109], v[98:99], v[96:97]
	v_add_f64 v[110:111], v[108:109], v[86:87]
	v_add_f64 v[112:113], v[110:111], v[84:85]
	v_add_f64 v[100:101], v[104:105], -v[100:101]
	v_add_f64 v[104:105], v[112:113], -v[110:111]
	;; [unrolled: 1-line block ×5, first 2 shown]
	v_add_f64 v[84:85], v[84:85], v[104:105]
	v_add_f64 v[104:105], v[110:111], -v[108:109]
	v_add_f64 v[86:87], v[86:87], -v[104:105]
	;; [unrolled: 1-line block ×4, first 2 shown]
	v_add_f64 v[86:87], v[86:87], v[104:105]
	v_add_f64 v[100:101], v[102:103], -v[100:101]
	v_add_f64 v[84:85], v[86:87], v[84:85]
	v_fma_f64 v[86:87], v[98:99], v[96:97], -v[108:109]
	v_add_f64 v[102:103], v[100:101], v[112:113]
	v_add_f64 v[84:85], v[86:87], v[84:85]
	v_ldexp_f64 v[86:87], v[106:107], 2
	v_add_f64 v[96:97], v[102:103], v[86:87]
	v_cmp_gt_f64_e32 vcc, 0, v[96:97]
	v_cndmask_b32_e32 v19, 0, v89, vcc
	v_add_f64 v[86:87], v[86:87], v[18:19]
	v_add_f64 v[96:97], v[102:103], v[86:87]
	v_cvt_i32_f64_e32 v19, v[96:97]
	v_cvt_f64_i32_e32 v[96:97], v19
	v_add_f64 v[86:87], v[86:87], -v[96:97]
	v_add_f64 v[100:101], v[102:103], -v[100:101]
	v_add_f64 v[96:97], v[102:103], v[86:87]
	v_add_f64 v[100:101], v[112:113], -v[100:101]
	v_add_f64 v[86:87], v[96:97], -v[86:87]
	v_cmp_le_f64_e32 vcc, 0.5, v[96:97]
	v_add_f64 v[84:85], v[100:101], v[84:85]
	v_add_f64 v[86:87], v[102:103], -v[86:87]
	v_addc_co_u32_e64 v95, s[8:9], 0, v19, vcc
	v_cndmask_b32_e32 v19, 0, v90, vcc
	v_add_f64 v[84:85], v[84:85], v[86:87]
	v_add_f64 v[86:87], v[96:97], -v[18:19]
	v_add_f64 v[96:97], v[86:87], v[84:85]
	v_add_f64 v[86:87], v[96:97], -v[86:87]
	s_mov_b32 s24, s26
	v_add_f64 v[84:85], v[84:85], -v[86:87]
	v_mul_f64 v[86:87], v[96:97], s[24:25]
	v_fma_f64 v[98:99], v[96:97], s[24:25], -v[86:87]
	s_mov_b32 s31, s29
	v_fmac_f64_e32 v[98:99], s[30:31], v[96:97]
	v_fmac_f64_e32 v[98:99], s[24:25], v[84:85]
	v_add_f64 v[84:85], v[86:87], v[98:99]
	v_add_f64 v[86:87], v[84:85], -v[86:87]
	v_add_f64 v[86:87], v[98:99], -v[86:87]
	s_andn2_saveexec_b64 s[8:9], s[56:57]
	s_cbranch_execnz .LBB156_223
	s_branch .LBB156_224
.LBB156_222:                            ;   in Loop: Header=BB156_161 Depth=1
	s_andn2_saveexec_b64 s[8:9], s[56:57]
	s_cbranch_execz .LBB156_224
.LBB156_223:                            ;   in Loop: Header=BB156_161 Depth=1
	v_mul_f64 v[84:85], |v[4:5]|, s[34:35]
	v_rndne_f64_e32 v[96:97], v[84:85]
	v_fma_f64 v[84:85], v[96:97], s[26:27], |v[4:5]|
	v_mul_f64 v[98:99], v[96:97], s[36:37]
	v_add_f64 v[102:103], v[84:85], v[98:99]
	v_fma_f64 v[86:87], s[36:37], v[96:97], v[84:85]
	s_mov_b32 s28, s36
	v_add_f64 v[84:85], v[84:85], -v[102:103]
	v_fma_f64 v[100:101], s[28:29], v[96:97], v[98:99]
	v_add_f64 v[84:85], v[84:85], v[98:99]
	v_add_f64 v[98:99], v[102:103], -v[86:87]
	v_add_f64 v[84:85], v[98:99], v[84:85]
	v_add_f64 v[98:99], v[84:85], -v[100:101]
	v_fmac_f64_e32 v[98:99], s[38:39], v[96:97]
	v_add_f64 v[84:85], v[86:87], v[98:99]
	v_add_f64 v[86:87], v[84:85], -v[86:87]
	v_add_f64 v[86:87], v[98:99], -v[86:87]
	v_cvt_i32_f64_e32 v95, v[96:97]
.LBB156_224:                            ;   in Loop: Header=BB156_161 Depth=1
	s_or_b64 exec, exec, s[8:9]
	v_mul_f64 v[96:97], v[80:81], v[80:81]
	v_pk_mov_b32 v[104:105], s[70:71], s[70:71] op_sel:[0,1]
	v_mul_f64 v[98:99], v[96:97], 0.5
	v_fma_f64 v[106:107], s[72:73], v[96:97], v[104:105]
	v_add_f64 v[100:101], -v[98:99], 1.0
	v_fma_f64 v[106:107], v[96:97], v[106:107], s[74:75]
	v_add_f64 v[102:103], -v[100:101], 1.0
	v_fma_f64 v[106:107], v[96:97], v[106:107], s[76:77]
	v_add_f64 v[98:99], v[102:103], -v[98:99]
	v_fma_f64 v[106:107], v[96:97], v[106:107], s[78:79]
	v_mul_f64 v[102:103], v[96:97], v[96:97]
	v_fma_f64 v[106:107], v[96:97], v[106:107], s[62:63]
	v_fma_f64 v[98:99], v[80:81], -v[82:83], v[98:99]
	v_fmac_f64_e32 v[98:99], v[102:103], v[106:107]
	v_add_f64 v[98:99], v[100:101], v[98:99]
	v_pk_mov_b32 v[100:101], s[80:81], s[80:81] op_sel:[0,1]
	v_fma_f64 v[102:103], s[82:83], v[96:97], v[100:101]
	v_fma_f64 v[102:103], v[96:97], v[102:103], s[84:85]
	;; [unrolled: 1-line block ×4, first 2 shown]
	v_mul_f64 v[106:107], v[80:81], -v[96:97]
	v_mul_f64 v[108:109], v[82:83], 0.5
	v_fmac_f64_e32 v[108:109], v[106:107], v[102:103]
	v_fma_f64 v[82:83], v[96:97], v[108:109], -v[82:83]
	s_mov_b32 s88, s62
	v_fmac_f64_e32 v[82:83], s[88:89], v[106:107]
	v_and_b32_e32 v4, 1, v94
	v_add_f64 v[80:81], v[80:81], -v[82:83]
	v_cmp_eq_u32_e32 vcc, 0, v4
	s_mov_b32 s8, 0x652b82fe
	v_cndmask_b32_e32 v4, v98, v80, vcc
	v_lshlrev_b32_e32 v80, 30, v94
	s_mov_b32 s9, 0xbff71547
	v_cndmask_b32_e32 v19, v99, v81, vcc
	v_xor_b32_e32 v5, v80, v5
	v_mul_f64 v[80:81], |v[2:3]|, s[8:9]
	v_rndne_f64_e32 v[80:81], v[80:81]
	s_mov_b32 s8, 0x3b39803f
	v_fma_f64 v[82:83], v[80:81], s[42:43], -|v[2:3]|
	s_mov_b32 s9, 0xbc7abc9e
	v_fmac_f64_e32 v[82:83], s[8:9], v[80:81]
	s_mov_b32 s8, 0x6a5dcb37
	v_pk_mov_b32 v[96:97], v[56:57], v[56:57] op_sel:[0,1]
	s_mov_b32 s9, 0x3e5ade15
	v_fmac_f64_e32 v[96:97], s[8:9], v[82:83]
	v_pk_mov_b32 v[98:99], v[58:59], v[58:59] op_sel:[0,1]
	v_fmac_f64_e32 v[98:99], v[82:83], v[96:97]
	v_pk_mov_b32 v[96:97], v[60:61], v[60:61] op_sel:[0,1]
	;; [unrolled: 2-line block ×8, first 2 shown]
	v_fmac_f64_e32 v[96:97], v[82:83], v[98:99]
	v_and_b32_e32 v5, 0x80000000, v5
	v_fma_f64 v[96:97], v[82:83], v[96:97], 1.0
	s_mov_b32 s8, 0
	v_xor_b32_e32 v5, v19, v5
	v_fma_f64 v[82:83], v[82:83], v[96:97], 1.0
	v_cvt_i32_f64_e32 v19, v[80:81]
	s_mov_b32 s9, 0x4090cc00
	v_ldexp_f64 v[80:81], v[82:83], v19
	v_cmp_ngt_f64_e64 vcc, |v[2:3]|, s[8:9]
	v_bfi_b32 v19, s46, v90, v3
	v_mul_f64 v[2:3], v[84:85], v[84:85]
	v_mul_f64 v[82:83], v[2:3], 0.5
	v_fmac_f64_e32 v[104:105], s[72:73], v[2:3]
	v_add_f64 v[96:97], -v[82:83], 1.0
	v_fma_f64 v[102:103], v[2:3], v[104:105], s[74:75]
	v_add_f64 v[98:99], -v[96:97], 1.0
	v_fma_f64 v[102:103], v[2:3], v[102:103], s[76:77]
	v_add_f64 v[82:83], v[98:99], -v[82:83]
	v_fma_f64 v[102:103], v[2:3], v[102:103], s[78:79]
	v_mul_f64 v[98:99], v[2:3], v[2:3]
	v_fma_f64 v[102:103], v[2:3], v[102:103], s[62:63]
	v_fma_f64 v[82:83], v[84:85], -v[86:87], v[82:83]
	v_fmac_f64_e32 v[82:83], v[98:99], v[102:103]
	v_fmac_f64_e32 v[100:101], s[82:83], v[2:3]
	v_add_f64 v[82:83], v[96:97], v[82:83]
	v_fma_f64 v[96:97], v[2:3], v[100:101], s[84:85]
	v_fma_f64 v[96:97], v[2:3], v[96:97], s[86:87]
	;; [unrolled: 1-line block ×3, first 2 shown]
	v_mul_f64 v[98:99], v[84:85], -v[2:3]
	v_mul_f64 v[100:101], v[86:87], 0.5
	v_fmac_f64_e32 v[100:101], v[98:99], v[96:97]
	v_fma_f64 v[2:3], v[2:3], v[100:101], -v[86:87]
	v_fmac_f64_e32 v[2:3], s[88:89], v[98:99]
	v_add_f64 v[2:3], v[84:85], -v[2:3]
	v_and_b32_e32 v84, 1, v95
	v_cndmask_b32_e32 v81, 0, v81, vcc
	v_cndmask_b32_e32 v80, 0, v80, vcc
	v_cmp_eq_u32_e32 vcc, 0, v84
	v_xor_b32_e32 v3, 0x80000000, v3
	v_cndmask_b32_e32 v2, v2, v82, vcc
	v_lshlrev_b32_e32 v82, 30, v95
	v_cndmask_b32_e32 v3, v3, v83, vcc
	v_and_b32_e32 v82, 0x80000000, v82
	v_mul_f64 v[4:5], v[4:5], 4.0
	v_xor_b32_e32 v3, v3, v82
	v_mul_f64 v[2:3], v[4:5], v[2:3]
	v_mul_f64 v[2:3], v[80:81], v[2:3]
	;; [unrolled: 1-line block ×3, first 2 shown]
	v_pk_mov_b32 v[2:3], v[18:19], v[18:19] op_sel:[0,1]
.LBB156_225:                            ;   in Loop: Header=BB156_161 Depth=1
	s_or_b64 exec, exec, s[54:55]
.LBB156_226:                            ;   in Loop: Header=BB156_161 Depth=1
	s_andn2_saveexec_b64 s[8:9], s[40:41]
; %bb.227:                              ;   in Loop: Header=BB156_161 Depth=1
	v_add_f64 v[4:5], v[4:5], -v[4:5]
	v_pk_mov_b32 v[2:3], v[4:5], v[4:5] op_sel:[0,1]
; %bb.228:                              ;   in Loop: Header=BB156_161 Depth=1
	s_or_b64 exec, exec, s[8:9]
.LBB156_229:                            ;   in Loop: Header=BB156_161 Depth=1
	s_andn2_saveexec_b64 s[40:41], s[94:95]
	s_cbranch_execz .LBB156_245
; %bb.230:                              ;   in Loop: Header=BB156_161 Depth=1
	v_and_or_b32 v19, v3, s50, v2
	v_cmp_ne_u32_e32 vcc, 0, v19
	s_and_saveexec_b64 s[8:9], vcc
	s_xor_b64 s[8:9], exec, s[8:9]
; %bb.231:                              ;   in Loop: Header=BB156_161 Depth=1
	v_mul_f64 v[80:81], v[4:5], v[2:3]
	v_cmp_eq_f64_e32 vcc, 0, v[4:5]
	v_cndmask_b32_e32 v5, v81, v5, vcc
	v_cndmask_b32_e32 v4, v80, v4, vcc
; %bb.232:                              ;   in Loop: Header=BB156_161 Depth=1
	s_andn2_saveexec_b64 s[54:55], s[8:9]
	s_cbranch_execz .LBB156_244
; %bb.233:                              ;   in Loop: Header=BB156_161 Depth=1
	v_cmp_neq_f64_e64 s[8:9], |v[4:5]|, s[22:23]
	s_and_saveexec_b64 s[94:95], s[8:9]
	s_cbranch_execz .LBB156_243
; %bb.234:                              ;   in Loop: Header=BB156_161 Depth=1
	v_cmp_nlt_f64_e64 s[56:57], |v[4:5]|, s[18:19]
                                        ; implicit-def: $vgpr94
                                        ; implicit-def: $vgpr80_vgpr81
                                        ; implicit-def: $vgpr82_vgpr83
	s_and_saveexec_b64 s[8:9], s[56:57]
	s_xor_b64 s[64:65], exec, s[8:9]
	s_cbranch_execz .LBB156_236
; %bb.235:                              ;   in Loop: Header=BB156_161 Depth=1
	v_and_b32_e32 v19, 0x7fffffff, v5
	v_ldexp_f64 v[84:85], |v[4:5]|, s59
	v_cmp_ge_f64_e64 vcc, |v[4:5]|, s[20:21]
	v_trig_preop_f64 v[80:81], |v[4:5]|, 0
	v_cndmask_b32_e32 v85, v19, v85, vcc
	v_cndmask_b32_e32 v84, v4, v84, vcc
	v_trig_preop_f64 v[82:83], |v[4:5]|, 1
	v_mul_f64 v[94:95], v[80:81], v[84:85]
	v_mul_f64 v[86:87], v[82:83], v[84:85]
	v_fma_f64 v[80:81], v[80:81], v[84:85], -v[94:95]
	v_add_f64 v[96:97], v[86:87], v[80:81]
	v_add_f64 v[98:99], v[94:95], v[96:97]
	v_ldexp_f64 v[100:101], v[98:99], -2
	v_fract_f64_e32 v[102:103], v[100:101]
	v_cmp_neq_f64_e64 vcc, |v[100:101]|, s[22:23]
	v_cndmask_b32_e32 v101, 0, v103, vcc
	v_cndmask_b32_e32 v100, 0, v102, vcc
	v_add_f64 v[102:103], v[96:97], -v[86:87]
	v_add_f64 v[80:81], v[80:81], -v[102:103]
	;; [unrolled: 1-line block ×4, first 2 shown]
	v_fma_f64 v[82:83], v[82:83], v[84:85], -v[86:87]
	v_trig_preop_f64 v[86:87], |v[4:5]|, 2
	v_add_f64 v[80:81], v[80:81], v[102:103]
	v_mul_f64 v[102:103], v[86:87], v[84:85]
	v_add_f64 v[104:105], v[102:103], v[82:83]
	v_add_f64 v[106:107], v[104:105], v[80:81]
	v_add_f64 v[94:95], v[98:99], -v[94:95]
	v_add_f64 v[98:99], v[106:107], -v[104:105]
	;; [unrolled: 1-line block ×5, first 2 shown]
	v_add_f64 v[80:81], v[80:81], v[98:99]
	v_add_f64 v[98:99], v[104:105], -v[102:103]
	v_add_f64 v[82:83], v[82:83], -v[98:99]
	;; [unrolled: 1-line block ×4, first 2 shown]
	v_add_f64 v[82:83], v[82:83], v[98:99]
	v_add_f64 v[94:95], v[96:97], -v[94:95]
	v_add_f64 v[80:81], v[82:83], v[80:81]
	v_fma_f64 v[82:83], v[86:87], v[84:85], -v[102:103]
	v_add_f64 v[96:97], v[94:95], v[106:107]
	v_add_f64 v[80:81], v[82:83], v[80:81]
	v_ldexp_f64 v[82:83], v[100:101], 2
	v_add_f64 v[84:85], v[96:97], v[82:83]
	v_cmp_gt_f64_e32 vcc, 0, v[84:85]
	v_cndmask_b32_e32 v19, 0, v89, vcc
	v_add_f64 v[82:83], v[82:83], v[18:19]
	v_add_f64 v[84:85], v[96:97], v[82:83]
	v_cvt_i32_f64_e32 v19, v[84:85]
	v_cvt_f64_i32_e32 v[84:85], v19
	v_add_f64 v[82:83], v[82:83], -v[84:85]
	v_add_f64 v[94:95], v[96:97], -v[94:95]
	v_add_f64 v[84:85], v[96:97], v[82:83]
	v_add_f64 v[94:95], v[106:107], -v[94:95]
	v_add_f64 v[82:83], v[84:85], -v[82:83]
	v_cmp_le_f64_e32 vcc, 0.5, v[84:85]
	v_add_f64 v[80:81], v[94:95], v[80:81]
	v_add_f64 v[82:83], v[96:97], -v[82:83]
	v_addc_co_u32_e64 v94, s[8:9], 0, v19, vcc
	v_cndmask_b32_e32 v19, 0, v90, vcc
	v_add_f64 v[80:81], v[80:81], v[82:83]
	v_add_f64 v[82:83], v[84:85], -v[18:19]
	v_add_f64 v[84:85], v[82:83], v[80:81]
	v_add_f64 v[82:83], v[84:85], -v[82:83]
	s_mov_b32 s24, s26
	v_add_f64 v[80:81], v[80:81], -v[82:83]
	v_mul_f64 v[82:83], v[84:85], s[24:25]
	v_fma_f64 v[86:87], v[84:85], s[24:25], -v[82:83]
	s_mov_b32 s31, s29
	v_fmac_f64_e32 v[86:87], s[30:31], v[84:85]
	v_fmac_f64_e32 v[86:87], s[24:25], v[80:81]
	v_add_f64 v[80:81], v[82:83], v[86:87]
	v_add_f64 v[82:83], v[80:81], -v[82:83]
	v_add_f64 v[82:83], v[86:87], -v[82:83]
	s_andn2_saveexec_b64 s[8:9], s[64:65]
	s_cbranch_execz .LBB156_238
	s_branch .LBB156_237
.LBB156_236:                            ;   in Loop: Header=BB156_161 Depth=1
	s_andn2_saveexec_b64 s[8:9], s[64:65]
	s_cbranch_execz .LBB156_238
.LBB156_237:                            ;   in Loop: Header=BB156_161 Depth=1
	v_mul_f64 v[80:81], |v[4:5]|, s[34:35]
	v_rndne_f64_e32 v[84:85], v[80:81]
	v_fma_f64 v[80:81], v[84:85], s[26:27], |v[4:5]|
	v_mul_f64 v[86:87], v[84:85], s[36:37]
	v_add_f64 v[96:97], v[80:81], v[86:87]
	v_fma_f64 v[82:83], s[36:37], v[84:85], v[80:81]
	s_mov_b32 s28, s36
	v_add_f64 v[80:81], v[80:81], -v[96:97]
	v_fma_f64 v[94:95], s[28:29], v[84:85], v[86:87]
	v_add_f64 v[80:81], v[80:81], v[86:87]
	v_add_f64 v[86:87], v[96:97], -v[82:83]
	v_add_f64 v[80:81], v[86:87], v[80:81]
	v_add_f64 v[86:87], v[80:81], -v[94:95]
	v_fmac_f64_e32 v[86:87], s[38:39], v[84:85]
	v_add_f64 v[80:81], v[82:83], v[86:87]
	v_add_f64 v[82:83], v[80:81], -v[82:83]
	v_add_f64 v[82:83], v[86:87], -v[82:83]
	v_cvt_i32_f64_e32 v94, v[84:85]
.LBB156_238:                            ;   in Loop: Header=BB156_161 Depth=1
	s_or_b64 exec, exec, s[8:9]
                                        ; implicit-def: $vgpr95
                                        ; implicit-def: $vgpr84_vgpr85
                                        ; implicit-def: $vgpr86_vgpr87
	s_and_saveexec_b64 s[8:9], s[56:57]
	s_xor_b64 s[56:57], exec, s[8:9]
	s_cbranch_execz .LBB156_240
; %bb.239:                              ;   in Loop: Header=BB156_161 Depth=1
	v_and_b32_e32 v19, 0x7fffffff, v5
	v_ldexp_f64 v[96:97], |v[4:5]|, s59
	v_cmp_ge_f64_e64 vcc, |v[4:5]|, s[20:21]
	v_trig_preop_f64 v[84:85], |v[4:5]|, 0
	v_cndmask_b32_e32 v97, v19, v97, vcc
	v_cndmask_b32_e32 v96, v4, v96, vcc
	v_trig_preop_f64 v[86:87], |v[4:5]|, 1
	v_mul_f64 v[100:101], v[84:85], v[96:97]
	v_mul_f64 v[98:99], v[86:87], v[96:97]
	v_fma_f64 v[84:85], v[84:85], v[96:97], -v[100:101]
	v_add_f64 v[102:103], v[98:99], v[84:85]
	v_add_f64 v[104:105], v[100:101], v[102:103]
	v_ldexp_f64 v[106:107], v[104:105], -2
	v_fract_f64_e32 v[108:109], v[106:107]
	v_cmp_neq_f64_e64 vcc, |v[106:107]|, s[22:23]
	v_cndmask_b32_e32 v107, 0, v109, vcc
	v_cndmask_b32_e32 v106, 0, v108, vcc
	v_add_f64 v[108:109], v[102:103], -v[98:99]
	v_add_f64 v[84:85], v[84:85], -v[108:109]
	;; [unrolled: 1-line block ×4, first 2 shown]
	v_fma_f64 v[86:87], v[86:87], v[96:97], -v[98:99]
	v_trig_preop_f64 v[98:99], |v[4:5]|, 2
	v_add_f64 v[84:85], v[84:85], v[108:109]
	v_mul_f64 v[108:109], v[98:99], v[96:97]
	v_add_f64 v[110:111], v[108:109], v[86:87]
	v_add_f64 v[112:113], v[110:111], v[84:85]
	v_add_f64 v[100:101], v[104:105], -v[100:101]
	v_add_f64 v[104:105], v[112:113], -v[110:111]
	;; [unrolled: 1-line block ×5, first 2 shown]
	v_add_f64 v[84:85], v[84:85], v[104:105]
	v_add_f64 v[104:105], v[110:111], -v[108:109]
	v_add_f64 v[86:87], v[86:87], -v[104:105]
	;; [unrolled: 1-line block ×4, first 2 shown]
	v_add_f64 v[86:87], v[86:87], v[104:105]
	v_add_f64 v[100:101], v[102:103], -v[100:101]
	v_add_f64 v[84:85], v[86:87], v[84:85]
	v_fma_f64 v[86:87], v[98:99], v[96:97], -v[108:109]
	v_add_f64 v[102:103], v[100:101], v[112:113]
	v_add_f64 v[84:85], v[86:87], v[84:85]
	v_ldexp_f64 v[86:87], v[106:107], 2
	v_add_f64 v[96:97], v[102:103], v[86:87]
	v_cmp_gt_f64_e32 vcc, 0, v[96:97]
	v_cndmask_b32_e32 v19, 0, v89, vcc
	v_add_f64 v[86:87], v[86:87], v[18:19]
	v_add_f64 v[96:97], v[102:103], v[86:87]
	v_cvt_i32_f64_e32 v19, v[96:97]
	v_cvt_f64_i32_e32 v[96:97], v19
	v_add_f64 v[86:87], v[86:87], -v[96:97]
	v_add_f64 v[100:101], v[102:103], -v[100:101]
	v_add_f64 v[96:97], v[102:103], v[86:87]
	v_add_f64 v[100:101], v[112:113], -v[100:101]
	v_add_f64 v[86:87], v[96:97], -v[86:87]
	v_cmp_le_f64_e32 vcc, 0.5, v[96:97]
	v_add_f64 v[84:85], v[100:101], v[84:85]
	v_add_f64 v[86:87], v[102:103], -v[86:87]
	v_addc_co_u32_e64 v95, s[8:9], 0, v19, vcc
	v_cndmask_b32_e32 v19, 0, v90, vcc
	v_add_f64 v[84:85], v[84:85], v[86:87]
	v_add_f64 v[86:87], v[96:97], -v[18:19]
	v_add_f64 v[96:97], v[86:87], v[84:85]
	v_add_f64 v[86:87], v[96:97], -v[86:87]
	s_mov_b32 s24, s26
	v_add_f64 v[84:85], v[84:85], -v[86:87]
	v_mul_f64 v[86:87], v[96:97], s[24:25]
	v_fma_f64 v[98:99], v[96:97], s[24:25], -v[86:87]
	s_mov_b32 s31, s29
	v_fmac_f64_e32 v[98:99], s[30:31], v[96:97]
	v_fmac_f64_e32 v[98:99], s[24:25], v[84:85]
	v_add_f64 v[84:85], v[86:87], v[98:99]
	v_add_f64 v[86:87], v[84:85], -v[86:87]
	v_add_f64 v[86:87], v[98:99], -v[86:87]
	s_andn2_saveexec_b64 s[8:9], s[56:57]
	s_cbranch_execnz .LBB156_241
	s_branch .LBB156_242
.LBB156_240:                            ;   in Loop: Header=BB156_161 Depth=1
	s_andn2_saveexec_b64 s[8:9], s[56:57]
	s_cbranch_execz .LBB156_242
.LBB156_241:                            ;   in Loop: Header=BB156_161 Depth=1
	v_mul_f64 v[84:85], |v[4:5]|, s[34:35]
	v_rndne_f64_e32 v[96:97], v[84:85]
	v_fma_f64 v[84:85], v[96:97], s[26:27], |v[4:5]|
	v_mul_f64 v[98:99], v[96:97], s[36:37]
	v_add_f64 v[102:103], v[84:85], v[98:99]
	v_fma_f64 v[86:87], s[36:37], v[96:97], v[84:85]
	s_mov_b32 s28, s36
	v_add_f64 v[84:85], v[84:85], -v[102:103]
	v_fma_f64 v[100:101], s[28:29], v[96:97], v[98:99]
	v_add_f64 v[84:85], v[84:85], v[98:99]
	v_add_f64 v[98:99], v[102:103], -v[86:87]
	v_add_f64 v[84:85], v[98:99], v[84:85]
	v_add_f64 v[98:99], v[84:85], -v[100:101]
	v_fmac_f64_e32 v[98:99], s[38:39], v[96:97]
	v_add_f64 v[84:85], v[86:87], v[98:99]
	v_add_f64 v[86:87], v[84:85], -v[86:87]
	v_add_f64 v[86:87], v[98:99], -v[86:87]
	v_cvt_i32_f64_e32 v95, v[96:97]
.LBB156_242:                            ;   in Loop: Header=BB156_161 Depth=1
	s_or_b64 exec, exec, s[8:9]
	v_mul_f64 v[96:97], v[80:81], v[80:81]
	v_pk_mov_b32 v[104:105], s[70:71], s[70:71] op_sel:[0,1]
	v_mul_f64 v[98:99], v[96:97], 0.5
	v_fma_f64 v[106:107], s[72:73], v[96:97], v[104:105]
	v_add_f64 v[100:101], -v[98:99], 1.0
	v_fma_f64 v[106:107], v[96:97], v[106:107], s[74:75]
	v_add_f64 v[102:103], -v[100:101], 1.0
	v_fma_f64 v[106:107], v[96:97], v[106:107], s[76:77]
	v_add_f64 v[98:99], v[102:103], -v[98:99]
	v_fma_f64 v[106:107], v[96:97], v[106:107], s[78:79]
	v_mul_f64 v[102:103], v[96:97], v[96:97]
	v_fma_f64 v[106:107], v[96:97], v[106:107], s[62:63]
	v_fma_f64 v[98:99], v[80:81], -v[82:83], v[98:99]
	v_fmac_f64_e32 v[98:99], v[102:103], v[106:107]
	v_add_f64 v[98:99], v[100:101], v[98:99]
	v_pk_mov_b32 v[100:101], s[80:81], s[80:81] op_sel:[0,1]
	v_fma_f64 v[102:103], s[82:83], v[96:97], v[100:101]
	v_fma_f64 v[102:103], v[96:97], v[102:103], s[84:85]
	;; [unrolled: 1-line block ×4, first 2 shown]
	v_mul_f64 v[106:107], v[80:81], -v[96:97]
	v_mul_f64 v[108:109], v[82:83], 0.5
	v_fmac_f64_e32 v[108:109], v[106:107], v[102:103]
	v_fma_f64 v[82:83], v[96:97], v[108:109], -v[82:83]
	s_mov_b32 s88, s62
	v_fmac_f64_e32 v[82:83], s[88:89], v[106:107]
	v_and_b32_e32 v19, 1, v94
	v_add_f64 v[80:81], v[80:81], -v[82:83]
	v_cmp_eq_u32_e32 vcc, 0, v19
	v_cndmask_b32_e32 v19, v98, v80, vcc
	v_cndmask_b32_e32 v80, v99, v81, vcc
	v_lshlrev_b32_e32 v81, 30, v94
	v_xor_b32_e32 v81, v81, v5
	v_and_b32_e32 v81, 0x80000000, v81
	v_xor_b32_e32 v80, v80, v81
	v_cmp_class_f64_e64 vcc, v[4:5], s58
	v_cndmask_b32_e32 v5, v93, v80, vcc
	v_mul_f64 v[80:81], v[84:85], v[84:85]
	v_mul_f64 v[82:83], v[80:81], 0.5
	v_fmac_f64_e32 v[104:105], s[72:73], v[80:81]
	v_add_f64 v[96:97], -v[82:83], 1.0
	v_fma_f64 v[102:103], v[80:81], v[104:105], s[74:75]
	v_add_f64 v[98:99], -v[96:97], 1.0
	v_fma_f64 v[102:103], v[80:81], v[102:103], s[76:77]
	v_add_f64 v[82:83], v[98:99], -v[82:83]
	v_fma_f64 v[102:103], v[80:81], v[102:103], s[78:79]
	v_mul_f64 v[98:99], v[80:81], v[80:81]
	v_fma_f64 v[102:103], v[80:81], v[102:103], s[62:63]
	v_fma_f64 v[82:83], v[84:85], -v[86:87], v[82:83]
	v_fmac_f64_e32 v[82:83], v[98:99], v[102:103]
	v_fmac_f64_e32 v[100:101], s[82:83], v[80:81]
	v_add_f64 v[82:83], v[96:97], v[82:83]
	v_fma_f64 v[96:97], v[80:81], v[100:101], s[84:85]
	v_fma_f64 v[96:97], v[80:81], v[96:97], s[86:87]
	;; [unrolled: 1-line block ×3, first 2 shown]
	v_mul_f64 v[98:99], v[84:85], -v[80:81]
	v_mul_f64 v[100:101], v[86:87], 0.5
	v_fmac_f64_e32 v[100:101], v[98:99], v[96:97]
	v_fma_f64 v[80:81], v[80:81], v[100:101], -v[86:87]
	v_fmac_f64_e32 v[80:81], s[88:89], v[98:99]
	v_add_f64 v[80:81], v[84:85], -v[80:81]
	v_cndmask_b32_e32 v4, 0, v19, vcc
	v_xor_b32_e32 v19, 0x80000000, v81
	v_and_b32_e32 v81, 1, v95
	v_cmp_eq_u32_e64 s[8:9], 0, v81
	v_lshlrev_b32_e32 v81, 30, v95
	v_cndmask_b32_e64 v19, v19, v83, s[8:9]
	v_and_b32_e32 v81, 0x80000000, v81
	v_cndmask_b32_e64 v80, v80, v82, s[8:9]
	v_xor_b32_e32 v19, v19, v81
	v_cndmask_b32_e32 v80, 0, v80, vcc
	v_cndmask_b32_e32 v81, v93, v19, vcc
	v_mul_f64 v[4:5], v[4:5], v[80:81]
.LBB156_243:                            ;   in Loop: Header=BB156_161 Depth=1
	s_or_b64 exec, exec, s[94:95]
	v_add_co_u32_e32 v2, vcc, 0, v2
	v_bfi_b32 v19, s46, 0, v5
	v_addc_co_u32_e32 v3, vcc, -2.0, v3, vcc
	v_pk_mov_b32 v[4:5], v[18:19], v[18:19] op_sel:[0,1]
.LBB156_244:                            ;   in Loop: Header=BB156_161 Depth=1
	s_or_b64 exec, exec, s[54:55]
.LBB156_245:                            ;   in Loop: Header=BB156_161 Depth=1
	s_or_b64 exec, exec, s[40:41]
	v_and_b32_e32 v84, 0x7fffffff, v15
	v_cmp_gt_u32_e32 vcc, s47, v84
	s_and_saveexec_b64 s[8:9], vcc
	s_xor_b64 s[94:95], exec, s[8:9]
	s_cbranch_execz .LBB156_267
; %bb.246:                              ;   in Loop: Header=BB156_161 Depth=1
	v_cmp_class_f64_e64 s[8:9], v[16:17], s58
	s_and_saveexec_b64 s[40:41], s[8:9]
	s_xor_b64 s[40:41], exec, s[40:41]
	s_cbranch_execz .LBB156_264
; %bb.247:                              ;   in Loop: Header=BB156_161 Depth=1
	s_mov_b32 s8, 0x40360000
	v_cmp_gt_u32_e32 vcc, s8, v84
	s_and_saveexec_b64 s[8:9], vcc
	s_xor_b64 s[54:55], exec, s[8:9]
	s_cbranch_execz .LBB156_253
; %bb.248:                              ;   in Loop: Header=BB156_161 Depth=1
	v_cmp_nlt_f64_e64 s[8:9], |v[16:17]|, s[18:19]
                                        ; implicit-def: $vgpr85
                                        ; implicit-def: $vgpr80_vgpr81
                                        ; implicit-def: $vgpr82_vgpr83
	s_and_saveexec_b64 s[56:57], s[8:9]
	s_xor_b64 s[56:57], exec, s[56:57]
	s_cbranch_execz .LBB156_250
; %bb.249:                              ;   in Loop: Header=BB156_161 Depth=1
	v_and_b32_e32 v19, 0x7fffffff, v17
	v_ldexp_f64 v[86:87], |v[16:17]|, s59
	v_cmp_ge_f64_e64 vcc, |v[16:17]|, s[20:21]
	v_trig_preop_f64 v[80:81], |v[16:17]|, 0
	v_cndmask_b32_e32 v87, v19, v87, vcc
	v_cndmask_b32_e32 v86, v16, v86, vcc
	v_trig_preop_f64 v[82:83], |v[16:17]|, 1
	v_mul_f64 v[96:97], v[80:81], v[86:87]
	v_mul_f64 v[94:95], v[82:83], v[86:87]
	v_fma_f64 v[80:81], v[80:81], v[86:87], -v[96:97]
	v_add_f64 v[98:99], v[94:95], v[80:81]
	v_add_f64 v[100:101], v[96:97], v[98:99]
	v_ldexp_f64 v[102:103], v[100:101], -2
	v_fract_f64_e32 v[104:105], v[102:103]
	v_cmp_neq_f64_e64 vcc, |v[102:103]|, s[22:23]
	v_cndmask_b32_e32 v103, 0, v105, vcc
	v_cndmask_b32_e32 v102, 0, v104, vcc
	v_add_f64 v[104:105], v[98:99], -v[94:95]
	v_add_f64 v[80:81], v[80:81], -v[104:105]
	;; [unrolled: 1-line block ×4, first 2 shown]
	v_fma_f64 v[82:83], v[82:83], v[86:87], -v[94:95]
	v_trig_preop_f64 v[94:95], |v[16:17]|, 2
	v_add_f64 v[80:81], v[80:81], v[104:105]
	v_mul_f64 v[104:105], v[94:95], v[86:87]
	v_add_f64 v[106:107], v[104:105], v[82:83]
	v_add_f64 v[108:109], v[106:107], v[80:81]
	v_add_f64 v[96:97], v[100:101], -v[96:97]
	v_add_f64 v[100:101], v[108:109], -v[106:107]
	;; [unrolled: 1-line block ×5, first 2 shown]
	v_add_f64 v[80:81], v[80:81], v[100:101]
	v_add_f64 v[100:101], v[106:107], -v[104:105]
	v_add_f64 v[82:83], v[82:83], -v[100:101]
	;; [unrolled: 1-line block ×4, first 2 shown]
	v_add_f64 v[82:83], v[82:83], v[100:101]
	v_add_f64 v[96:97], v[98:99], -v[96:97]
	v_add_f64 v[80:81], v[82:83], v[80:81]
	v_fma_f64 v[82:83], v[94:95], v[86:87], -v[104:105]
	v_add_f64 v[98:99], v[96:97], v[108:109]
	v_add_f64 v[80:81], v[82:83], v[80:81]
	v_ldexp_f64 v[82:83], v[102:103], 2
	v_add_f64 v[86:87], v[98:99], v[82:83]
	v_cmp_gt_f64_e32 vcc, 0, v[86:87]
	v_cndmask_b32_e32 v19, 0, v89, vcc
	v_add_f64 v[82:83], v[82:83], v[18:19]
	v_add_f64 v[86:87], v[98:99], v[82:83]
	v_cvt_i32_f64_e32 v19, v[86:87]
	v_cvt_f64_i32_e32 v[86:87], v19
	v_add_f64 v[82:83], v[82:83], -v[86:87]
	v_add_f64 v[96:97], v[98:99], -v[96:97]
	v_add_f64 v[86:87], v[98:99], v[82:83]
	v_add_f64 v[96:97], v[108:109], -v[96:97]
	v_add_f64 v[82:83], v[86:87], -v[82:83]
	v_cmp_le_f64_e32 vcc, 0.5, v[86:87]
	v_add_f64 v[80:81], v[96:97], v[80:81]
	v_add_f64 v[82:83], v[98:99], -v[82:83]
	v_addc_co_u32_e64 v85, s[8:9], 0, v19, vcc
	v_cndmask_b32_e32 v19, 0, v90, vcc
	v_add_f64 v[80:81], v[80:81], v[82:83]
	v_add_f64 v[82:83], v[86:87], -v[18:19]
	v_add_f64 v[86:87], v[82:83], v[80:81]
	v_add_f64 v[82:83], v[86:87], -v[82:83]
	s_mov_b32 s24, s26
	v_add_f64 v[80:81], v[80:81], -v[82:83]
	v_mul_f64 v[82:83], v[86:87], s[24:25]
	v_fma_f64 v[94:95], v[86:87], s[24:25], -v[82:83]
	s_mov_b32 s31, s29
	v_fmac_f64_e32 v[94:95], s[30:31], v[86:87]
	v_fmac_f64_e32 v[94:95], s[24:25], v[80:81]
	v_add_f64 v[80:81], v[82:83], v[94:95]
	v_add_f64 v[82:83], v[80:81], -v[82:83]
	v_add_f64 v[82:83], v[94:95], -v[82:83]
.LBB156_250:                            ;   in Loop: Header=BB156_161 Depth=1
	s_andn2_saveexec_b64 s[8:9], s[56:57]
	s_cbranch_execz .LBB156_252
; %bb.251:                              ;   in Loop: Header=BB156_161 Depth=1
	v_mul_f64 v[80:81], |v[16:17]|, s[34:35]
	v_rndne_f64_e32 v[86:87], v[80:81]
	v_fma_f64 v[80:81], v[86:87], s[26:27], |v[16:17]|
	v_mul_f64 v[94:95], v[86:87], s[36:37]
	v_add_f64 v[98:99], v[80:81], v[94:95]
	v_fma_f64 v[82:83], s[36:37], v[86:87], v[80:81]
	s_mov_b32 s28, s36
	v_add_f64 v[80:81], v[80:81], -v[98:99]
	v_fma_f64 v[96:97], s[28:29], v[86:87], v[94:95]
	v_add_f64 v[80:81], v[80:81], v[94:95]
	v_add_f64 v[94:95], v[98:99], -v[82:83]
	v_add_f64 v[80:81], v[94:95], v[80:81]
	v_add_f64 v[94:95], v[80:81], -v[96:97]
	v_fmac_f64_e32 v[94:95], s[38:39], v[86:87]
	v_add_f64 v[80:81], v[82:83], v[94:95]
	v_add_f64 v[82:83], v[80:81], -v[82:83]
	v_add_f64 v[82:83], v[94:95], -v[82:83]
	v_cvt_i32_f64_e32 v85, v[86:87]
.LBB156_252:                            ;   in Loop: Header=BB156_161 Depth=1
	s_or_b64 exec, exec, s[8:9]
	v_mul_f64 v[86:87], v[80:81], v[80:81]
	v_fma_f64 v[94:95], v[80:81], v[80:81], -v[86:87]
	v_add_f64 v[96:97], v[82:83], v[82:83]
	v_fmac_f64_e32 v[94:95], v[80:81], v[96:97]
	s_mov_b32 s8, 0xc751c08c
	v_add_f64 v[86:87], v[86:87], v[94:95]
	v_pk_mov_b32 v[94:95], v[30:31], v[30:31] op_sel:[0,1]
	s_mov_b32 s9, 0x3ef5e089
	v_fmac_f64_e32 v[94:95], s[8:9], v[86:87]
	v_pk_mov_b32 v[96:97], v[32:33], v[32:33] op_sel:[0,1]
	v_fmac_f64_e32 v[96:97], v[86:87], v[94:95]
	v_pk_mov_b32 v[94:95], v[34:35], v[34:35] op_sel:[0,1]
	;; [unrolled: 2-line block ×12, first 2 shown]
	v_fmac_f64_e32 v[94:95], v[86:87], v[96:97]
	v_mul_f64 v[86:87], v[86:87], v[94:95]
	v_mul_f64 v[94:95], v[80:81], v[86:87]
	v_add_f64 v[96:97], v[80:81], v[94:95]
	v_fma_f64 v[86:87], v[80:81], v[86:87], -v[94:95]
	v_add_f64 v[80:81], v[96:97], -v[80:81]
	v_add_f64 v[80:81], v[94:95], -v[80:81]
	v_add_f64 v[82:83], v[82:83], v[86:87]
	v_add_f64 v[80:81], v[82:83], v[80:81]
	;; [unrolled: 1-line block ×3, first 2 shown]
	v_rcp_f64_e32 v[86:87], v[82:83]
	v_add_f64 v[94:95], v[82:83], -v[96:97]
	v_add_f64 v[80:81], v[80:81], -v[94:95]
	v_and_b32_e32 v16, 1, v85
	v_fma_f64 v[94:95], -v[82:83], v[86:87], 1.0
	v_fmac_f64_e32 v[86:87], v[94:95], v[86:87]
	v_fma_f64 v[94:95], -v[82:83], v[86:87], 1.0
	v_fmac_f64_e32 v[86:87], v[94:95], v[86:87]
	v_mul_f64 v[94:95], v[82:83], v[86:87]
	v_fma_f64 v[96:97], v[86:87], v[82:83], -v[94:95]
	v_fmac_f64_e32 v[96:97], v[86:87], v[80:81]
	v_add_f64 v[80:81], v[94:95], v[96:97]
	v_add_f64 v[98:99], -v[80:81], 1.0
	v_add_f64 v[94:95], v[80:81], -v[94:95]
	v_add_f64 v[100:101], -v[98:99], 1.0
	v_add_f64 v[80:81], v[100:101], -v[80:81]
	v_add_f64 v[94:95], v[94:95], -v[96:97]
	v_add_f64 v[80:81], v[94:95], v[80:81]
	v_add_f64 v[80:81], v[98:99], v[80:81]
	v_mul_f64 v[80:81], v[86:87], v[80:81]
	v_add_f64 v[80:81], v[86:87], v[80:81]
	v_cmp_eq_u32_e32 vcc, 0, v16
	v_xor_b32_e32 v19, 0x80000000, v81
	v_cndmask_b32_e32 v16, v80, v82, vcc
	v_add_f64 v[80:81], |v[14:15]|, s[42:43]
	v_cndmask_b32_e32 v19, v19, v83, vcc
	v_add_f64 v[82:83], v[80:81], -|v[14:15]|
	v_add_f64 v[86:87], v[82:83], -v[80:81]
	s_mov_b32 s44, s42
	v_add_f64 v[86:87], |v[14:15]|, v[86:87]
	v_add_f64 v[82:83], v[82:83], s[44:45]
	s_mov_b32 s8, 0x3b39803f
	v_add_f64 v[82:83], v[86:87], -v[82:83]
	s_mov_b32 s9, 0xbc7abc9e
	v_add_f64 v[82:83], v[82:83], s[8:9]
	v_add_f64 v[86:87], v[80:81], v[82:83]
	s_mov_b32 s8, 0x652b82fe
	v_add_f64 v[80:81], v[80:81], -v[86:87]
	s_mov_b32 s9, 0xbff71547
	s_mov_b32 s48, s8
	v_add_f64 v[80:81], v[82:83], v[80:81]
	v_mul_f64 v[82:83], v[86:87], s[48:49]
	v_rndne_f64_e32 v[82:83], v[82:83]
	s_mov_b32 s53, s43
	v_fmac_f64_e32 v[86:87], s[52:53], v[82:83]
	v_add_f64 v[94:95], v[80:81], v[86:87]
	s_mov_b32 s8, 0xf278e000
	v_add_f64 v[86:87], v[86:87], -v[94:95]
	s_mov_b32 s9, 0xbd53de6a
	v_add_f64 v[80:81], v[80:81], v[86:87]
	v_mul_f64 v[86:87], v[82:83], s[8:9]
	v_add_f64 v[96:97], v[94:95], v[86:87]
	v_add_f64 v[94:95], v[94:95], -v[96:97]
	v_add_f64 v[86:87], v[94:95], v[86:87]
	v_add_f64 v[80:81], v[80:81], v[86:87]
	;; [unrolled: 1-line block ×3, first 2 shown]
	s_mov_b32 s8, 0xf97b57a0
	v_add_f64 v[94:95], v[96:97], -v[86:87]
	s_mov_b32 s9, 0xbac9cc01
	v_add_f64 v[80:81], v[80:81], v[94:95]
	v_mul_f64 v[94:95], v[82:83], s[8:9]
	v_add_f64 v[96:97], v[86:87], v[94:95]
	v_add_f64 v[86:87], v[86:87], -v[96:97]
	v_add_f64 v[86:87], v[86:87], v[94:95]
	v_add_f64 v[80:81], v[80:81], v[86:87]
	;; [unrolled: 1-line block ×3, first 2 shown]
	v_add_f64 v[94:95], v[96:97], -v[86:87]
	s_mov_b32 s8, 0x6a5dcb37
	v_add_f64 v[80:81], v[80:81], v[94:95]
	v_pk_mov_b32 v[94:95], v[56:57], v[56:57] op_sel:[0,1]
	s_mov_b32 s9, 0x3e5ade15
	v_fmac_f64_e32 v[94:95], s[8:9], v[86:87]
	v_pk_mov_b32 v[96:97], v[58:59], v[58:59] op_sel:[0,1]
	v_fmac_f64_e32 v[96:97], v[86:87], v[94:95]
	v_pk_mov_b32 v[94:95], v[60:61], v[60:61] op_sel:[0,1]
	v_fmac_f64_e32 v[94:95], v[86:87], v[96:97]
	v_pk_mov_b32 v[96:97], v[62:63], v[62:63] op_sel:[0,1]
	v_fmac_f64_e32 v[96:97], v[86:87], v[94:95]
	v_pk_mov_b32 v[94:95], v[64:65], v[64:65] op_sel:[0,1]
	v_fmac_f64_e32 v[94:95], v[86:87], v[96:97]
	v_pk_mov_b32 v[96:97], v[66:67], v[66:67] op_sel:[0,1]
	v_fmac_f64_e32 v[96:97], v[86:87], v[94:95]
	v_pk_mov_b32 v[94:95], v[68:69], v[68:69] op_sel:[0,1]
	v_fmac_f64_e32 v[94:95], v[86:87], v[96:97]
	v_pk_mov_b32 v[96:97], v[70:71], v[70:71] op_sel:[0,1]
	v_fmac_f64_e32 v[96:97], v[86:87], v[94:95]
	v_pk_mov_b32 v[94:95], v[72:73], v[72:73] op_sel:[0,1]
	v_fmac_f64_e32 v[94:95], v[86:87], v[96:97]
	v_mul_f64 v[96:97], v[86:87], v[86:87]
	v_fma_f64 v[98:99], v[86:87], v[86:87], -v[96:97]
	v_add_f64 v[100:101], v[80:81], v[80:81]
	v_fmac_f64_e32 v[98:99], v[86:87], v[100:101]
	v_add_f64 v[100:101], v[96:97], v[98:99]
	v_add_f64 v[96:97], v[100:101], -v[96:97]
	v_add_f64 v[96:97], v[98:99], -v[96:97]
	v_mul_f64 v[98:99], v[100:101], v[94:95]
	v_fma_f64 v[100:101], v[100:101], v[94:95], -v[98:99]
	v_fmac_f64_e32 v[100:101], v[96:97], v[94:95]
	v_add_f64 v[94:95], v[98:99], v[100:101]
	v_add_f64 v[96:97], v[94:95], -v[98:99]
	v_add_f64 v[98:99], v[86:87], v[94:95]
	v_add_f64 v[96:97], v[100:101], -v[96:97]
	v_add_f64 v[86:87], v[98:99], -v[86:87]
	;; [unrolled: 1-line block ×3, first 2 shown]
	v_add_f64 v[80:81], v[80:81], v[96:97]
	v_add_f64 v[80:81], v[80:81], v[86:87]
	;; [unrolled: 1-line block ×3, first 2 shown]
	v_add_f64 v[94:95], v[86:87], -v[98:99]
	v_add_f64 v[80:81], v[80:81], -v[94:95]
	v_add_f64 v[94:95], v[86:87], 1.0
	v_add_f64 v[96:97], v[94:95], -1.0
	v_add_f64 v[86:87], v[86:87], -v[96:97]
	v_add_f64 v[80:81], v[80:81], v[86:87]
	v_add_f64 v[86:87], v[94:95], v[80:81]
	v_cvt_i32_f64_e32 v85, v[82:83]
	v_ldexp_f64 v[82:83], v[86:87], v85
	v_rcp_f64_e32 v[96:97], v[82:83]
	v_add_f64 v[86:87], v[86:87], -v[94:95]
	v_add_f64 v[80:81], v[80:81], -v[86:87]
	v_ldexp_f64 v[80:81], v[80:81], v85
	v_fma_f64 v[86:87], -v[82:83], v[96:97], 1.0
	v_fmac_f64_e32 v[96:97], v[86:87], v[96:97]
	v_fma_f64 v[86:87], -v[82:83], v[96:97], 1.0
	v_fmac_f64_e32 v[96:97], v[86:87], v[96:97]
	v_mul_f64 v[86:87], v[82:83], v[96:97]
	v_fma_f64 v[94:95], v[96:97], v[82:83], -v[86:87]
	v_fmac_f64_e32 v[94:95], v[96:97], v[80:81]
	v_add_f64 v[98:99], v[86:87], v[94:95]
	v_add_f64 v[100:101], -v[98:99], 1.0
	v_add_f64 v[86:87], v[98:99], -v[86:87]
	v_add_f64 v[102:103], -v[100:101], 1.0
	v_add_f64 v[98:99], v[102:103], -v[98:99]
	v_add_f64 v[86:87], v[86:87], -v[94:95]
	v_add_f64 v[86:87], v[86:87], v[98:99]
	v_add_f64 v[94:95], v[100:101], v[86:87]
	v_add_f64 v[98:99], v[100:101], -v[94:95]
	v_add_f64 v[86:87], v[86:87], v[98:99]
	v_mul_f64 v[98:99], v[96:97], v[94:95]
	v_mul_f64 v[100:101], v[82:83], v[98:99]
	v_fma_f64 v[102:103], v[98:99], v[82:83], -v[100:101]
	v_fmac_f64_e32 v[102:103], v[98:99], v[80:81]
	v_add_f64 v[104:105], v[100:101], v[102:103]
	v_add_f64 v[106:107], v[94:95], -v[104:105]
	v_add_f64 v[94:95], v[94:95], -v[106:107]
	;; [unrolled: 1-line block ×4, first 2 shown]
	v_add_f64 v[86:87], v[86:87], v[94:95]
	v_add_f64 v[94:95], v[100:101], -v[102:103]
	v_add_f64 v[86:87], v[94:95], v[86:87]
	v_add_f64 v[86:87], v[106:107], v[86:87]
	;; [unrolled: 1-line block ×3, first 2 shown]
	v_mul_f64 v[86:87], v[96:97], v[86:87]
	v_add_f64 v[96:97], v[94:95], -v[96:97]
	v_add_f64 v[96:97], v[98:99], -v[96:97]
	v_add_f64 v[86:87], v[96:97], v[86:87]
	v_add_f64 v[96:97], v[94:95], v[86:87]
	v_add_f64 v[94:95], v[96:97], -v[94:95]
	v_add_f64 v[86:87], v[86:87], -v[94:95]
	v_ldexp_f64 v[94:95], v[96:97], -2
	v_add_f64 v[96:97], v[82:83], -v[94:95]
	v_add_f64 v[82:83], v[82:83], -v[96:97]
	;; [unrolled: 1-line block ×3, first 2 shown]
	s_mov_b32 s8, 0x8fb9f87e
	v_ldexp_f64 v[86:87], v[86:87], -2
	v_add_f64 v[80:81], v[80:81], v[82:83]
	s_mov_b32 s9, 0x408633ce
	v_add_f64 v[80:81], v[80:81], -v[86:87]
	v_cmp_nge_f64_e64 vcc, |v[14:15]|, s[8:9]
	s_mov_b32 s8, 0
	v_add_f64 v[80:81], v[96:97], v[80:81]
	s_mov_b32 s9, 0x3e400000
	v_cndmask_b32_e32 v81, v91, v81, vcc
	v_cndmask_b32_e32 v80, 0, v80, vcc
	v_cmp_lt_f64_e64 vcc, |v[14:15]|, s[8:9]
	v_cndmask_b32_e32 v14, v80, v14, vcc
	v_cndmask_b32_e32 v80, v81, v84, vcc
	v_bfi_b32 v15, s46, v80, v15
	s_mov_b32 s8, 0
	v_fma_f64 v[80:81], v[14:15], v[14:15], 1.0
	s_brev_b32 s9, 8
	v_cmp_gt_f64_e32 vcc, s[8:9], v[80:81]
	v_cndmask_b32_e64 v82, 0, 1, vcc
	v_lshlrev_b32_e32 v82, 8, v82
	v_ldexp_f64 v[80:81], v[80:81], v82
	v_rsq_f64_e32 v[82:83], v[80:81]
	v_and_b32_e32 v17, 0x80000000, v17
	v_xor_b32_e32 v17, v19, v17
	v_cndmask_b32_e32 v19, 0, v92, vcc
	v_mul_f64 v[86:87], v[80:81], v[82:83]
	v_mul_f64 v[82:83], v[82:83], 0.5
	v_fma_f64 v[94:95], -v[82:83], v[86:87], 0.5
	v_fmac_f64_e32 v[86:87], v[86:87], v[94:95]
	v_fma_f64 v[96:97], -v[86:87], v[86:87], v[80:81]
	v_fmac_f64_e32 v[82:83], v[82:83], v[94:95]
	v_fmac_f64_e32 v[86:87], v[96:97], v[82:83]
	v_fma_f64 v[94:95], -v[86:87], v[86:87], v[80:81]
	v_fmac_f64_e32 v[86:87], v[94:95], v[82:83]
	v_ldexp_f64 v[82:83], v[86:87], v19
	v_cmp_class_f64_e32 vcc, v[80:81], v88
	v_fma_f64 v[84:85], v[16:17], v[16:17], 1.0
	v_cndmask_b32_e32 v81, v83, v81, vcc
	v_cndmask_b32_e32 v80, v82, v80, vcc
	v_mul_f64 v[82:83], v[14:15], v[84:85]
	v_mul_f64 v[80:81], v[80:81], v[84:85]
	v_fma_f64 v[82:83], v[14:15], v[82:83], 1.0
	v_mul_f64 v[14:15], v[14:15], v[80:81]
	v_div_scale_f64 v[80:81], s[8:9], v[82:83], v[82:83], v[14:15]
	v_rcp_f64_e32 v[84:85], v[80:81]
	v_fma_f64 v[86:87], -v[80:81], v[84:85], 1.0
	v_fmac_f64_e32 v[84:85], v[84:85], v[86:87]
	v_fma_f64 v[86:87], -v[80:81], v[84:85], 1.0
	v_fmac_f64_e32 v[84:85], v[84:85], v[86:87]
	v_div_scale_f64 v[86:87], vcc, v[14:15], v[82:83], v[14:15]
	v_mul_f64 v[94:95], v[86:87], v[84:85]
	v_fma_f64 v[80:81], -v[80:81], v[94:95], v[86:87]
	v_div_scale_f64 v[86:87], s[8:9], v[82:83], v[82:83], v[16:17]
	v_rcp_f64_e32 v[96:97], v[86:87]
	v_div_fmas_f64 v[80:81], v[80:81], v[84:85], v[94:95]
	v_div_fixup_f64 v[14:15], v[80:81], v[82:83], v[14:15]
	v_fma_f64 v[80:81], -v[86:87], v[96:97], 1.0
	v_fmac_f64_e32 v[96:97], v[96:97], v[80:81]
	v_fma_f64 v[80:81], -v[86:87], v[96:97], 1.0
	v_fmac_f64_e32 v[96:97], v[96:97], v[80:81]
	v_div_scale_f64 v[80:81], vcc, v[16:17], v[82:83], v[16:17]
	v_mul_f64 v[84:85], v[80:81], v[96:97]
	v_fma_f64 v[80:81], -v[86:87], v[84:85], v[80:81]
	s_nop 1
	v_div_fmas_f64 v[80:81], v[80:81], v[96:97], v[84:85]
	v_div_fixup_f64 v[16:17], v[80:81], v[82:83], v[16:17]
.LBB156_253:                            ;   in Loop: Header=BB156_161 Depth=1
	s_andn2_saveexec_b64 s[54:55], s[54:55]
	s_cbranch_execz .LBB156_263
; %bb.254:                              ;   in Loop: Header=BB156_161 Depth=1
	v_cmp_nlt_f64_e64 s[56:57], |v[16:17]|, s[18:19]
                                        ; implicit-def: $vgpr94
                                        ; implicit-def: $vgpr80_vgpr81
                                        ; implicit-def: $vgpr82_vgpr83
	s_and_saveexec_b64 s[8:9], s[56:57]
	s_xor_b64 s[64:65], exec, s[8:9]
	s_cbranch_execz .LBB156_256
; %bb.255:                              ;   in Loop: Header=BB156_161 Depth=1
	v_and_b32_e32 v19, 0x7fffffff, v17
	v_ldexp_f64 v[84:85], |v[16:17]|, s59
	v_cmp_ge_f64_e64 vcc, |v[16:17]|, s[20:21]
	v_trig_preop_f64 v[80:81], |v[16:17]|, 0
	v_cndmask_b32_e32 v85, v19, v85, vcc
	v_cndmask_b32_e32 v84, v16, v84, vcc
	v_trig_preop_f64 v[82:83], |v[16:17]|, 1
	v_mul_f64 v[94:95], v[80:81], v[84:85]
	v_mul_f64 v[86:87], v[82:83], v[84:85]
	v_fma_f64 v[80:81], v[80:81], v[84:85], -v[94:95]
	v_add_f64 v[96:97], v[86:87], v[80:81]
	v_add_f64 v[98:99], v[94:95], v[96:97]
	v_ldexp_f64 v[100:101], v[98:99], -2
	v_fract_f64_e32 v[102:103], v[100:101]
	v_cmp_neq_f64_e64 vcc, |v[100:101]|, s[22:23]
	v_cndmask_b32_e32 v101, 0, v103, vcc
	v_cndmask_b32_e32 v100, 0, v102, vcc
	v_add_f64 v[102:103], v[96:97], -v[86:87]
	v_add_f64 v[80:81], v[80:81], -v[102:103]
	;; [unrolled: 1-line block ×4, first 2 shown]
	v_fma_f64 v[82:83], v[82:83], v[84:85], -v[86:87]
	v_trig_preop_f64 v[86:87], |v[16:17]|, 2
	v_add_f64 v[80:81], v[80:81], v[102:103]
	v_mul_f64 v[102:103], v[86:87], v[84:85]
	v_add_f64 v[104:105], v[102:103], v[82:83]
	v_add_f64 v[106:107], v[104:105], v[80:81]
	v_add_f64 v[94:95], v[98:99], -v[94:95]
	v_add_f64 v[98:99], v[106:107], -v[104:105]
	;; [unrolled: 1-line block ×5, first 2 shown]
	v_add_f64 v[80:81], v[80:81], v[98:99]
	v_add_f64 v[98:99], v[104:105], -v[102:103]
	v_add_f64 v[82:83], v[82:83], -v[98:99]
	;; [unrolled: 1-line block ×4, first 2 shown]
	v_add_f64 v[82:83], v[82:83], v[98:99]
	v_add_f64 v[94:95], v[96:97], -v[94:95]
	v_add_f64 v[80:81], v[82:83], v[80:81]
	v_fma_f64 v[82:83], v[86:87], v[84:85], -v[102:103]
	v_add_f64 v[96:97], v[94:95], v[106:107]
	v_add_f64 v[80:81], v[82:83], v[80:81]
	v_ldexp_f64 v[82:83], v[100:101], 2
	v_add_f64 v[84:85], v[96:97], v[82:83]
	v_cmp_gt_f64_e32 vcc, 0, v[84:85]
	v_cndmask_b32_e32 v19, 0, v89, vcc
	v_add_f64 v[82:83], v[82:83], v[18:19]
	v_add_f64 v[84:85], v[96:97], v[82:83]
	v_cvt_i32_f64_e32 v19, v[84:85]
	v_cvt_f64_i32_e32 v[84:85], v19
	v_add_f64 v[82:83], v[82:83], -v[84:85]
	v_add_f64 v[94:95], v[96:97], -v[94:95]
	v_add_f64 v[84:85], v[96:97], v[82:83]
	v_add_f64 v[94:95], v[106:107], -v[94:95]
	v_add_f64 v[82:83], v[84:85], -v[82:83]
	v_cmp_le_f64_e32 vcc, 0.5, v[84:85]
	v_add_f64 v[80:81], v[94:95], v[80:81]
	v_add_f64 v[82:83], v[96:97], -v[82:83]
	v_addc_co_u32_e64 v94, s[8:9], 0, v19, vcc
	v_cndmask_b32_e32 v19, 0, v90, vcc
	v_add_f64 v[80:81], v[80:81], v[82:83]
	v_add_f64 v[82:83], v[84:85], -v[18:19]
	v_add_f64 v[84:85], v[82:83], v[80:81]
	v_add_f64 v[82:83], v[84:85], -v[82:83]
	s_mov_b32 s24, s26
	v_add_f64 v[80:81], v[80:81], -v[82:83]
	v_mul_f64 v[82:83], v[84:85], s[24:25]
	v_fma_f64 v[86:87], v[84:85], s[24:25], -v[82:83]
	s_mov_b32 s31, s29
	v_fmac_f64_e32 v[86:87], s[30:31], v[84:85]
	v_fmac_f64_e32 v[86:87], s[24:25], v[80:81]
	v_add_f64 v[80:81], v[82:83], v[86:87]
	v_add_f64 v[82:83], v[80:81], -v[82:83]
	v_add_f64 v[82:83], v[86:87], -v[82:83]
	s_andn2_saveexec_b64 s[8:9], s[64:65]
	s_cbranch_execz .LBB156_258
	s_branch .LBB156_257
.LBB156_256:                            ;   in Loop: Header=BB156_161 Depth=1
	s_andn2_saveexec_b64 s[8:9], s[64:65]
	s_cbranch_execz .LBB156_258
.LBB156_257:                            ;   in Loop: Header=BB156_161 Depth=1
	v_mul_f64 v[80:81], |v[16:17]|, s[34:35]
	v_rndne_f64_e32 v[84:85], v[80:81]
	v_fma_f64 v[80:81], v[84:85], s[26:27], |v[16:17]|
	v_mul_f64 v[86:87], v[84:85], s[36:37]
	v_add_f64 v[96:97], v[80:81], v[86:87]
	v_fma_f64 v[82:83], s[36:37], v[84:85], v[80:81]
	s_mov_b32 s28, s36
	v_add_f64 v[80:81], v[80:81], -v[96:97]
	v_fma_f64 v[94:95], s[28:29], v[84:85], v[86:87]
	v_add_f64 v[80:81], v[80:81], v[86:87]
	v_add_f64 v[86:87], v[96:97], -v[82:83]
	v_add_f64 v[80:81], v[86:87], v[80:81]
	v_add_f64 v[86:87], v[80:81], -v[94:95]
	v_fmac_f64_e32 v[86:87], s[38:39], v[84:85]
	v_add_f64 v[80:81], v[82:83], v[86:87]
	v_add_f64 v[82:83], v[80:81], -v[82:83]
	v_add_f64 v[82:83], v[86:87], -v[82:83]
	v_cvt_i32_f64_e32 v94, v[84:85]
.LBB156_258:                            ;   in Loop: Header=BB156_161 Depth=1
	s_or_b64 exec, exec, s[8:9]
                                        ; implicit-def: $vgpr95
                                        ; implicit-def: $vgpr84_vgpr85
                                        ; implicit-def: $vgpr86_vgpr87
	s_and_saveexec_b64 s[8:9], s[56:57]
	s_xor_b64 s[56:57], exec, s[8:9]
	s_cbranch_execz .LBB156_260
; %bb.259:                              ;   in Loop: Header=BB156_161 Depth=1
	v_and_b32_e32 v19, 0x7fffffff, v17
	v_ldexp_f64 v[96:97], |v[16:17]|, s59
	v_cmp_ge_f64_e64 vcc, |v[16:17]|, s[20:21]
	v_trig_preop_f64 v[84:85], |v[16:17]|, 0
	v_cndmask_b32_e32 v97, v19, v97, vcc
	v_cndmask_b32_e32 v96, v16, v96, vcc
	v_trig_preop_f64 v[86:87], |v[16:17]|, 1
	v_mul_f64 v[100:101], v[84:85], v[96:97]
	v_mul_f64 v[98:99], v[86:87], v[96:97]
	v_fma_f64 v[84:85], v[84:85], v[96:97], -v[100:101]
	v_add_f64 v[102:103], v[98:99], v[84:85]
	v_add_f64 v[104:105], v[100:101], v[102:103]
	v_ldexp_f64 v[106:107], v[104:105], -2
	v_fract_f64_e32 v[108:109], v[106:107]
	v_cmp_neq_f64_e64 vcc, |v[106:107]|, s[22:23]
	v_cndmask_b32_e32 v107, 0, v109, vcc
	v_cndmask_b32_e32 v106, 0, v108, vcc
	v_add_f64 v[108:109], v[102:103], -v[98:99]
	v_add_f64 v[84:85], v[84:85], -v[108:109]
	;; [unrolled: 1-line block ×4, first 2 shown]
	v_fma_f64 v[86:87], v[86:87], v[96:97], -v[98:99]
	v_trig_preop_f64 v[98:99], |v[16:17]|, 2
	v_add_f64 v[84:85], v[84:85], v[108:109]
	v_mul_f64 v[108:109], v[98:99], v[96:97]
	v_add_f64 v[110:111], v[108:109], v[86:87]
	v_add_f64 v[112:113], v[110:111], v[84:85]
	v_add_f64 v[100:101], v[104:105], -v[100:101]
	v_add_f64 v[104:105], v[112:113], -v[110:111]
	;; [unrolled: 1-line block ×5, first 2 shown]
	v_add_f64 v[84:85], v[84:85], v[104:105]
	v_add_f64 v[104:105], v[110:111], -v[108:109]
	v_add_f64 v[86:87], v[86:87], -v[104:105]
	;; [unrolled: 1-line block ×4, first 2 shown]
	v_add_f64 v[86:87], v[86:87], v[104:105]
	v_add_f64 v[100:101], v[102:103], -v[100:101]
	v_add_f64 v[84:85], v[86:87], v[84:85]
	v_fma_f64 v[86:87], v[98:99], v[96:97], -v[108:109]
	v_add_f64 v[102:103], v[100:101], v[112:113]
	v_add_f64 v[84:85], v[86:87], v[84:85]
	v_ldexp_f64 v[86:87], v[106:107], 2
	v_add_f64 v[96:97], v[102:103], v[86:87]
	v_cmp_gt_f64_e32 vcc, 0, v[96:97]
	v_cndmask_b32_e32 v19, 0, v89, vcc
	v_add_f64 v[86:87], v[86:87], v[18:19]
	v_add_f64 v[96:97], v[102:103], v[86:87]
	v_cvt_i32_f64_e32 v19, v[96:97]
	v_cvt_f64_i32_e32 v[96:97], v19
	v_add_f64 v[86:87], v[86:87], -v[96:97]
	v_add_f64 v[100:101], v[102:103], -v[100:101]
	v_add_f64 v[96:97], v[102:103], v[86:87]
	v_add_f64 v[100:101], v[112:113], -v[100:101]
	v_add_f64 v[86:87], v[96:97], -v[86:87]
	v_cmp_le_f64_e32 vcc, 0.5, v[96:97]
	v_add_f64 v[84:85], v[100:101], v[84:85]
	v_add_f64 v[86:87], v[102:103], -v[86:87]
	v_addc_co_u32_e64 v95, s[8:9], 0, v19, vcc
	v_cndmask_b32_e32 v19, 0, v90, vcc
	v_add_f64 v[84:85], v[84:85], v[86:87]
	v_add_f64 v[86:87], v[96:97], -v[18:19]
	v_add_f64 v[96:97], v[86:87], v[84:85]
	v_add_f64 v[86:87], v[96:97], -v[86:87]
	s_mov_b32 s24, s26
	v_add_f64 v[84:85], v[84:85], -v[86:87]
	v_mul_f64 v[86:87], v[96:97], s[24:25]
	v_fma_f64 v[98:99], v[96:97], s[24:25], -v[86:87]
	s_mov_b32 s31, s29
	v_fmac_f64_e32 v[98:99], s[30:31], v[96:97]
	v_fmac_f64_e32 v[98:99], s[24:25], v[84:85]
	v_add_f64 v[84:85], v[86:87], v[98:99]
	v_add_f64 v[86:87], v[84:85], -v[86:87]
	v_add_f64 v[86:87], v[98:99], -v[86:87]
	s_andn2_saveexec_b64 s[8:9], s[56:57]
	s_cbranch_execnz .LBB156_261
	s_branch .LBB156_262
.LBB156_260:                            ;   in Loop: Header=BB156_161 Depth=1
	s_andn2_saveexec_b64 s[8:9], s[56:57]
	s_cbranch_execz .LBB156_262
.LBB156_261:                            ;   in Loop: Header=BB156_161 Depth=1
	v_mul_f64 v[84:85], |v[16:17]|, s[34:35]
	v_rndne_f64_e32 v[96:97], v[84:85]
	v_fma_f64 v[84:85], v[96:97], s[26:27], |v[16:17]|
	v_mul_f64 v[98:99], v[96:97], s[36:37]
	v_add_f64 v[102:103], v[84:85], v[98:99]
	v_fma_f64 v[86:87], s[36:37], v[96:97], v[84:85]
	s_mov_b32 s28, s36
	v_add_f64 v[84:85], v[84:85], -v[102:103]
	v_fma_f64 v[100:101], s[28:29], v[96:97], v[98:99]
	v_add_f64 v[84:85], v[84:85], v[98:99]
	v_add_f64 v[98:99], v[102:103], -v[86:87]
	v_add_f64 v[84:85], v[98:99], v[84:85]
	v_add_f64 v[98:99], v[84:85], -v[100:101]
	v_fmac_f64_e32 v[98:99], s[38:39], v[96:97]
	v_add_f64 v[84:85], v[86:87], v[98:99]
	v_add_f64 v[86:87], v[84:85], -v[86:87]
	v_add_f64 v[86:87], v[98:99], -v[86:87]
	v_cvt_i32_f64_e32 v95, v[96:97]
.LBB156_262:                            ;   in Loop: Header=BB156_161 Depth=1
	s_or_b64 exec, exec, s[8:9]
	v_mul_f64 v[96:97], v[80:81], v[80:81]
	v_pk_mov_b32 v[104:105], s[70:71], s[70:71] op_sel:[0,1]
	v_mul_f64 v[98:99], v[96:97], 0.5
	v_fma_f64 v[106:107], s[72:73], v[96:97], v[104:105]
	v_add_f64 v[100:101], -v[98:99], 1.0
	v_fma_f64 v[106:107], v[96:97], v[106:107], s[74:75]
	v_add_f64 v[102:103], -v[100:101], 1.0
	v_fma_f64 v[106:107], v[96:97], v[106:107], s[76:77]
	v_add_f64 v[98:99], v[102:103], -v[98:99]
	v_fma_f64 v[106:107], v[96:97], v[106:107], s[78:79]
	v_mul_f64 v[102:103], v[96:97], v[96:97]
	v_fma_f64 v[106:107], v[96:97], v[106:107], s[62:63]
	v_fma_f64 v[98:99], v[80:81], -v[82:83], v[98:99]
	v_fmac_f64_e32 v[98:99], v[102:103], v[106:107]
	v_add_f64 v[98:99], v[100:101], v[98:99]
	v_pk_mov_b32 v[100:101], s[80:81], s[80:81] op_sel:[0,1]
	v_fma_f64 v[102:103], s[82:83], v[96:97], v[100:101]
	v_fma_f64 v[102:103], v[96:97], v[102:103], s[84:85]
	;; [unrolled: 1-line block ×4, first 2 shown]
	v_mul_f64 v[106:107], v[80:81], -v[96:97]
	v_mul_f64 v[108:109], v[82:83], 0.5
	v_fmac_f64_e32 v[108:109], v[106:107], v[102:103]
	v_fma_f64 v[82:83], v[96:97], v[108:109], -v[82:83]
	s_mov_b32 s88, s62
	v_fmac_f64_e32 v[82:83], s[88:89], v[106:107]
	v_and_b32_e32 v16, 1, v94
	v_add_f64 v[80:81], v[80:81], -v[82:83]
	v_cmp_eq_u32_e32 vcc, 0, v16
	s_mov_b32 s8, 0x652b82fe
	v_cndmask_b32_e32 v16, v98, v80, vcc
	v_lshlrev_b32_e32 v80, 30, v94
	s_mov_b32 s9, 0xbff71547
	v_cndmask_b32_e32 v19, v99, v81, vcc
	v_xor_b32_e32 v17, v80, v17
	v_mul_f64 v[80:81], |v[14:15]|, s[8:9]
	v_rndne_f64_e32 v[80:81], v[80:81]
	s_mov_b32 s8, 0x3b39803f
	v_fma_f64 v[82:83], v[80:81], s[42:43], -|v[14:15]|
	s_mov_b32 s9, 0xbc7abc9e
	v_fmac_f64_e32 v[82:83], s[8:9], v[80:81]
	s_mov_b32 s8, 0x6a5dcb37
	v_pk_mov_b32 v[96:97], v[56:57], v[56:57] op_sel:[0,1]
	s_mov_b32 s9, 0x3e5ade15
	v_fmac_f64_e32 v[96:97], s[8:9], v[82:83]
	v_pk_mov_b32 v[98:99], v[58:59], v[58:59] op_sel:[0,1]
	v_fmac_f64_e32 v[98:99], v[82:83], v[96:97]
	v_pk_mov_b32 v[96:97], v[60:61], v[60:61] op_sel:[0,1]
	;; [unrolled: 2-line block ×8, first 2 shown]
	v_fmac_f64_e32 v[96:97], v[82:83], v[98:99]
	v_and_b32_e32 v17, 0x80000000, v17
	v_fma_f64 v[96:97], v[82:83], v[96:97], 1.0
	s_mov_b32 s8, 0
	v_xor_b32_e32 v17, v19, v17
	v_fma_f64 v[82:83], v[82:83], v[96:97], 1.0
	v_cvt_i32_f64_e32 v19, v[80:81]
	s_mov_b32 s9, 0x4090cc00
	v_ldexp_f64 v[80:81], v[82:83], v19
	v_cmp_ngt_f64_e64 vcc, |v[14:15]|, s[8:9]
	v_bfi_b32 v19, s46, v90, v15
	v_mul_f64 v[14:15], v[84:85], v[84:85]
	v_mul_f64 v[82:83], v[14:15], 0.5
	v_fmac_f64_e32 v[104:105], s[72:73], v[14:15]
	v_add_f64 v[96:97], -v[82:83], 1.0
	v_fma_f64 v[102:103], v[14:15], v[104:105], s[74:75]
	v_add_f64 v[98:99], -v[96:97], 1.0
	v_fma_f64 v[102:103], v[14:15], v[102:103], s[76:77]
	v_add_f64 v[82:83], v[98:99], -v[82:83]
	v_fma_f64 v[102:103], v[14:15], v[102:103], s[78:79]
	v_mul_f64 v[98:99], v[14:15], v[14:15]
	v_fma_f64 v[102:103], v[14:15], v[102:103], s[62:63]
	v_fma_f64 v[82:83], v[84:85], -v[86:87], v[82:83]
	v_fmac_f64_e32 v[82:83], v[98:99], v[102:103]
	v_fmac_f64_e32 v[100:101], s[82:83], v[14:15]
	v_add_f64 v[82:83], v[96:97], v[82:83]
	v_fma_f64 v[96:97], v[14:15], v[100:101], s[84:85]
	v_fma_f64 v[96:97], v[14:15], v[96:97], s[86:87]
	;; [unrolled: 1-line block ×3, first 2 shown]
	v_mul_f64 v[98:99], v[84:85], -v[14:15]
	v_mul_f64 v[100:101], v[86:87], 0.5
	v_fmac_f64_e32 v[100:101], v[98:99], v[96:97]
	v_fma_f64 v[14:15], v[14:15], v[100:101], -v[86:87]
	v_fmac_f64_e32 v[14:15], s[88:89], v[98:99]
	v_add_f64 v[14:15], v[84:85], -v[14:15]
	v_and_b32_e32 v84, 1, v95
	v_cndmask_b32_e32 v81, 0, v81, vcc
	v_cndmask_b32_e32 v80, 0, v80, vcc
	v_cmp_eq_u32_e32 vcc, 0, v84
	v_xor_b32_e32 v15, 0x80000000, v15
	v_cndmask_b32_e32 v14, v14, v82, vcc
	v_lshlrev_b32_e32 v82, 30, v95
	v_cndmask_b32_e32 v15, v15, v83, vcc
	v_and_b32_e32 v82, 0x80000000, v82
	v_mul_f64 v[16:17], v[16:17], 4.0
	v_xor_b32_e32 v15, v15, v82
	v_mul_f64 v[14:15], v[16:17], v[14:15]
	v_mul_f64 v[14:15], v[80:81], v[14:15]
	v_mul_f64 v[16:17], v[80:81], v[14:15]
	v_pk_mov_b32 v[14:15], v[18:19], v[18:19] op_sel:[0,1]
.LBB156_263:                            ;   in Loop: Header=BB156_161 Depth=1
	s_or_b64 exec, exec, s[54:55]
.LBB156_264:                            ;   in Loop: Header=BB156_161 Depth=1
	s_andn2_saveexec_b64 s[8:9], s[40:41]
; %bb.265:                              ;   in Loop: Header=BB156_161 Depth=1
	v_add_f64 v[16:17], v[16:17], -v[16:17]
	v_pk_mov_b32 v[14:15], v[16:17], v[16:17] op_sel:[0,1]
; %bb.266:                              ;   in Loop: Header=BB156_161 Depth=1
	s_or_b64 exec, exec, s[8:9]
.LBB156_267:                            ;   in Loop: Header=BB156_161 Depth=1
	s_andn2_saveexec_b64 s[40:41], s[94:95]
	s_cbranch_execz .LBB156_283
; %bb.268:                              ;   in Loop: Header=BB156_161 Depth=1
	v_and_or_b32 v19, v15, s50, v14
	v_cmp_ne_u32_e32 vcc, 0, v19
	s_and_saveexec_b64 s[8:9], vcc
	s_xor_b64 s[8:9], exec, s[8:9]
; %bb.269:                              ;   in Loop: Header=BB156_161 Depth=1
	v_mul_f64 v[80:81], v[16:17], v[14:15]
	v_cmp_eq_f64_e32 vcc, 0, v[16:17]
	v_cndmask_b32_e32 v17, v81, v17, vcc
	v_cndmask_b32_e32 v16, v80, v16, vcc
; %bb.270:                              ;   in Loop: Header=BB156_161 Depth=1
	s_andn2_saveexec_b64 s[54:55], s[8:9]
	s_cbranch_execz .LBB156_282
; %bb.271:                              ;   in Loop: Header=BB156_161 Depth=1
	v_cmp_neq_f64_e64 s[8:9], |v[16:17]|, s[22:23]
	s_and_saveexec_b64 s[94:95], s[8:9]
	s_cbranch_execz .LBB156_281
; %bb.272:                              ;   in Loop: Header=BB156_161 Depth=1
	v_cmp_nlt_f64_e64 s[56:57], |v[16:17]|, s[18:19]
                                        ; implicit-def: $vgpr94
                                        ; implicit-def: $vgpr80_vgpr81
                                        ; implicit-def: $vgpr82_vgpr83
	s_and_saveexec_b64 s[8:9], s[56:57]
	s_xor_b64 s[64:65], exec, s[8:9]
	s_cbranch_execz .LBB156_274
; %bb.273:                              ;   in Loop: Header=BB156_161 Depth=1
	v_and_b32_e32 v19, 0x7fffffff, v17
	v_ldexp_f64 v[84:85], |v[16:17]|, s59
	v_cmp_ge_f64_e64 vcc, |v[16:17]|, s[20:21]
	v_trig_preop_f64 v[80:81], |v[16:17]|, 0
	v_cndmask_b32_e32 v85, v19, v85, vcc
	v_cndmask_b32_e32 v84, v16, v84, vcc
	v_trig_preop_f64 v[82:83], |v[16:17]|, 1
	v_mul_f64 v[94:95], v[80:81], v[84:85]
	v_mul_f64 v[86:87], v[82:83], v[84:85]
	v_fma_f64 v[80:81], v[80:81], v[84:85], -v[94:95]
	v_add_f64 v[96:97], v[86:87], v[80:81]
	v_add_f64 v[98:99], v[94:95], v[96:97]
	v_ldexp_f64 v[100:101], v[98:99], -2
	v_fract_f64_e32 v[102:103], v[100:101]
	v_cmp_neq_f64_e64 vcc, |v[100:101]|, s[22:23]
	v_cndmask_b32_e32 v101, 0, v103, vcc
	v_cndmask_b32_e32 v100, 0, v102, vcc
	v_add_f64 v[102:103], v[96:97], -v[86:87]
	v_add_f64 v[80:81], v[80:81], -v[102:103]
	;; [unrolled: 1-line block ×4, first 2 shown]
	v_fma_f64 v[82:83], v[82:83], v[84:85], -v[86:87]
	v_trig_preop_f64 v[86:87], |v[16:17]|, 2
	v_add_f64 v[80:81], v[80:81], v[102:103]
	v_mul_f64 v[102:103], v[86:87], v[84:85]
	v_add_f64 v[104:105], v[102:103], v[82:83]
	v_add_f64 v[106:107], v[104:105], v[80:81]
	v_add_f64 v[94:95], v[98:99], -v[94:95]
	v_add_f64 v[98:99], v[106:107], -v[104:105]
	;; [unrolled: 1-line block ×5, first 2 shown]
	v_add_f64 v[80:81], v[80:81], v[98:99]
	v_add_f64 v[98:99], v[104:105], -v[102:103]
	v_add_f64 v[82:83], v[82:83], -v[98:99]
	;; [unrolled: 1-line block ×4, first 2 shown]
	v_add_f64 v[82:83], v[82:83], v[98:99]
	v_add_f64 v[94:95], v[96:97], -v[94:95]
	v_add_f64 v[80:81], v[82:83], v[80:81]
	v_fma_f64 v[82:83], v[86:87], v[84:85], -v[102:103]
	v_add_f64 v[96:97], v[94:95], v[106:107]
	v_add_f64 v[80:81], v[82:83], v[80:81]
	v_ldexp_f64 v[82:83], v[100:101], 2
	v_add_f64 v[84:85], v[96:97], v[82:83]
	v_cmp_gt_f64_e32 vcc, 0, v[84:85]
	v_cndmask_b32_e32 v19, 0, v89, vcc
	v_add_f64 v[82:83], v[82:83], v[18:19]
	v_add_f64 v[84:85], v[96:97], v[82:83]
	v_cvt_i32_f64_e32 v19, v[84:85]
	v_cvt_f64_i32_e32 v[84:85], v19
	v_add_f64 v[82:83], v[82:83], -v[84:85]
	v_add_f64 v[94:95], v[96:97], -v[94:95]
	v_add_f64 v[84:85], v[96:97], v[82:83]
	v_add_f64 v[94:95], v[106:107], -v[94:95]
	v_add_f64 v[82:83], v[84:85], -v[82:83]
	v_cmp_le_f64_e32 vcc, 0.5, v[84:85]
	v_add_f64 v[80:81], v[94:95], v[80:81]
	v_add_f64 v[82:83], v[96:97], -v[82:83]
	v_addc_co_u32_e64 v94, s[8:9], 0, v19, vcc
	v_cndmask_b32_e32 v19, 0, v90, vcc
	v_add_f64 v[80:81], v[80:81], v[82:83]
	v_add_f64 v[82:83], v[84:85], -v[18:19]
	v_add_f64 v[84:85], v[82:83], v[80:81]
	v_add_f64 v[82:83], v[84:85], -v[82:83]
	s_mov_b32 s24, s26
	v_add_f64 v[80:81], v[80:81], -v[82:83]
	v_mul_f64 v[82:83], v[84:85], s[24:25]
	v_fma_f64 v[86:87], v[84:85], s[24:25], -v[82:83]
	s_mov_b32 s31, s29
	v_fmac_f64_e32 v[86:87], s[30:31], v[84:85]
	v_fmac_f64_e32 v[86:87], s[24:25], v[80:81]
	v_add_f64 v[80:81], v[82:83], v[86:87]
	v_add_f64 v[82:83], v[80:81], -v[82:83]
	v_add_f64 v[82:83], v[86:87], -v[82:83]
	s_andn2_saveexec_b64 s[8:9], s[64:65]
	s_cbranch_execz .LBB156_276
	s_branch .LBB156_275
.LBB156_274:                            ;   in Loop: Header=BB156_161 Depth=1
	s_andn2_saveexec_b64 s[8:9], s[64:65]
	s_cbranch_execz .LBB156_276
.LBB156_275:                            ;   in Loop: Header=BB156_161 Depth=1
	v_mul_f64 v[80:81], |v[16:17]|, s[34:35]
	v_rndne_f64_e32 v[84:85], v[80:81]
	v_fma_f64 v[80:81], v[84:85], s[26:27], |v[16:17]|
	v_mul_f64 v[86:87], v[84:85], s[36:37]
	v_add_f64 v[96:97], v[80:81], v[86:87]
	v_fma_f64 v[82:83], s[36:37], v[84:85], v[80:81]
	s_mov_b32 s28, s36
	v_add_f64 v[80:81], v[80:81], -v[96:97]
	v_fma_f64 v[94:95], s[28:29], v[84:85], v[86:87]
	v_add_f64 v[80:81], v[80:81], v[86:87]
	v_add_f64 v[86:87], v[96:97], -v[82:83]
	v_add_f64 v[80:81], v[86:87], v[80:81]
	v_add_f64 v[86:87], v[80:81], -v[94:95]
	v_fmac_f64_e32 v[86:87], s[38:39], v[84:85]
	v_add_f64 v[80:81], v[82:83], v[86:87]
	v_add_f64 v[82:83], v[80:81], -v[82:83]
	v_add_f64 v[82:83], v[86:87], -v[82:83]
	v_cvt_i32_f64_e32 v94, v[84:85]
.LBB156_276:                            ;   in Loop: Header=BB156_161 Depth=1
	s_or_b64 exec, exec, s[8:9]
                                        ; implicit-def: $vgpr95
                                        ; implicit-def: $vgpr84_vgpr85
                                        ; implicit-def: $vgpr86_vgpr87
	s_and_saveexec_b64 s[8:9], s[56:57]
	s_xor_b64 s[56:57], exec, s[8:9]
	s_cbranch_execz .LBB156_278
; %bb.277:                              ;   in Loop: Header=BB156_161 Depth=1
	v_and_b32_e32 v19, 0x7fffffff, v17
	v_ldexp_f64 v[96:97], |v[16:17]|, s59
	v_cmp_ge_f64_e64 vcc, |v[16:17]|, s[20:21]
	v_trig_preop_f64 v[84:85], |v[16:17]|, 0
	v_cndmask_b32_e32 v97, v19, v97, vcc
	v_cndmask_b32_e32 v96, v16, v96, vcc
	v_trig_preop_f64 v[86:87], |v[16:17]|, 1
	v_mul_f64 v[100:101], v[84:85], v[96:97]
	v_mul_f64 v[98:99], v[86:87], v[96:97]
	v_fma_f64 v[84:85], v[84:85], v[96:97], -v[100:101]
	v_add_f64 v[102:103], v[98:99], v[84:85]
	v_add_f64 v[104:105], v[100:101], v[102:103]
	v_ldexp_f64 v[106:107], v[104:105], -2
	v_fract_f64_e32 v[108:109], v[106:107]
	v_cmp_neq_f64_e64 vcc, |v[106:107]|, s[22:23]
	v_cndmask_b32_e32 v107, 0, v109, vcc
	v_cndmask_b32_e32 v106, 0, v108, vcc
	v_add_f64 v[108:109], v[102:103], -v[98:99]
	v_add_f64 v[84:85], v[84:85], -v[108:109]
	;; [unrolled: 1-line block ×4, first 2 shown]
	v_fma_f64 v[86:87], v[86:87], v[96:97], -v[98:99]
	v_trig_preop_f64 v[98:99], |v[16:17]|, 2
	v_add_f64 v[84:85], v[84:85], v[108:109]
	v_mul_f64 v[108:109], v[98:99], v[96:97]
	v_add_f64 v[110:111], v[108:109], v[86:87]
	v_add_f64 v[112:113], v[110:111], v[84:85]
	v_add_f64 v[100:101], v[104:105], -v[100:101]
	v_add_f64 v[104:105], v[112:113], -v[110:111]
	;; [unrolled: 1-line block ×5, first 2 shown]
	v_add_f64 v[84:85], v[84:85], v[104:105]
	v_add_f64 v[104:105], v[110:111], -v[108:109]
	v_add_f64 v[86:87], v[86:87], -v[104:105]
	v_add_f64 v[104:105], v[110:111], -v[104:105]
	v_add_f64 v[104:105], v[108:109], -v[104:105]
	v_add_f64 v[86:87], v[86:87], v[104:105]
	v_add_f64 v[100:101], v[102:103], -v[100:101]
	v_add_f64 v[84:85], v[86:87], v[84:85]
	v_fma_f64 v[86:87], v[98:99], v[96:97], -v[108:109]
	v_add_f64 v[102:103], v[100:101], v[112:113]
	v_add_f64 v[84:85], v[86:87], v[84:85]
	v_ldexp_f64 v[86:87], v[106:107], 2
	v_add_f64 v[96:97], v[102:103], v[86:87]
	v_cmp_gt_f64_e32 vcc, 0, v[96:97]
	v_cndmask_b32_e32 v19, 0, v89, vcc
	v_add_f64 v[86:87], v[86:87], v[18:19]
	v_add_f64 v[96:97], v[102:103], v[86:87]
	v_cvt_i32_f64_e32 v19, v[96:97]
	v_cvt_f64_i32_e32 v[96:97], v19
	v_add_f64 v[86:87], v[86:87], -v[96:97]
	v_add_f64 v[100:101], v[102:103], -v[100:101]
	v_add_f64 v[96:97], v[102:103], v[86:87]
	v_add_f64 v[100:101], v[112:113], -v[100:101]
	v_add_f64 v[86:87], v[96:97], -v[86:87]
	v_cmp_le_f64_e32 vcc, 0.5, v[96:97]
	v_add_f64 v[84:85], v[100:101], v[84:85]
	v_add_f64 v[86:87], v[102:103], -v[86:87]
	v_addc_co_u32_e64 v95, s[8:9], 0, v19, vcc
	v_cndmask_b32_e32 v19, 0, v90, vcc
	v_add_f64 v[84:85], v[84:85], v[86:87]
	v_add_f64 v[86:87], v[96:97], -v[18:19]
	v_add_f64 v[96:97], v[86:87], v[84:85]
	v_add_f64 v[86:87], v[96:97], -v[86:87]
	s_mov_b32 s24, s26
	v_add_f64 v[84:85], v[84:85], -v[86:87]
	v_mul_f64 v[86:87], v[96:97], s[24:25]
	v_fma_f64 v[98:99], v[96:97], s[24:25], -v[86:87]
	s_mov_b32 s31, s29
	v_fmac_f64_e32 v[98:99], s[30:31], v[96:97]
	v_fmac_f64_e32 v[98:99], s[24:25], v[84:85]
	v_add_f64 v[84:85], v[86:87], v[98:99]
	v_add_f64 v[86:87], v[84:85], -v[86:87]
	v_add_f64 v[86:87], v[98:99], -v[86:87]
	s_andn2_saveexec_b64 s[8:9], s[56:57]
	s_cbranch_execnz .LBB156_279
	s_branch .LBB156_280
.LBB156_278:                            ;   in Loop: Header=BB156_161 Depth=1
	s_andn2_saveexec_b64 s[8:9], s[56:57]
	s_cbranch_execz .LBB156_280
.LBB156_279:                            ;   in Loop: Header=BB156_161 Depth=1
	v_mul_f64 v[84:85], |v[16:17]|, s[34:35]
	v_rndne_f64_e32 v[96:97], v[84:85]
	v_fma_f64 v[84:85], v[96:97], s[26:27], |v[16:17]|
	v_mul_f64 v[98:99], v[96:97], s[36:37]
	v_add_f64 v[102:103], v[84:85], v[98:99]
	v_fma_f64 v[86:87], s[36:37], v[96:97], v[84:85]
	s_mov_b32 s28, s36
	v_add_f64 v[84:85], v[84:85], -v[102:103]
	v_fma_f64 v[100:101], s[28:29], v[96:97], v[98:99]
	v_add_f64 v[84:85], v[84:85], v[98:99]
	v_add_f64 v[98:99], v[102:103], -v[86:87]
	v_add_f64 v[84:85], v[98:99], v[84:85]
	v_add_f64 v[98:99], v[84:85], -v[100:101]
	v_fmac_f64_e32 v[98:99], s[38:39], v[96:97]
	v_add_f64 v[84:85], v[86:87], v[98:99]
	v_add_f64 v[86:87], v[84:85], -v[86:87]
	v_add_f64 v[86:87], v[98:99], -v[86:87]
	v_cvt_i32_f64_e32 v95, v[96:97]
.LBB156_280:                            ;   in Loop: Header=BB156_161 Depth=1
	s_or_b64 exec, exec, s[8:9]
	v_mul_f64 v[96:97], v[80:81], v[80:81]
	v_pk_mov_b32 v[104:105], s[70:71], s[70:71] op_sel:[0,1]
	v_mul_f64 v[98:99], v[96:97], 0.5
	v_fma_f64 v[106:107], s[72:73], v[96:97], v[104:105]
	v_add_f64 v[100:101], -v[98:99], 1.0
	v_fma_f64 v[106:107], v[96:97], v[106:107], s[74:75]
	v_add_f64 v[102:103], -v[100:101], 1.0
	v_fma_f64 v[106:107], v[96:97], v[106:107], s[76:77]
	v_add_f64 v[98:99], v[102:103], -v[98:99]
	v_fma_f64 v[106:107], v[96:97], v[106:107], s[78:79]
	v_mul_f64 v[102:103], v[96:97], v[96:97]
	v_fma_f64 v[106:107], v[96:97], v[106:107], s[62:63]
	v_fma_f64 v[98:99], v[80:81], -v[82:83], v[98:99]
	v_fmac_f64_e32 v[98:99], v[102:103], v[106:107]
	v_add_f64 v[98:99], v[100:101], v[98:99]
	v_pk_mov_b32 v[100:101], s[80:81], s[80:81] op_sel:[0,1]
	v_fma_f64 v[102:103], s[82:83], v[96:97], v[100:101]
	v_fma_f64 v[102:103], v[96:97], v[102:103], s[84:85]
	;; [unrolled: 1-line block ×4, first 2 shown]
	v_mul_f64 v[106:107], v[80:81], -v[96:97]
	v_mul_f64 v[108:109], v[82:83], 0.5
	v_fmac_f64_e32 v[108:109], v[106:107], v[102:103]
	v_fma_f64 v[82:83], v[96:97], v[108:109], -v[82:83]
	s_mov_b32 s88, s62
	v_fmac_f64_e32 v[82:83], s[88:89], v[106:107]
	v_and_b32_e32 v19, 1, v94
	v_add_f64 v[80:81], v[80:81], -v[82:83]
	v_cmp_eq_u32_e32 vcc, 0, v19
	v_cndmask_b32_e32 v19, v98, v80, vcc
	v_cndmask_b32_e32 v80, v99, v81, vcc
	v_lshlrev_b32_e32 v81, 30, v94
	v_xor_b32_e32 v81, v81, v17
	v_and_b32_e32 v81, 0x80000000, v81
	v_xor_b32_e32 v80, v80, v81
	v_cmp_class_f64_e64 vcc, v[16:17], s58
	v_cndmask_b32_e32 v17, v93, v80, vcc
	v_mul_f64 v[80:81], v[84:85], v[84:85]
	v_mul_f64 v[82:83], v[80:81], 0.5
	v_fmac_f64_e32 v[104:105], s[72:73], v[80:81]
	v_add_f64 v[96:97], -v[82:83], 1.0
	v_fma_f64 v[102:103], v[80:81], v[104:105], s[74:75]
	v_add_f64 v[98:99], -v[96:97], 1.0
	v_fma_f64 v[102:103], v[80:81], v[102:103], s[76:77]
	v_add_f64 v[82:83], v[98:99], -v[82:83]
	v_fma_f64 v[102:103], v[80:81], v[102:103], s[78:79]
	v_mul_f64 v[98:99], v[80:81], v[80:81]
	v_fma_f64 v[102:103], v[80:81], v[102:103], s[62:63]
	v_fma_f64 v[82:83], v[84:85], -v[86:87], v[82:83]
	v_fmac_f64_e32 v[82:83], v[98:99], v[102:103]
	v_fmac_f64_e32 v[100:101], s[82:83], v[80:81]
	v_add_f64 v[82:83], v[96:97], v[82:83]
	v_fma_f64 v[96:97], v[80:81], v[100:101], s[84:85]
	v_fma_f64 v[96:97], v[80:81], v[96:97], s[86:87]
	;; [unrolled: 1-line block ×3, first 2 shown]
	v_mul_f64 v[98:99], v[84:85], -v[80:81]
	v_mul_f64 v[100:101], v[86:87], 0.5
	v_fmac_f64_e32 v[100:101], v[98:99], v[96:97]
	v_fma_f64 v[80:81], v[80:81], v[100:101], -v[86:87]
	v_fmac_f64_e32 v[80:81], s[88:89], v[98:99]
	v_add_f64 v[80:81], v[84:85], -v[80:81]
	v_cndmask_b32_e32 v16, 0, v19, vcc
	v_xor_b32_e32 v19, 0x80000000, v81
	v_and_b32_e32 v81, 1, v95
	v_cmp_eq_u32_e64 s[8:9], 0, v81
	v_lshlrev_b32_e32 v81, 30, v95
	v_cndmask_b32_e64 v19, v19, v83, s[8:9]
	v_and_b32_e32 v81, 0x80000000, v81
	v_cndmask_b32_e64 v80, v80, v82, s[8:9]
	v_xor_b32_e32 v19, v19, v81
	v_cndmask_b32_e32 v80, 0, v80, vcc
	v_cndmask_b32_e32 v81, v93, v19, vcc
	v_mul_f64 v[16:17], v[16:17], v[80:81]
.LBB156_281:                            ;   in Loop: Header=BB156_161 Depth=1
	s_or_b64 exec, exec, s[94:95]
	v_add_co_u32_e32 v14, vcc, 0, v14
	v_bfi_b32 v19, s46, 0, v17
	v_addc_co_u32_e32 v15, vcc, -2.0, v15, vcc
	v_pk_mov_b32 v[16:17], v[18:19], v[18:19] op_sel:[0,1]
.LBB156_282:                            ;   in Loop: Header=BB156_161 Depth=1
	s_or_b64 exec, exec, s[54:55]
.LBB156_283:                            ;   in Loop: Header=BB156_161 Depth=1
	s_or_b64 exec, exec, s[40:41]
	v_and_b32_e32 v84, 0x7fffffff, v11
	v_cmp_gt_u32_e32 vcc, s47, v84
	s_and_saveexec_b64 s[8:9], vcc
	s_xor_b64 s[94:95], exec, s[8:9]
	s_cbranch_execz .LBB156_294
; %bb.284:                              ;   in Loop: Header=BB156_161 Depth=1
	v_cmp_class_f64_e64 s[8:9], v[12:13], s58
	s_and_saveexec_b64 s[40:41], s[8:9]
	s_xor_b64 s[40:41], exec, s[40:41]
	s_cbranch_execz .LBB156_313
; %bb.285:                              ;   in Loop: Header=BB156_161 Depth=1
	s_mov_b32 s8, 0x40360000
	v_cmp_gt_u32_e32 vcc, s8, v84
	s_and_saveexec_b64 s[8:9], vcc
	s_xor_b64 s[54:55], exec, s[8:9]
	s_cbranch_execz .LBB156_291
; %bb.286:                              ;   in Loop: Header=BB156_161 Depth=1
	v_cmp_nlt_f64_e64 s[8:9], |v[12:13]|, s[18:19]
                                        ; implicit-def: $vgpr85
                                        ; implicit-def: $vgpr80_vgpr81
                                        ; implicit-def: $vgpr82_vgpr83
	s_and_saveexec_b64 s[56:57], s[8:9]
	s_xor_b64 s[56:57], exec, s[56:57]
	s_cbranch_execz .LBB156_288
; %bb.287:                              ;   in Loop: Header=BB156_161 Depth=1
	v_and_b32_e32 v19, 0x7fffffff, v13
	v_ldexp_f64 v[86:87], |v[12:13]|, s59
	v_cmp_ge_f64_e64 vcc, |v[12:13]|, s[20:21]
	v_trig_preop_f64 v[80:81], |v[12:13]|, 0
	v_cndmask_b32_e32 v87, v19, v87, vcc
	v_cndmask_b32_e32 v86, v12, v86, vcc
	v_trig_preop_f64 v[82:83], |v[12:13]|, 1
	v_mul_f64 v[96:97], v[80:81], v[86:87]
	v_mul_f64 v[94:95], v[82:83], v[86:87]
	v_fma_f64 v[80:81], v[80:81], v[86:87], -v[96:97]
	v_add_f64 v[98:99], v[94:95], v[80:81]
	v_add_f64 v[100:101], v[96:97], v[98:99]
	v_ldexp_f64 v[102:103], v[100:101], -2
	v_fract_f64_e32 v[104:105], v[102:103]
	v_cmp_neq_f64_e64 vcc, |v[102:103]|, s[22:23]
	v_cndmask_b32_e32 v103, 0, v105, vcc
	v_cndmask_b32_e32 v102, 0, v104, vcc
	v_add_f64 v[104:105], v[98:99], -v[94:95]
	v_add_f64 v[80:81], v[80:81], -v[104:105]
	;; [unrolled: 1-line block ×4, first 2 shown]
	v_fma_f64 v[82:83], v[82:83], v[86:87], -v[94:95]
	v_trig_preop_f64 v[94:95], |v[12:13]|, 2
	v_add_f64 v[80:81], v[80:81], v[104:105]
	v_mul_f64 v[104:105], v[94:95], v[86:87]
	v_add_f64 v[106:107], v[104:105], v[82:83]
	v_add_f64 v[108:109], v[106:107], v[80:81]
	v_add_f64 v[96:97], v[100:101], -v[96:97]
	v_add_f64 v[100:101], v[108:109], -v[106:107]
	v_add_f64 v[80:81], v[80:81], -v[100:101]
	v_add_f64 v[100:101], v[108:109], -v[100:101]
	v_add_f64 v[100:101], v[106:107], -v[100:101]
	v_add_f64 v[80:81], v[80:81], v[100:101]
	v_add_f64 v[100:101], v[106:107], -v[104:105]
	v_add_f64 v[82:83], v[82:83], -v[100:101]
	;; [unrolled: 1-line block ×4, first 2 shown]
	v_add_f64 v[82:83], v[82:83], v[100:101]
	v_add_f64 v[96:97], v[98:99], -v[96:97]
	v_add_f64 v[80:81], v[82:83], v[80:81]
	v_fma_f64 v[82:83], v[94:95], v[86:87], -v[104:105]
	v_add_f64 v[98:99], v[96:97], v[108:109]
	v_add_f64 v[80:81], v[82:83], v[80:81]
	v_ldexp_f64 v[82:83], v[102:103], 2
	v_add_f64 v[86:87], v[98:99], v[82:83]
	v_cmp_gt_f64_e32 vcc, 0, v[86:87]
	v_cndmask_b32_e32 v19, 0, v89, vcc
	v_add_f64 v[82:83], v[82:83], v[18:19]
	v_add_f64 v[86:87], v[98:99], v[82:83]
	v_cvt_i32_f64_e32 v19, v[86:87]
	v_cvt_f64_i32_e32 v[86:87], v19
	v_add_f64 v[82:83], v[82:83], -v[86:87]
	v_add_f64 v[96:97], v[98:99], -v[96:97]
	v_add_f64 v[86:87], v[98:99], v[82:83]
	v_add_f64 v[96:97], v[108:109], -v[96:97]
	v_add_f64 v[82:83], v[86:87], -v[82:83]
	v_cmp_le_f64_e32 vcc, 0.5, v[86:87]
	v_add_f64 v[80:81], v[96:97], v[80:81]
	v_add_f64 v[82:83], v[98:99], -v[82:83]
	v_addc_co_u32_e64 v85, s[8:9], 0, v19, vcc
	v_cndmask_b32_e32 v19, 0, v90, vcc
	v_add_f64 v[80:81], v[80:81], v[82:83]
	v_add_f64 v[82:83], v[86:87], -v[18:19]
	v_add_f64 v[86:87], v[82:83], v[80:81]
	v_add_f64 v[82:83], v[86:87], -v[82:83]
	s_mov_b32 s24, s26
	v_add_f64 v[80:81], v[80:81], -v[82:83]
	v_mul_f64 v[82:83], v[86:87], s[24:25]
	v_fma_f64 v[94:95], v[86:87], s[24:25], -v[82:83]
	s_mov_b32 s31, s29
	v_fmac_f64_e32 v[94:95], s[30:31], v[86:87]
	v_fmac_f64_e32 v[94:95], s[24:25], v[80:81]
	v_add_f64 v[80:81], v[82:83], v[94:95]
	v_add_f64 v[82:83], v[80:81], -v[82:83]
	v_add_f64 v[82:83], v[94:95], -v[82:83]
.LBB156_288:                            ;   in Loop: Header=BB156_161 Depth=1
	s_andn2_saveexec_b64 s[8:9], s[56:57]
	s_cbranch_execz .LBB156_290
; %bb.289:                              ;   in Loop: Header=BB156_161 Depth=1
	v_mul_f64 v[80:81], |v[12:13]|, s[34:35]
	v_rndne_f64_e32 v[86:87], v[80:81]
	v_fma_f64 v[80:81], v[86:87], s[26:27], |v[12:13]|
	v_mul_f64 v[94:95], v[86:87], s[36:37]
	v_add_f64 v[98:99], v[80:81], v[94:95]
	v_fma_f64 v[82:83], s[36:37], v[86:87], v[80:81]
	s_mov_b32 s28, s36
	v_add_f64 v[80:81], v[80:81], -v[98:99]
	v_fma_f64 v[96:97], s[28:29], v[86:87], v[94:95]
	v_add_f64 v[80:81], v[80:81], v[94:95]
	v_add_f64 v[94:95], v[98:99], -v[82:83]
	v_add_f64 v[80:81], v[94:95], v[80:81]
	v_add_f64 v[94:95], v[80:81], -v[96:97]
	v_fmac_f64_e32 v[94:95], s[38:39], v[86:87]
	v_add_f64 v[80:81], v[82:83], v[94:95]
	v_add_f64 v[82:83], v[80:81], -v[82:83]
	v_add_f64 v[82:83], v[94:95], -v[82:83]
	v_cvt_i32_f64_e32 v85, v[86:87]
.LBB156_290:                            ;   in Loop: Header=BB156_161 Depth=1
	s_or_b64 exec, exec, s[8:9]
	v_mul_f64 v[86:87], v[80:81], v[80:81]
	v_fma_f64 v[94:95], v[80:81], v[80:81], -v[86:87]
	v_add_f64 v[96:97], v[82:83], v[82:83]
	v_fmac_f64_e32 v[94:95], v[80:81], v[96:97]
	s_mov_b32 s8, 0xc751c08c
	v_add_f64 v[86:87], v[86:87], v[94:95]
	v_pk_mov_b32 v[94:95], v[30:31], v[30:31] op_sel:[0,1]
	s_mov_b32 s9, 0x3ef5e089
	v_fmac_f64_e32 v[94:95], s[8:9], v[86:87]
	v_pk_mov_b32 v[96:97], v[32:33], v[32:33] op_sel:[0,1]
	v_fmac_f64_e32 v[96:97], v[86:87], v[94:95]
	v_pk_mov_b32 v[94:95], v[34:35], v[34:35] op_sel:[0,1]
	v_fmac_f64_e32 v[94:95], v[86:87], v[96:97]
	v_pk_mov_b32 v[96:97], v[36:37], v[36:37] op_sel:[0,1]
	v_fmac_f64_e32 v[96:97], v[86:87], v[94:95]
	v_pk_mov_b32 v[94:95], v[38:39], v[38:39] op_sel:[0,1]
	v_fmac_f64_e32 v[94:95], v[86:87], v[96:97]
	v_pk_mov_b32 v[96:97], v[40:41], v[40:41] op_sel:[0,1]
	v_fmac_f64_e32 v[96:97], v[86:87], v[94:95]
	v_pk_mov_b32 v[94:95], v[42:43], v[42:43] op_sel:[0,1]
	v_fmac_f64_e32 v[94:95], v[86:87], v[96:97]
	v_pk_mov_b32 v[96:97], v[44:45], v[44:45] op_sel:[0,1]
	v_fmac_f64_e32 v[96:97], v[86:87], v[94:95]
	v_pk_mov_b32 v[94:95], v[46:47], v[46:47] op_sel:[0,1]
	v_fmac_f64_e32 v[94:95], v[86:87], v[96:97]
	v_pk_mov_b32 v[96:97], v[48:49], v[48:49] op_sel:[0,1]
	v_fmac_f64_e32 v[96:97], v[86:87], v[94:95]
	v_pk_mov_b32 v[94:95], v[50:51], v[50:51] op_sel:[0,1]
	v_fmac_f64_e32 v[94:95], v[86:87], v[96:97]
	v_pk_mov_b32 v[96:97], v[52:53], v[52:53] op_sel:[0,1]
	v_fmac_f64_e32 v[96:97], v[86:87], v[94:95]
	v_pk_mov_b32 v[94:95], v[54:55], v[54:55] op_sel:[0,1]
	v_fmac_f64_e32 v[94:95], v[86:87], v[96:97]
	v_mul_f64 v[86:87], v[86:87], v[94:95]
	v_mul_f64 v[94:95], v[80:81], v[86:87]
	v_add_f64 v[96:97], v[80:81], v[94:95]
	v_fma_f64 v[86:87], v[80:81], v[86:87], -v[94:95]
	v_add_f64 v[80:81], v[96:97], -v[80:81]
	v_add_f64 v[80:81], v[94:95], -v[80:81]
	v_add_f64 v[82:83], v[82:83], v[86:87]
	v_add_f64 v[80:81], v[82:83], v[80:81]
	v_add_f64 v[82:83], v[96:97], v[80:81]
	v_rcp_f64_e32 v[86:87], v[82:83]
	v_add_f64 v[94:95], v[82:83], -v[96:97]
	v_add_f64 v[80:81], v[80:81], -v[94:95]
	v_and_b32_e32 v12, 1, v85
	v_fma_f64 v[94:95], -v[82:83], v[86:87], 1.0
	v_fmac_f64_e32 v[86:87], v[94:95], v[86:87]
	v_fma_f64 v[94:95], -v[82:83], v[86:87], 1.0
	v_fmac_f64_e32 v[86:87], v[94:95], v[86:87]
	v_mul_f64 v[94:95], v[82:83], v[86:87]
	v_fma_f64 v[96:97], v[86:87], v[82:83], -v[94:95]
	v_fmac_f64_e32 v[96:97], v[86:87], v[80:81]
	v_add_f64 v[80:81], v[94:95], v[96:97]
	v_add_f64 v[98:99], -v[80:81], 1.0
	v_add_f64 v[94:95], v[80:81], -v[94:95]
	v_add_f64 v[100:101], -v[98:99], 1.0
	v_add_f64 v[80:81], v[100:101], -v[80:81]
	v_add_f64 v[94:95], v[94:95], -v[96:97]
	v_add_f64 v[80:81], v[94:95], v[80:81]
	v_add_f64 v[80:81], v[98:99], v[80:81]
	v_mul_f64 v[80:81], v[86:87], v[80:81]
	v_add_f64 v[80:81], v[86:87], v[80:81]
	v_cmp_eq_u32_e32 vcc, 0, v12
	v_xor_b32_e32 v19, 0x80000000, v81
	v_cndmask_b32_e32 v12, v80, v82, vcc
	v_add_f64 v[80:81], |v[10:11]|, s[42:43]
	v_cndmask_b32_e32 v19, v19, v83, vcc
	v_add_f64 v[82:83], v[80:81], -|v[10:11]|
	v_add_f64 v[86:87], v[82:83], -v[80:81]
	s_mov_b32 s44, s42
	v_add_f64 v[86:87], |v[10:11]|, v[86:87]
	v_add_f64 v[82:83], v[82:83], s[44:45]
	s_mov_b32 s8, 0x3b39803f
	v_add_f64 v[82:83], v[86:87], -v[82:83]
	s_mov_b32 s9, 0xbc7abc9e
	v_add_f64 v[82:83], v[82:83], s[8:9]
	v_add_f64 v[86:87], v[80:81], v[82:83]
	s_mov_b32 s8, 0x652b82fe
	v_add_f64 v[80:81], v[80:81], -v[86:87]
	s_mov_b32 s9, 0xbff71547
	s_mov_b32 s48, s8
	v_add_f64 v[80:81], v[82:83], v[80:81]
	v_mul_f64 v[82:83], v[86:87], s[48:49]
	v_rndne_f64_e32 v[82:83], v[82:83]
	s_mov_b32 s53, s43
	v_fmac_f64_e32 v[86:87], s[52:53], v[82:83]
	v_add_f64 v[94:95], v[80:81], v[86:87]
	s_mov_b32 s8, 0xf278e000
	v_add_f64 v[86:87], v[86:87], -v[94:95]
	s_mov_b32 s9, 0xbd53de6a
	v_add_f64 v[80:81], v[80:81], v[86:87]
	v_mul_f64 v[86:87], v[82:83], s[8:9]
	v_add_f64 v[96:97], v[94:95], v[86:87]
	v_add_f64 v[94:95], v[94:95], -v[96:97]
	v_add_f64 v[86:87], v[94:95], v[86:87]
	v_add_f64 v[80:81], v[80:81], v[86:87]
	;; [unrolled: 1-line block ×3, first 2 shown]
	s_mov_b32 s8, 0xf97b57a0
	v_add_f64 v[94:95], v[96:97], -v[86:87]
	s_mov_b32 s9, 0xbac9cc01
	v_add_f64 v[80:81], v[80:81], v[94:95]
	v_mul_f64 v[94:95], v[82:83], s[8:9]
	v_add_f64 v[96:97], v[86:87], v[94:95]
	v_add_f64 v[86:87], v[86:87], -v[96:97]
	v_add_f64 v[86:87], v[86:87], v[94:95]
	v_add_f64 v[80:81], v[80:81], v[86:87]
	;; [unrolled: 1-line block ×3, first 2 shown]
	v_add_f64 v[94:95], v[96:97], -v[86:87]
	s_mov_b32 s8, 0x6a5dcb37
	v_add_f64 v[80:81], v[80:81], v[94:95]
	v_pk_mov_b32 v[94:95], v[56:57], v[56:57] op_sel:[0,1]
	s_mov_b32 s9, 0x3e5ade15
	v_fmac_f64_e32 v[94:95], s[8:9], v[86:87]
	v_pk_mov_b32 v[96:97], v[58:59], v[58:59] op_sel:[0,1]
	v_fmac_f64_e32 v[96:97], v[86:87], v[94:95]
	v_pk_mov_b32 v[94:95], v[60:61], v[60:61] op_sel:[0,1]
	;; [unrolled: 2-line block ×8, first 2 shown]
	v_fmac_f64_e32 v[94:95], v[86:87], v[96:97]
	v_mul_f64 v[96:97], v[86:87], v[86:87]
	v_fma_f64 v[98:99], v[86:87], v[86:87], -v[96:97]
	v_add_f64 v[100:101], v[80:81], v[80:81]
	v_fmac_f64_e32 v[98:99], v[86:87], v[100:101]
	v_add_f64 v[100:101], v[96:97], v[98:99]
	v_add_f64 v[96:97], v[100:101], -v[96:97]
	v_add_f64 v[96:97], v[98:99], -v[96:97]
	v_mul_f64 v[98:99], v[100:101], v[94:95]
	v_fma_f64 v[100:101], v[100:101], v[94:95], -v[98:99]
	v_fmac_f64_e32 v[100:101], v[96:97], v[94:95]
	v_add_f64 v[94:95], v[98:99], v[100:101]
	v_add_f64 v[96:97], v[94:95], -v[98:99]
	v_add_f64 v[98:99], v[86:87], v[94:95]
	v_add_f64 v[96:97], v[100:101], -v[96:97]
	v_add_f64 v[86:87], v[98:99], -v[86:87]
	;; [unrolled: 1-line block ×3, first 2 shown]
	v_add_f64 v[80:81], v[80:81], v[96:97]
	v_add_f64 v[80:81], v[80:81], v[86:87]
	;; [unrolled: 1-line block ×3, first 2 shown]
	v_add_f64 v[94:95], v[86:87], -v[98:99]
	v_add_f64 v[80:81], v[80:81], -v[94:95]
	v_add_f64 v[94:95], v[86:87], 1.0
	v_add_f64 v[96:97], v[94:95], -1.0
	v_add_f64 v[86:87], v[86:87], -v[96:97]
	v_add_f64 v[80:81], v[80:81], v[86:87]
	v_add_f64 v[86:87], v[94:95], v[80:81]
	v_cvt_i32_f64_e32 v85, v[82:83]
	v_ldexp_f64 v[82:83], v[86:87], v85
	v_rcp_f64_e32 v[96:97], v[82:83]
	v_add_f64 v[86:87], v[86:87], -v[94:95]
	v_add_f64 v[80:81], v[80:81], -v[86:87]
	v_ldexp_f64 v[80:81], v[80:81], v85
	v_fma_f64 v[86:87], -v[82:83], v[96:97], 1.0
	v_fmac_f64_e32 v[96:97], v[86:87], v[96:97]
	v_fma_f64 v[86:87], -v[82:83], v[96:97], 1.0
	v_fmac_f64_e32 v[96:97], v[86:87], v[96:97]
	v_mul_f64 v[86:87], v[82:83], v[96:97]
	v_fma_f64 v[94:95], v[96:97], v[82:83], -v[86:87]
	v_fmac_f64_e32 v[94:95], v[96:97], v[80:81]
	v_add_f64 v[98:99], v[86:87], v[94:95]
	v_add_f64 v[100:101], -v[98:99], 1.0
	v_add_f64 v[86:87], v[98:99], -v[86:87]
	v_add_f64 v[102:103], -v[100:101], 1.0
	v_add_f64 v[98:99], v[102:103], -v[98:99]
	v_add_f64 v[86:87], v[86:87], -v[94:95]
	v_add_f64 v[86:87], v[86:87], v[98:99]
	v_add_f64 v[94:95], v[100:101], v[86:87]
	v_add_f64 v[98:99], v[100:101], -v[94:95]
	v_add_f64 v[86:87], v[86:87], v[98:99]
	v_mul_f64 v[98:99], v[96:97], v[94:95]
	v_mul_f64 v[100:101], v[82:83], v[98:99]
	v_fma_f64 v[102:103], v[98:99], v[82:83], -v[100:101]
	v_fmac_f64_e32 v[102:103], v[98:99], v[80:81]
	v_add_f64 v[104:105], v[100:101], v[102:103]
	v_add_f64 v[106:107], v[94:95], -v[104:105]
	v_add_f64 v[94:95], v[94:95], -v[106:107]
	;; [unrolled: 1-line block ×4, first 2 shown]
	v_add_f64 v[86:87], v[86:87], v[94:95]
	v_add_f64 v[94:95], v[100:101], -v[102:103]
	v_add_f64 v[86:87], v[94:95], v[86:87]
	v_add_f64 v[86:87], v[106:107], v[86:87]
	;; [unrolled: 1-line block ×3, first 2 shown]
	v_mul_f64 v[86:87], v[96:97], v[86:87]
	v_add_f64 v[96:97], v[94:95], -v[96:97]
	v_add_f64 v[96:97], v[98:99], -v[96:97]
	v_add_f64 v[86:87], v[96:97], v[86:87]
	v_add_f64 v[96:97], v[94:95], v[86:87]
	v_add_f64 v[94:95], v[96:97], -v[94:95]
	v_add_f64 v[86:87], v[86:87], -v[94:95]
	v_ldexp_f64 v[94:95], v[96:97], -2
	v_add_f64 v[96:97], v[82:83], -v[94:95]
	v_add_f64 v[82:83], v[82:83], -v[96:97]
	;; [unrolled: 1-line block ×3, first 2 shown]
	s_mov_b32 s8, 0x8fb9f87e
	v_ldexp_f64 v[86:87], v[86:87], -2
	v_add_f64 v[80:81], v[80:81], v[82:83]
	s_mov_b32 s9, 0x408633ce
	v_add_f64 v[80:81], v[80:81], -v[86:87]
	v_cmp_nge_f64_e64 vcc, |v[10:11]|, s[8:9]
	s_mov_b32 s8, 0
	v_add_f64 v[80:81], v[96:97], v[80:81]
	s_mov_b32 s9, 0x3e400000
	v_cndmask_b32_e32 v81, v91, v81, vcc
	v_cndmask_b32_e32 v80, 0, v80, vcc
	v_cmp_lt_f64_e64 vcc, |v[10:11]|, s[8:9]
	v_cndmask_b32_e32 v10, v80, v10, vcc
	v_cndmask_b32_e32 v80, v81, v84, vcc
	v_bfi_b32 v11, s46, v80, v11
	s_mov_b32 s8, 0
	v_fma_f64 v[80:81], v[10:11], v[10:11], 1.0
	s_brev_b32 s9, 8
	v_cmp_gt_f64_e32 vcc, s[8:9], v[80:81]
	v_cndmask_b32_e64 v82, 0, 1, vcc
	v_lshlrev_b32_e32 v82, 8, v82
	v_ldexp_f64 v[80:81], v[80:81], v82
	v_rsq_f64_e32 v[82:83], v[80:81]
	v_and_b32_e32 v13, 0x80000000, v13
	v_xor_b32_e32 v13, v19, v13
	v_cndmask_b32_e32 v19, 0, v92, vcc
	v_mul_f64 v[86:87], v[80:81], v[82:83]
	v_mul_f64 v[82:83], v[82:83], 0.5
	v_fma_f64 v[94:95], -v[82:83], v[86:87], 0.5
	v_fmac_f64_e32 v[86:87], v[86:87], v[94:95]
	v_fma_f64 v[96:97], -v[86:87], v[86:87], v[80:81]
	v_fmac_f64_e32 v[82:83], v[82:83], v[94:95]
	v_fmac_f64_e32 v[86:87], v[96:97], v[82:83]
	v_fma_f64 v[94:95], -v[86:87], v[86:87], v[80:81]
	v_fmac_f64_e32 v[86:87], v[94:95], v[82:83]
	v_ldexp_f64 v[82:83], v[86:87], v19
	v_cmp_class_f64_e32 vcc, v[80:81], v88
	v_fma_f64 v[84:85], v[12:13], v[12:13], 1.0
	v_cndmask_b32_e32 v81, v83, v81, vcc
	v_cndmask_b32_e32 v80, v82, v80, vcc
	v_mul_f64 v[82:83], v[10:11], v[84:85]
	v_mul_f64 v[80:81], v[80:81], v[84:85]
	v_fma_f64 v[82:83], v[10:11], v[82:83], 1.0
	v_mul_f64 v[10:11], v[10:11], v[80:81]
	v_div_scale_f64 v[80:81], s[8:9], v[82:83], v[82:83], v[10:11]
	v_rcp_f64_e32 v[84:85], v[80:81]
	v_fma_f64 v[86:87], -v[80:81], v[84:85], 1.0
	v_fmac_f64_e32 v[84:85], v[84:85], v[86:87]
	v_fma_f64 v[86:87], -v[80:81], v[84:85], 1.0
	v_fmac_f64_e32 v[84:85], v[84:85], v[86:87]
	v_div_scale_f64 v[86:87], vcc, v[10:11], v[82:83], v[10:11]
	v_mul_f64 v[94:95], v[86:87], v[84:85]
	v_fma_f64 v[80:81], -v[80:81], v[94:95], v[86:87]
	v_div_scale_f64 v[86:87], s[8:9], v[82:83], v[82:83], v[12:13]
	v_rcp_f64_e32 v[96:97], v[86:87]
	v_div_fmas_f64 v[80:81], v[80:81], v[84:85], v[94:95]
	v_div_fixup_f64 v[10:11], v[80:81], v[82:83], v[10:11]
	v_fma_f64 v[80:81], -v[86:87], v[96:97], 1.0
	v_fmac_f64_e32 v[96:97], v[96:97], v[80:81]
	v_fma_f64 v[80:81], -v[86:87], v[96:97], 1.0
	v_fmac_f64_e32 v[96:97], v[96:97], v[80:81]
	v_div_scale_f64 v[80:81], vcc, v[12:13], v[82:83], v[12:13]
	v_mul_f64 v[84:85], v[80:81], v[96:97]
	v_fma_f64 v[80:81], -v[86:87], v[84:85], v[80:81]
	s_nop 1
	v_div_fmas_f64 v[80:81], v[80:81], v[96:97], v[84:85]
	v_div_fixup_f64 v[12:13], v[80:81], v[82:83], v[12:13]
.LBB156_291:                            ;   in Loop: Header=BB156_161 Depth=1
	s_andn2_saveexec_b64 s[54:55], s[54:55]
	s_cbranch_execz .LBB156_312
; %bb.292:                              ;   in Loop: Header=BB156_161 Depth=1
	v_cmp_nlt_f64_e64 s[56:57], |v[12:13]|, s[18:19]
                                        ; implicit-def: $vgpr94
                                        ; implicit-def: $vgpr80_vgpr81
                                        ; implicit-def: $vgpr82_vgpr83
	s_and_saveexec_b64 s[8:9], s[56:57]
	s_xor_b64 s[64:65], exec, s[8:9]
	s_cbranch_execz .LBB156_301
; %bb.293:                              ;   in Loop: Header=BB156_161 Depth=1
	v_and_b32_e32 v19, 0x7fffffff, v13
	v_ldexp_f64 v[84:85], |v[12:13]|, s59
	v_cmp_ge_f64_e64 vcc, |v[12:13]|, s[20:21]
	v_trig_preop_f64 v[80:81], |v[12:13]|, 0
	v_cndmask_b32_e32 v85, v19, v85, vcc
	v_cndmask_b32_e32 v84, v12, v84, vcc
	v_trig_preop_f64 v[82:83], |v[12:13]|, 1
	v_mul_f64 v[94:95], v[80:81], v[84:85]
	v_mul_f64 v[86:87], v[82:83], v[84:85]
	v_fma_f64 v[80:81], v[80:81], v[84:85], -v[94:95]
	v_add_f64 v[96:97], v[86:87], v[80:81]
	v_add_f64 v[98:99], v[94:95], v[96:97]
	v_ldexp_f64 v[100:101], v[98:99], -2
	v_fract_f64_e32 v[102:103], v[100:101]
	v_cmp_neq_f64_e64 vcc, |v[100:101]|, s[22:23]
	v_cndmask_b32_e32 v101, 0, v103, vcc
	v_cndmask_b32_e32 v100, 0, v102, vcc
	v_add_f64 v[102:103], v[96:97], -v[86:87]
	v_add_f64 v[80:81], v[80:81], -v[102:103]
	v_add_f64 v[102:103], v[96:97], -v[102:103]
	v_add_f64 v[102:103], v[86:87], -v[102:103]
	v_fma_f64 v[82:83], v[82:83], v[84:85], -v[86:87]
	v_trig_preop_f64 v[86:87], |v[12:13]|, 2
	v_add_f64 v[80:81], v[80:81], v[102:103]
	v_mul_f64 v[102:103], v[86:87], v[84:85]
	v_add_f64 v[104:105], v[102:103], v[82:83]
	v_add_f64 v[106:107], v[104:105], v[80:81]
	v_add_f64 v[94:95], v[98:99], -v[94:95]
	v_add_f64 v[98:99], v[106:107], -v[104:105]
	;; [unrolled: 1-line block ×5, first 2 shown]
	v_add_f64 v[80:81], v[80:81], v[98:99]
	v_add_f64 v[98:99], v[104:105], -v[102:103]
	v_add_f64 v[82:83], v[82:83], -v[98:99]
	;; [unrolled: 1-line block ×4, first 2 shown]
	v_add_f64 v[82:83], v[82:83], v[98:99]
	v_add_f64 v[94:95], v[96:97], -v[94:95]
	v_add_f64 v[80:81], v[82:83], v[80:81]
	v_fma_f64 v[82:83], v[86:87], v[84:85], -v[102:103]
	v_add_f64 v[96:97], v[94:95], v[106:107]
	v_add_f64 v[80:81], v[82:83], v[80:81]
	v_ldexp_f64 v[82:83], v[100:101], 2
	v_add_f64 v[84:85], v[96:97], v[82:83]
	v_cmp_gt_f64_e32 vcc, 0, v[84:85]
	v_cndmask_b32_e32 v19, 0, v89, vcc
	v_add_f64 v[82:83], v[82:83], v[18:19]
	v_add_f64 v[84:85], v[96:97], v[82:83]
	v_cvt_i32_f64_e32 v19, v[84:85]
	v_cvt_f64_i32_e32 v[84:85], v19
	v_add_f64 v[82:83], v[82:83], -v[84:85]
	v_add_f64 v[94:95], v[96:97], -v[94:95]
	v_add_f64 v[84:85], v[96:97], v[82:83]
	v_add_f64 v[94:95], v[106:107], -v[94:95]
	v_add_f64 v[82:83], v[84:85], -v[82:83]
	v_cmp_le_f64_e32 vcc, 0.5, v[84:85]
	v_add_f64 v[80:81], v[94:95], v[80:81]
	v_add_f64 v[82:83], v[96:97], -v[82:83]
	v_addc_co_u32_e64 v94, s[8:9], 0, v19, vcc
	v_cndmask_b32_e32 v19, 0, v90, vcc
	v_add_f64 v[80:81], v[80:81], v[82:83]
	v_add_f64 v[82:83], v[84:85], -v[18:19]
	v_add_f64 v[84:85], v[82:83], v[80:81]
	v_add_f64 v[82:83], v[84:85], -v[82:83]
	s_mov_b32 s24, s26
	v_add_f64 v[80:81], v[80:81], -v[82:83]
	v_mul_f64 v[82:83], v[84:85], s[24:25]
	v_fma_f64 v[86:87], v[84:85], s[24:25], -v[82:83]
	s_mov_b32 s31, s29
	v_fmac_f64_e32 v[86:87], s[30:31], v[84:85]
	v_fmac_f64_e32 v[86:87], s[24:25], v[80:81]
	v_add_f64 v[80:81], v[82:83], v[86:87]
	v_add_f64 v[82:83], v[80:81], -v[82:83]
	v_add_f64 v[82:83], v[86:87], -v[82:83]
	s_andn2_saveexec_b64 s[8:9], s[64:65]
	s_cbranch_execz .LBB156_303
	s_branch .LBB156_302
.LBB156_294:                            ;   in Loop: Header=BB156_161 Depth=1
	s_andn2_saveexec_b64 s[40:41], s[94:95]
	s_cbranch_execz .LBB156_316
.LBB156_295:                            ;   in Loop: Header=BB156_161 Depth=1
	v_and_or_b32 v19, v11, s50, v10
	v_cmp_ne_u32_e32 vcc, 0, v19
	s_and_saveexec_b64 s[8:9], vcc
	s_xor_b64 s[8:9], exec, s[8:9]
; %bb.296:                              ;   in Loop: Header=BB156_161 Depth=1
	v_mul_f64 v[80:81], v[12:13], v[10:11]
	v_cmp_eq_f64_e32 vcc, 0, v[12:13]
	v_cndmask_b32_e32 v13, v81, v13, vcc
	v_cndmask_b32_e32 v12, v80, v12, vcc
; %bb.297:                              ;   in Loop: Header=BB156_161 Depth=1
	s_andn2_saveexec_b64 s[54:55], s[8:9]
	s_cbranch_execz .LBB156_324
; %bb.298:                              ;   in Loop: Header=BB156_161 Depth=1
	v_cmp_neq_f64_e64 s[8:9], |v[12:13]|, s[22:23]
	s_and_saveexec_b64 s[94:95], s[8:9]
	s_cbranch_execz .LBB156_323
; %bb.299:                              ;   in Loop: Header=BB156_161 Depth=1
	v_cmp_nlt_f64_e64 s[56:57], |v[12:13]|, s[18:19]
                                        ; implicit-def: $vgpr94
                                        ; implicit-def: $vgpr80_vgpr81
                                        ; implicit-def: $vgpr82_vgpr83
	s_and_saveexec_b64 s[8:9], s[56:57]
	s_xor_b64 s[64:65], exec, s[8:9]
	s_cbranch_execz .LBB156_305
; %bb.300:                              ;   in Loop: Header=BB156_161 Depth=1
	v_and_b32_e32 v19, 0x7fffffff, v13
	v_ldexp_f64 v[84:85], |v[12:13]|, s59
	v_cmp_ge_f64_e64 vcc, |v[12:13]|, s[20:21]
	v_trig_preop_f64 v[80:81], |v[12:13]|, 0
	v_cndmask_b32_e32 v85, v19, v85, vcc
	v_cndmask_b32_e32 v84, v12, v84, vcc
	v_trig_preop_f64 v[82:83], |v[12:13]|, 1
	v_mul_f64 v[94:95], v[80:81], v[84:85]
	v_mul_f64 v[86:87], v[82:83], v[84:85]
	v_fma_f64 v[80:81], v[80:81], v[84:85], -v[94:95]
	v_add_f64 v[96:97], v[86:87], v[80:81]
	v_add_f64 v[98:99], v[94:95], v[96:97]
	v_ldexp_f64 v[100:101], v[98:99], -2
	v_fract_f64_e32 v[102:103], v[100:101]
	v_cmp_neq_f64_e64 vcc, |v[100:101]|, s[22:23]
	v_cndmask_b32_e32 v101, 0, v103, vcc
	v_cndmask_b32_e32 v100, 0, v102, vcc
	v_add_f64 v[102:103], v[96:97], -v[86:87]
	v_add_f64 v[80:81], v[80:81], -v[102:103]
	;; [unrolled: 1-line block ×4, first 2 shown]
	v_fma_f64 v[82:83], v[82:83], v[84:85], -v[86:87]
	v_trig_preop_f64 v[86:87], |v[12:13]|, 2
	v_add_f64 v[80:81], v[80:81], v[102:103]
	v_mul_f64 v[102:103], v[86:87], v[84:85]
	v_add_f64 v[104:105], v[102:103], v[82:83]
	v_add_f64 v[106:107], v[104:105], v[80:81]
	v_add_f64 v[94:95], v[98:99], -v[94:95]
	v_add_f64 v[98:99], v[106:107], -v[104:105]
	;; [unrolled: 1-line block ×5, first 2 shown]
	v_add_f64 v[80:81], v[80:81], v[98:99]
	v_add_f64 v[98:99], v[104:105], -v[102:103]
	v_add_f64 v[82:83], v[82:83], -v[98:99]
	;; [unrolled: 1-line block ×4, first 2 shown]
	v_add_f64 v[82:83], v[82:83], v[98:99]
	v_add_f64 v[94:95], v[96:97], -v[94:95]
	v_add_f64 v[80:81], v[82:83], v[80:81]
	v_fma_f64 v[82:83], v[86:87], v[84:85], -v[102:103]
	v_add_f64 v[96:97], v[94:95], v[106:107]
	v_add_f64 v[80:81], v[82:83], v[80:81]
	v_ldexp_f64 v[82:83], v[100:101], 2
	v_add_f64 v[84:85], v[96:97], v[82:83]
	v_cmp_gt_f64_e32 vcc, 0, v[84:85]
	v_cndmask_b32_e32 v19, 0, v89, vcc
	v_add_f64 v[82:83], v[82:83], v[18:19]
	v_add_f64 v[84:85], v[96:97], v[82:83]
	v_cvt_i32_f64_e32 v19, v[84:85]
	v_cvt_f64_i32_e32 v[84:85], v19
	v_add_f64 v[82:83], v[82:83], -v[84:85]
	v_add_f64 v[94:95], v[96:97], -v[94:95]
	v_add_f64 v[84:85], v[96:97], v[82:83]
	v_add_f64 v[94:95], v[106:107], -v[94:95]
	v_add_f64 v[82:83], v[84:85], -v[82:83]
	v_cmp_le_f64_e32 vcc, 0.5, v[84:85]
	v_add_f64 v[80:81], v[94:95], v[80:81]
	v_add_f64 v[82:83], v[96:97], -v[82:83]
	v_addc_co_u32_e64 v94, s[8:9], 0, v19, vcc
	v_cndmask_b32_e32 v19, 0, v90, vcc
	v_add_f64 v[80:81], v[80:81], v[82:83]
	v_add_f64 v[82:83], v[84:85], -v[18:19]
	v_add_f64 v[84:85], v[82:83], v[80:81]
	v_add_f64 v[82:83], v[84:85], -v[82:83]
	s_mov_b32 s24, s26
	v_add_f64 v[80:81], v[80:81], -v[82:83]
	v_mul_f64 v[82:83], v[84:85], s[24:25]
	v_fma_f64 v[86:87], v[84:85], s[24:25], -v[82:83]
	s_mov_b32 s31, s29
	v_fmac_f64_e32 v[86:87], s[30:31], v[84:85]
	v_fmac_f64_e32 v[86:87], s[24:25], v[80:81]
	v_add_f64 v[80:81], v[82:83], v[86:87]
	v_add_f64 v[82:83], v[80:81], -v[82:83]
	v_add_f64 v[82:83], v[86:87], -v[82:83]
	s_andn2_saveexec_b64 s[8:9], s[64:65]
	s_cbranch_execz .LBB156_307
	s_branch .LBB156_306
.LBB156_301:                            ;   in Loop: Header=BB156_161 Depth=1
	s_andn2_saveexec_b64 s[8:9], s[64:65]
	s_cbranch_execz .LBB156_303
.LBB156_302:                            ;   in Loop: Header=BB156_161 Depth=1
	v_mul_f64 v[80:81], |v[12:13]|, s[34:35]
	v_rndne_f64_e32 v[84:85], v[80:81]
	v_fma_f64 v[80:81], v[84:85], s[26:27], |v[12:13]|
	v_mul_f64 v[86:87], v[84:85], s[36:37]
	v_add_f64 v[96:97], v[80:81], v[86:87]
	v_fma_f64 v[82:83], s[36:37], v[84:85], v[80:81]
	s_mov_b32 s28, s36
	v_add_f64 v[80:81], v[80:81], -v[96:97]
	v_fma_f64 v[94:95], s[28:29], v[84:85], v[86:87]
	v_add_f64 v[80:81], v[80:81], v[86:87]
	v_add_f64 v[86:87], v[96:97], -v[82:83]
	v_add_f64 v[80:81], v[86:87], v[80:81]
	v_add_f64 v[86:87], v[80:81], -v[94:95]
	v_fmac_f64_e32 v[86:87], s[38:39], v[84:85]
	v_add_f64 v[80:81], v[82:83], v[86:87]
	v_add_f64 v[82:83], v[80:81], -v[82:83]
	v_add_f64 v[82:83], v[86:87], -v[82:83]
	v_cvt_i32_f64_e32 v94, v[84:85]
.LBB156_303:                            ;   in Loop: Header=BB156_161 Depth=1
	s_or_b64 exec, exec, s[8:9]
                                        ; implicit-def: $vgpr95
                                        ; implicit-def: $vgpr84_vgpr85
                                        ; implicit-def: $vgpr86_vgpr87
	s_and_saveexec_b64 s[8:9], s[56:57]
	s_xor_b64 s[56:57], exec, s[8:9]
	s_cbranch_execz .LBB156_309
; %bb.304:                              ;   in Loop: Header=BB156_161 Depth=1
	v_and_b32_e32 v19, 0x7fffffff, v13
	v_ldexp_f64 v[96:97], |v[12:13]|, s59
	v_cmp_ge_f64_e64 vcc, |v[12:13]|, s[20:21]
	v_trig_preop_f64 v[84:85], |v[12:13]|, 0
	v_cndmask_b32_e32 v97, v19, v97, vcc
	v_cndmask_b32_e32 v96, v12, v96, vcc
	v_trig_preop_f64 v[86:87], |v[12:13]|, 1
	v_mul_f64 v[100:101], v[84:85], v[96:97]
	v_mul_f64 v[98:99], v[86:87], v[96:97]
	v_fma_f64 v[84:85], v[84:85], v[96:97], -v[100:101]
	v_add_f64 v[102:103], v[98:99], v[84:85]
	v_add_f64 v[104:105], v[100:101], v[102:103]
	v_ldexp_f64 v[106:107], v[104:105], -2
	v_fract_f64_e32 v[108:109], v[106:107]
	v_cmp_neq_f64_e64 vcc, |v[106:107]|, s[22:23]
	v_cndmask_b32_e32 v107, 0, v109, vcc
	v_cndmask_b32_e32 v106, 0, v108, vcc
	v_add_f64 v[108:109], v[102:103], -v[98:99]
	v_add_f64 v[84:85], v[84:85], -v[108:109]
	v_add_f64 v[108:109], v[102:103], -v[108:109]
	v_add_f64 v[108:109], v[98:99], -v[108:109]
	v_fma_f64 v[86:87], v[86:87], v[96:97], -v[98:99]
	v_trig_preop_f64 v[98:99], |v[12:13]|, 2
	v_add_f64 v[84:85], v[84:85], v[108:109]
	v_mul_f64 v[108:109], v[98:99], v[96:97]
	v_add_f64 v[110:111], v[108:109], v[86:87]
	v_add_f64 v[112:113], v[110:111], v[84:85]
	v_add_f64 v[100:101], v[104:105], -v[100:101]
	v_add_f64 v[104:105], v[112:113], -v[110:111]
	;; [unrolled: 1-line block ×5, first 2 shown]
	v_add_f64 v[84:85], v[84:85], v[104:105]
	v_add_f64 v[104:105], v[110:111], -v[108:109]
	v_add_f64 v[86:87], v[86:87], -v[104:105]
	;; [unrolled: 1-line block ×4, first 2 shown]
	v_add_f64 v[86:87], v[86:87], v[104:105]
	v_add_f64 v[100:101], v[102:103], -v[100:101]
	v_add_f64 v[84:85], v[86:87], v[84:85]
	v_fma_f64 v[86:87], v[98:99], v[96:97], -v[108:109]
	v_add_f64 v[102:103], v[100:101], v[112:113]
	v_add_f64 v[84:85], v[86:87], v[84:85]
	v_ldexp_f64 v[86:87], v[106:107], 2
	v_add_f64 v[96:97], v[102:103], v[86:87]
	v_cmp_gt_f64_e32 vcc, 0, v[96:97]
	v_cndmask_b32_e32 v19, 0, v89, vcc
	v_add_f64 v[86:87], v[86:87], v[18:19]
	v_add_f64 v[96:97], v[102:103], v[86:87]
	v_cvt_i32_f64_e32 v19, v[96:97]
	v_cvt_f64_i32_e32 v[96:97], v19
	v_add_f64 v[86:87], v[86:87], -v[96:97]
	v_add_f64 v[100:101], v[102:103], -v[100:101]
	v_add_f64 v[96:97], v[102:103], v[86:87]
	v_add_f64 v[100:101], v[112:113], -v[100:101]
	v_add_f64 v[86:87], v[96:97], -v[86:87]
	v_cmp_le_f64_e32 vcc, 0.5, v[96:97]
	v_add_f64 v[84:85], v[100:101], v[84:85]
	v_add_f64 v[86:87], v[102:103], -v[86:87]
	v_addc_co_u32_e64 v95, s[8:9], 0, v19, vcc
	v_cndmask_b32_e32 v19, 0, v90, vcc
	v_add_f64 v[84:85], v[84:85], v[86:87]
	v_add_f64 v[86:87], v[96:97], -v[18:19]
	v_add_f64 v[96:97], v[86:87], v[84:85]
	v_add_f64 v[86:87], v[96:97], -v[86:87]
	s_mov_b32 s24, s26
	v_add_f64 v[84:85], v[84:85], -v[86:87]
	v_mul_f64 v[86:87], v[96:97], s[24:25]
	v_fma_f64 v[98:99], v[96:97], s[24:25], -v[86:87]
	s_mov_b32 s31, s29
	v_fmac_f64_e32 v[98:99], s[30:31], v[96:97]
	v_fmac_f64_e32 v[98:99], s[24:25], v[84:85]
	v_add_f64 v[84:85], v[86:87], v[98:99]
	v_add_f64 v[86:87], v[84:85], -v[86:87]
	v_add_f64 v[86:87], v[98:99], -v[86:87]
	s_andn2_saveexec_b64 s[8:9], s[56:57]
	s_cbranch_execnz .LBB156_310
	s_branch .LBB156_311
.LBB156_305:                            ;   in Loop: Header=BB156_161 Depth=1
	s_andn2_saveexec_b64 s[8:9], s[64:65]
	s_cbranch_execz .LBB156_307
.LBB156_306:                            ;   in Loop: Header=BB156_161 Depth=1
	v_mul_f64 v[80:81], |v[12:13]|, s[34:35]
	v_rndne_f64_e32 v[84:85], v[80:81]
	v_fma_f64 v[80:81], v[84:85], s[26:27], |v[12:13]|
	v_mul_f64 v[86:87], v[84:85], s[36:37]
	v_add_f64 v[96:97], v[80:81], v[86:87]
	v_fma_f64 v[82:83], s[36:37], v[84:85], v[80:81]
	s_mov_b32 s28, s36
	v_add_f64 v[80:81], v[80:81], -v[96:97]
	v_fma_f64 v[94:95], s[28:29], v[84:85], v[86:87]
	v_add_f64 v[80:81], v[80:81], v[86:87]
	v_add_f64 v[86:87], v[96:97], -v[82:83]
	v_add_f64 v[80:81], v[86:87], v[80:81]
	v_add_f64 v[86:87], v[80:81], -v[94:95]
	v_fmac_f64_e32 v[86:87], s[38:39], v[84:85]
	v_add_f64 v[80:81], v[82:83], v[86:87]
	v_add_f64 v[82:83], v[80:81], -v[82:83]
	v_add_f64 v[82:83], v[86:87], -v[82:83]
	v_cvt_i32_f64_e32 v94, v[84:85]
.LBB156_307:                            ;   in Loop: Header=BB156_161 Depth=1
	s_or_b64 exec, exec, s[8:9]
                                        ; implicit-def: $vgpr95
                                        ; implicit-def: $vgpr84_vgpr85
                                        ; implicit-def: $vgpr86_vgpr87
	s_and_saveexec_b64 s[8:9], s[56:57]
	s_xor_b64 s[56:57], exec, s[8:9]
	s_cbranch_execz .LBB156_320
; %bb.308:                              ;   in Loop: Header=BB156_161 Depth=1
	v_and_b32_e32 v19, 0x7fffffff, v13
	v_ldexp_f64 v[96:97], |v[12:13]|, s59
	v_cmp_ge_f64_e64 vcc, |v[12:13]|, s[20:21]
	v_trig_preop_f64 v[84:85], |v[12:13]|, 0
	v_cndmask_b32_e32 v97, v19, v97, vcc
	v_cndmask_b32_e32 v96, v12, v96, vcc
	v_trig_preop_f64 v[86:87], |v[12:13]|, 1
	v_mul_f64 v[100:101], v[84:85], v[96:97]
	v_mul_f64 v[98:99], v[86:87], v[96:97]
	v_fma_f64 v[84:85], v[84:85], v[96:97], -v[100:101]
	v_add_f64 v[102:103], v[98:99], v[84:85]
	v_add_f64 v[104:105], v[100:101], v[102:103]
	v_ldexp_f64 v[106:107], v[104:105], -2
	v_fract_f64_e32 v[108:109], v[106:107]
	v_cmp_neq_f64_e64 vcc, |v[106:107]|, s[22:23]
	v_cndmask_b32_e32 v107, 0, v109, vcc
	v_cndmask_b32_e32 v106, 0, v108, vcc
	v_add_f64 v[108:109], v[102:103], -v[98:99]
	v_add_f64 v[84:85], v[84:85], -v[108:109]
	;; [unrolled: 1-line block ×4, first 2 shown]
	v_fma_f64 v[86:87], v[86:87], v[96:97], -v[98:99]
	v_trig_preop_f64 v[98:99], |v[12:13]|, 2
	v_add_f64 v[84:85], v[84:85], v[108:109]
	v_mul_f64 v[108:109], v[98:99], v[96:97]
	v_add_f64 v[110:111], v[108:109], v[86:87]
	v_add_f64 v[112:113], v[110:111], v[84:85]
	v_add_f64 v[100:101], v[104:105], -v[100:101]
	v_add_f64 v[104:105], v[112:113], -v[110:111]
	;; [unrolled: 1-line block ×5, first 2 shown]
	v_add_f64 v[84:85], v[84:85], v[104:105]
	v_add_f64 v[104:105], v[110:111], -v[108:109]
	v_add_f64 v[86:87], v[86:87], -v[104:105]
	;; [unrolled: 1-line block ×4, first 2 shown]
	v_add_f64 v[86:87], v[86:87], v[104:105]
	v_add_f64 v[100:101], v[102:103], -v[100:101]
	v_add_f64 v[84:85], v[86:87], v[84:85]
	v_fma_f64 v[86:87], v[98:99], v[96:97], -v[108:109]
	v_add_f64 v[102:103], v[100:101], v[112:113]
	v_add_f64 v[84:85], v[86:87], v[84:85]
	v_ldexp_f64 v[86:87], v[106:107], 2
	v_add_f64 v[96:97], v[102:103], v[86:87]
	v_cmp_gt_f64_e32 vcc, 0, v[96:97]
	v_cndmask_b32_e32 v19, 0, v89, vcc
	v_add_f64 v[86:87], v[86:87], v[18:19]
	v_add_f64 v[96:97], v[102:103], v[86:87]
	v_cvt_i32_f64_e32 v19, v[96:97]
	v_cvt_f64_i32_e32 v[96:97], v19
	v_add_f64 v[86:87], v[86:87], -v[96:97]
	v_add_f64 v[100:101], v[102:103], -v[100:101]
	v_add_f64 v[96:97], v[102:103], v[86:87]
	v_add_f64 v[100:101], v[112:113], -v[100:101]
	v_add_f64 v[86:87], v[96:97], -v[86:87]
	v_cmp_le_f64_e32 vcc, 0.5, v[96:97]
	v_add_f64 v[84:85], v[100:101], v[84:85]
	v_add_f64 v[86:87], v[102:103], -v[86:87]
	v_addc_co_u32_e64 v95, s[8:9], 0, v19, vcc
	v_cndmask_b32_e32 v19, 0, v90, vcc
	v_add_f64 v[84:85], v[84:85], v[86:87]
	v_add_f64 v[86:87], v[96:97], -v[18:19]
	v_add_f64 v[96:97], v[86:87], v[84:85]
	v_add_f64 v[86:87], v[96:97], -v[86:87]
	s_mov_b32 s24, s26
	v_add_f64 v[84:85], v[84:85], -v[86:87]
	v_mul_f64 v[86:87], v[96:97], s[24:25]
	v_fma_f64 v[98:99], v[96:97], s[24:25], -v[86:87]
	s_mov_b32 s31, s29
	v_fmac_f64_e32 v[98:99], s[30:31], v[96:97]
	v_fmac_f64_e32 v[98:99], s[24:25], v[84:85]
	v_add_f64 v[84:85], v[86:87], v[98:99]
	v_add_f64 v[86:87], v[84:85], -v[86:87]
	v_add_f64 v[86:87], v[98:99], -v[86:87]
	s_andn2_saveexec_b64 s[8:9], s[56:57]
	s_cbranch_execnz .LBB156_321
	s_branch .LBB156_322
.LBB156_309:                            ;   in Loop: Header=BB156_161 Depth=1
	s_andn2_saveexec_b64 s[8:9], s[56:57]
	s_cbranch_execz .LBB156_311
.LBB156_310:                            ;   in Loop: Header=BB156_161 Depth=1
	v_mul_f64 v[84:85], |v[12:13]|, s[34:35]
	v_rndne_f64_e32 v[96:97], v[84:85]
	v_fma_f64 v[84:85], v[96:97], s[26:27], |v[12:13]|
	v_mul_f64 v[98:99], v[96:97], s[36:37]
	v_add_f64 v[102:103], v[84:85], v[98:99]
	v_fma_f64 v[86:87], s[36:37], v[96:97], v[84:85]
	s_mov_b32 s28, s36
	v_add_f64 v[84:85], v[84:85], -v[102:103]
	v_fma_f64 v[100:101], s[28:29], v[96:97], v[98:99]
	v_add_f64 v[84:85], v[84:85], v[98:99]
	v_add_f64 v[98:99], v[102:103], -v[86:87]
	v_add_f64 v[84:85], v[98:99], v[84:85]
	v_add_f64 v[98:99], v[84:85], -v[100:101]
	v_fmac_f64_e32 v[98:99], s[38:39], v[96:97]
	v_add_f64 v[84:85], v[86:87], v[98:99]
	v_add_f64 v[86:87], v[84:85], -v[86:87]
	v_add_f64 v[86:87], v[98:99], -v[86:87]
	v_cvt_i32_f64_e32 v95, v[96:97]
.LBB156_311:                            ;   in Loop: Header=BB156_161 Depth=1
	s_or_b64 exec, exec, s[8:9]
	v_mul_f64 v[96:97], v[80:81], v[80:81]
	v_pk_mov_b32 v[104:105], s[70:71], s[70:71] op_sel:[0,1]
	v_mul_f64 v[98:99], v[96:97], 0.5
	v_fma_f64 v[106:107], s[72:73], v[96:97], v[104:105]
	v_add_f64 v[100:101], -v[98:99], 1.0
	v_fma_f64 v[106:107], v[96:97], v[106:107], s[74:75]
	v_add_f64 v[102:103], -v[100:101], 1.0
	v_fma_f64 v[106:107], v[96:97], v[106:107], s[76:77]
	v_add_f64 v[98:99], v[102:103], -v[98:99]
	v_fma_f64 v[106:107], v[96:97], v[106:107], s[78:79]
	v_mul_f64 v[102:103], v[96:97], v[96:97]
	v_fma_f64 v[106:107], v[96:97], v[106:107], s[62:63]
	v_fma_f64 v[98:99], v[80:81], -v[82:83], v[98:99]
	v_fmac_f64_e32 v[98:99], v[102:103], v[106:107]
	v_add_f64 v[98:99], v[100:101], v[98:99]
	v_pk_mov_b32 v[100:101], s[80:81], s[80:81] op_sel:[0,1]
	v_fma_f64 v[102:103], s[82:83], v[96:97], v[100:101]
	v_fma_f64 v[102:103], v[96:97], v[102:103], s[84:85]
	;; [unrolled: 1-line block ×4, first 2 shown]
	v_mul_f64 v[106:107], v[80:81], -v[96:97]
	v_mul_f64 v[108:109], v[82:83], 0.5
	v_fmac_f64_e32 v[108:109], v[106:107], v[102:103]
	v_fma_f64 v[82:83], v[96:97], v[108:109], -v[82:83]
	s_mov_b32 s88, s62
	v_fmac_f64_e32 v[82:83], s[88:89], v[106:107]
	v_and_b32_e32 v12, 1, v94
	v_add_f64 v[80:81], v[80:81], -v[82:83]
	v_cmp_eq_u32_e32 vcc, 0, v12
	s_mov_b32 s8, 0x652b82fe
	v_cndmask_b32_e32 v12, v98, v80, vcc
	v_lshlrev_b32_e32 v80, 30, v94
	s_mov_b32 s9, 0xbff71547
	v_cndmask_b32_e32 v19, v99, v81, vcc
	v_xor_b32_e32 v13, v80, v13
	v_mul_f64 v[80:81], |v[10:11]|, s[8:9]
	v_rndne_f64_e32 v[80:81], v[80:81]
	s_mov_b32 s8, 0x3b39803f
	v_fma_f64 v[82:83], v[80:81], s[42:43], -|v[10:11]|
	s_mov_b32 s9, 0xbc7abc9e
	v_fmac_f64_e32 v[82:83], s[8:9], v[80:81]
	s_mov_b32 s8, 0x6a5dcb37
	v_pk_mov_b32 v[96:97], v[56:57], v[56:57] op_sel:[0,1]
	s_mov_b32 s9, 0x3e5ade15
	v_fmac_f64_e32 v[96:97], s[8:9], v[82:83]
	v_pk_mov_b32 v[98:99], v[58:59], v[58:59] op_sel:[0,1]
	v_fmac_f64_e32 v[98:99], v[82:83], v[96:97]
	v_pk_mov_b32 v[96:97], v[60:61], v[60:61] op_sel:[0,1]
	;; [unrolled: 2-line block ×8, first 2 shown]
	v_fmac_f64_e32 v[96:97], v[82:83], v[98:99]
	v_and_b32_e32 v13, 0x80000000, v13
	v_fma_f64 v[96:97], v[82:83], v[96:97], 1.0
	s_mov_b32 s8, 0
	v_xor_b32_e32 v13, v19, v13
	v_fma_f64 v[82:83], v[82:83], v[96:97], 1.0
	v_cvt_i32_f64_e32 v19, v[80:81]
	s_mov_b32 s9, 0x4090cc00
	v_ldexp_f64 v[80:81], v[82:83], v19
	v_cmp_ngt_f64_e64 vcc, |v[10:11]|, s[8:9]
	v_bfi_b32 v19, s46, v90, v11
	v_mul_f64 v[10:11], v[84:85], v[84:85]
	v_mul_f64 v[82:83], v[10:11], 0.5
	v_fmac_f64_e32 v[104:105], s[72:73], v[10:11]
	v_add_f64 v[96:97], -v[82:83], 1.0
	v_fma_f64 v[102:103], v[10:11], v[104:105], s[74:75]
	v_add_f64 v[98:99], -v[96:97], 1.0
	v_fma_f64 v[102:103], v[10:11], v[102:103], s[76:77]
	v_add_f64 v[82:83], v[98:99], -v[82:83]
	v_fma_f64 v[102:103], v[10:11], v[102:103], s[78:79]
	v_mul_f64 v[98:99], v[10:11], v[10:11]
	v_fma_f64 v[102:103], v[10:11], v[102:103], s[62:63]
	v_fma_f64 v[82:83], v[84:85], -v[86:87], v[82:83]
	v_fmac_f64_e32 v[82:83], v[98:99], v[102:103]
	v_fmac_f64_e32 v[100:101], s[82:83], v[10:11]
	v_add_f64 v[82:83], v[96:97], v[82:83]
	v_fma_f64 v[96:97], v[10:11], v[100:101], s[84:85]
	v_fma_f64 v[96:97], v[10:11], v[96:97], s[86:87]
	;; [unrolled: 1-line block ×3, first 2 shown]
	v_mul_f64 v[98:99], v[84:85], -v[10:11]
	v_mul_f64 v[100:101], v[86:87], 0.5
	v_fmac_f64_e32 v[100:101], v[98:99], v[96:97]
	v_fma_f64 v[10:11], v[10:11], v[100:101], -v[86:87]
	v_fmac_f64_e32 v[10:11], s[88:89], v[98:99]
	v_add_f64 v[10:11], v[84:85], -v[10:11]
	v_and_b32_e32 v84, 1, v95
	v_cndmask_b32_e32 v81, 0, v81, vcc
	v_cndmask_b32_e32 v80, 0, v80, vcc
	v_cmp_eq_u32_e32 vcc, 0, v84
	v_xor_b32_e32 v11, 0x80000000, v11
	v_cndmask_b32_e32 v10, v10, v82, vcc
	v_lshlrev_b32_e32 v82, 30, v95
	v_cndmask_b32_e32 v11, v11, v83, vcc
	v_and_b32_e32 v82, 0x80000000, v82
	v_mul_f64 v[12:13], v[12:13], 4.0
	v_xor_b32_e32 v11, v11, v82
	v_mul_f64 v[10:11], v[12:13], v[10:11]
	v_mul_f64 v[10:11], v[80:81], v[10:11]
	;; [unrolled: 1-line block ×3, first 2 shown]
	v_pk_mov_b32 v[10:11], v[18:19], v[18:19] op_sel:[0,1]
.LBB156_312:                            ;   in Loop: Header=BB156_161 Depth=1
	s_or_b64 exec, exec, s[54:55]
.LBB156_313:                            ;   in Loop: Header=BB156_161 Depth=1
	s_andn2_saveexec_b64 s[8:9], s[40:41]
; %bb.314:                              ;   in Loop: Header=BB156_161 Depth=1
	v_add_f64 v[12:13], v[12:13], -v[12:13]
	v_pk_mov_b32 v[10:11], v[12:13], v[12:13] op_sel:[0,1]
; %bb.315:                              ;   in Loop: Header=BB156_161 Depth=1
	s_or_b64 exec, exec, s[8:9]
	s_andn2_saveexec_b64 s[40:41], s[94:95]
	s_cbranch_execnz .LBB156_295
.LBB156_316:                            ;   in Loop: Header=BB156_161 Depth=1
	s_or_b64 exec, exec, s[40:41]
	s_and_saveexec_b64 s[8:9], s[0:1]
	s_xor_b64 s[0:1], exec, s[8:9]
	s_cbranch_execz .LBB156_325
.LBB156_317:                            ;   in Loop: Header=BB156_161 Depth=1
	v_mov_b32_e32 v19, s11
	v_add_co_u32_e32 v80, vcc, s10, v20
	v_addc_co_u32_e32 v81, vcc, v21, v19, vcc
	global_store_dwordx4 v[80:81], v[6:9], off offset:-8
	s_or_b64 exec, exec, s[0:1]
	s_and_saveexec_b64 s[0:1], s[2:3]
	s_cbranch_execnz .LBB156_326
.LBB156_318:                            ;   in Loop: Header=BB156_161 Depth=1
	s_or_b64 exec, exec, s[0:1]
	s_and_saveexec_b64 s[0:1], s[4:5]
	s_cbranch_execz .LBB156_327
.LBB156_319:                            ;   in Loop: Header=BB156_161 Depth=1
	v_mov_b32_e32 v3, s11
	v_add_co_u32_e32 v2, vcc, s10, v28
	v_addc_co_u32_e32 v3, vcc, v29, v3, vcc
	global_store_dwordx4 v[2:3], v[14:17], off offset:-8
	s_or_b64 exec, exec, s[0:1]
	s_and_saveexec_b64 s[0:1], s[6:7]
	s_cbranch_execz .LBB156_160
	s_branch .LBB156_328
.LBB156_320:                            ;   in Loop: Header=BB156_161 Depth=1
	s_andn2_saveexec_b64 s[8:9], s[56:57]
	s_cbranch_execz .LBB156_322
.LBB156_321:                            ;   in Loop: Header=BB156_161 Depth=1
	v_mul_f64 v[84:85], |v[12:13]|, s[34:35]
	v_rndne_f64_e32 v[96:97], v[84:85]
	v_fma_f64 v[84:85], v[96:97], s[26:27], |v[12:13]|
	v_mul_f64 v[98:99], v[96:97], s[36:37]
	v_add_f64 v[102:103], v[84:85], v[98:99]
	v_fma_f64 v[86:87], s[36:37], v[96:97], v[84:85]
	s_mov_b32 s28, s36
	v_add_f64 v[84:85], v[84:85], -v[102:103]
	v_fma_f64 v[100:101], s[28:29], v[96:97], v[98:99]
	v_add_f64 v[84:85], v[84:85], v[98:99]
	v_add_f64 v[98:99], v[102:103], -v[86:87]
	v_add_f64 v[84:85], v[98:99], v[84:85]
	v_add_f64 v[98:99], v[84:85], -v[100:101]
	v_fmac_f64_e32 v[98:99], s[38:39], v[96:97]
	v_add_f64 v[84:85], v[86:87], v[98:99]
	v_add_f64 v[86:87], v[84:85], -v[86:87]
	v_add_f64 v[86:87], v[98:99], -v[86:87]
	v_cvt_i32_f64_e32 v95, v[96:97]
.LBB156_322:                            ;   in Loop: Header=BB156_161 Depth=1
	s_or_b64 exec, exec, s[8:9]
	v_mul_f64 v[96:97], v[80:81], v[80:81]
	v_pk_mov_b32 v[104:105], s[70:71], s[70:71] op_sel:[0,1]
	v_mul_f64 v[98:99], v[96:97], 0.5
	v_fma_f64 v[106:107], s[72:73], v[96:97], v[104:105]
	v_add_f64 v[100:101], -v[98:99], 1.0
	v_fma_f64 v[106:107], v[96:97], v[106:107], s[74:75]
	v_add_f64 v[102:103], -v[100:101], 1.0
	v_fma_f64 v[106:107], v[96:97], v[106:107], s[76:77]
	v_add_f64 v[98:99], v[102:103], -v[98:99]
	v_fma_f64 v[106:107], v[96:97], v[106:107], s[78:79]
	v_mul_f64 v[102:103], v[96:97], v[96:97]
	v_fma_f64 v[106:107], v[96:97], v[106:107], s[62:63]
	v_fma_f64 v[98:99], v[80:81], -v[82:83], v[98:99]
	v_fmac_f64_e32 v[98:99], v[102:103], v[106:107]
	v_add_f64 v[98:99], v[100:101], v[98:99]
	v_pk_mov_b32 v[100:101], s[80:81], s[80:81] op_sel:[0,1]
	v_fma_f64 v[102:103], s[82:83], v[96:97], v[100:101]
	v_fma_f64 v[102:103], v[96:97], v[102:103], s[84:85]
	;; [unrolled: 1-line block ×4, first 2 shown]
	v_mul_f64 v[106:107], v[80:81], -v[96:97]
	v_mul_f64 v[108:109], v[82:83], 0.5
	v_fmac_f64_e32 v[108:109], v[106:107], v[102:103]
	v_fma_f64 v[82:83], v[96:97], v[108:109], -v[82:83]
	s_mov_b32 s88, s62
	v_fmac_f64_e32 v[82:83], s[88:89], v[106:107]
	v_and_b32_e32 v19, 1, v94
	v_add_f64 v[80:81], v[80:81], -v[82:83]
	v_cmp_eq_u32_e32 vcc, 0, v19
	v_cndmask_b32_e32 v19, v98, v80, vcc
	v_cndmask_b32_e32 v80, v99, v81, vcc
	v_lshlrev_b32_e32 v81, 30, v94
	v_xor_b32_e32 v81, v81, v13
	v_and_b32_e32 v81, 0x80000000, v81
	v_xor_b32_e32 v80, v80, v81
	v_cmp_class_f64_e64 vcc, v[12:13], s58
	v_cndmask_b32_e32 v13, v93, v80, vcc
	v_mul_f64 v[80:81], v[84:85], v[84:85]
	v_mul_f64 v[82:83], v[80:81], 0.5
	v_fmac_f64_e32 v[104:105], s[72:73], v[80:81]
	v_add_f64 v[96:97], -v[82:83], 1.0
	v_fma_f64 v[102:103], v[80:81], v[104:105], s[74:75]
	v_add_f64 v[98:99], -v[96:97], 1.0
	v_fma_f64 v[102:103], v[80:81], v[102:103], s[76:77]
	v_add_f64 v[82:83], v[98:99], -v[82:83]
	v_fma_f64 v[102:103], v[80:81], v[102:103], s[78:79]
	v_mul_f64 v[98:99], v[80:81], v[80:81]
	v_fma_f64 v[102:103], v[80:81], v[102:103], s[62:63]
	v_fma_f64 v[82:83], v[84:85], -v[86:87], v[82:83]
	v_fmac_f64_e32 v[82:83], v[98:99], v[102:103]
	v_fmac_f64_e32 v[100:101], s[82:83], v[80:81]
	v_add_f64 v[82:83], v[96:97], v[82:83]
	v_fma_f64 v[96:97], v[80:81], v[100:101], s[84:85]
	v_fma_f64 v[96:97], v[80:81], v[96:97], s[86:87]
	;; [unrolled: 1-line block ×3, first 2 shown]
	v_mul_f64 v[98:99], v[84:85], -v[80:81]
	v_mul_f64 v[100:101], v[86:87], 0.5
	v_fmac_f64_e32 v[100:101], v[98:99], v[96:97]
	v_fma_f64 v[80:81], v[80:81], v[100:101], -v[86:87]
	v_fmac_f64_e32 v[80:81], s[88:89], v[98:99]
	v_add_f64 v[80:81], v[84:85], -v[80:81]
	v_cndmask_b32_e32 v12, 0, v19, vcc
	v_xor_b32_e32 v19, 0x80000000, v81
	v_and_b32_e32 v81, 1, v95
	v_cmp_eq_u32_e64 s[8:9], 0, v81
	v_lshlrev_b32_e32 v81, 30, v95
	v_cndmask_b32_e64 v19, v19, v83, s[8:9]
	v_and_b32_e32 v81, 0x80000000, v81
	v_cndmask_b32_e64 v80, v80, v82, s[8:9]
	v_xor_b32_e32 v19, v19, v81
	v_cndmask_b32_e32 v80, 0, v80, vcc
	v_cndmask_b32_e32 v81, v93, v19, vcc
	v_mul_f64 v[12:13], v[12:13], v[80:81]
.LBB156_323:                            ;   in Loop: Header=BB156_161 Depth=1
	s_or_b64 exec, exec, s[94:95]
	v_add_co_u32_e32 v10, vcc, 0, v10
	v_bfi_b32 v19, s46, 0, v13
	v_addc_co_u32_e32 v11, vcc, -2.0, v11, vcc
	v_pk_mov_b32 v[12:13], v[18:19], v[18:19] op_sel:[0,1]
.LBB156_324:                            ;   in Loop: Header=BB156_161 Depth=1
	s_or_b64 exec, exec, s[54:55]
	s_or_b64 exec, exec, s[40:41]
	s_and_saveexec_b64 s[8:9], s[0:1]
	s_xor_b64 s[0:1], exec, s[8:9]
	s_cbranch_execnz .LBB156_317
.LBB156_325:                            ;   in Loop: Header=BB156_161 Depth=1
	s_or_b64 exec, exec, s[0:1]
	s_and_saveexec_b64 s[0:1], s[2:3]
	s_cbranch_execz .LBB156_318
.LBB156_326:                            ;   in Loop: Header=BB156_161 Depth=1
	v_mov_b32_e32 v7, s11
	v_add_co_u32_e32 v6, vcc, s10, v22
	v_addc_co_u32_e32 v7, vcc, v23, v7, vcc
	global_store_dwordx4 v[6:7], v[2:5], off
	s_or_b64 exec, exec, s[0:1]
	s_and_saveexec_b64 s[0:1], s[4:5]
	s_cbranch_execnz .LBB156_319
.LBB156_327:                            ;   in Loop: Header=BB156_161 Depth=1
	s_or_b64 exec, exec, s[0:1]
	s_and_saveexec_b64 s[0:1], s[6:7]
	s_cbranch_execz .LBB156_160
.LBB156_328:                            ;   in Loop: Header=BB156_161 Depth=1
	v_mov_b32_e32 v3, s11
	v_add_co_u32_e32 v2, vcc, s10, v26
	v_addc_co_u32_e32 v3, vcc, v27, v3, vcc
	global_store_dwordx4 v[2:3], v[10:13], off offset:-8
	s_branch .LBB156_160
.LBB156_329:
	s_endpgm
	.section	.rodata,"a",@progbits
	.p2align	6, 0x0
	.amdhsa_kernel _ZN2at6native12_GLOBAL__N_125multi_tensor_apply_kernelINS1_18TensorListMetadataILi2EEENS1_14UnaryOpFunctorIN3c107complexIdEELi2ELi1ELi1EEEJNS0_4TanhIS8_EEEEEvT_T0_DpT1_
		.amdhsa_group_segment_fixed_size 0
		.amdhsa_private_segment_fixed_size 0
		.amdhsa_kernarg_size 3408
		.amdhsa_user_sgpr_count 6
		.amdhsa_user_sgpr_private_segment_buffer 1
		.amdhsa_user_sgpr_dispatch_ptr 0
		.amdhsa_user_sgpr_queue_ptr 0
		.amdhsa_user_sgpr_kernarg_segment_ptr 1
		.amdhsa_user_sgpr_dispatch_id 0
		.amdhsa_user_sgpr_flat_scratch_init 0
		.amdhsa_user_sgpr_kernarg_preload_length 0
		.amdhsa_user_sgpr_kernarg_preload_offset 0
		.amdhsa_user_sgpr_private_segment_size 0
		.amdhsa_uses_dynamic_stack 0
		.amdhsa_system_sgpr_private_segment_wavefront_offset 0
		.amdhsa_system_sgpr_workgroup_id_x 1
		.amdhsa_system_sgpr_workgroup_id_y 0
		.amdhsa_system_sgpr_workgroup_id_z 0
		.amdhsa_system_sgpr_workgroup_info 0
		.amdhsa_system_vgpr_workitem_id 0
		.amdhsa_next_free_vgpr 115
		.amdhsa_next_free_sgpr 96
		.amdhsa_accum_offset 116
		.amdhsa_reserve_vcc 1
		.amdhsa_reserve_flat_scratch 0
		.amdhsa_float_round_mode_32 0
		.amdhsa_float_round_mode_16_64 0
		.amdhsa_float_denorm_mode_32 3
		.amdhsa_float_denorm_mode_16_64 3
		.amdhsa_dx10_clamp 1
		.amdhsa_ieee_mode 1
		.amdhsa_fp16_overflow 0
		.amdhsa_tg_split 0
		.amdhsa_exception_fp_ieee_invalid_op 0
		.amdhsa_exception_fp_denorm_src 0
		.amdhsa_exception_fp_ieee_div_zero 0
		.amdhsa_exception_fp_ieee_overflow 0
		.amdhsa_exception_fp_ieee_underflow 0
		.amdhsa_exception_fp_ieee_inexact 0
		.amdhsa_exception_int_div_zero 0
	.end_amdhsa_kernel
	.section	.text._ZN2at6native12_GLOBAL__N_125multi_tensor_apply_kernelINS1_18TensorListMetadataILi2EEENS1_14UnaryOpFunctorIN3c107complexIdEELi2ELi1ELi1EEEJNS0_4TanhIS8_EEEEEvT_T0_DpT1_,"axG",@progbits,_ZN2at6native12_GLOBAL__N_125multi_tensor_apply_kernelINS1_18TensorListMetadataILi2EEENS1_14UnaryOpFunctorIN3c107complexIdEELi2ELi1ELi1EEEJNS0_4TanhIS8_EEEEEvT_T0_DpT1_,comdat
.Lfunc_end156:
	.size	_ZN2at6native12_GLOBAL__N_125multi_tensor_apply_kernelINS1_18TensorListMetadataILi2EEENS1_14UnaryOpFunctorIN3c107complexIdEELi2ELi1ELi1EEEJNS0_4TanhIS8_EEEEEvT_T0_DpT1_, .Lfunc_end156-_ZN2at6native12_GLOBAL__N_125multi_tensor_apply_kernelINS1_18TensorListMetadataILi2EEENS1_14UnaryOpFunctorIN3c107complexIdEELi2ELi1ELi1EEEJNS0_4TanhIS8_EEEEEvT_T0_DpT1_
                                        ; -- End function
	.section	.AMDGPU.csdata,"",@progbits
; Kernel info:
; codeLenInByte = 57276
; NumSgprs: 100
; NumVgprs: 115
; NumAgprs: 0
; TotalNumVgprs: 115
; ScratchSize: 0
; MemoryBound: 1
; FloatMode: 240
; IeeeMode: 1
; LDSByteSize: 0 bytes/workgroup (compile time only)
; SGPRBlocks: 12
; VGPRBlocks: 14
; NumSGPRsForWavesPerEU: 100
; NumVGPRsForWavesPerEU: 115
; AccumOffset: 116
; Occupancy: 4
; WaveLimiterHint : 0
; COMPUTE_PGM_RSRC2:SCRATCH_EN: 0
; COMPUTE_PGM_RSRC2:USER_SGPR: 6
; COMPUTE_PGM_RSRC2:TRAP_HANDLER: 0
; COMPUTE_PGM_RSRC2:TGID_X_EN: 1
; COMPUTE_PGM_RSRC2:TGID_Y_EN: 0
; COMPUTE_PGM_RSRC2:TGID_Z_EN: 0
; COMPUTE_PGM_RSRC2:TIDIG_COMP_CNT: 0
; COMPUTE_PGM_RSRC3_GFX90A:ACCUM_OFFSET: 28
; COMPUTE_PGM_RSRC3_GFX90A:TG_SPLIT: 0
	.section	.text._ZN2at6native12_GLOBAL__N_125multi_tensor_apply_kernelINS1_18TensorListMetadataILi2EEENS1_14UnaryOpFunctorIN3c107complexIfEELi2ELi1ELi1EEEJNS0_4TanhIS8_EEEEEvT_T0_DpT1_,"axG",@progbits,_ZN2at6native12_GLOBAL__N_125multi_tensor_apply_kernelINS1_18TensorListMetadataILi2EEENS1_14UnaryOpFunctorIN3c107complexIfEELi2ELi1ELi1EEEJNS0_4TanhIS8_EEEEEvT_T0_DpT1_,comdat
	.globl	_ZN2at6native12_GLOBAL__N_125multi_tensor_apply_kernelINS1_18TensorListMetadataILi2EEENS1_14UnaryOpFunctorIN3c107complexIfEELi2ELi1ELi1EEEJNS0_4TanhIS8_EEEEEvT_T0_DpT1_ ; -- Begin function _ZN2at6native12_GLOBAL__N_125multi_tensor_apply_kernelINS1_18TensorListMetadataILi2EEENS1_14UnaryOpFunctorIN3c107complexIfEELi2ELi1ELi1EEEJNS0_4TanhIS8_EEEEEvT_T0_DpT1_
	.p2align	8
	.type	_ZN2at6native12_GLOBAL__N_125multi_tensor_apply_kernelINS1_18TensorListMetadataILi2EEENS1_14UnaryOpFunctorIN3c107complexIfEELi2ELi1ELi1EEEJNS0_4TanhIS8_EEEEEvT_T0_DpT1_,@function
_ZN2at6native12_GLOBAL__N_125multi_tensor_apply_kernelINS1_18TensorListMetadataILi2EEENS1_14UnaryOpFunctorIN3c107complexIfEELi2ELi1ELi1EEEJNS0_4TanhIS8_EEEEEvT_T0_DpT1_: ; @_ZN2at6native12_GLOBAL__N_125multi_tensor_apply_kernelINS1_18TensorListMetadataILi2EEENS1_14UnaryOpFunctorIN3c107complexIfEELi2ELi1ELi1EEEJNS0_4TanhIS8_EEEEEvT_T0_DpT1_
; %bb.0:
	v_mov_b32_e32 v1, s6
	global_load_ubyte v1, v1, s[4:5] offset:1536
	s_add_u32 s0, s4, s6
	s_mul_hi_u32 s3, s6, 3
	s_mul_i32 s6, s6, 3
	s_addc_u32 s7, s5, 0
	s_add_u32 s2, s0, s6
	s_addc_u32 s3, s7, s3
	s_load_dword s2, s[2:3], 0x740
	s_mov_b32 s13, 0
	s_mov_b32 s1, s13
	;; [unrolled: 1-line block ×3, first 2 shown]
	s_waitcnt lgkmcnt(0)
	s_ashr_i32 s3, s2, 31
	s_lshl_b64 s[14:15], s[2:3], 19
	s_waitcnt vmcnt(0)
	v_readfirstlane_b32 s0, v1
	s_lshl_b32 s0, s0, 3
	s_load_dwordx2 s[10:11], s[4:5], s0 offset:0x0
	s_load_dwordx2 s[6:7], s[4:5], s0 offset:0x400
	;; [unrolled: 1-line block ×3, first 2 shown]
	s_waitcnt lgkmcnt(0)
	s_add_u32 s22, s10, s14
	s_addc_u32 s33, s11, s15
	s_add_u32 s38, s8, s14
	s_addc_u32 s39, s9, s15
	s_and_b32 s0, s22, 31
	s_and_b32 s16, s6, 3
	;; [unrolled: 1-line block ×3, first 2 shown]
	s_or_b64 s[0:1], s[0:1], s[16:17]
	s_lshl_b64 s[2:3], s[2:3], 16
	s_or_b64 s[0:1], s[12:13], s[0:1]
	s_sub_u32 s16, s6, s2
	s_subb_u32 s17, s7, s3
	s_cmp_eq_u64 s[0:1], 0
	s_mov_b64 s[0:1], -1
	s_cbranch_scc0 .LBB157_157
; %bb.1:
	v_mov_b32_e32 v15, 0
	v_lshlrev_b32_e32 v14, 2, v0
	v_cmp_gt_i64_e32 vcc, s[16:17], v[14:15]
	s_and_saveexec_b64 s[18:19], vcc
	s_cbranch_execz .LBB157_156
; %bb.2:
	s_load_dword s0, s[4:5], 0xc5c
	v_lshlrev_b32_e32 v16, 5, v0
	s_mov_b64 s[20:21], 0
	s_brev_b32 s41, -2
	s_mov_b32 s42, 0x7f800000
	s_waitcnt lgkmcnt(0)
	s_and_b32 s0, s0, 0xffff
	v_add_lshl_u32 v14, v0, s0, 2
	s_lshl_b32 s12, s0, 2
	s_lshl_b32 s40, s0, 5
	s_movk_i32 s43, 0x1f8
	s_mov_b32 s44, 0x41300000
	s_brev_b32 s45, 18
	s_mov_b32 s46, 0xfe5163ab
	s_mov_b32 s47, 0x3c439041
	;; [unrolled: 1-line block ×10, first 2 shown]
	v_mov_b32_e32 v1, 0x3f93f425
	s_mov_b32 s56, 0xbf317218
	v_mov_b32_e32 v19, 0x3f317218
	v_mov_b32_e32 v17, 0x3d2aadcc
	;; [unrolled: 1-line block ×4, first 2 shown]
	s_mov_b32 s23, -1.0
	s_mov_b32 s57, 0x42b2d4fc
	s_mov_b32 s58, 0x39800000
	;; [unrolled: 1-line block ×3, first 2 shown]
	v_mov_b32_e32 v26, 0x260
	v_mov_b32_e32 v27, 0xbe2aaa9d
	;; [unrolled: 1-line block ×4, first 2 shown]
	s_mov_b32 s60, 0xbfb8aa3b
	s_mov_b32 s61, 0xb2a5705f
	;; [unrolled: 1-line block ×4, first 2 shown]
	s_mov_b64 s[24:25], 0xffff
	v_not_b32_e32 v30, 63
	v_not_b32_e32 v31, 31
	v_mov_b32_e32 v21, -1.0
	v_mov_b32_e32 v32, 0x7f800000
	v_mov_b32_e32 v33, 0x7fc00000
	v_pk_mov_b32 v[22:23], v[14:15], v[14:15] op_sel:[0,1]
	s_branch .LBB157_7
.LBB157_3:                              ;   in Loop: Header=BB157_7 Depth=1
	s_or_b64 exec, exec, s[0:1]
	v_mul_f32_e32 v13, v12, v12
	v_mov_b32_e32 v18, 0x3c0881c4
	v_fmac_f32_e32 v18, 0xb94c1982, v13
	v_fma_f32 v18, v13, v18, v27
	v_mul_f32_e32 v18, v13, v18
	v_fmac_f32_e32 v12, v12, v18
	v_mov_b32_e32 v18, 0xbab64f3b
	v_fmac_f32_e32 v18, 0x37d75334, v13
	v_fma_f32 v18, v13, v18, v28
	v_fma_f32 v18, v13, v18, v29
	v_fma_f32 v13, v13, v18, 1.0
	v_and_b32_e32 v18, 1, v3
	v_lshlrev_b32_e32 v3, 30, v3
	v_cmp_eq_u32_e32 vcc, 0, v18
	v_and_b32_e32 v3, 0x80000000, v3
	v_cndmask_b32_e32 v12, v13, v12, vcc
	v_xor_b32_e32 v2, v2, v3
	v_xor_b32_e32 v2, v2, v12
	v_mul_f32_e32 v3, v20, v20
	v_mov_b32_e32 v12, 0x3c0881c4
	v_fmac_f32_e32 v12, 0xb94c1982, v3
	v_fma_f32 v12, v3, v12, v27
	v_mul_f32_e32 v12, v3, v12
	v_fmac_f32_e32 v20, v20, v12
	v_mov_b32_e32 v12, 0xbab64f3b
	v_fmac_f32_e32 v12, 0x37d75334, v3
	v_fma_f32 v12, v3, v12, v28
	v_fma_f32 v12, v3, v12, v29
	v_fma_f32 v3, v3, v12, 1.0
	v_and_b32_e32 v12, 1, v14
	v_cmp_eq_u32_e32 vcc, 0, v12
	v_lshlrev_b32_e32 v12, 30, v14
	v_cndmask_b32_e64 v3, -v20, v3, vcc
	v_and_b32_e32 v12, 0x80000000, v12
	v_xor_b32_e32 v2, v2, v5
	v_xor_b32_e32 v3, v12, v3
	v_mul_f32_e32 v2, v2, v3
	v_cmp_class_f32_e64 vcc, v5, s43
	v_cndmask_b32_e32 v5, v33, v2, vcc
.LBB157_4:                              ;   in Loop: Header=BB157_7 Depth=1
	s_or_b64 exec, exec, s[30:31]
	v_add_u32_e32 v4, -2.0, v4
	v_bfi_b32 v13, s41, 0, v5
.LBB157_5:                              ;   in Loop: Header=BB157_7 Depth=1
	s_or_b64 exec, exec, s[28:29]
	v_mov_b32_e32 v12, v4
.LBB157_6:                              ;   in Loop: Header=BB157_7 Depth=1
	s_or_b64 exec, exec, s[26:27]
	v_mov_b32_e32 v3, s39
	v_add_co_u32_e32 v2, vcc, s38, v16
	v_addc_co_u32_e32 v3, vcc, 0, v3, vcc
	v_cmp_le_i64_e32 vcc, s[16:17], v[22:23]
	v_cmp_lt_u64_e64 s[0:1], s[24:25], v[22:23]
	s_or_b64 s[0:1], vcc, s[0:1]
	s_add_u32 s22, s22, s40
	s_addc_u32 s33, s33, 0
	s_add_u32 s38, s38, s40
	s_addc_u32 s39, s39, 0
	global_store_dwordx4 v[2:3], v[6:9], off
	global_store_dwordx4 v[2:3], v[10:13], off offset:16
	v_mov_b32_e32 v2, s13
	s_and_b64 s[0:1], exec, s[0:1]
	v_add_co_u32_e32 v22, vcc, s12, v22
	s_or_b64 s[20:21], s[0:1], s[20:21]
	v_addc_co_u32_e32 v23, vcc, v23, v2, vcc
	s_andn2_b64 exec, exec, s[20:21]
	s_cbranch_execz .LBB157_156
.LBB157_7:                              ; =>This Inner Loop Header: Depth=1
	v_mov_b32_e32 v2, s33
	v_add_co_u32_e32 v6, vcc, s22, v16
	v_addc_co_u32_e32 v7, vcc, 0, v2, vcc
	global_load_dwordx4 v[10:13], v[6:7], off
	global_load_dwordx4 v[2:5], v[6:7], off offset:16
                                        ; implicit-def: $vgpr7
	s_waitcnt vmcnt(1)
	v_and_b32_e32 v18, 0x7fffffff, v10
	v_cmp_gt_u32_e32 vcc, s42, v18
	s_and_saveexec_b64 s[0:1], vcc
	s_xor_b64 s[26:27], exec, s[0:1]
	s_cbranch_execz .LBB157_29
; %bb.8:                                ;   in Loop: Header=BB157_7 Depth=1
	v_cmp_class_f32_e64 s[0:1], v11, s43
                                        ; implicit-def: $vgpr7
	s_and_saveexec_b64 s[2:3], s[0:1]
	s_xor_b64 s[28:29], exec, s[2:3]
	s_cbranch_execz .LBB157_26
; %bb.9:                                ;   in Loop: Header=BB157_7 Depth=1
	v_and_b32_e32 v8, 0x7fffffff, v11
	v_cmp_gt_u32_e32 vcc, s44, v18
                                        ; implicit-def: $vgpr7
	s_and_saveexec_b64 s[0:1], vcc
	s_xor_b64 s[30:31], exec, s[0:1]
	s_cbranch_execz .LBB157_15
; %bb.10:                               ;   in Loop: Header=BB157_7 Depth=1
	v_cmp_nlt_f32_e64 s[0:1], |v11|, s45
                                        ; implicit-def: $vgpr7
                                        ; implicit-def: $vgpr6
	s_and_saveexec_b64 s[2:3], s[0:1]
	s_xor_b64 s[34:35], exec, s[2:3]
	s_cbranch_execz .LBB157_12
; %bb.11:                               ;   in Loop: Header=BB157_7 Depth=1
	v_lshrrev_b32_e32 v6, 23, v8
	v_add_u32_e32 v6, 0xffffff88, v6
	v_cmp_lt_u32_e32 vcc, 63, v6
	v_cndmask_b32_e32 v7, 0, v30, vcc
	v_add_u32_e32 v6, v7, v6
	v_cmp_lt_u32_e64 s[0:1], 31, v6
	v_cndmask_b32_e64 v7, 0, v31, s[0:1]
	v_add_u32_e32 v6, v7, v6
	v_cmp_lt_u32_e64 s[2:3], 31, v6
	v_cndmask_b32_e64 v7, 0, v31, s[2:3]
	v_add_u32_e32 v9, v7, v6
	v_and_b32_e32 v6, 0x7fffff, v8
	v_or_b32_e32 v20, 0x800000, v6
	v_mad_u64_u32 v[6:7], s[6:7], v20, s46, 0
	v_mov_b32_e32 v14, v7
	v_mad_u64_u32 v[34:35], s[6:7], v20, s47, v[14:15]
	v_mov_b32_e32 v14, v35
	;; [unrolled: 2-line block ×6, first 2 shown]
	v_mad_u64_u32 v[44:45], s[6:7], v20, s52, v[14:15]
	v_cndmask_b32_e32 v7, v42, v38, vcc
	v_cndmask_b32_e32 v14, v44, v40, vcc
	;; [unrolled: 1-line block ×3, first 2 shown]
	v_cndmask_b32_e64 v20, v14, v7, s[0:1]
	v_cndmask_b32_e64 v14, v35, v14, s[0:1]
	v_cndmask_b32_e32 v35, v40, v36, vcc
	v_cndmask_b32_e64 v7, v7, v35, s[0:1]
	v_cndmask_b32_e64 v14, v14, v20, s[2:3]
	;; [unrolled: 1-line block ×3, first 2 shown]
	v_sub_u32_e32 v37, 32, v9
	v_alignbit_b32 v39, v14, v20, v37
	v_cmp_eq_u32_e64 s[6:7], 0, v9
	v_cndmask_b32_e64 v9, v39, v14, s[6:7]
	v_cndmask_b32_e32 v14, v38, v34, vcc
	v_cndmask_b32_e64 v34, v35, v14, s[0:1]
	v_cndmask_b32_e64 v7, v7, v34, s[2:3]
	v_cndmask_b32_e32 v6, v36, v6, vcc
	v_alignbit_b32 v35, v20, v7, v37
	v_cndmask_b32_e64 v6, v14, v6, s[0:1]
	v_cndmask_b32_e64 v20, v35, v20, s[6:7]
	v_bfe_u32 v39, v9, 29, 1
	v_cndmask_b32_e64 v6, v34, v6, s[2:3]
	v_alignbit_b32 v35, v9, v20, 30
	v_sub_u32_e32 v40, 0, v39
	v_alignbit_b32 v14, v7, v6, v37
	v_xor_b32_e32 v41, v35, v40
	v_cndmask_b32_e64 v7, v14, v7, s[6:7]
	v_alignbit_b32 v14, v20, v7, 30
	v_ffbh_u32_e32 v20, v41
	v_add_u32_e32 v20, 1, v20
	v_cmp_ne_u32_e32 vcc, v35, v40
	v_cndmask_b32_e32 v20, 33, v20, vcc
	v_alignbit_b32 v6, v7, v6, 30
	v_xor_b32_e32 v14, v14, v40
	v_sub_u32_e32 v34, 32, v20
	v_xor_b32_e32 v6, v6, v40
	v_alignbit_b32 v35, v41, v14, v34
	v_alignbit_b32 v6, v14, v6, v34
	;; [unrolled: 1-line block ×3, first 2 shown]
	v_ffbh_u32_e32 v14, v7
	v_min_u32_e32 v14, 32, v14
	v_lshrrev_b32_e32 v38, 29, v9
	v_sub_u32_e32 v34, 31, v14
	v_alignbit_b32 v6, v7, v6, v34
	v_lshlrev_b32_e32 v7, 31, v38
	v_or_b32_e32 v34, 0x33800000, v7
	v_add_lshl_u32 v14, v14, v20, 23
	v_lshrrev_b32_e32 v6, 9, v6
	v_sub_u32_e32 v14, v34, v14
	v_or_b32_e32 v6, v14, v6
	v_alignbit_b32 v14, v20, v35, 9
	v_or_b32_e32 v7, v14, v7
	v_xor_b32_e32 v7, 1.0, v7
	v_mul_f32_e32 v14, 0x3fc90fda, v7
	v_fma_f32 v20, v7, s53, -v14
	v_fmac_f32_e32 v20, 0x33a22168, v7
	v_fmac_f32_e32 v20, 0x3fc90fda, v6
	v_lshrrev_b32_e32 v7, 30, v9
	v_add_f32_e32 v6, v14, v20
	v_add_u32_e32 v7, v39, v7
.LBB157_12:                             ;   in Loop: Header=BB157_7 Depth=1
	s_andn2_saveexec_b64 s[0:1], s[34:35]
; %bb.13:                               ;   in Loop: Header=BB157_7 Depth=1
	v_mul_f32_e64 v6, |v11|, s54
	v_rndne_f32_e32 v9, v6
	v_cvt_i32_f32_e32 v7, v9
	v_fma_f32 v6, v9, s55, |v11|
	v_fmac_f32_e32 v6, 0xb3a22168, v9
	v_fmac_f32_e32 v6, 0xa7c234c4, v9
; %bb.14:                               ;   in Loop: Header=BB157_7 Depth=1
	s_or_b64 exec, exec, s[0:1]
	v_mul_f32_e32 v9, v6, v6
	v_mov_b32_e32 v14, 0xbf039337
	v_fmac_f32_e32 v14, 0x3c971480, v9
	v_fma_f32 v14, v9, v14, v1
	v_rcp_f32_e32 v14, v14
	v_mov_b32_e32 v20, 0x3ec54587
	v_fmac_f32_e32 v20, 0xbc8cedd3, v9
	v_and_b32_e32 v7, 1, v7
	v_mul_f32_e32 v14, v20, v14
	v_mul_f32_e32 v9, v9, v14
	v_fma_f32 v14, v9, v6, v6
	v_rcp_f32_e32 v20, v14
	v_sub_f32_e32 v34, v14, v6
	v_fma_f32 v6, v9, v6, -v34
	v_cmp_eq_u32_e32 vcc, 0, v7
	v_fma_f32 v9, v14, -v20, 1.0
	v_fma_f32 v6, v6, -v20, v9
	v_fma_f32 v6, v6, -v20, -v20
	v_cndmask_b32_e32 v9, v6, v14, vcc
	v_add_f32_e64 v14, |v10|, s56
	v_sub_f32_e64 v7, v14, |v10|
	v_sub_f32_e32 v6, v7, v14
	v_pk_add_f32 v[6:7], v[18:19], v[6:7]
	v_sub_f32_e32 v6, v6, v7
	v_add_f32_e32 v6, 0x3102e308, v6
	v_add_f32_e32 v7, v14, v6
	v_sub_f32_e32 v14, v14, v7
	v_add_f32_e32 v6, v6, v14
	v_mul_f32_e32 v14, 0x3fb8aa3b, v7
	v_rndne_f32_e32 v14, v14
	v_fmac_f32_e32 v7, 0xbf317200, v14
	v_add_f32_e32 v18, v6, v7
	v_mul_f32_e32 v20, 0x35bfbc00, v14
	v_sub_f32_e32 v34, v18, v20
	v_sub_f32_e32 v7, v7, v18
	;; [unrolled: 1-line block ×3, first 2 shown]
	v_add_f32_e32 v6, v6, v7
	v_sub_f32_e32 v18, v18, v20
	v_add_f32_e32 v18, v6, v18
	v_add_f32_e32 v35, v34, v18
	v_mul_f32_e32 v7, 0x2ea39ef3, v14
	v_mov_b32_e32 v6, v35
	v_pk_add_f32 v[36:37], v[34:35], v[6:7] neg_lo:[0,1] neg_hi:[0,1]
	v_sub_f32_e32 v6, v35, v37
	v_sub_f32_e32 v6, v6, v7
	v_add_f32_e32 v7, v18, v36
	v_add_f32_e32 v6, v7, v6
	;; [unrolled: 1-line block ×3, first 2 shown]
	v_sub_f32_e32 v20, v37, v7
	v_mov_b32_e32 v18, 0x3c091de6
	v_add_f32_e32 v6, v6, v20
	v_mul_f32_e32 v34, v7, v7
	v_fmac_f32_e32 v18, 0x3ab42872, v7
	v_add_f32_e32 v20, v6, v6
	v_fma_f32 v35, v7, v7, -v34
	v_fma_f32 v18, v7, v18, v17
	v_fmac_f32_e32 v35, v7, v20
	v_fma_f32 v18, v7, v18, v24
	v_add_f32_e32 v20, v34, v35
	v_fma_f32 v18, v7, v18, v25
	v_sub_f32_e32 v34, v20, v34
	v_sub_f32_e32 v34, v35, v34
	v_mul_f32_e32 v35, v18, v20
	v_fma_f32 v20, v20, v18, -v35
	v_fmac_f32_e32 v20, v34, v18
	v_add_f32_e32 v18, v35, v20
	v_sub_f32_e32 v34, v18, v35
	v_sub_f32_e32 v34, v20, v34
	v_add_f32_e32 v20, v7, v18
	v_sub_f32_e32 v7, v20, v7
	v_sub_f32_e32 v7, v18, v7
	v_add_f32_e32 v6, v6, v34
	v_add_f32_e32 v6, v6, v7
	;; [unrolled: 1-line block ×3, first 2 shown]
	v_add_f32_e32 v35, 1.0, v34
	v_pk_add_f32 v[36:37], v[34:35], v[20:21] neg_lo:[0,1] neg_hi:[0,1]
	v_pk_add_f32 v[38:39], v[34:35], s[22:23]
	v_mov_b32_e32 v37, v39
	v_mov_b32_e32 v7, v34
	v_cvt_i32_f32_e32 v14, v14
	v_pk_add_f32 v[6:7], v[6:7], v[36:37] neg_lo:[0,1] neg_hi:[0,1]
	v_add_f32_e32 v6, v6, v7
	v_add_f32_e32 v7, v35, v6
	v_ldexp_f32 v18, v7, v14
	v_rcp_f32_e32 v20, v18
	v_sub_f32_e32 v7, v7, v35
	v_sub_f32_e32 v6, v6, v7
	v_ldexp_f32 v6, v6, v14
	v_mul_f32_e32 v7, v18, v20
	v_fma_f32 v14, v20, v18, -v7
	v_fmac_f32_e32 v14, v20, v6
	v_add_f32_e32 v34, v7, v14
	v_sub_f32_e32 v35, 1.0, v34
	v_sub_f32_e32 v36, 1.0, v35
	v_sub_f32_e32 v7, v34, v7
	v_sub_f32_e32 v36, v36, v34
	;; [unrolled: 1-line block ×3, first 2 shown]
	v_add_f32_e32 v7, v7, v36
	v_add_f32_e32 v14, v35, v7
	v_mul_f32_e32 v34, v20, v14
	v_mul_f32_e32 v36, v18, v34
	v_fma_f32 v37, v34, v18, -v36
	v_fmac_f32_e32 v37, v34, v6
	v_sub_f32_e32 v35, v35, v14
	v_add_f32_e32 v7, v7, v35
	v_add_f32_e32 v35, v36, v37
	v_sub_f32_e32 v38, v14, v35
	v_sub_f32_e32 v14, v14, v38
	;; [unrolled: 1-line block ×4, first 2 shown]
	v_add_f32_e32 v7, v7, v14
	v_sub_f32_e32 v14, v36, v37
	v_add_f32_e32 v7, v14, v7
	v_add_f32_e32 v7, v38, v7
	;; [unrolled: 1-line block ×3, first 2 shown]
	v_mul_f32_e32 v7, v20, v7
	v_sub_f32_e32 v20, v14, v20
	v_sub_f32_e32 v20, v34, v20
	v_add_f32_e32 v7, v20, v7
	v_add_f32_e32 v20, v14, v7
	v_sub_f32_e32 v14, v20, v14
	v_sub_f32_e32 v7, v7, v14
	v_ldexp_f32 v14, v20, -2
	v_sub_f32_e32 v20, v18, v14
	v_sub_f32_e32 v18, v18, v20
	;; [unrolled: 1-line block ×3, first 2 shown]
	v_ldexp_f32 v7, v7, -2
	v_add_f32_e32 v6, v6, v14
	v_sub_f32_e32 v6, v6, v7
	v_add_f32_e32 v6, v20, v6
	v_cmp_ngt_f32_e64 vcc, |v10|, s57
	v_cndmask_b32_e32 v6, v32, v6, vcc
	v_cmp_lt_f32_e64 s[0:1], |v10|, s58
	v_cndmask_b32_e64 v6, v6, |v10|, s[0:1]
	v_bfi_b32 v6, s41, v6, v10
	v_fma_f32 v7, v6, v6, 1.0
	v_mul_f32_e32 v14, 0x4f800000, v7
	v_cmp_gt_f32_e32 vcc, s59, v7
	v_cndmask_b32_e32 v7, v7, v14, vcc
	v_sqrt_f32_e32 v14, v7
	v_xor_b32_e32 v8, v8, v9
	v_xor_b32_e32 v8, v8, v11
	v_fma_f32 v9, v8, v8, 1.0
	v_add_u32_e32 v18, -1, v14
	v_fma_f32 v20, -v18, v14, v7
	v_cmp_ge_f32_e64 s[0:1], 0, v20
	v_add_u32_e32 v20, 1, v14
	v_cndmask_b32_e64 v18, v14, v18, s[0:1]
	v_fma_f32 v14, -v20, v14, v7
	v_cmp_lt_f32_e64 s[0:1], 0, v14
	v_cndmask_b32_e64 v14, v18, v20, s[0:1]
	v_mul_f32_e32 v18, 0x37800000, v14
	v_cndmask_b32_e32 v14, v14, v18, vcc
	v_cmp_class_f32_e32 vcc, v7, v26
	v_cndmask_b32_e32 v7, v14, v7, vcc
	v_mul_f32_e32 v14, v6, v9
	v_mul_f32_e32 v7, v7, v9
	v_fma_f32 v14, v6, v14, 1.0
	v_mul_f32_e32 v6, v6, v7
	v_div_scale_f32 v7, s[0:1], v14, v14, v6
	v_rcp_f32_e32 v9, v7
	v_fma_f32 v18, -v7, v9, 1.0
	v_fmac_f32_e32 v9, v18, v9
	v_div_scale_f32 v18, vcc, v6, v14, v6
	v_mul_f32_e32 v20, v18, v9
	v_fma_f32 v34, -v7, v20, v18
	v_fmac_f32_e32 v20, v34, v9
	v_fma_f32 v7, -v7, v20, v18
	v_div_scale_f32 v18, s[0:1], v14, v14, v8
	v_rcp_f32_e32 v34, v18
	v_div_fmas_f32 v7, v7, v9, v20
	v_div_fixup_f32 v6, v7, v14, v6
	v_fma_f32 v7, -v18, v34, 1.0
	v_fmac_f32_e32 v34, v7, v34
	v_div_scale_f32 v7, vcc, v8, v14, v8
	v_mul_f32_e32 v9, v7, v34
	v_fma_f32 v20, -v18, v9, v7
	v_fmac_f32_e32 v9, v20, v34
	v_fma_f32 v7, -v18, v9, v7
	v_div_fmas_f32 v7, v7, v34, v9
	v_div_fixup_f32 v7, v7, v14, v8
                                        ; implicit-def: $vgpr8
.LBB157_15:                             ;   in Loop: Header=BB157_7 Depth=1
	s_andn2_saveexec_b64 s[30:31], s[30:31]
	s_cbranch_execz .LBB157_18
; %bb.16:                               ;   in Loop: Header=BB157_7 Depth=1
	v_lshrrev_b32_e32 v6, 23, v8
	v_and_b32_e32 v7, 0x7fffff, v8
	v_cmp_nlt_f32_e64 s[34:35], |v11|, s45
	v_add_u32_e32 v18, 0xffffff88, v6
	v_or_b32_e32 v9, 0x800000, v7
                                        ; implicit-def: $vgpr6
                                        ; implicit-def: $vgpr7
	s_and_saveexec_b64 s[0:1], s[34:35]
	s_xor_b64 s[36:37], exec, s[0:1]
	s_cbranch_execz .LBB157_19
; %bb.17:                               ;   in Loop: Header=BB157_7 Depth=1
	v_cmp_lt_u32_e32 vcc, 63, v18
	v_cndmask_b32_e32 v6, 0, v30, vcc
	v_add_u32_e32 v6, v6, v18
	v_cmp_lt_u32_e64 s[0:1], 31, v6
	v_cndmask_b32_e64 v7, 0, v31, s[0:1]
	v_add_u32_e32 v6, v7, v6
	v_cmp_lt_u32_e64 s[2:3], 31, v6
	v_cndmask_b32_e64 v7, 0, v31, s[2:3]
	v_add_u32_e32 v20, v7, v6
	v_mad_u64_u32 v[6:7], s[6:7], v9, s46, 0
	v_mov_b32_e32 v14, v7
	v_mad_u64_u32 v[34:35], s[6:7], v9, s47, v[14:15]
	v_mov_b32_e32 v14, v35
	;; [unrolled: 2-line block ×6, first 2 shown]
	v_mad_u64_u32 v[44:45], s[6:7], v9, s52, v[14:15]
	v_cndmask_b32_e32 v7, v42, v38, vcc
	v_cndmask_b32_e32 v14, v44, v40, vcc
	;; [unrolled: 1-line block ×3, first 2 shown]
	v_cndmask_b32_e64 v35, v14, v7, s[0:1]
	v_cndmask_b32_e64 v14, v37, v14, s[0:1]
	v_cndmask_b32_e32 v37, v40, v36, vcc
	v_cndmask_b32_e64 v7, v7, v37, s[0:1]
	v_sub_u32_e32 v39, 32, v20
	v_cmp_eq_u32_e64 s[6:7], 0, v20
	v_cndmask_b32_e32 v20, v38, v34, vcc
	v_cndmask_b32_e64 v14, v14, v35, s[2:3]
	v_cndmask_b32_e64 v35, v35, v7, s[2:3]
	;; [unrolled: 1-line block ×3, first 2 shown]
	v_alignbit_b32 v40, v14, v35, v39
	v_cndmask_b32_e64 v7, v7, v34, s[2:3]
	v_cndmask_b32_e64 v14, v40, v14, s[6:7]
	v_alignbit_b32 v37, v35, v7, v39
	v_cndmask_b32_e64 v35, v37, v35, s[6:7]
	v_bfe_u32 v40, v14, 29, 1
	v_cndmask_b32_e32 v6, v36, v6, vcc
	v_alignbit_b32 v37, v14, v35, 30
	v_sub_u32_e32 v41, 0, v40
	v_cndmask_b32_e64 v6, v20, v6, s[0:1]
	v_xor_b32_e32 v42, v37, v41
	v_cndmask_b32_e64 v6, v34, v6, s[2:3]
	v_alignbit_b32 v20, v7, v6, v39
	v_ffbh_u32_e32 v34, v42
	v_cndmask_b32_e64 v7, v20, v7, s[6:7]
	v_add_u32_e32 v34, 1, v34
	v_cmp_ne_u32_e32 vcc, v37, v41
	v_alignbit_b32 v20, v35, v7, 30
	v_cndmask_b32_e32 v34, 33, v34, vcc
	v_alignbit_b32 v6, v7, v6, 30
	v_xor_b32_e32 v20, v20, v41
	v_sub_u32_e32 v35, 32, v34
	v_xor_b32_e32 v6, v6, v41
	v_alignbit_b32 v36, v42, v20, v35
	v_alignbit_b32 v6, v20, v6, v35
	;; [unrolled: 1-line block ×3, first 2 shown]
	v_ffbh_u32_e32 v20, v7
	v_min_u32_e32 v20, 32, v20
	v_lshrrev_b32_e32 v38, 29, v14
	v_sub_u32_e32 v35, 31, v20
	v_alignbit_b32 v6, v7, v6, v35
	v_lshlrev_b32_e32 v7, 31, v38
	v_or_b32_e32 v35, 0x33800000, v7
	v_add_lshl_u32 v20, v20, v34, 23
	v_lshrrev_b32_e32 v6, 9, v6
	v_sub_u32_e32 v20, v35, v20
	v_or_b32_e32 v6, v20, v6
	v_alignbit_b32 v20, v34, v36, 9
	v_or_b32_e32 v7, v20, v7
	v_xor_b32_e32 v7, 1.0, v7
	v_mul_f32_e32 v20, 0x3fc90fda, v7
	v_fma_f32 v34, v7, s53, -v20
	v_fmac_f32_e32 v34, 0x33a22168, v7
	v_fmac_f32_e32 v34, 0x3fc90fda, v6
	v_lshrrev_b32_e32 v6, 30, v14
	v_add_f32_e32 v7, v20, v34
	v_add_u32_e32 v6, v40, v6
	s_andn2_saveexec_b64 s[0:1], s[36:37]
	s_branch .LBB157_20
.LBB157_18:                             ;   in Loop: Header=BB157_7 Depth=1
	s_or_b64 exec, exec, s[30:31]
	s_andn2_saveexec_b64 s[0:1], s[28:29]
	s_cbranch_execnz .LBB157_27
	s_branch .LBB157_28
.LBB157_19:                             ;   in Loop: Header=BB157_7 Depth=1
	s_andn2_saveexec_b64 s[0:1], s[36:37]
.LBB157_20:                             ;   in Loop: Header=BB157_7 Depth=1
	v_mul_f32_e64 v6, |v11|, s54
	v_rndne_f32_e32 v14, v6
	v_cvt_i32_f32_e32 v6, v14
	v_fma_f32 v7, v14, s55, |v11|
	v_fmac_f32_e32 v7, 0xb3a22168, v14
	v_fmac_f32_e32 v7, 0xa7c234c4, v14
; %bb.21:                               ;   in Loop: Header=BB157_7 Depth=1
	s_or_b64 exec, exec, s[0:1]
                                        ; implicit-def: $vgpr14
                                        ; implicit-def: $vgpr20
	s_and_saveexec_b64 s[0:1], s[34:35]
	s_xor_b64 s[34:35], exec, s[0:1]
	s_cbranch_execz .LBB157_23
; %bb.22:                               ;   in Loop: Header=BB157_7 Depth=1
	v_cmp_lt_u32_e32 vcc, 63, v18
	v_cndmask_b32_e32 v14, 0, v30, vcc
	v_add_u32_e32 v14, v14, v18
	v_cmp_lt_u32_e64 s[0:1], 31, v14
	v_cndmask_b32_e64 v18, 0, v31, s[0:1]
	v_add_u32_e32 v14, v18, v14
	v_cmp_lt_u32_e64 s[2:3], 31, v14
	v_cndmask_b32_e64 v18, 0, v31, s[2:3]
	v_mad_u64_u32 v[34:35], s[6:7], v9, s46, 0
	v_add_u32_e32 v18, v18, v14
	v_mov_b32_e32 v14, v35
	v_mad_u64_u32 v[36:37], s[6:7], v9, s47, v[14:15]
	v_mov_b32_e32 v14, v37
	v_mad_u64_u32 v[38:39], s[6:7], v9, s48, v[14:15]
	;; [unrolled: 2-line block ×6, first 2 shown]
	v_cndmask_b32_e32 v20, v44, v40, vcc
	v_cndmask_b32_e32 v9, v46, v42, vcc
	;; [unrolled: 1-line block ×3, first 2 shown]
	v_cndmask_b32_e64 v14, v9, v20, s[0:1]
	v_cndmask_b32_e64 v9, v35, v9, s[0:1]
	v_cndmask_b32_e32 v35, v42, v38, vcc
	v_cndmask_b32_e64 v20, v20, v35, s[0:1]
	v_sub_u32_e32 v37, 32, v18
	v_cmp_eq_u32_e64 s[6:7], 0, v18
	v_cndmask_b32_e32 v18, v40, v36, vcc
	v_cndmask_b32_e64 v9, v9, v14, s[2:3]
	v_cndmask_b32_e64 v14, v14, v20, s[2:3]
	;; [unrolled: 1-line block ×3, first 2 shown]
	v_alignbit_b32 v39, v9, v14, v37
	v_cndmask_b32_e64 v20, v20, v35, s[2:3]
	v_cndmask_b32_e64 v9, v39, v9, s[6:7]
	v_alignbit_b32 v36, v14, v20, v37
	v_cndmask_b32_e32 v34, v38, v34, vcc
	v_cndmask_b32_e64 v14, v36, v14, s[6:7]
	v_bfe_u32 v40, v9, 29, 1
	v_cndmask_b32_e64 v18, v18, v34, s[0:1]
	v_alignbit_b32 v36, v9, v14, 30
	v_sub_u32_e32 v41, 0, v40
	v_cndmask_b32_e64 v18, v35, v18, s[2:3]
	v_xor_b32_e32 v42, v36, v41
	v_alignbit_b32 v34, v20, v18, v37
	v_cndmask_b32_e64 v20, v34, v20, s[6:7]
	v_ffbh_u32_e32 v34, v42
	v_add_u32_e32 v34, 1, v34
	v_cmp_ne_u32_e32 vcc, v36, v41
	v_alignbit_b32 v14, v14, v20, 30
	v_cndmask_b32_e32 v34, 33, v34, vcc
	v_alignbit_b32 v18, v20, v18, 30
	v_xor_b32_e32 v14, v14, v41
	v_sub_u32_e32 v35, 32, v34
	v_xor_b32_e32 v18, v18, v41
	v_alignbit_b32 v36, v42, v14, v35
	v_alignbit_b32 v14, v14, v18, v35
	;; [unrolled: 1-line block ×3, first 2 shown]
	v_ffbh_u32_e32 v20, v18
	v_min_u32_e32 v20, 32, v20
	v_lshrrev_b32_e32 v39, 29, v9
	v_sub_u32_e32 v35, 31, v20
	v_alignbit_b32 v14, v18, v14, v35
	v_lshlrev_b32_e32 v18, 31, v39
	v_or_b32_e32 v35, 0x33800000, v18
	v_add_lshl_u32 v20, v20, v34, 23
	v_lshrrev_b32_e32 v14, 9, v14
	v_sub_u32_e32 v20, v35, v20
	v_or_b32_e32 v14, v20, v14
	v_alignbit_b32 v20, v34, v36, 9
	v_or_b32_e32 v18, v20, v18
	v_xor_b32_e32 v18, 1.0, v18
	v_mul_f32_e32 v20, 0x3fc90fda, v18
	v_fma_f32 v34, v18, s53, -v20
	v_fmac_f32_e32 v34, 0x33a22168, v18
	v_fmac_f32_e32 v34, 0x3fc90fda, v14
	v_lshrrev_b32_e32 v9, 30, v9
	v_add_f32_e32 v20, v20, v34
	v_add_u32_e32 v14, v40, v9
	s_andn2_saveexec_b64 s[0:1], s[34:35]
	s_cbranch_execnz .LBB157_24
	s_branch .LBB157_25
.LBB157_23:                             ;   in Loop: Header=BB157_7 Depth=1
	s_andn2_saveexec_b64 s[0:1], s[34:35]
.LBB157_24:                             ;   in Loop: Header=BB157_7 Depth=1
	v_mul_f32_e64 v9, |v11|, s54
	v_rndne_f32_e32 v9, v9
	v_cvt_i32_f32_e32 v14, v9
	v_fma_f32 v20, v9, s55, |v11|
	v_fmac_f32_e32 v20, 0xb3a22168, v9
	v_fmac_f32_e32 v20, 0xa7c234c4, v9
.LBB157_25:                             ;   in Loop: Header=BB157_7 Depth=1
	s_or_b64 exec, exec, s[0:1]
	v_mul_f32_e32 v9, v7, v7
	v_mov_b32_e32 v18, 0x3c0881c4
	v_fmac_f32_e32 v18, 0xb94c1982, v9
	v_fma_f32 v18, v9, v18, v27
	v_mul_f32_e32 v18, v9, v18
	v_fmac_f32_e32 v7, v7, v18
	v_mov_b32_e32 v18, 0xbab64f3b
	v_fmac_f32_e32 v18, 0x37d75334, v9
	v_fma_f32 v18, v9, v18, v28
	v_fma_f32 v18, v9, v18, v29
	v_fma_f32 v9, v9, v18, 1.0
	v_and_b32_e32 v18, 1, v6
	v_lshlrev_b32_e32 v6, 30, v6
	v_and_b32_e32 v6, 0x80000000, v6
	v_cmp_eq_u32_e32 vcc, 0, v18
	v_xor_b32_e32 v6, v8, v6
	v_mul_f32_e64 v8, |v10|, s60
	v_cndmask_b32_e32 v7, v9, v7, vcc
	v_rndne_f32_e32 v9, v8
	v_sub_f32_e32 v18, v8, v9
	v_fma_f32 v8, |v10|, s60, -v8
	v_fma_f32 v8, |v10|, s61, v8
	v_add_f32_e32 v8, v18, v8
	v_exp_f32_e32 v8, v8
	v_cvt_i32_f32_e32 v9, v9
	v_xor_b32_e32 v6, v6, v7
	v_xor_b32_e32 v6, v6, v11
	v_mul_f32_e32 v7, 4.0, v6
	v_ldexp_f32 v6, v8, v9
	v_mul_f32_e32 v9, v20, v20
	v_mov_b32_e32 v18, 0x3c0881c4
	v_fmac_f32_e32 v18, 0xb94c1982, v9
	v_fma_f32 v18, v9, v18, v27
	v_mul_f32_e32 v18, v9, v18
	v_fmac_f32_e32 v20, v20, v18
	v_mov_b32_e32 v18, 0xbab64f3b
	v_fmac_f32_e32 v18, 0x37d75334, v9
	v_fma_f32 v18, v9, v18, v28
	v_cmp_ngt_f32_e64 vcc, |v10|, s62
	v_fma_f32 v18, v9, v18, v29
	v_cndmask_b32_e32 v6, 0, v6, vcc
	v_cmp_nlt_f32_e64 vcc, |v10|, s63
	v_fma_f32 v9, v9, v18, 1.0
	v_and_b32_e32 v18, 1, v14
	v_cndmask_b32_e32 v8, v32, v6, vcc
	v_cmp_eq_u32_e32 vcc, 0, v18
	v_lshlrev_b32_e32 v14, 30, v14
	v_cndmask_b32_e64 v9, -v20, v9, vcc
	v_and_b32_e32 v14, 0x80000000, v14
	v_xor_b32_e32 v9, v14, v9
	v_mul_f32_e32 v7, v7, v9
	v_mul_f32_e32 v7, v8, v7
	v_bfi_b32 v6, s41, 1.0, v10
	v_mul_f32_e32 v7, v8, v7
	s_or_b64 exec, exec, s[30:31]
.LBB157_26:                             ;   in Loop: Header=BB157_7 Depth=1
	s_andn2_saveexec_b64 s[0:1], s[28:29]
.LBB157_27:                             ;   in Loop: Header=BB157_7 Depth=1
	v_sub_f32_e32 v7, v11, v11
	v_mov_b32_e32 v6, v7
.LBB157_28:                             ;   in Loop: Header=BB157_7 Depth=1
	s_or_b64 exec, exec, s[0:1]
.LBB157_29:                             ;   in Loop: Header=BB157_7 Depth=1
	s_andn2_saveexec_b64 s[26:27], s[26:27]
	s_cbranch_execz .LBB157_45
; %bb.30:                               ;   in Loop: Header=BB157_7 Depth=1
	v_and_b32_e32 v6, 0x7fffff, v10
	v_cmp_ne_u32_e32 vcc, 0, v6
                                        ; implicit-def: $vgpr7
	s_and_saveexec_b64 s[0:1], vcc
	s_xor_b64 s[0:1], exec, s[0:1]
; %bb.31:                               ;   in Loop: Header=BB157_7 Depth=1
	v_mul_f32_e32 v6, v10, v11
	v_cmp_eq_f32_e32 vcc, 0, v11
	v_cndmask_b32_e32 v7, v6, v11, vcc
; %bb.32:                               ;   in Loop: Header=BB157_7 Depth=1
	s_andn2_saveexec_b64 s[28:29], s[0:1]
	s_cbranch_execz .LBB157_44
; %bb.33:                               ;   in Loop: Header=BB157_7 Depth=1
	v_cmp_neq_f32_e64 s[0:1], |v11|, s42
	s_and_saveexec_b64 s[30:31], s[0:1]
	s_cbranch_execz .LBB157_43
; %bb.34:                               ;   in Loop: Header=BB157_7 Depth=1
	v_and_b32_e32 v6, 0x7fffffff, v11
	v_lshrrev_b32_e32 v7, 23, v6
	v_and_b32_e32 v8, 0x7fffff, v6
	v_cmp_nlt_f32_e64 s[34:35], |v11|, s45
	v_add_u32_e32 v18, 0xffffff88, v7
	v_or_b32_e32 v9, 0x800000, v8
                                        ; implicit-def: $vgpr7
                                        ; implicit-def: $vgpr8
	s_and_saveexec_b64 s[0:1], s[34:35]
	s_xor_b64 s[36:37], exec, s[0:1]
	s_cbranch_execz .LBB157_36
; %bb.35:                               ;   in Loop: Header=BB157_7 Depth=1
	v_mad_u64_u32 v[34:35], s[6:7], v9, s46, 0
	v_mov_b32_e32 v14, v35
	v_mad_u64_u32 v[36:37], s[6:7], v9, s47, v[14:15]
	v_mov_b32_e32 v14, v37
	v_mad_u64_u32 v[38:39], s[6:7], v9, s48, v[14:15]
	v_cmp_lt_u32_e32 vcc, 63, v18
	v_mov_b32_e32 v14, v39
	v_cndmask_b32_e32 v7, 0, v30, vcc
	v_mad_u64_u32 v[40:41], s[6:7], v9, s49, v[14:15]
	v_add_u32_e32 v7, v7, v18
	v_mov_b32_e32 v14, v41
	v_cmp_lt_u32_e64 s[0:1], 31, v7
	v_mad_u64_u32 v[42:43], s[6:7], v9, s50, v[14:15]
	v_cndmask_b32_e64 v8, 0, v31, s[0:1]
	v_mov_b32_e32 v14, v43
	v_add_u32_e32 v7, v8, v7
	v_mad_u64_u32 v[44:45], s[6:7], v9, s51, v[14:15]
	v_cmp_lt_u32_e64 s[2:3], 31, v7
	v_mov_b32_e32 v14, v45
	v_cndmask_b32_e64 v8, 0, v31, s[2:3]
	v_mad_u64_u32 v[46:47], s[6:7], v9, s52, v[14:15]
	v_add_u32_e32 v7, v8, v7
	v_cndmask_b32_e32 v8, v44, v40, vcc
	v_cndmask_b32_e32 v14, v46, v42, vcc
	;; [unrolled: 1-line block ×3, first 2 shown]
	v_cndmask_b32_e64 v20, v14, v8, s[0:1]
	v_cndmask_b32_e64 v14, v35, v14, s[0:1]
	v_cndmask_b32_e32 v35, v42, v38, vcc
	v_cndmask_b32_e64 v8, v8, v35, s[0:1]
	v_cndmask_b32_e64 v14, v14, v20, s[2:3]
	;; [unrolled: 1-line block ×3, first 2 shown]
	v_sub_u32_e32 v37, 32, v7
	v_alignbit_b32 v39, v14, v20, v37
	v_cmp_eq_u32_e64 s[6:7], 0, v7
	v_cndmask_b32_e64 v7, v39, v14, s[6:7]
	v_cndmask_b32_e32 v14, v40, v36, vcc
	v_cndmask_b32_e64 v35, v35, v14, s[0:1]
	v_cndmask_b32_e64 v8, v8, v35, s[2:3]
	v_alignbit_b32 v36, v20, v8, v37
	v_cndmask_b32_e32 v34, v38, v34, vcc
	v_cndmask_b32_e64 v20, v36, v20, s[6:7]
	v_bfe_u32 v40, v7, 29, 1
	v_cndmask_b32_e64 v14, v14, v34, s[0:1]
	v_alignbit_b32 v36, v7, v20, 30
	v_sub_u32_e32 v41, 0, v40
	v_cndmask_b32_e64 v14, v35, v14, s[2:3]
	v_xor_b32_e32 v42, v36, v41
	v_alignbit_b32 v34, v8, v14, v37
	v_cndmask_b32_e64 v8, v34, v8, s[6:7]
	v_ffbh_u32_e32 v34, v42
	v_add_u32_e32 v34, 1, v34
	v_cmp_ne_u32_e32 vcc, v36, v41
	v_alignbit_b32 v20, v20, v8, 30
	v_cndmask_b32_e32 v34, 33, v34, vcc
	v_alignbit_b32 v8, v8, v14, 30
	v_xor_b32_e32 v20, v20, v41
	v_sub_u32_e32 v35, 32, v34
	v_xor_b32_e32 v8, v8, v41
	v_alignbit_b32 v36, v42, v20, v35
	v_alignbit_b32 v8, v20, v8, v35
	;; [unrolled: 1-line block ×3, first 2 shown]
	v_ffbh_u32_e32 v20, v14
	v_min_u32_e32 v20, 32, v20
	v_lshrrev_b32_e32 v39, 29, v7
	v_sub_u32_e32 v35, 31, v20
	v_alignbit_b32 v8, v14, v8, v35
	v_lshlrev_b32_e32 v14, 31, v39
	v_or_b32_e32 v35, 0x33800000, v14
	v_add_lshl_u32 v20, v20, v34, 23
	v_lshrrev_b32_e32 v8, 9, v8
	v_sub_u32_e32 v20, v35, v20
	v_or_b32_e32 v8, v20, v8
	v_alignbit_b32 v20, v34, v36, 9
	v_or_b32_e32 v14, v20, v14
	v_xor_b32_e32 v14, 1.0, v14
	v_mul_f32_e32 v20, 0x3fc90fda, v14
	v_fma_f32 v34, v14, s53, -v20
	v_fmac_f32_e32 v34, 0x33a22168, v14
	v_fmac_f32_e32 v34, 0x3fc90fda, v8
	v_lshrrev_b32_e32 v7, 30, v7
	v_add_f32_e32 v8, v20, v34
	v_add_u32_e32 v7, v40, v7
.LBB157_36:                             ;   in Loop: Header=BB157_7 Depth=1
	s_or_saveexec_b64 s[0:1], s[36:37]
	v_mul_f32_e64 v14, |v11|, s54
	v_rndne_f32_e32 v34, v14
	s_xor_b64 exec, exec, s[0:1]
; %bb.37:                               ;   in Loop: Header=BB157_7 Depth=1
	v_cvt_i32_f32_e32 v7, v34
	v_fma_f32 v8, v34, s55, |v11|
	v_fmac_f32_e32 v8, 0xb3a22168, v34
	v_fmac_f32_e32 v8, 0xa7c234c4, v34
; %bb.38:                               ;   in Loop: Header=BB157_7 Depth=1
	s_or_b64 exec, exec, s[0:1]
                                        ; implicit-def: $vgpr14
                                        ; implicit-def: $vgpr20
	s_and_saveexec_b64 s[0:1], s[34:35]
	s_xor_b64 s[34:35], exec, s[0:1]
	s_cbranch_execz .LBB157_40
; %bb.39:                               ;   in Loop: Header=BB157_7 Depth=1
	v_cmp_lt_u32_e32 vcc, 63, v18
	v_cndmask_b32_e32 v14, 0, v30, vcc
	v_add_u32_e32 v14, v14, v18
	v_cmp_lt_u32_e64 s[0:1], 31, v14
	v_cndmask_b32_e64 v18, 0, v31, s[0:1]
	v_add_u32_e32 v14, v18, v14
	v_cmp_lt_u32_e64 s[2:3], 31, v14
	v_cndmask_b32_e64 v18, 0, v31, s[2:3]
	v_mad_u64_u32 v[34:35], s[6:7], v9, s46, 0
	v_add_u32_e32 v18, v18, v14
	v_mov_b32_e32 v14, v35
	v_mad_u64_u32 v[36:37], s[6:7], v9, s47, v[14:15]
	v_mov_b32_e32 v14, v37
	v_mad_u64_u32 v[38:39], s[6:7], v9, s48, v[14:15]
	;; [unrolled: 2-line block ×6, first 2 shown]
	v_cndmask_b32_e32 v20, v44, v40, vcc
	v_cndmask_b32_e32 v9, v46, v42, vcc
	;; [unrolled: 1-line block ×3, first 2 shown]
	v_cndmask_b32_e64 v14, v9, v20, s[0:1]
	v_cndmask_b32_e64 v9, v35, v9, s[0:1]
	v_cndmask_b32_e32 v35, v42, v38, vcc
	v_cndmask_b32_e64 v20, v20, v35, s[0:1]
	v_sub_u32_e32 v37, 32, v18
	v_cmp_eq_u32_e64 s[6:7], 0, v18
	v_cndmask_b32_e32 v18, v40, v36, vcc
	v_cndmask_b32_e64 v9, v9, v14, s[2:3]
	v_cndmask_b32_e64 v14, v14, v20, s[2:3]
	;; [unrolled: 1-line block ×3, first 2 shown]
	v_alignbit_b32 v39, v9, v14, v37
	v_cndmask_b32_e64 v20, v20, v35, s[2:3]
	v_cndmask_b32_e64 v9, v39, v9, s[6:7]
	v_alignbit_b32 v36, v14, v20, v37
	v_cndmask_b32_e32 v34, v38, v34, vcc
	v_cndmask_b32_e64 v14, v36, v14, s[6:7]
	v_bfe_u32 v40, v9, 29, 1
	v_cndmask_b32_e64 v18, v18, v34, s[0:1]
	v_alignbit_b32 v36, v9, v14, 30
	v_sub_u32_e32 v41, 0, v40
	v_cndmask_b32_e64 v18, v35, v18, s[2:3]
	v_xor_b32_e32 v42, v36, v41
	v_alignbit_b32 v34, v20, v18, v37
	v_cndmask_b32_e64 v20, v34, v20, s[6:7]
	v_ffbh_u32_e32 v34, v42
	v_add_u32_e32 v34, 1, v34
	v_cmp_ne_u32_e32 vcc, v36, v41
	v_alignbit_b32 v14, v14, v20, 30
	v_cndmask_b32_e32 v34, 33, v34, vcc
	v_alignbit_b32 v18, v20, v18, 30
	v_xor_b32_e32 v14, v14, v41
	v_sub_u32_e32 v35, 32, v34
	v_xor_b32_e32 v18, v18, v41
	v_alignbit_b32 v36, v42, v14, v35
	v_alignbit_b32 v14, v14, v18, v35
	v_alignbit_b32 v18, v36, v14, 9
	v_ffbh_u32_e32 v20, v18
	v_min_u32_e32 v20, 32, v20
	v_lshrrev_b32_e32 v39, 29, v9
	v_sub_u32_e32 v35, 31, v20
	v_alignbit_b32 v14, v18, v14, v35
	v_lshlrev_b32_e32 v18, 31, v39
	v_or_b32_e32 v35, 0x33800000, v18
	v_add_lshl_u32 v20, v20, v34, 23
	v_lshrrev_b32_e32 v14, 9, v14
	v_sub_u32_e32 v20, v35, v20
	v_or_b32_e32 v14, v20, v14
	v_alignbit_b32 v20, v34, v36, 9
	v_or_b32_e32 v18, v20, v18
	v_xor_b32_e32 v18, 1.0, v18
	v_mul_f32_e32 v20, 0x3fc90fda, v18
	v_fma_f32 v34, v18, s53, -v20
	v_fmac_f32_e32 v34, 0x33a22168, v18
	v_fmac_f32_e32 v34, 0x3fc90fda, v14
	v_lshrrev_b32_e32 v9, 30, v9
	v_add_f32_e32 v20, v20, v34
	v_add_u32_e32 v14, v40, v9
                                        ; implicit-def: $vgpr34
	s_andn2_saveexec_b64 s[0:1], s[34:35]
	s_cbranch_execnz .LBB157_41
	s_branch .LBB157_42
.LBB157_40:                             ;   in Loop: Header=BB157_7 Depth=1
	s_andn2_saveexec_b64 s[0:1], s[34:35]
.LBB157_41:                             ;   in Loop: Header=BB157_7 Depth=1
	v_cvt_i32_f32_e32 v14, v34
	v_fma_f32 v20, v34, s55, |v11|
	v_fmac_f32_e32 v20, 0xb3a22168, v34
	v_fmac_f32_e32 v20, 0xa7c234c4, v34
.LBB157_42:                             ;   in Loop: Header=BB157_7 Depth=1
	s_or_b64 exec, exec, s[0:1]
	v_mul_f32_e32 v9, v8, v8
	v_mov_b32_e32 v18, 0x3c0881c4
	v_fmac_f32_e32 v18, 0xb94c1982, v9
	v_fma_f32 v18, v9, v18, v27
	v_mul_f32_e32 v18, v9, v18
	v_fmac_f32_e32 v8, v8, v18
	v_mov_b32_e32 v18, 0xbab64f3b
	v_fmac_f32_e32 v18, 0x37d75334, v9
	v_fma_f32 v18, v9, v18, v28
	v_fma_f32 v18, v9, v18, v29
	v_fma_f32 v9, v9, v18, 1.0
	v_and_b32_e32 v18, 1, v7
	v_lshlrev_b32_e32 v7, 30, v7
	v_cmp_eq_u32_e32 vcc, 0, v18
	v_and_b32_e32 v7, 0x80000000, v7
	v_cndmask_b32_e32 v8, v9, v8, vcc
	v_xor_b32_e32 v6, v6, v7
	v_xor_b32_e32 v6, v6, v8
	v_mul_f32_e32 v7, v20, v20
	v_mov_b32_e32 v8, 0x3c0881c4
	v_fmac_f32_e32 v8, 0xb94c1982, v7
	v_fma_f32 v8, v7, v8, v27
	v_mul_f32_e32 v8, v7, v8
	v_fmac_f32_e32 v20, v20, v8
	v_mov_b32_e32 v8, 0xbab64f3b
	v_fmac_f32_e32 v8, 0x37d75334, v7
	v_fma_f32 v8, v7, v8, v28
	v_fma_f32 v8, v7, v8, v29
	v_fma_f32 v7, v7, v8, 1.0
	v_and_b32_e32 v8, 1, v14
	v_cmp_eq_u32_e32 vcc, 0, v8
	v_lshlrev_b32_e32 v8, 30, v14
	v_cndmask_b32_e64 v7, -v20, v7, vcc
	v_and_b32_e32 v8, 0x80000000, v8
	v_xor_b32_e32 v6, v6, v11
	v_xor_b32_e32 v7, v8, v7
	v_mul_f32_e32 v6, v6, v7
	v_cmp_class_f32_e64 vcc, v11, s43
	v_cndmask_b32_e32 v11, v33, v6, vcc
.LBB157_43:                             ;   in Loop: Header=BB157_7 Depth=1
	s_or_b64 exec, exec, s[30:31]
	v_add_u32_e32 v10, -2.0, v10
	v_bfi_b32 v7, s41, 0, v11
.LBB157_44:                             ;   in Loop: Header=BB157_7 Depth=1
	s_or_b64 exec, exec, s[28:29]
	v_mov_b32_e32 v6, v10
.LBB157_45:                             ;   in Loop: Header=BB157_7 Depth=1
	s_or_b64 exec, exec, s[26:27]
	v_and_b32_e32 v18, 0x7fffffff, v12
	v_cmp_gt_u32_e32 vcc, s42, v18
	s_and_saveexec_b64 s[0:1], vcc
	s_xor_b64 s[26:27], exec, s[0:1]
	s_cbranch_execz .LBB157_67
; %bb.46:                               ;   in Loop: Header=BB157_7 Depth=1
	v_cmp_class_f32_e64 s[0:1], v13, s43
	s_and_saveexec_b64 s[2:3], s[0:1]
	s_xor_b64 s[28:29], exec, s[2:3]
	s_cbranch_execz .LBB157_64
; %bb.47:                               ;   in Loop: Header=BB157_7 Depth=1
	v_and_b32_e32 v10, 0x7fffffff, v13
	v_cmp_gt_u32_e32 vcc, s44, v18
	s_and_saveexec_b64 s[0:1], vcc
	s_xor_b64 s[30:31], exec, s[0:1]
	s_cbranch_execz .LBB157_53
; %bb.48:                               ;   in Loop: Header=BB157_7 Depth=1
	v_cmp_nlt_f32_e64 s[0:1], |v13|, s45
                                        ; implicit-def: $vgpr9
                                        ; implicit-def: $vgpr8
	s_and_saveexec_b64 s[2:3], s[0:1]
	s_xor_b64 s[34:35], exec, s[2:3]
	s_cbranch_execz .LBB157_50
; %bb.49:                               ;   in Loop: Header=BB157_7 Depth=1
	v_lshrrev_b32_e32 v8, 23, v10
	v_add_u32_e32 v8, 0xffffff88, v8
	v_cmp_lt_u32_e32 vcc, 63, v8
	v_cndmask_b32_e32 v9, 0, v30, vcc
	v_add_u32_e32 v8, v9, v8
	v_cmp_lt_u32_e64 s[0:1], 31, v8
	v_cndmask_b32_e64 v9, 0, v31, s[0:1]
	v_add_u32_e32 v8, v9, v8
	v_cmp_lt_u32_e64 s[2:3], 31, v8
	v_cndmask_b32_e64 v9, 0, v31, s[2:3]
	v_add_u32_e32 v11, v9, v8
	v_and_b32_e32 v8, 0x7fffff, v10
	v_or_b32_e32 v20, 0x800000, v8
	v_mad_u64_u32 v[8:9], s[6:7], v20, s46, 0
	v_mov_b32_e32 v14, v9
	v_mad_u64_u32 v[34:35], s[6:7], v20, s47, v[14:15]
	v_mov_b32_e32 v14, v35
	;; [unrolled: 2-line block ×6, first 2 shown]
	v_mad_u64_u32 v[44:45], s[6:7], v20, s52, v[14:15]
	v_cndmask_b32_e32 v9, v42, v38, vcc
	v_cndmask_b32_e32 v14, v44, v40, vcc
	;; [unrolled: 1-line block ×3, first 2 shown]
	v_cndmask_b32_e64 v20, v14, v9, s[0:1]
	v_cndmask_b32_e64 v14, v35, v14, s[0:1]
	v_cndmask_b32_e32 v35, v40, v36, vcc
	v_cndmask_b32_e64 v9, v9, v35, s[0:1]
	v_cndmask_b32_e64 v14, v14, v20, s[2:3]
	;; [unrolled: 1-line block ×3, first 2 shown]
	v_sub_u32_e32 v37, 32, v11
	v_alignbit_b32 v39, v14, v20, v37
	v_cmp_eq_u32_e64 s[6:7], 0, v11
	v_cndmask_b32_e64 v11, v39, v14, s[6:7]
	v_cndmask_b32_e32 v14, v38, v34, vcc
	v_cndmask_b32_e64 v34, v35, v14, s[0:1]
	v_cndmask_b32_e64 v9, v9, v34, s[2:3]
	v_cndmask_b32_e32 v8, v36, v8, vcc
	v_alignbit_b32 v35, v20, v9, v37
	v_cndmask_b32_e64 v8, v14, v8, s[0:1]
	v_cndmask_b32_e64 v20, v35, v20, s[6:7]
	v_bfe_u32 v39, v11, 29, 1
	v_cndmask_b32_e64 v8, v34, v8, s[2:3]
	v_alignbit_b32 v35, v11, v20, 30
	v_sub_u32_e32 v40, 0, v39
	v_alignbit_b32 v14, v9, v8, v37
	v_xor_b32_e32 v41, v35, v40
	v_cndmask_b32_e64 v9, v14, v9, s[6:7]
	v_alignbit_b32 v14, v20, v9, 30
	v_ffbh_u32_e32 v20, v41
	v_add_u32_e32 v20, 1, v20
	v_cmp_ne_u32_e32 vcc, v35, v40
	v_cndmask_b32_e32 v20, 33, v20, vcc
	v_alignbit_b32 v8, v9, v8, 30
	v_xor_b32_e32 v14, v14, v40
	v_sub_u32_e32 v34, 32, v20
	v_xor_b32_e32 v8, v8, v40
	v_alignbit_b32 v35, v41, v14, v34
	v_alignbit_b32 v8, v14, v8, v34
	;; [unrolled: 1-line block ×3, first 2 shown]
	v_ffbh_u32_e32 v14, v9
	v_min_u32_e32 v14, 32, v14
	v_lshrrev_b32_e32 v38, 29, v11
	v_sub_u32_e32 v34, 31, v14
	v_alignbit_b32 v8, v9, v8, v34
	v_lshlrev_b32_e32 v9, 31, v38
	v_or_b32_e32 v34, 0x33800000, v9
	v_add_lshl_u32 v14, v14, v20, 23
	v_lshrrev_b32_e32 v8, 9, v8
	v_sub_u32_e32 v14, v34, v14
	v_or_b32_e32 v8, v14, v8
	v_alignbit_b32 v14, v20, v35, 9
	v_or_b32_e32 v9, v14, v9
	v_xor_b32_e32 v9, 1.0, v9
	v_mul_f32_e32 v14, 0x3fc90fda, v9
	v_fma_f32 v20, v9, s53, -v14
	v_fmac_f32_e32 v20, 0x33a22168, v9
	v_fmac_f32_e32 v20, 0x3fc90fda, v8
	v_lshrrev_b32_e32 v9, 30, v11
	v_add_f32_e32 v8, v14, v20
	v_add_u32_e32 v9, v39, v9
.LBB157_50:                             ;   in Loop: Header=BB157_7 Depth=1
	s_andn2_saveexec_b64 s[0:1], s[34:35]
; %bb.51:                               ;   in Loop: Header=BB157_7 Depth=1
	v_mul_f32_e64 v8, |v13|, s54
	v_rndne_f32_e32 v11, v8
	v_cvt_i32_f32_e32 v9, v11
	v_fma_f32 v8, v11, s55, |v13|
	v_fmac_f32_e32 v8, 0xb3a22168, v11
	v_fmac_f32_e32 v8, 0xa7c234c4, v11
; %bb.52:                               ;   in Loop: Header=BB157_7 Depth=1
	s_or_b64 exec, exec, s[0:1]
	v_mul_f32_e32 v11, v8, v8
	v_mov_b32_e32 v14, 0xbf039337
	v_fmac_f32_e32 v14, 0x3c971480, v11
	v_fma_f32 v14, v11, v14, v1
	v_rcp_f32_e32 v14, v14
	v_mov_b32_e32 v20, 0x3ec54587
	v_fmac_f32_e32 v20, 0xbc8cedd3, v11
	v_and_b32_e32 v9, 1, v9
	v_mul_f32_e32 v14, v20, v14
	v_mul_f32_e32 v11, v11, v14
	v_fma_f32 v14, v11, v8, v8
	v_rcp_f32_e32 v20, v14
	v_sub_f32_e32 v34, v14, v8
	v_fma_f32 v8, v11, v8, -v34
	v_cmp_eq_u32_e32 vcc, 0, v9
	v_fma_f32 v11, v14, -v20, 1.0
	v_fma_f32 v8, v8, -v20, v11
	v_fma_f32 v8, v8, -v20, -v20
	v_cndmask_b32_e32 v11, v8, v14, vcc
	v_add_f32_e64 v14, |v12|, s56
	v_sub_f32_e64 v9, v14, |v12|
	v_sub_f32_e32 v8, v9, v14
	v_pk_add_f32 v[8:9], v[18:19], v[8:9]
	v_sub_f32_e32 v8, v8, v9
	v_add_f32_e32 v8, 0x3102e308, v8
	v_add_f32_e32 v9, v14, v8
	v_sub_f32_e32 v14, v14, v9
	v_add_f32_e32 v8, v8, v14
	v_mul_f32_e32 v14, 0x3fb8aa3b, v9
	v_rndne_f32_e32 v14, v14
	v_fmac_f32_e32 v9, 0xbf317200, v14
	v_add_f32_e32 v18, v8, v9
	v_mul_f32_e32 v20, 0x35bfbc00, v14
	v_sub_f32_e32 v34, v18, v20
	v_sub_f32_e32 v9, v9, v18
	;; [unrolled: 1-line block ×3, first 2 shown]
	v_add_f32_e32 v8, v8, v9
	v_sub_f32_e32 v18, v18, v20
	v_add_f32_e32 v18, v8, v18
	v_add_f32_e32 v35, v34, v18
	v_mul_f32_e32 v9, 0x2ea39ef3, v14
	v_mov_b32_e32 v8, v35
	v_pk_add_f32 v[36:37], v[34:35], v[8:9] neg_lo:[0,1] neg_hi:[0,1]
	v_sub_f32_e32 v8, v35, v37
	v_sub_f32_e32 v8, v8, v9
	v_add_f32_e32 v9, v18, v36
	v_add_f32_e32 v8, v9, v8
	v_add_f32_e32 v9, v37, v8
	v_sub_f32_e32 v20, v37, v9
	v_mov_b32_e32 v18, 0x3c091de6
	v_add_f32_e32 v8, v8, v20
	v_mul_f32_e32 v34, v9, v9
	v_fmac_f32_e32 v18, 0x3ab42872, v9
	v_add_f32_e32 v20, v8, v8
	v_fma_f32 v35, v9, v9, -v34
	v_fma_f32 v18, v9, v18, v17
	v_fmac_f32_e32 v35, v9, v20
	v_fma_f32 v18, v9, v18, v24
	v_add_f32_e32 v20, v34, v35
	v_fma_f32 v18, v9, v18, v25
	v_sub_f32_e32 v34, v20, v34
	v_sub_f32_e32 v34, v35, v34
	v_mul_f32_e32 v35, v18, v20
	v_fma_f32 v20, v20, v18, -v35
	v_fmac_f32_e32 v20, v34, v18
	v_add_f32_e32 v18, v35, v20
	v_sub_f32_e32 v34, v18, v35
	v_sub_f32_e32 v34, v20, v34
	v_add_f32_e32 v20, v9, v18
	v_sub_f32_e32 v9, v20, v9
	v_sub_f32_e32 v9, v18, v9
	v_add_f32_e32 v8, v8, v34
	v_add_f32_e32 v8, v8, v9
	;; [unrolled: 1-line block ×3, first 2 shown]
	v_add_f32_e32 v35, 1.0, v34
	v_pk_add_f32 v[36:37], v[34:35], v[20:21] neg_lo:[0,1] neg_hi:[0,1]
	v_pk_add_f32 v[38:39], v[34:35], s[22:23]
	v_mov_b32_e32 v37, v39
	v_mov_b32_e32 v9, v34
	v_cvt_i32_f32_e32 v14, v14
	v_pk_add_f32 v[8:9], v[8:9], v[36:37] neg_lo:[0,1] neg_hi:[0,1]
	v_add_f32_e32 v8, v8, v9
	v_add_f32_e32 v9, v35, v8
	v_ldexp_f32 v18, v9, v14
	v_rcp_f32_e32 v20, v18
	v_sub_f32_e32 v9, v9, v35
	v_sub_f32_e32 v8, v8, v9
	v_ldexp_f32 v8, v8, v14
	v_mul_f32_e32 v9, v18, v20
	v_fma_f32 v14, v20, v18, -v9
	v_fmac_f32_e32 v14, v20, v8
	v_add_f32_e32 v34, v9, v14
	v_sub_f32_e32 v35, 1.0, v34
	v_sub_f32_e32 v36, 1.0, v35
	v_sub_f32_e32 v9, v34, v9
	v_sub_f32_e32 v36, v36, v34
	;; [unrolled: 1-line block ×3, first 2 shown]
	v_add_f32_e32 v9, v9, v36
	v_add_f32_e32 v14, v35, v9
	v_mul_f32_e32 v34, v20, v14
	v_mul_f32_e32 v36, v18, v34
	v_fma_f32 v37, v34, v18, -v36
	v_fmac_f32_e32 v37, v34, v8
	v_sub_f32_e32 v35, v35, v14
	v_add_f32_e32 v9, v9, v35
	v_add_f32_e32 v35, v36, v37
	v_sub_f32_e32 v38, v14, v35
	v_sub_f32_e32 v14, v14, v38
	;; [unrolled: 1-line block ×4, first 2 shown]
	v_add_f32_e32 v9, v9, v14
	v_sub_f32_e32 v14, v36, v37
	v_add_f32_e32 v9, v14, v9
	v_add_f32_e32 v9, v38, v9
	;; [unrolled: 1-line block ×3, first 2 shown]
	v_mul_f32_e32 v9, v20, v9
	v_sub_f32_e32 v20, v14, v20
	v_sub_f32_e32 v20, v34, v20
	v_add_f32_e32 v9, v20, v9
	v_add_f32_e32 v20, v14, v9
	v_sub_f32_e32 v14, v20, v14
	v_sub_f32_e32 v9, v9, v14
	v_ldexp_f32 v14, v20, -2
	v_sub_f32_e32 v20, v18, v14
	v_sub_f32_e32 v18, v18, v20
	;; [unrolled: 1-line block ×3, first 2 shown]
	v_ldexp_f32 v9, v9, -2
	v_add_f32_e32 v8, v8, v14
	v_sub_f32_e32 v8, v8, v9
	v_add_f32_e32 v8, v20, v8
	v_cmp_ngt_f32_e64 vcc, |v12|, s57
	v_cndmask_b32_e32 v8, v32, v8, vcc
	v_cmp_lt_f32_e64 s[0:1], |v12|, s58
	v_cndmask_b32_e64 v8, v8, |v12|, s[0:1]
	v_bfi_b32 v8, s41, v8, v12
	v_fma_f32 v9, v8, v8, 1.0
	v_mul_f32_e32 v12, 0x4f800000, v9
	v_cmp_gt_f32_e32 vcc, s59, v9
	v_cndmask_b32_e32 v9, v9, v12, vcc
	v_sqrt_f32_e32 v12, v9
	v_xor_b32_e32 v10, v10, v11
	v_xor_b32_e32 v10, v10, v13
	v_fma_f32 v11, v10, v10, 1.0
	v_add_u32_e32 v13, -1, v12
	v_fma_f32 v14, -v13, v12, v9
	v_cmp_ge_f32_e64 s[0:1], 0, v14
	v_add_u32_e32 v14, 1, v12
	v_cndmask_b32_e64 v13, v12, v13, s[0:1]
	v_fma_f32 v12, -v14, v12, v9
	v_cmp_lt_f32_e64 s[0:1], 0, v12
	v_cndmask_b32_e64 v12, v13, v14, s[0:1]
	v_mul_f32_e32 v13, 0x37800000, v12
	v_cndmask_b32_e32 v12, v12, v13, vcc
	v_cmp_class_f32_e32 vcc, v9, v26
	v_cndmask_b32_e32 v9, v12, v9, vcc
	v_mul_f32_e32 v12, v8, v11
	v_mul_f32_e32 v9, v9, v11
	v_fma_f32 v12, v8, v12, 1.0
	v_mul_f32_e32 v8, v8, v9
	v_div_scale_f32 v9, s[0:1], v12, v12, v8
	v_rcp_f32_e32 v11, v9
	v_fma_f32 v13, -v9, v11, 1.0
	v_fmac_f32_e32 v11, v13, v11
	v_div_scale_f32 v13, vcc, v8, v12, v8
	v_mul_f32_e32 v14, v13, v11
	v_fma_f32 v18, -v9, v14, v13
	v_fmac_f32_e32 v14, v18, v11
	v_fma_f32 v9, -v9, v14, v13
	v_div_scale_f32 v13, s[0:1], v12, v12, v10
	v_rcp_f32_e32 v18, v13
	v_div_fmas_f32 v9, v9, v11, v14
	v_div_fixup_f32 v8, v9, v12, v8
	v_fma_f32 v9, -v13, v18, 1.0
	v_fmac_f32_e32 v18, v9, v18
	v_div_scale_f32 v9, vcc, v10, v12, v10
	v_mul_f32_e32 v11, v9, v18
	v_fma_f32 v14, -v13, v11, v9
	v_fmac_f32_e32 v11, v14, v18
	v_fma_f32 v9, -v13, v11, v9
	v_div_fmas_f32 v9, v9, v18, v11
	v_div_fixup_f32 v9, v9, v12, v10
                                        ; implicit-def: $vgpr10_vgpr11_vgpr12_vgpr13
                                        ; implicit-def: $vgpr10
.LBB157_53:                             ;   in Loop: Header=BB157_7 Depth=1
	s_andn2_saveexec_b64 s[30:31], s[30:31]
	s_cbranch_execz .LBB157_63
; %bb.54:                               ;   in Loop: Header=BB157_7 Depth=1
	v_lshrrev_b32_e32 v8, 23, v10
	v_and_b32_e32 v9, 0x7fffff, v10
	v_cmp_nlt_f32_e64 s[34:35], |v13|, s45
	v_add_u32_e32 v18, 0xffffff88, v8
	v_or_b32_e32 v11, 0x800000, v9
                                        ; implicit-def: $vgpr8
                                        ; implicit-def: $vgpr9
	s_and_saveexec_b64 s[0:1], s[34:35]
	s_xor_b64 s[36:37], exec, s[0:1]
	s_cbranch_execz .LBB157_56
; %bb.55:                               ;   in Loop: Header=BB157_7 Depth=1
	v_cmp_lt_u32_e32 vcc, 63, v18
	v_cndmask_b32_e32 v8, 0, v30, vcc
	v_add_u32_e32 v8, v8, v18
	v_cmp_lt_u32_e64 s[0:1], 31, v8
	v_cndmask_b32_e64 v9, 0, v31, s[0:1]
	v_add_u32_e32 v8, v9, v8
	v_cmp_lt_u32_e64 s[2:3], 31, v8
	v_cndmask_b32_e64 v9, 0, v31, s[2:3]
	v_add_u32_e32 v20, v9, v8
	v_mad_u64_u32 v[8:9], s[6:7], v11, s46, 0
	v_mov_b32_e32 v14, v9
	v_mad_u64_u32 v[34:35], s[6:7], v11, s47, v[14:15]
	v_mov_b32_e32 v14, v35
	;; [unrolled: 2-line block ×6, first 2 shown]
	v_mad_u64_u32 v[44:45], s[6:7], v11, s52, v[14:15]
	v_cndmask_b32_e32 v9, v42, v38, vcc
	v_cndmask_b32_e32 v14, v44, v40, vcc
	;; [unrolled: 1-line block ×3, first 2 shown]
	v_cndmask_b32_e64 v35, v14, v9, s[0:1]
	v_cndmask_b32_e64 v14, v37, v14, s[0:1]
	v_cndmask_b32_e32 v37, v40, v36, vcc
	v_cndmask_b32_e64 v9, v9, v37, s[0:1]
	v_sub_u32_e32 v39, 32, v20
	v_cmp_eq_u32_e64 s[6:7], 0, v20
	v_cndmask_b32_e32 v20, v38, v34, vcc
	v_cndmask_b32_e64 v14, v14, v35, s[2:3]
	v_cndmask_b32_e64 v35, v35, v9, s[2:3]
	;; [unrolled: 1-line block ×3, first 2 shown]
	v_alignbit_b32 v40, v14, v35, v39
	v_cndmask_b32_e64 v9, v9, v34, s[2:3]
	v_cndmask_b32_e64 v14, v40, v14, s[6:7]
	v_alignbit_b32 v37, v35, v9, v39
	v_cndmask_b32_e64 v35, v37, v35, s[6:7]
	v_bfe_u32 v40, v14, 29, 1
	v_cndmask_b32_e32 v8, v36, v8, vcc
	v_alignbit_b32 v37, v14, v35, 30
	v_sub_u32_e32 v41, 0, v40
	v_cndmask_b32_e64 v8, v20, v8, s[0:1]
	v_xor_b32_e32 v42, v37, v41
	v_cndmask_b32_e64 v8, v34, v8, s[2:3]
	v_alignbit_b32 v20, v9, v8, v39
	v_ffbh_u32_e32 v34, v42
	v_cndmask_b32_e64 v9, v20, v9, s[6:7]
	v_add_u32_e32 v34, 1, v34
	v_cmp_ne_u32_e32 vcc, v37, v41
	v_alignbit_b32 v20, v35, v9, 30
	v_cndmask_b32_e32 v34, 33, v34, vcc
	v_alignbit_b32 v8, v9, v8, 30
	v_xor_b32_e32 v20, v20, v41
	v_sub_u32_e32 v35, 32, v34
	v_xor_b32_e32 v8, v8, v41
	v_alignbit_b32 v36, v42, v20, v35
	v_alignbit_b32 v8, v20, v8, v35
	;; [unrolled: 1-line block ×3, first 2 shown]
	v_ffbh_u32_e32 v20, v9
	v_min_u32_e32 v20, 32, v20
	v_lshrrev_b32_e32 v38, 29, v14
	v_sub_u32_e32 v35, 31, v20
	v_alignbit_b32 v8, v9, v8, v35
	v_lshlrev_b32_e32 v9, 31, v38
	v_or_b32_e32 v35, 0x33800000, v9
	v_add_lshl_u32 v20, v20, v34, 23
	v_lshrrev_b32_e32 v8, 9, v8
	v_sub_u32_e32 v20, v35, v20
	v_or_b32_e32 v8, v20, v8
	v_alignbit_b32 v20, v34, v36, 9
	v_or_b32_e32 v9, v20, v9
	v_xor_b32_e32 v9, 1.0, v9
	v_mul_f32_e32 v20, 0x3fc90fda, v9
	v_fma_f32 v34, v9, s53, -v20
	v_fmac_f32_e32 v34, 0x33a22168, v9
	v_fmac_f32_e32 v34, 0x3fc90fda, v8
	v_lshrrev_b32_e32 v8, 30, v14
	v_add_f32_e32 v9, v20, v34
	v_add_u32_e32 v8, v40, v8
	s_andn2_saveexec_b64 s[0:1], s[36:37]
	s_branch .LBB157_57
.LBB157_56:                             ;   in Loop: Header=BB157_7 Depth=1
	s_andn2_saveexec_b64 s[0:1], s[36:37]
.LBB157_57:                             ;   in Loop: Header=BB157_7 Depth=1
	v_mul_f32_e64 v8, |v13|, s54
	v_rndne_f32_e32 v14, v8
	v_cvt_i32_f32_e32 v8, v14
	v_fma_f32 v9, v14, s55, |v13|
	v_fmac_f32_e32 v9, 0xb3a22168, v14
	v_fmac_f32_e32 v9, 0xa7c234c4, v14
; %bb.58:                               ;   in Loop: Header=BB157_7 Depth=1
	s_or_b64 exec, exec, s[0:1]
                                        ; implicit-def: $vgpr14
                                        ; implicit-def: $vgpr20
	s_and_saveexec_b64 s[0:1], s[34:35]
	s_xor_b64 s[34:35], exec, s[0:1]
	s_cbranch_execz .LBB157_60
; %bb.59:                               ;   in Loop: Header=BB157_7 Depth=1
	v_cmp_lt_u32_e32 vcc, 63, v18
	v_cndmask_b32_e32 v14, 0, v30, vcc
	v_add_u32_e32 v14, v14, v18
	v_cmp_lt_u32_e64 s[0:1], 31, v14
	v_cndmask_b32_e64 v18, 0, v31, s[0:1]
	v_add_u32_e32 v14, v18, v14
	v_cmp_lt_u32_e64 s[2:3], 31, v14
	v_cndmask_b32_e64 v18, 0, v31, s[2:3]
	v_mad_u64_u32 v[34:35], s[6:7], v11, s46, 0
	v_add_u32_e32 v18, v18, v14
	v_mov_b32_e32 v14, v35
	v_mad_u64_u32 v[36:37], s[6:7], v11, s47, v[14:15]
	v_mov_b32_e32 v14, v37
	v_mad_u64_u32 v[38:39], s[6:7], v11, s48, v[14:15]
	;; [unrolled: 2-line block ×6, first 2 shown]
	v_cndmask_b32_e32 v20, v44, v40, vcc
	v_cndmask_b32_e32 v11, v46, v42, vcc
	;; [unrolled: 1-line block ×3, first 2 shown]
	v_cndmask_b32_e64 v14, v11, v20, s[0:1]
	v_cndmask_b32_e64 v11, v35, v11, s[0:1]
	v_cndmask_b32_e32 v35, v42, v38, vcc
	v_cndmask_b32_e64 v20, v20, v35, s[0:1]
	v_sub_u32_e32 v37, 32, v18
	v_cmp_eq_u32_e64 s[6:7], 0, v18
	v_cndmask_b32_e32 v18, v40, v36, vcc
	v_cndmask_b32_e64 v11, v11, v14, s[2:3]
	v_cndmask_b32_e64 v14, v14, v20, s[2:3]
	;; [unrolled: 1-line block ×3, first 2 shown]
	v_alignbit_b32 v39, v11, v14, v37
	v_cndmask_b32_e64 v20, v20, v35, s[2:3]
	v_cndmask_b32_e64 v11, v39, v11, s[6:7]
	v_alignbit_b32 v36, v14, v20, v37
	v_cndmask_b32_e32 v34, v38, v34, vcc
	v_cndmask_b32_e64 v14, v36, v14, s[6:7]
	v_bfe_u32 v40, v11, 29, 1
	v_cndmask_b32_e64 v18, v18, v34, s[0:1]
	v_alignbit_b32 v36, v11, v14, 30
	v_sub_u32_e32 v41, 0, v40
	v_cndmask_b32_e64 v18, v35, v18, s[2:3]
	v_xor_b32_e32 v42, v36, v41
	v_alignbit_b32 v34, v20, v18, v37
	v_cndmask_b32_e64 v20, v34, v20, s[6:7]
	v_ffbh_u32_e32 v34, v42
	v_add_u32_e32 v34, 1, v34
	v_cmp_ne_u32_e32 vcc, v36, v41
	v_alignbit_b32 v14, v14, v20, 30
	v_cndmask_b32_e32 v34, 33, v34, vcc
	v_alignbit_b32 v18, v20, v18, 30
	v_xor_b32_e32 v14, v14, v41
	v_sub_u32_e32 v35, 32, v34
	v_xor_b32_e32 v18, v18, v41
	v_alignbit_b32 v36, v42, v14, v35
	v_alignbit_b32 v14, v14, v18, v35
	;; [unrolled: 1-line block ×3, first 2 shown]
	v_ffbh_u32_e32 v20, v18
	v_min_u32_e32 v20, 32, v20
	v_lshrrev_b32_e32 v39, 29, v11
	v_sub_u32_e32 v35, 31, v20
	v_alignbit_b32 v14, v18, v14, v35
	v_lshlrev_b32_e32 v18, 31, v39
	v_or_b32_e32 v35, 0x33800000, v18
	v_add_lshl_u32 v20, v20, v34, 23
	v_lshrrev_b32_e32 v14, 9, v14
	v_sub_u32_e32 v20, v35, v20
	v_or_b32_e32 v14, v20, v14
	v_alignbit_b32 v20, v34, v36, 9
	v_or_b32_e32 v18, v20, v18
	v_xor_b32_e32 v18, 1.0, v18
	v_mul_f32_e32 v20, 0x3fc90fda, v18
	v_fma_f32 v34, v18, s53, -v20
	v_fmac_f32_e32 v34, 0x33a22168, v18
	v_fmac_f32_e32 v34, 0x3fc90fda, v14
	v_lshrrev_b32_e32 v11, 30, v11
	v_add_f32_e32 v20, v20, v34
	v_add_u32_e32 v14, v40, v11
	s_andn2_saveexec_b64 s[0:1], s[34:35]
	s_cbranch_execnz .LBB157_61
	s_branch .LBB157_62
.LBB157_60:                             ;   in Loop: Header=BB157_7 Depth=1
	s_andn2_saveexec_b64 s[0:1], s[34:35]
.LBB157_61:                             ;   in Loop: Header=BB157_7 Depth=1
	v_mul_f32_e64 v11, |v13|, s54
	v_rndne_f32_e32 v11, v11
	v_cvt_i32_f32_e32 v14, v11
	v_fma_f32 v20, v11, s55, |v13|
	v_fmac_f32_e32 v20, 0xb3a22168, v11
	v_fmac_f32_e32 v20, 0xa7c234c4, v11
.LBB157_62:                             ;   in Loop: Header=BB157_7 Depth=1
	s_or_b64 exec, exec, s[0:1]
	v_mul_f32_e32 v11, v9, v9
	v_mov_b32_e32 v18, 0x3c0881c4
	v_fmac_f32_e32 v18, 0xb94c1982, v11
	v_fma_f32 v18, v11, v18, v27
	v_mul_f32_e32 v18, v11, v18
	v_fmac_f32_e32 v9, v9, v18
	v_mov_b32_e32 v18, 0xbab64f3b
	v_fmac_f32_e32 v18, 0x37d75334, v11
	v_fma_f32 v18, v11, v18, v28
	v_fma_f32 v18, v11, v18, v29
	v_fma_f32 v11, v11, v18, 1.0
	v_and_b32_e32 v18, 1, v8
	v_lshlrev_b32_e32 v8, 30, v8
	v_and_b32_e32 v8, 0x80000000, v8
	v_cmp_eq_u32_e32 vcc, 0, v18
	v_xor_b32_e32 v8, v10, v8
	v_mul_f32_e64 v10, |v12|, s60
	v_cndmask_b32_e32 v9, v11, v9, vcc
	v_rndne_f32_e32 v11, v10
	v_sub_f32_e32 v18, v10, v11
	v_fma_f32 v10, |v12|, s60, -v10
	v_fma_f32 v10, |v12|, s61, v10
	v_add_f32_e32 v10, v18, v10
	v_exp_f32_e32 v10, v10
	v_cvt_i32_f32_e32 v11, v11
	v_xor_b32_e32 v8, v8, v9
	v_xor_b32_e32 v8, v8, v13
	v_mul_f32_e32 v9, 4.0, v8
	v_ldexp_f32 v8, v10, v11
	v_cmp_ngt_f32_e64 vcc, |v12|, s62
	v_cndmask_b32_e32 v8, 0, v8, vcc
	v_cmp_nlt_f32_e64 vcc, |v12|, s63
	v_cndmask_b32_e32 v10, v32, v8, vcc
	v_bfi_b32 v8, s41, 1.0, v12
	v_mul_f32_e32 v11, v20, v20
	v_mov_b32_e32 v12, 0x3c0881c4
	v_fmac_f32_e32 v12, 0xb94c1982, v11
	v_fma_f32 v12, v11, v12, v27
	v_mul_f32_e32 v12, v11, v12
	v_fmac_f32_e32 v20, v20, v12
	v_mov_b32_e32 v12, 0xbab64f3b
	v_fmac_f32_e32 v12, 0x37d75334, v11
	v_fma_f32 v12, v11, v12, v28
	v_fma_f32 v12, v11, v12, v29
	v_fma_f32 v11, v11, v12, 1.0
	v_and_b32_e32 v12, 1, v14
	v_cmp_eq_u32_e32 vcc, 0, v12
	v_lshlrev_b32_e32 v12, 30, v14
	v_cndmask_b32_e64 v11, -v20, v11, vcc
	v_and_b32_e32 v12, 0x80000000, v12
	v_xor_b32_e32 v11, v12, v11
	v_mul_f32_e32 v9, v9, v11
	v_mul_f32_e32 v9, v10, v9
	;; [unrolled: 1-line block ×3, first 2 shown]
.LBB157_63:                             ;   in Loop: Header=BB157_7 Depth=1
	s_or_b64 exec, exec, s[30:31]
                                        ; implicit-def: $vgpr10_vgpr11_vgpr12_vgpr13
.LBB157_64:                             ;   in Loop: Header=BB157_7 Depth=1
	s_andn2_saveexec_b64 s[0:1], s[28:29]
; %bb.65:                               ;   in Loop: Header=BB157_7 Depth=1
	v_sub_f32_e32 v9, v13, v13
	v_mov_b32_e32 v8, v9
; %bb.66:                               ;   in Loop: Header=BB157_7 Depth=1
	s_or_b64 exec, exec, s[0:1]
                                        ; implicit-def: $vgpr12
.LBB157_67:                             ;   in Loop: Header=BB157_7 Depth=1
	s_andn2_saveexec_b64 s[26:27], s[26:27]
	s_cbranch_execz .LBB157_83
; %bb.68:                               ;   in Loop: Header=BB157_7 Depth=1
	v_and_b32_e32 v8, 0x7fffff, v12
	v_cmp_ne_u32_e32 vcc, 0, v8
	s_and_saveexec_b64 s[0:1], vcc
	s_xor_b64 s[0:1], exec, s[0:1]
; %bb.69:                               ;   in Loop: Header=BB157_7 Depth=1
	v_mul_f32_e32 v8, v12, v13
	v_cmp_eq_f32_e32 vcc, 0, v13
	v_cndmask_b32_e32 v9, v8, v13, vcc
; %bb.70:                               ;   in Loop: Header=BB157_7 Depth=1
	s_andn2_saveexec_b64 s[28:29], s[0:1]
	s_cbranch_execz .LBB157_82
; %bb.71:                               ;   in Loop: Header=BB157_7 Depth=1
	v_cmp_neq_f32_e64 s[0:1], |v13|, s42
	s_and_saveexec_b64 s[30:31], s[0:1]
	s_cbranch_execz .LBB157_81
; %bb.72:                               ;   in Loop: Header=BB157_7 Depth=1
	v_and_b32_e32 v8, 0x7fffffff, v13
	v_lshrrev_b32_e32 v9, 23, v8
	v_and_b32_e32 v10, 0x7fffff, v8
	v_cmp_nlt_f32_e64 s[34:35], |v13|, s45
	v_add_u32_e32 v18, 0xffffff88, v9
	v_or_b32_e32 v11, 0x800000, v10
                                        ; implicit-def: $vgpr9
                                        ; implicit-def: $vgpr10
	s_and_saveexec_b64 s[0:1], s[34:35]
	s_xor_b64 s[36:37], exec, s[0:1]
	s_cbranch_execz .LBB157_74
; %bb.73:                               ;   in Loop: Header=BB157_7 Depth=1
	v_mad_u64_u32 v[34:35], s[6:7], v11, s46, 0
	v_mov_b32_e32 v14, v35
	v_mad_u64_u32 v[36:37], s[6:7], v11, s47, v[14:15]
	v_mov_b32_e32 v14, v37
	v_mad_u64_u32 v[38:39], s[6:7], v11, s48, v[14:15]
	v_cmp_lt_u32_e32 vcc, 63, v18
	v_mov_b32_e32 v14, v39
	v_cndmask_b32_e32 v9, 0, v30, vcc
	v_mad_u64_u32 v[40:41], s[6:7], v11, s49, v[14:15]
	v_add_u32_e32 v9, v9, v18
	v_mov_b32_e32 v14, v41
	v_cmp_lt_u32_e64 s[0:1], 31, v9
	v_mad_u64_u32 v[42:43], s[6:7], v11, s50, v[14:15]
	v_cndmask_b32_e64 v10, 0, v31, s[0:1]
	v_mov_b32_e32 v14, v43
	v_add_u32_e32 v9, v10, v9
	v_mad_u64_u32 v[44:45], s[6:7], v11, s51, v[14:15]
	v_cmp_lt_u32_e64 s[2:3], 31, v9
	v_mov_b32_e32 v14, v45
	v_cndmask_b32_e64 v10, 0, v31, s[2:3]
	v_mad_u64_u32 v[46:47], s[6:7], v11, s52, v[14:15]
	v_add_u32_e32 v9, v10, v9
	v_cndmask_b32_e32 v10, v44, v40, vcc
	v_cndmask_b32_e32 v14, v46, v42, vcc
	;; [unrolled: 1-line block ×3, first 2 shown]
	v_cndmask_b32_e64 v20, v14, v10, s[0:1]
	v_cndmask_b32_e64 v14, v35, v14, s[0:1]
	v_cndmask_b32_e32 v35, v42, v38, vcc
	v_cndmask_b32_e64 v10, v10, v35, s[0:1]
	v_cndmask_b32_e64 v14, v14, v20, s[2:3]
	;; [unrolled: 1-line block ×3, first 2 shown]
	v_sub_u32_e32 v37, 32, v9
	v_alignbit_b32 v39, v14, v20, v37
	v_cmp_eq_u32_e64 s[6:7], 0, v9
	v_cndmask_b32_e64 v9, v39, v14, s[6:7]
	v_cndmask_b32_e32 v14, v40, v36, vcc
	v_cndmask_b32_e64 v35, v35, v14, s[0:1]
	v_cndmask_b32_e64 v10, v10, v35, s[2:3]
	v_alignbit_b32 v36, v20, v10, v37
	v_cndmask_b32_e32 v34, v38, v34, vcc
	v_cndmask_b32_e64 v20, v36, v20, s[6:7]
	v_bfe_u32 v40, v9, 29, 1
	v_cndmask_b32_e64 v14, v14, v34, s[0:1]
	v_alignbit_b32 v36, v9, v20, 30
	v_sub_u32_e32 v41, 0, v40
	v_cndmask_b32_e64 v14, v35, v14, s[2:3]
	v_xor_b32_e32 v42, v36, v41
	v_alignbit_b32 v34, v10, v14, v37
	v_cndmask_b32_e64 v10, v34, v10, s[6:7]
	v_ffbh_u32_e32 v34, v42
	v_add_u32_e32 v34, 1, v34
	v_cmp_ne_u32_e32 vcc, v36, v41
	v_alignbit_b32 v20, v20, v10, 30
	v_cndmask_b32_e32 v34, 33, v34, vcc
	v_alignbit_b32 v10, v10, v14, 30
	v_xor_b32_e32 v20, v20, v41
	v_sub_u32_e32 v35, 32, v34
	v_xor_b32_e32 v10, v10, v41
	v_alignbit_b32 v36, v42, v20, v35
	v_alignbit_b32 v10, v20, v10, v35
	;; [unrolled: 1-line block ×3, first 2 shown]
	v_ffbh_u32_e32 v20, v14
	v_min_u32_e32 v20, 32, v20
	v_lshrrev_b32_e32 v39, 29, v9
	v_sub_u32_e32 v35, 31, v20
	v_alignbit_b32 v10, v14, v10, v35
	v_lshlrev_b32_e32 v14, 31, v39
	v_or_b32_e32 v35, 0x33800000, v14
	v_add_lshl_u32 v20, v20, v34, 23
	v_lshrrev_b32_e32 v10, 9, v10
	v_sub_u32_e32 v20, v35, v20
	v_or_b32_e32 v10, v20, v10
	v_alignbit_b32 v20, v34, v36, 9
	v_or_b32_e32 v14, v20, v14
	v_xor_b32_e32 v14, 1.0, v14
	v_mul_f32_e32 v20, 0x3fc90fda, v14
	v_fma_f32 v34, v14, s53, -v20
	v_fmac_f32_e32 v34, 0x33a22168, v14
	v_fmac_f32_e32 v34, 0x3fc90fda, v10
	v_lshrrev_b32_e32 v9, 30, v9
	v_add_f32_e32 v10, v20, v34
	v_add_u32_e32 v9, v40, v9
.LBB157_74:                             ;   in Loop: Header=BB157_7 Depth=1
	s_or_saveexec_b64 s[0:1], s[36:37]
	v_mul_f32_e64 v14, |v13|, s54
	v_rndne_f32_e32 v34, v14
	s_xor_b64 exec, exec, s[0:1]
; %bb.75:                               ;   in Loop: Header=BB157_7 Depth=1
	v_cvt_i32_f32_e32 v9, v34
	v_fma_f32 v10, v34, s55, |v13|
	v_fmac_f32_e32 v10, 0xb3a22168, v34
	v_fmac_f32_e32 v10, 0xa7c234c4, v34
; %bb.76:                               ;   in Loop: Header=BB157_7 Depth=1
	s_or_b64 exec, exec, s[0:1]
                                        ; implicit-def: $vgpr14
                                        ; implicit-def: $vgpr20
	s_and_saveexec_b64 s[0:1], s[34:35]
	s_xor_b64 s[34:35], exec, s[0:1]
	s_cbranch_execz .LBB157_78
; %bb.77:                               ;   in Loop: Header=BB157_7 Depth=1
	v_cmp_lt_u32_e32 vcc, 63, v18
	v_cndmask_b32_e32 v14, 0, v30, vcc
	v_add_u32_e32 v14, v14, v18
	v_cmp_lt_u32_e64 s[0:1], 31, v14
	v_cndmask_b32_e64 v18, 0, v31, s[0:1]
	v_add_u32_e32 v14, v18, v14
	v_cmp_lt_u32_e64 s[2:3], 31, v14
	v_cndmask_b32_e64 v18, 0, v31, s[2:3]
	v_mad_u64_u32 v[34:35], s[6:7], v11, s46, 0
	v_add_u32_e32 v18, v18, v14
	v_mov_b32_e32 v14, v35
	v_mad_u64_u32 v[36:37], s[6:7], v11, s47, v[14:15]
	v_mov_b32_e32 v14, v37
	v_mad_u64_u32 v[38:39], s[6:7], v11, s48, v[14:15]
	;; [unrolled: 2-line block ×6, first 2 shown]
	v_cndmask_b32_e32 v20, v44, v40, vcc
	v_cndmask_b32_e32 v11, v46, v42, vcc
	;; [unrolled: 1-line block ×3, first 2 shown]
	v_cndmask_b32_e64 v14, v11, v20, s[0:1]
	v_cndmask_b32_e64 v11, v35, v11, s[0:1]
	v_cndmask_b32_e32 v35, v42, v38, vcc
	v_cndmask_b32_e64 v20, v20, v35, s[0:1]
	v_sub_u32_e32 v37, 32, v18
	v_cmp_eq_u32_e64 s[6:7], 0, v18
	v_cndmask_b32_e32 v18, v40, v36, vcc
	v_cndmask_b32_e64 v11, v11, v14, s[2:3]
	v_cndmask_b32_e64 v14, v14, v20, s[2:3]
	;; [unrolled: 1-line block ×3, first 2 shown]
	v_alignbit_b32 v39, v11, v14, v37
	v_cndmask_b32_e64 v20, v20, v35, s[2:3]
	v_cndmask_b32_e64 v11, v39, v11, s[6:7]
	v_alignbit_b32 v36, v14, v20, v37
	v_cndmask_b32_e32 v34, v38, v34, vcc
	v_cndmask_b32_e64 v14, v36, v14, s[6:7]
	v_bfe_u32 v40, v11, 29, 1
	v_cndmask_b32_e64 v18, v18, v34, s[0:1]
	v_alignbit_b32 v36, v11, v14, 30
	v_sub_u32_e32 v41, 0, v40
	v_cndmask_b32_e64 v18, v35, v18, s[2:3]
	v_xor_b32_e32 v42, v36, v41
	v_alignbit_b32 v34, v20, v18, v37
	v_cndmask_b32_e64 v20, v34, v20, s[6:7]
	v_ffbh_u32_e32 v34, v42
	v_add_u32_e32 v34, 1, v34
	v_cmp_ne_u32_e32 vcc, v36, v41
	v_alignbit_b32 v14, v14, v20, 30
	v_cndmask_b32_e32 v34, 33, v34, vcc
	v_alignbit_b32 v18, v20, v18, 30
	v_xor_b32_e32 v14, v14, v41
	v_sub_u32_e32 v35, 32, v34
	v_xor_b32_e32 v18, v18, v41
	v_alignbit_b32 v36, v42, v14, v35
	v_alignbit_b32 v14, v14, v18, v35
	;; [unrolled: 1-line block ×3, first 2 shown]
	v_ffbh_u32_e32 v20, v18
	v_min_u32_e32 v20, 32, v20
	v_lshrrev_b32_e32 v39, 29, v11
	v_sub_u32_e32 v35, 31, v20
	v_alignbit_b32 v14, v18, v14, v35
	v_lshlrev_b32_e32 v18, 31, v39
	v_or_b32_e32 v35, 0x33800000, v18
	v_add_lshl_u32 v20, v20, v34, 23
	v_lshrrev_b32_e32 v14, 9, v14
	v_sub_u32_e32 v20, v35, v20
	v_or_b32_e32 v14, v20, v14
	v_alignbit_b32 v20, v34, v36, 9
	v_or_b32_e32 v18, v20, v18
	v_xor_b32_e32 v18, 1.0, v18
	v_mul_f32_e32 v20, 0x3fc90fda, v18
	v_fma_f32 v34, v18, s53, -v20
	v_fmac_f32_e32 v34, 0x33a22168, v18
	v_fmac_f32_e32 v34, 0x3fc90fda, v14
	v_lshrrev_b32_e32 v11, 30, v11
	v_add_f32_e32 v20, v20, v34
	v_add_u32_e32 v14, v40, v11
                                        ; implicit-def: $vgpr34
	s_andn2_saveexec_b64 s[0:1], s[34:35]
	s_cbranch_execnz .LBB157_79
	s_branch .LBB157_80
.LBB157_78:                             ;   in Loop: Header=BB157_7 Depth=1
	s_andn2_saveexec_b64 s[0:1], s[34:35]
.LBB157_79:                             ;   in Loop: Header=BB157_7 Depth=1
	v_cvt_i32_f32_e32 v14, v34
	v_fma_f32 v20, v34, s55, |v13|
	v_fmac_f32_e32 v20, 0xb3a22168, v34
	v_fmac_f32_e32 v20, 0xa7c234c4, v34
.LBB157_80:                             ;   in Loop: Header=BB157_7 Depth=1
	s_or_b64 exec, exec, s[0:1]
	v_mul_f32_e32 v11, v10, v10
	v_mov_b32_e32 v18, 0x3c0881c4
	v_fmac_f32_e32 v18, 0xb94c1982, v11
	v_fma_f32 v18, v11, v18, v27
	v_mul_f32_e32 v18, v11, v18
	v_fmac_f32_e32 v10, v10, v18
	v_mov_b32_e32 v18, 0xbab64f3b
	v_fmac_f32_e32 v18, 0x37d75334, v11
	v_fma_f32 v18, v11, v18, v28
	v_fma_f32 v18, v11, v18, v29
	v_fma_f32 v11, v11, v18, 1.0
	v_and_b32_e32 v18, 1, v9
	v_lshlrev_b32_e32 v9, 30, v9
	v_cmp_eq_u32_e32 vcc, 0, v18
	v_and_b32_e32 v9, 0x80000000, v9
	v_cndmask_b32_e32 v10, v11, v10, vcc
	v_xor_b32_e32 v8, v8, v9
	v_xor_b32_e32 v8, v8, v10
	v_mul_f32_e32 v9, v20, v20
	v_mov_b32_e32 v10, 0x3c0881c4
	v_fmac_f32_e32 v10, 0xb94c1982, v9
	v_fma_f32 v10, v9, v10, v27
	v_mul_f32_e32 v10, v9, v10
	v_fmac_f32_e32 v20, v20, v10
	v_mov_b32_e32 v10, 0xbab64f3b
	v_fmac_f32_e32 v10, 0x37d75334, v9
	v_fma_f32 v10, v9, v10, v28
	v_fma_f32 v10, v9, v10, v29
	v_fma_f32 v9, v9, v10, 1.0
	v_and_b32_e32 v10, 1, v14
	v_cmp_eq_u32_e32 vcc, 0, v10
	v_lshlrev_b32_e32 v10, 30, v14
	v_cndmask_b32_e64 v9, -v20, v9, vcc
	v_and_b32_e32 v10, 0x80000000, v10
	v_xor_b32_e32 v8, v8, v13
	v_xor_b32_e32 v9, v10, v9
	v_mul_f32_e32 v8, v8, v9
	v_cmp_class_f32_e64 vcc, v13, s43
	v_cndmask_b32_e32 v13, v33, v8, vcc
.LBB157_81:                             ;   in Loop: Header=BB157_7 Depth=1
	s_or_b64 exec, exec, s[30:31]
	v_add_u32_e32 v12, -2.0, v12
	v_bfi_b32 v9, s41, 0, v13
.LBB157_82:                             ;   in Loop: Header=BB157_7 Depth=1
	s_or_b64 exec, exec, s[28:29]
	v_mov_b32_e32 v8, v12
.LBB157_83:                             ;   in Loop: Header=BB157_7 Depth=1
	s_or_b64 exec, exec, s[26:27]
	s_waitcnt vmcnt(0)
	v_and_b32_e32 v18, 0x7fffffff, v2
	v_cmp_gt_u32_e32 vcc, s42, v18
                                        ; implicit-def: $vgpr11
	s_and_saveexec_b64 s[0:1], vcc
	s_xor_b64 s[26:27], exec, s[0:1]
	s_cbranch_execz .LBB157_105
; %bb.84:                               ;   in Loop: Header=BB157_7 Depth=1
	v_cmp_class_f32_e64 s[0:1], v3, s43
                                        ; implicit-def: $vgpr11
	s_and_saveexec_b64 s[2:3], s[0:1]
	s_xor_b64 s[28:29], exec, s[2:3]
	s_cbranch_execz .LBB157_102
; %bb.85:                               ;   in Loop: Header=BB157_7 Depth=1
	v_and_b32_e32 v12, 0x7fffffff, v3
	v_cmp_gt_u32_e32 vcc, s44, v18
                                        ; implicit-def: $vgpr11
	s_and_saveexec_b64 s[0:1], vcc
	s_xor_b64 s[30:31], exec, s[0:1]
	s_cbranch_execz .LBB157_91
; %bb.86:                               ;   in Loop: Header=BB157_7 Depth=1
	v_cmp_nlt_f32_e64 s[0:1], |v3|, s45
                                        ; implicit-def: $vgpr11
                                        ; implicit-def: $vgpr10
	s_and_saveexec_b64 s[2:3], s[0:1]
	s_xor_b64 s[34:35], exec, s[2:3]
	s_cbranch_execz .LBB157_88
; %bb.87:                               ;   in Loop: Header=BB157_7 Depth=1
	v_lshrrev_b32_e32 v10, 23, v12
	v_add_u32_e32 v10, 0xffffff88, v10
	v_cmp_lt_u32_e32 vcc, 63, v10
	v_cndmask_b32_e32 v11, 0, v30, vcc
	v_add_u32_e32 v10, v11, v10
	v_cmp_lt_u32_e64 s[0:1], 31, v10
	v_cndmask_b32_e64 v11, 0, v31, s[0:1]
	v_add_u32_e32 v10, v11, v10
	v_cmp_lt_u32_e64 s[2:3], 31, v10
	v_cndmask_b32_e64 v11, 0, v31, s[2:3]
	v_add_u32_e32 v13, v11, v10
	v_and_b32_e32 v10, 0x7fffff, v12
	v_or_b32_e32 v20, 0x800000, v10
	v_mad_u64_u32 v[10:11], s[6:7], v20, s46, 0
	v_mov_b32_e32 v14, v11
	v_mad_u64_u32 v[34:35], s[6:7], v20, s47, v[14:15]
	v_mov_b32_e32 v14, v35
	;; [unrolled: 2-line block ×6, first 2 shown]
	v_mad_u64_u32 v[44:45], s[6:7], v20, s52, v[14:15]
	v_cndmask_b32_e32 v11, v42, v38, vcc
	v_cndmask_b32_e32 v14, v44, v40, vcc
	;; [unrolled: 1-line block ×3, first 2 shown]
	v_cndmask_b32_e64 v20, v14, v11, s[0:1]
	v_cndmask_b32_e64 v14, v35, v14, s[0:1]
	v_cndmask_b32_e32 v35, v40, v36, vcc
	v_cndmask_b32_e64 v11, v11, v35, s[0:1]
	v_cndmask_b32_e64 v14, v14, v20, s[2:3]
	;; [unrolled: 1-line block ×3, first 2 shown]
	v_sub_u32_e32 v37, 32, v13
	v_alignbit_b32 v39, v14, v20, v37
	v_cmp_eq_u32_e64 s[6:7], 0, v13
	v_cndmask_b32_e64 v13, v39, v14, s[6:7]
	v_cndmask_b32_e32 v14, v38, v34, vcc
	v_cndmask_b32_e64 v34, v35, v14, s[0:1]
	v_cndmask_b32_e64 v11, v11, v34, s[2:3]
	v_cndmask_b32_e32 v10, v36, v10, vcc
	v_alignbit_b32 v35, v20, v11, v37
	v_cndmask_b32_e64 v10, v14, v10, s[0:1]
	v_cndmask_b32_e64 v20, v35, v20, s[6:7]
	v_bfe_u32 v39, v13, 29, 1
	v_cndmask_b32_e64 v10, v34, v10, s[2:3]
	v_alignbit_b32 v35, v13, v20, 30
	v_sub_u32_e32 v40, 0, v39
	v_alignbit_b32 v14, v11, v10, v37
	v_xor_b32_e32 v41, v35, v40
	v_cndmask_b32_e64 v11, v14, v11, s[6:7]
	v_alignbit_b32 v14, v20, v11, 30
	v_ffbh_u32_e32 v20, v41
	v_add_u32_e32 v20, 1, v20
	v_cmp_ne_u32_e32 vcc, v35, v40
	v_cndmask_b32_e32 v20, 33, v20, vcc
	v_alignbit_b32 v10, v11, v10, 30
	v_xor_b32_e32 v14, v14, v40
	v_sub_u32_e32 v34, 32, v20
	v_xor_b32_e32 v10, v10, v40
	v_alignbit_b32 v35, v41, v14, v34
	v_alignbit_b32 v10, v14, v10, v34
	;; [unrolled: 1-line block ×3, first 2 shown]
	v_ffbh_u32_e32 v14, v11
	v_min_u32_e32 v14, 32, v14
	v_lshrrev_b32_e32 v38, 29, v13
	v_sub_u32_e32 v34, 31, v14
	v_alignbit_b32 v10, v11, v10, v34
	v_lshlrev_b32_e32 v11, 31, v38
	v_or_b32_e32 v34, 0x33800000, v11
	v_add_lshl_u32 v14, v14, v20, 23
	v_lshrrev_b32_e32 v10, 9, v10
	v_sub_u32_e32 v14, v34, v14
	v_or_b32_e32 v10, v14, v10
	v_alignbit_b32 v14, v20, v35, 9
	v_or_b32_e32 v11, v14, v11
	v_xor_b32_e32 v11, 1.0, v11
	v_mul_f32_e32 v14, 0x3fc90fda, v11
	v_fma_f32 v20, v11, s53, -v14
	v_fmac_f32_e32 v20, 0x33a22168, v11
	v_fmac_f32_e32 v20, 0x3fc90fda, v10
	v_lshrrev_b32_e32 v11, 30, v13
	v_add_f32_e32 v10, v14, v20
	v_add_u32_e32 v11, v39, v11
.LBB157_88:                             ;   in Loop: Header=BB157_7 Depth=1
	s_andn2_saveexec_b64 s[0:1], s[34:35]
; %bb.89:                               ;   in Loop: Header=BB157_7 Depth=1
	v_mul_f32_e64 v10, |v3|, s54
	v_rndne_f32_e32 v13, v10
	v_cvt_i32_f32_e32 v11, v13
	v_fma_f32 v10, v13, s55, |v3|
	v_fmac_f32_e32 v10, 0xb3a22168, v13
	v_fmac_f32_e32 v10, 0xa7c234c4, v13
; %bb.90:                               ;   in Loop: Header=BB157_7 Depth=1
	s_or_b64 exec, exec, s[0:1]
	v_mul_f32_e32 v13, v10, v10
	v_mov_b32_e32 v14, 0xbf039337
	v_fmac_f32_e32 v14, 0x3c971480, v13
	v_fma_f32 v14, v13, v14, v1
	v_rcp_f32_e32 v14, v14
	v_mov_b32_e32 v20, 0x3ec54587
	v_fmac_f32_e32 v20, 0xbc8cedd3, v13
	v_and_b32_e32 v11, 1, v11
	v_mul_f32_e32 v14, v20, v14
	v_mul_f32_e32 v13, v13, v14
	v_fma_f32 v14, v13, v10, v10
	v_rcp_f32_e32 v20, v14
	v_sub_f32_e32 v34, v14, v10
	v_fma_f32 v10, v13, v10, -v34
	v_cmp_eq_u32_e32 vcc, 0, v11
	v_fma_f32 v13, v14, -v20, 1.0
	v_fma_f32 v10, v10, -v20, v13
	v_fma_f32 v10, v10, -v20, -v20
	v_cndmask_b32_e32 v13, v10, v14, vcc
	v_add_f32_e64 v14, |v2|, s56
	v_sub_f32_e64 v11, v14, |v2|
	v_sub_f32_e32 v10, v11, v14
	v_pk_add_f32 v[10:11], v[18:19], v[10:11]
	v_sub_f32_e32 v10, v10, v11
	v_add_f32_e32 v10, 0x3102e308, v10
	v_add_f32_e32 v11, v14, v10
	v_sub_f32_e32 v14, v14, v11
	v_add_f32_e32 v10, v10, v14
	v_mul_f32_e32 v14, 0x3fb8aa3b, v11
	v_rndne_f32_e32 v14, v14
	v_fmac_f32_e32 v11, 0xbf317200, v14
	v_add_f32_e32 v18, v10, v11
	v_mul_f32_e32 v20, 0x35bfbc00, v14
	v_sub_f32_e32 v34, v18, v20
	v_sub_f32_e32 v11, v11, v18
	v_sub_f32_e32 v18, v18, v34
	v_add_f32_e32 v10, v10, v11
	v_sub_f32_e32 v18, v18, v20
	v_add_f32_e32 v18, v10, v18
	v_add_f32_e32 v35, v34, v18
	v_mul_f32_e32 v11, 0x2ea39ef3, v14
	v_mov_b32_e32 v10, v35
	v_pk_add_f32 v[36:37], v[34:35], v[10:11] neg_lo:[0,1] neg_hi:[0,1]
	v_sub_f32_e32 v10, v35, v37
	v_sub_f32_e32 v10, v10, v11
	v_add_f32_e32 v11, v18, v36
	v_add_f32_e32 v10, v11, v10
	;; [unrolled: 1-line block ×3, first 2 shown]
	v_sub_f32_e32 v20, v37, v11
	v_mov_b32_e32 v18, 0x3c091de6
	v_add_f32_e32 v10, v10, v20
	v_mul_f32_e32 v34, v11, v11
	v_fmac_f32_e32 v18, 0x3ab42872, v11
	v_add_f32_e32 v20, v10, v10
	v_fma_f32 v35, v11, v11, -v34
	v_fma_f32 v18, v11, v18, v17
	v_fmac_f32_e32 v35, v11, v20
	v_fma_f32 v18, v11, v18, v24
	v_add_f32_e32 v20, v34, v35
	v_fma_f32 v18, v11, v18, v25
	v_sub_f32_e32 v34, v20, v34
	v_sub_f32_e32 v34, v35, v34
	v_mul_f32_e32 v35, v18, v20
	v_fma_f32 v20, v20, v18, -v35
	v_fmac_f32_e32 v20, v34, v18
	v_add_f32_e32 v18, v35, v20
	v_sub_f32_e32 v34, v18, v35
	v_sub_f32_e32 v34, v20, v34
	v_add_f32_e32 v20, v11, v18
	v_sub_f32_e32 v11, v20, v11
	v_sub_f32_e32 v11, v18, v11
	v_add_f32_e32 v10, v10, v34
	v_add_f32_e32 v10, v10, v11
	;; [unrolled: 1-line block ×3, first 2 shown]
	v_add_f32_e32 v35, 1.0, v34
	v_pk_add_f32 v[36:37], v[34:35], v[20:21] neg_lo:[0,1] neg_hi:[0,1]
	v_pk_add_f32 v[38:39], v[34:35], s[22:23]
	v_mov_b32_e32 v37, v39
	v_mov_b32_e32 v11, v34
	v_cvt_i32_f32_e32 v14, v14
	v_pk_add_f32 v[10:11], v[10:11], v[36:37] neg_lo:[0,1] neg_hi:[0,1]
	v_add_f32_e32 v10, v10, v11
	v_add_f32_e32 v11, v35, v10
	v_ldexp_f32 v18, v11, v14
	v_rcp_f32_e32 v20, v18
	v_sub_f32_e32 v11, v11, v35
	v_sub_f32_e32 v10, v10, v11
	v_ldexp_f32 v10, v10, v14
	v_mul_f32_e32 v11, v18, v20
	v_fma_f32 v14, v20, v18, -v11
	v_fmac_f32_e32 v14, v20, v10
	v_add_f32_e32 v34, v11, v14
	v_sub_f32_e32 v35, 1.0, v34
	v_sub_f32_e32 v36, 1.0, v35
	v_sub_f32_e32 v11, v34, v11
	v_sub_f32_e32 v36, v36, v34
	;; [unrolled: 1-line block ×3, first 2 shown]
	v_add_f32_e32 v11, v11, v36
	v_add_f32_e32 v14, v35, v11
	v_mul_f32_e32 v34, v20, v14
	v_mul_f32_e32 v36, v18, v34
	v_fma_f32 v37, v34, v18, -v36
	v_fmac_f32_e32 v37, v34, v10
	v_sub_f32_e32 v35, v35, v14
	v_add_f32_e32 v11, v11, v35
	v_add_f32_e32 v35, v36, v37
	v_sub_f32_e32 v38, v14, v35
	v_sub_f32_e32 v14, v14, v38
	;; [unrolled: 1-line block ×4, first 2 shown]
	v_add_f32_e32 v11, v11, v14
	v_sub_f32_e32 v14, v36, v37
	v_add_f32_e32 v11, v14, v11
	v_add_f32_e32 v11, v38, v11
	;; [unrolled: 1-line block ×3, first 2 shown]
	v_mul_f32_e32 v11, v20, v11
	v_sub_f32_e32 v20, v14, v20
	v_sub_f32_e32 v20, v34, v20
	v_add_f32_e32 v11, v20, v11
	v_add_f32_e32 v20, v14, v11
	v_sub_f32_e32 v14, v20, v14
	v_sub_f32_e32 v11, v11, v14
	v_ldexp_f32 v14, v20, -2
	v_sub_f32_e32 v20, v18, v14
	v_sub_f32_e32 v18, v18, v20
	;; [unrolled: 1-line block ×3, first 2 shown]
	v_ldexp_f32 v11, v11, -2
	v_add_f32_e32 v10, v10, v14
	v_sub_f32_e32 v10, v10, v11
	v_add_f32_e32 v10, v20, v10
	v_cmp_ngt_f32_e64 vcc, |v2|, s57
	v_cndmask_b32_e32 v10, v32, v10, vcc
	v_cmp_lt_f32_e64 s[0:1], |v2|, s58
	v_cndmask_b32_e64 v10, v10, |v2|, s[0:1]
	v_bfi_b32 v10, s41, v10, v2
	v_fma_f32 v11, v10, v10, 1.0
	v_mul_f32_e32 v14, 0x4f800000, v11
	v_cmp_gt_f32_e32 vcc, s59, v11
	v_cndmask_b32_e32 v11, v11, v14, vcc
	v_sqrt_f32_e32 v14, v11
	v_xor_b32_e32 v12, v12, v13
	v_xor_b32_e32 v12, v12, v3
	v_fma_f32 v13, v12, v12, 1.0
	v_add_u32_e32 v18, -1, v14
	v_fma_f32 v20, -v18, v14, v11
	v_cmp_ge_f32_e64 s[0:1], 0, v20
	v_add_u32_e32 v20, 1, v14
	v_cndmask_b32_e64 v18, v14, v18, s[0:1]
	v_fma_f32 v14, -v20, v14, v11
	v_cmp_lt_f32_e64 s[0:1], 0, v14
	v_cndmask_b32_e64 v14, v18, v20, s[0:1]
	v_mul_f32_e32 v18, 0x37800000, v14
	v_cndmask_b32_e32 v14, v14, v18, vcc
	v_cmp_class_f32_e32 vcc, v11, v26
	v_cndmask_b32_e32 v11, v14, v11, vcc
	v_mul_f32_e32 v14, v10, v13
	v_mul_f32_e32 v11, v11, v13
	v_fma_f32 v14, v10, v14, 1.0
	v_mul_f32_e32 v10, v10, v11
	v_div_scale_f32 v11, s[0:1], v14, v14, v10
	v_rcp_f32_e32 v13, v11
	v_fma_f32 v18, -v11, v13, 1.0
	v_fmac_f32_e32 v13, v18, v13
	v_div_scale_f32 v18, vcc, v10, v14, v10
	v_mul_f32_e32 v20, v18, v13
	v_fma_f32 v34, -v11, v20, v18
	v_fmac_f32_e32 v20, v34, v13
	v_fma_f32 v11, -v11, v20, v18
	v_div_scale_f32 v18, s[0:1], v14, v14, v12
	v_rcp_f32_e32 v34, v18
	v_div_fmas_f32 v11, v11, v13, v20
	v_div_fixup_f32 v10, v11, v14, v10
	v_fma_f32 v11, -v18, v34, 1.0
	v_fmac_f32_e32 v34, v11, v34
	v_div_scale_f32 v11, vcc, v12, v14, v12
	v_mul_f32_e32 v13, v11, v34
	v_fma_f32 v20, -v18, v13, v11
	v_fmac_f32_e32 v13, v20, v34
	v_fma_f32 v11, -v18, v13, v11
	v_div_fmas_f32 v11, v11, v34, v13
	v_div_fixup_f32 v11, v11, v14, v12
                                        ; implicit-def: $vgpr12
.LBB157_91:                             ;   in Loop: Header=BB157_7 Depth=1
	s_andn2_saveexec_b64 s[30:31], s[30:31]
	s_cbranch_execz .LBB157_101
; %bb.92:                               ;   in Loop: Header=BB157_7 Depth=1
	v_lshrrev_b32_e32 v10, 23, v12
	v_and_b32_e32 v11, 0x7fffff, v12
	v_cmp_nlt_f32_e64 s[34:35], |v3|, s45
	v_add_u32_e32 v18, 0xffffff88, v10
	v_or_b32_e32 v13, 0x800000, v11
                                        ; implicit-def: $vgpr10
                                        ; implicit-def: $vgpr11
	s_and_saveexec_b64 s[0:1], s[34:35]
	s_xor_b64 s[36:37], exec, s[0:1]
	s_cbranch_execz .LBB157_94
; %bb.93:                               ;   in Loop: Header=BB157_7 Depth=1
	v_cmp_lt_u32_e32 vcc, 63, v18
	v_cndmask_b32_e32 v10, 0, v30, vcc
	v_add_u32_e32 v10, v10, v18
	v_cmp_lt_u32_e64 s[0:1], 31, v10
	v_cndmask_b32_e64 v11, 0, v31, s[0:1]
	v_add_u32_e32 v10, v11, v10
	v_cmp_lt_u32_e64 s[2:3], 31, v10
	v_cndmask_b32_e64 v11, 0, v31, s[2:3]
	v_add_u32_e32 v20, v11, v10
	v_mad_u64_u32 v[10:11], s[6:7], v13, s46, 0
	v_mov_b32_e32 v14, v11
	v_mad_u64_u32 v[34:35], s[6:7], v13, s47, v[14:15]
	v_mov_b32_e32 v14, v35
	;; [unrolled: 2-line block ×6, first 2 shown]
	v_mad_u64_u32 v[44:45], s[6:7], v13, s52, v[14:15]
	v_cndmask_b32_e32 v11, v42, v38, vcc
	v_cndmask_b32_e32 v14, v44, v40, vcc
	;; [unrolled: 1-line block ×3, first 2 shown]
	v_cndmask_b32_e64 v35, v14, v11, s[0:1]
	v_cndmask_b32_e64 v14, v37, v14, s[0:1]
	v_cndmask_b32_e32 v37, v40, v36, vcc
	v_cndmask_b32_e64 v11, v11, v37, s[0:1]
	v_sub_u32_e32 v39, 32, v20
	v_cmp_eq_u32_e64 s[6:7], 0, v20
	v_cndmask_b32_e32 v20, v38, v34, vcc
	v_cndmask_b32_e64 v14, v14, v35, s[2:3]
	v_cndmask_b32_e64 v35, v35, v11, s[2:3]
	;; [unrolled: 1-line block ×3, first 2 shown]
	v_alignbit_b32 v40, v14, v35, v39
	v_cndmask_b32_e64 v11, v11, v34, s[2:3]
	v_cndmask_b32_e64 v14, v40, v14, s[6:7]
	v_alignbit_b32 v37, v35, v11, v39
	v_cndmask_b32_e64 v35, v37, v35, s[6:7]
	v_bfe_u32 v40, v14, 29, 1
	v_cndmask_b32_e32 v10, v36, v10, vcc
	v_alignbit_b32 v37, v14, v35, 30
	v_sub_u32_e32 v41, 0, v40
	v_cndmask_b32_e64 v10, v20, v10, s[0:1]
	v_xor_b32_e32 v42, v37, v41
	v_cndmask_b32_e64 v10, v34, v10, s[2:3]
	v_alignbit_b32 v20, v11, v10, v39
	v_ffbh_u32_e32 v34, v42
	v_cndmask_b32_e64 v11, v20, v11, s[6:7]
	v_add_u32_e32 v34, 1, v34
	v_cmp_ne_u32_e32 vcc, v37, v41
	v_alignbit_b32 v20, v35, v11, 30
	v_cndmask_b32_e32 v34, 33, v34, vcc
	v_alignbit_b32 v10, v11, v10, 30
	v_xor_b32_e32 v20, v20, v41
	v_sub_u32_e32 v35, 32, v34
	v_xor_b32_e32 v10, v10, v41
	v_alignbit_b32 v36, v42, v20, v35
	v_alignbit_b32 v10, v20, v10, v35
	;; [unrolled: 1-line block ×3, first 2 shown]
	v_ffbh_u32_e32 v20, v11
	v_min_u32_e32 v20, 32, v20
	v_lshrrev_b32_e32 v38, 29, v14
	v_sub_u32_e32 v35, 31, v20
	v_alignbit_b32 v10, v11, v10, v35
	v_lshlrev_b32_e32 v11, 31, v38
	v_or_b32_e32 v35, 0x33800000, v11
	v_add_lshl_u32 v20, v20, v34, 23
	v_lshrrev_b32_e32 v10, 9, v10
	v_sub_u32_e32 v20, v35, v20
	v_or_b32_e32 v10, v20, v10
	v_alignbit_b32 v20, v34, v36, 9
	v_or_b32_e32 v11, v20, v11
	v_xor_b32_e32 v11, 1.0, v11
	v_mul_f32_e32 v20, 0x3fc90fda, v11
	v_fma_f32 v34, v11, s53, -v20
	v_fmac_f32_e32 v34, 0x33a22168, v11
	v_fmac_f32_e32 v34, 0x3fc90fda, v10
	v_lshrrev_b32_e32 v10, 30, v14
	v_add_f32_e32 v11, v20, v34
	v_add_u32_e32 v10, v40, v10
	s_andn2_saveexec_b64 s[0:1], s[36:37]
	s_branch .LBB157_95
.LBB157_94:                             ;   in Loop: Header=BB157_7 Depth=1
	s_andn2_saveexec_b64 s[0:1], s[36:37]
.LBB157_95:                             ;   in Loop: Header=BB157_7 Depth=1
	v_mul_f32_e64 v10, |v3|, s54
	v_rndne_f32_e32 v14, v10
	v_cvt_i32_f32_e32 v10, v14
	v_fma_f32 v11, v14, s55, |v3|
	v_fmac_f32_e32 v11, 0xb3a22168, v14
	v_fmac_f32_e32 v11, 0xa7c234c4, v14
; %bb.96:                               ;   in Loop: Header=BB157_7 Depth=1
	s_or_b64 exec, exec, s[0:1]
                                        ; implicit-def: $vgpr14
                                        ; implicit-def: $vgpr20
	s_and_saveexec_b64 s[0:1], s[34:35]
	s_xor_b64 s[34:35], exec, s[0:1]
	s_cbranch_execz .LBB157_98
; %bb.97:                               ;   in Loop: Header=BB157_7 Depth=1
	v_cmp_lt_u32_e32 vcc, 63, v18
	v_cndmask_b32_e32 v14, 0, v30, vcc
	v_add_u32_e32 v14, v14, v18
	v_cmp_lt_u32_e64 s[0:1], 31, v14
	v_cndmask_b32_e64 v18, 0, v31, s[0:1]
	v_add_u32_e32 v14, v18, v14
	v_cmp_lt_u32_e64 s[2:3], 31, v14
	v_cndmask_b32_e64 v18, 0, v31, s[2:3]
	v_mad_u64_u32 v[34:35], s[6:7], v13, s46, 0
	v_add_u32_e32 v18, v18, v14
	v_mov_b32_e32 v14, v35
	v_mad_u64_u32 v[36:37], s[6:7], v13, s47, v[14:15]
	v_mov_b32_e32 v14, v37
	v_mad_u64_u32 v[38:39], s[6:7], v13, s48, v[14:15]
	;; [unrolled: 2-line block ×6, first 2 shown]
	v_cndmask_b32_e32 v20, v44, v40, vcc
	v_cndmask_b32_e32 v13, v46, v42, vcc
	v_cndmask_b32_e32 v35, v47, v44, vcc
	v_cndmask_b32_e64 v14, v13, v20, s[0:1]
	v_cndmask_b32_e64 v13, v35, v13, s[0:1]
	v_cndmask_b32_e32 v35, v42, v38, vcc
	v_cndmask_b32_e64 v20, v20, v35, s[0:1]
	v_sub_u32_e32 v37, 32, v18
	v_cmp_eq_u32_e64 s[6:7], 0, v18
	v_cndmask_b32_e32 v18, v40, v36, vcc
	v_cndmask_b32_e64 v13, v13, v14, s[2:3]
	v_cndmask_b32_e64 v14, v14, v20, s[2:3]
	;; [unrolled: 1-line block ×3, first 2 shown]
	v_alignbit_b32 v39, v13, v14, v37
	v_cndmask_b32_e64 v20, v20, v35, s[2:3]
	v_cndmask_b32_e64 v13, v39, v13, s[6:7]
	v_alignbit_b32 v36, v14, v20, v37
	v_cndmask_b32_e32 v34, v38, v34, vcc
	v_cndmask_b32_e64 v14, v36, v14, s[6:7]
	v_bfe_u32 v40, v13, 29, 1
	v_cndmask_b32_e64 v18, v18, v34, s[0:1]
	v_alignbit_b32 v36, v13, v14, 30
	v_sub_u32_e32 v41, 0, v40
	v_cndmask_b32_e64 v18, v35, v18, s[2:3]
	v_xor_b32_e32 v42, v36, v41
	v_alignbit_b32 v34, v20, v18, v37
	v_cndmask_b32_e64 v20, v34, v20, s[6:7]
	v_ffbh_u32_e32 v34, v42
	v_add_u32_e32 v34, 1, v34
	v_cmp_ne_u32_e32 vcc, v36, v41
	v_alignbit_b32 v14, v14, v20, 30
	v_cndmask_b32_e32 v34, 33, v34, vcc
	v_alignbit_b32 v18, v20, v18, 30
	v_xor_b32_e32 v14, v14, v41
	v_sub_u32_e32 v35, 32, v34
	v_xor_b32_e32 v18, v18, v41
	v_alignbit_b32 v36, v42, v14, v35
	v_alignbit_b32 v14, v14, v18, v35
	;; [unrolled: 1-line block ×3, first 2 shown]
	v_ffbh_u32_e32 v20, v18
	v_min_u32_e32 v20, 32, v20
	v_lshrrev_b32_e32 v39, 29, v13
	v_sub_u32_e32 v35, 31, v20
	v_alignbit_b32 v14, v18, v14, v35
	v_lshlrev_b32_e32 v18, 31, v39
	v_or_b32_e32 v35, 0x33800000, v18
	v_add_lshl_u32 v20, v20, v34, 23
	v_lshrrev_b32_e32 v14, 9, v14
	v_sub_u32_e32 v20, v35, v20
	v_or_b32_e32 v14, v20, v14
	v_alignbit_b32 v20, v34, v36, 9
	v_or_b32_e32 v18, v20, v18
	v_xor_b32_e32 v18, 1.0, v18
	v_mul_f32_e32 v20, 0x3fc90fda, v18
	v_fma_f32 v34, v18, s53, -v20
	v_fmac_f32_e32 v34, 0x33a22168, v18
	v_fmac_f32_e32 v34, 0x3fc90fda, v14
	v_lshrrev_b32_e32 v13, 30, v13
	v_add_f32_e32 v20, v20, v34
	v_add_u32_e32 v14, v40, v13
	s_andn2_saveexec_b64 s[0:1], s[34:35]
	s_cbranch_execnz .LBB157_99
	s_branch .LBB157_100
.LBB157_98:                             ;   in Loop: Header=BB157_7 Depth=1
	s_andn2_saveexec_b64 s[0:1], s[34:35]
.LBB157_99:                             ;   in Loop: Header=BB157_7 Depth=1
	v_mul_f32_e64 v13, |v3|, s54
	v_rndne_f32_e32 v13, v13
	v_cvt_i32_f32_e32 v14, v13
	v_fma_f32 v20, v13, s55, |v3|
	v_fmac_f32_e32 v20, 0xb3a22168, v13
	v_fmac_f32_e32 v20, 0xa7c234c4, v13
.LBB157_100:                            ;   in Loop: Header=BB157_7 Depth=1
	s_or_b64 exec, exec, s[0:1]
	v_mul_f32_e32 v13, v11, v11
	v_mov_b32_e32 v18, 0x3c0881c4
	v_fmac_f32_e32 v18, 0xb94c1982, v13
	v_fma_f32 v18, v13, v18, v27
	v_mul_f32_e32 v18, v13, v18
	v_fmac_f32_e32 v11, v11, v18
	v_mov_b32_e32 v18, 0xbab64f3b
	v_fmac_f32_e32 v18, 0x37d75334, v13
	v_fma_f32 v18, v13, v18, v28
	v_fma_f32 v18, v13, v18, v29
	v_fma_f32 v13, v13, v18, 1.0
	v_and_b32_e32 v18, 1, v10
	v_lshlrev_b32_e32 v10, 30, v10
	v_and_b32_e32 v10, 0x80000000, v10
	v_cmp_eq_u32_e32 vcc, 0, v18
	v_xor_b32_e32 v10, v12, v10
	v_mul_f32_e64 v12, |v2|, s60
	v_cndmask_b32_e32 v11, v13, v11, vcc
	v_rndne_f32_e32 v13, v12
	v_sub_f32_e32 v18, v12, v13
	v_fma_f32 v12, |v2|, s60, -v12
	v_fma_f32 v12, |v2|, s61, v12
	v_add_f32_e32 v12, v18, v12
	v_exp_f32_e32 v12, v12
	v_cvt_i32_f32_e32 v13, v13
	v_xor_b32_e32 v10, v10, v11
	v_xor_b32_e32 v10, v10, v3
	v_mul_f32_e32 v11, 4.0, v10
	v_ldexp_f32 v10, v12, v13
	v_mul_f32_e32 v13, v20, v20
	v_mov_b32_e32 v18, 0x3c0881c4
	v_fmac_f32_e32 v18, 0xb94c1982, v13
	v_fma_f32 v18, v13, v18, v27
	v_mul_f32_e32 v18, v13, v18
	v_fmac_f32_e32 v20, v20, v18
	v_mov_b32_e32 v18, 0xbab64f3b
	v_fmac_f32_e32 v18, 0x37d75334, v13
	v_fma_f32 v18, v13, v18, v28
	v_cmp_ngt_f32_e64 vcc, |v2|, s62
	v_fma_f32 v18, v13, v18, v29
	v_cndmask_b32_e32 v10, 0, v10, vcc
	v_cmp_nlt_f32_e64 vcc, |v2|, s63
	v_fma_f32 v13, v13, v18, 1.0
	v_and_b32_e32 v18, 1, v14
	v_cndmask_b32_e32 v12, v32, v10, vcc
	v_cmp_eq_u32_e32 vcc, 0, v18
	v_lshlrev_b32_e32 v14, 30, v14
	v_cndmask_b32_e64 v13, -v20, v13, vcc
	v_and_b32_e32 v14, 0x80000000, v14
	v_xor_b32_e32 v13, v14, v13
	v_mul_f32_e32 v11, v11, v13
	v_mul_f32_e32 v11, v12, v11
	v_bfi_b32 v10, s41, 1.0, v2
	v_mul_f32_e32 v11, v12, v11
.LBB157_101:                            ;   in Loop: Header=BB157_7 Depth=1
	s_or_b64 exec, exec, s[30:31]
.LBB157_102:                            ;   in Loop: Header=BB157_7 Depth=1
	s_andn2_saveexec_b64 s[0:1], s[28:29]
; %bb.103:                              ;   in Loop: Header=BB157_7 Depth=1
	v_sub_f32_e32 v11, v3, v3
	v_mov_b32_e32 v10, v11
; %bb.104:                              ;   in Loop: Header=BB157_7 Depth=1
	s_or_b64 exec, exec, s[0:1]
.LBB157_105:                            ;   in Loop: Header=BB157_7 Depth=1
	s_andn2_saveexec_b64 s[26:27], s[26:27]
	s_cbranch_execz .LBB157_121
; %bb.106:                              ;   in Loop: Header=BB157_7 Depth=1
	v_and_b32_e32 v10, 0x7fffff, v2
	v_cmp_ne_u32_e32 vcc, 0, v10
                                        ; implicit-def: $vgpr11
	s_and_saveexec_b64 s[0:1], vcc
	s_xor_b64 s[0:1], exec, s[0:1]
; %bb.107:                              ;   in Loop: Header=BB157_7 Depth=1
	v_mul_f32_e32 v10, v2, v3
	v_cmp_eq_f32_e32 vcc, 0, v3
	v_cndmask_b32_e32 v11, v10, v3, vcc
; %bb.108:                              ;   in Loop: Header=BB157_7 Depth=1
	s_andn2_saveexec_b64 s[28:29], s[0:1]
	s_cbranch_execz .LBB157_120
; %bb.109:                              ;   in Loop: Header=BB157_7 Depth=1
	v_cmp_neq_f32_e64 s[0:1], |v3|, s42
	s_and_saveexec_b64 s[30:31], s[0:1]
	s_cbranch_execz .LBB157_119
; %bb.110:                              ;   in Loop: Header=BB157_7 Depth=1
	v_and_b32_e32 v10, 0x7fffffff, v3
	v_lshrrev_b32_e32 v11, 23, v10
	v_and_b32_e32 v12, 0x7fffff, v10
	v_cmp_nlt_f32_e64 s[34:35], |v3|, s45
	v_add_u32_e32 v18, 0xffffff88, v11
	v_or_b32_e32 v13, 0x800000, v12
                                        ; implicit-def: $vgpr11
                                        ; implicit-def: $vgpr12
	s_and_saveexec_b64 s[0:1], s[34:35]
	s_xor_b64 s[36:37], exec, s[0:1]
	s_cbranch_execz .LBB157_112
; %bb.111:                              ;   in Loop: Header=BB157_7 Depth=1
	v_mad_u64_u32 v[34:35], s[6:7], v13, s46, 0
	v_mov_b32_e32 v14, v35
	v_mad_u64_u32 v[36:37], s[6:7], v13, s47, v[14:15]
	v_mov_b32_e32 v14, v37
	v_mad_u64_u32 v[38:39], s[6:7], v13, s48, v[14:15]
	v_cmp_lt_u32_e32 vcc, 63, v18
	v_mov_b32_e32 v14, v39
	v_cndmask_b32_e32 v11, 0, v30, vcc
	v_mad_u64_u32 v[40:41], s[6:7], v13, s49, v[14:15]
	v_add_u32_e32 v11, v11, v18
	v_mov_b32_e32 v14, v41
	v_cmp_lt_u32_e64 s[0:1], 31, v11
	v_mad_u64_u32 v[42:43], s[6:7], v13, s50, v[14:15]
	v_cndmask_b32_e64 v12, 0, v31, s[0:1]
	v_mov_b32_e32 v14, v43
	v_add_u32_e32 v11, v12, v11
	v_mad_u64_u32 v[44:45], s[6:7], v13, s51, v[14:15]
	v_cmp_lt_u32_e64 s[2:3], 31, v11
	v_mov_b32_e32 v14, v45
	v_cndmask_b32_e64 v12, 0, v31, s[2:3]
	v_mad_u64_u32 v[46:47], s[6:7], v13, s52, v[14:15]
	v_add_u32_e32 v11, v12, v11
	v_cndmask_b32_e32 v12, v44, v40, vcc
	v_cndmask_b32_e32 v14, v46, v42, vcc
	;; [unrolled: 1-line block ×3, first 2 shown]
	v_cndmask_b32_e64 v20, v14, v12, s[0:1]
	v_cndmask_b32_e64 v14, v35, v14, s[0:1]
	v_cndmask_b32_e32 v35, v42, v38, vcc
	v_cndmask_b32_e64 v12, v12, v35, s[0:1]
	v_cndmask_b32_e64 v14, v14, v20, s[2:3]
	v_cndmask_b32_e64 v20, v20, v12, s[2:3]
	v_sub_u32_e32 v37, 32, v11
	v_alignbit_b32 v39, v14, v20, v37
	v_cmp_eq_u32_e64 s[6:7], 0, v11
	v_cndmask_b32_e64 v11, v39, v14, s[6:7]
	v_cndmask_b32_e32 v14, v40, v36, vcc
	v_cndmask_b32_e64 v35, v35, v14, s[0:1]
	v_cndmask_b32_e64 v12, v12, v35, s[2:3]
	v_alignbit_b32 v36, v20, v12, v37
	v_cndmask_b32_e32 v34, v38, v34, vcc
	v_cndmask_b32_e64 v20, v36, v20, s[6:7]
	v_bfe_u32 v40, v11, 29, 1
	v_cndmask_b32_e64 v14, v14, v34, s[0:1]
	v_alignbit_b32 v36, v11, v20, 30
	v_sub_u32_e32 v41, 0, v40
	v_cndmask_b32_e64 v14, v35, v14, s[2:3]
	v_xor_b32_e32 v42, v36, v41
	v_alignbit_b32 v34, v12, v14, v37
	v_cndmask_b32_e64 v12, v34, v12, s[6:7]
	v_ffbh_u32_e32 v34, v42
	v_add_u32_e32 v34, 1, v34
	v_cmp_ne_u32_e32 vcc, v36, v41
	v_alignbit_b32 v20, v20, v12, 30
	v_cndmask_b32_e32 v34, 33, v34, vcc
	v_alignbit_b32 v12, v12, v14, 30
	v_xor_b32_e32 v20, v20, v41
	v_sub_u32_e32 v35, 32, v34
	v_xor_b32_e32 v12, v12, v41
	v_alignbit_b32 v36, v42, v20, v35
	v_alignbit_b32 v12, v20, v12, v35
	;; [unrolled: 1-line block ×3, first 2 shown]
	v_ffbh_u32_e32 v20, v14
	v_min_u32_e32 v20, 32, v20
	v_lshrrev_b32_e32 v39, 29, v11
	v_sub_u32_e32 v35, 31, v20
	v_alignbit_b32 v12, v14, v12, v35
	v_lshlrev_b32_e32 v14, 31, v39
	v_or_b32_e32 v35, 0x33800000, v14
	v_add_lshl_u32 v20, v20, v34, 23
	v_lshrrev_b32_e32 v12, 9, v12
	v_sub_u32_e32 v20, v35, v20
	v_or_b32_e32 v12, v20, v12
	v_alignbit_b32 v20, v34, v36, 9
	v_or_b32_e32 v14, v20, v14
	v_xor_b32_e32 v14, 1.0, v14
	v_mul_f32_e32 v20, 0x3fc90fda, v14
	v_fma_f32 v34, v14, s53, -v20
	v_fmac_f32_e32 v34, 0x33a22168, v14
	v_fmac_f32_e32 v34, 0x3fc90fda, v12
	v_lshrrev_b32_e32 v11, 30, v11
	v_add_f32_e32 v12, v20, v34
	v_add_u32_e32 v11, v40, v11
.LBB157_112:                            ;   in Loop: Header=BB157_7 Depth=1
	s_or_saveexec_b64 s[0:1], s[36:37]
	v_mul_f32_e64 v14, |v3|, s54
	v_rndne_f32_e32 v34, v14
	s_xor_b64 exec, exec, s[0:1]
; %bb.113:                              ;   in Loop: Header=BB157_7 Depth=1
	v_cvt_i32_f32_e32 v11, v34
	v_fma_f32 v12, v34, s55, |v3|
	v_fmac_f32_e32 v12, 0xb3a22168, v34
	v_fmac_f32_e32 v12, 0xa7c234c4, v34
; %bb.114:                              ;   in Loop: Header=BB157_7 Depth=1
	s_or_b64 exec, exec, s[0:1]
                                        ; implicit-def: $vgpr14
                                        ; implicit-def: $vgpr20
	s_and_saveexec_b64 s[0:1], s[34:35]
	s_xor_b64 s[34:35], exec, s[0:1]
	s_cbranch_execz .LBB157_116
; %bb.115:                              ;   in Loop: Header=BB157_7 Depth=1
	v_cmp_lt_u32_e32 vcc, 63, v18
	v_cndmask_b32_e32 v14, 0, v30, vcc
	v_add_u32_e32 v14, v14, v18
	v_cmp_lt_u32_e64 s[0:1], 31, v14
	v_cndmask_b32_e64 v18, 0, v31, s[0:1]
	v_add_u32_e32 v14, v18, v14
	v_cmp_lt_u32_e64 s[2:3], 31, v14
	v_cndmask_b32_e64 v18, 0, v31, s[2:3]
	v_mad_u64_u32 v[34:35], s[6:7], v13, s46, 0
	v_add_u32_e32 v18, v18, v14
	v_mov_b32_e32 v14, v35
	v_mad_u64_u32 v[36:37], s[6:7], v13, s47, v[14:15]
	v_mov_b32_e32 v14, v37
	v_mad_u64_u32 v[38:39], s[6:7], v13, s48, v[14:15]
	;; [unrolled: 2-line block ×6, first 2 shown]
	v_cndmask_b32_e32 v20, v44, v40, vcc
	v_cndmask_b32_e32 v13, v46, v42, vcc
	;; [unrolled: 1-line block ×3, first 2 shown]
	v_cndmask_b32_e64 v14, v13, v20, s[0:1]
	v_cndmask_b32_e64 v13, v35, v13, s[0:1]
	v_cndmask_b32_e32 v35, v42, v38, vcc
	v_cndmask_b32_e64 v20, v20, v35, s[0:1]
	v_sub_u32_e32 v37, 32, v18
	v_cmp_eq_u32_e64 s[6:7], 0, v18
	v_cndmask_b32_e32 v18, v40, v36, vcc
	v_cndmask_b32_e64 v13, v13, v14, s[2:3]
	v_cndmask_b32_e64 v14, v14, v20, s[2:3]
	;; [unrolled: 1-line block ×3, first 2 shown]
	v_alignbit_b32 v39, v13, v14, v37
	v_cndmask_b32_e64 v20, v20, v35, s[2:3]
	v_cndmask_b32_e64 v13, v39, v13, s[6:7]
	v_alignbit_b32 v36, v14, v20, v37
	v_cndmask_b32_e32 v34, v38, v34, vcc
	v_cndmask_b32_e64 v14, v36, v14, s[6:7]
	v_bfe_u32 v40, v13, 29, 1
	v_cndmask_b32_e64 v18, v18, v34, s[0:1]
	v_alignbit_b32 v36, v13, v14, 30
	v_sub_u32_e32 v41, 0, v40
	v_cndmask_b32_e64 v18, v35, v18, s[2:3]
	v_xor_b32_e32 v42, v36, v41
	v_alignbit_b32 v34, v20, v18, v37
	v_cndmask_b32_e64 v20, v34, v20, s[6:7]
	v_ffbh_u32_e32 v34, v42
	v_add_u32_e32 v34, 1, v34
	v_cmp_ne_u32_e32 vcc, v36, v41
	v_alignbit_b32 v14, v14, v20, 30
	v_cndmask_b32_e32 v34, 33, v34, vcc
	v_alignbit_b32 v18, v20, v18, 30
	v_xor_b32_e32 v14, v14, v41
	v_sub_u32_e32 v35, 32, v34
	v_xor_b32_e32 v18, v18, v41
	v_alignbit_b32 v36, v42, v14, v35
	v_alignbit_b32 v14, v14, v18, v35
	;; [unrolled: 1-line block ×3, first 2 shown]
	v_ffbh_u32_e32 v20, v18
	v_min_u32_e32 v20, 32, v20
	v_lshrrev_b32_e32 v39, 29, v13
	v_sub_u32_e32 v35, 31, v20
	v_alignbit_b32 v14, v18, v14, v35
	v_lshlrev_b32_e32 v18, 31, v39
	v_or_b32_e32 v35, 0x33800000, v18
	v_add_lshl_u32 v20, v20, v34, 23
	v_lshrrev_b32_e32 v14, 9, v14
	v_sub_u32_e32 v20, v35, v20
	v_or_b32_e32 v14, v20, v14
	v_alignbit_b32 v20, v34, v36, 9
	v_or_b32_e32 v18, v20, v18
	v_xor_b32_e32 v18, 1.0, v18
	v_mul_f32_e32 v20, 0x3fc90fda, v18
	v_fma_f32 v34, v18, s53, -v20
	v_fmac_f32_e32 v34, 0x33a22168, v18
	v_fmac_f32_e32 v34, 0x3fc90fda, v14
	v_lshrrev_b32_e32 v13, 30, v13
	v_add_f32_e32 v20, v20, v34
	v_add_u32_e32 v14, v40, v13
                                        ; implicit-def: $vgpr34
	s_andn2_saveexec_b64 s[0:1], s[34:35]
	s_cbranch_execnz .LBB157_117
	s_branch .LBB157_118
.LBB157_116:                            ;   in Loop: Header=BB157_7 Depth=1
	s_andn2_saveexec_b64 s[0:1], s[34:35]
.LBB157_117:                            ;   in Loop: Header=BB157_7 Depth=1
	v_cvt_i32_f32_e32 v14, v34
	v_fma_f32 v20, v34, s55, |v3|
	v_fmac_f32_e32 v20, 0xb3a22168, v34
	v_fmac_f32_e32 v20, 0xa7c234c4, v34
.LBB157_118:                            ;   in Loop: Header=BB157_7 Depth=1
	s_or_b64 exec, exec, s[0:1]
	v_mul_f32_e32 v13, v12, v12
	v_mov_b32_e32 v18, 0x3c0881c4
	v_fmac_f32_e32 v18, 0xb94c1982, v13
	v_fma_f32 v18, v13, v18, v27
	v_mul_f32_e32 v18, v13, v18
	v_fmac_f32_e32 v12, v12, v18
	v_mov_b32_e32 v18, 0xbab64f3b
	v_fmac_f32_e32 v18, 0x37d75334, v13
	v_fma_f32 v18, v13, v18, v28
	v_fma_f32 v18, v13, v18, v29
	v_fma_f32 v13, v13, v18, 1.0
	v_and_b32_e32 v18, 1, v11
	v_lshlrev_b32_e32 v11, 30, v11
	v_cmp_eq_u32_e32 vcc, 0, v18
	v_and_b32_e32 v11, 0x80000000, v11
	v_cndmask_b32_e32 v12, v13, v12, vcc
	v_xor_b32_e32 v10, v10, v11
	v_xor_b32_e32 v10, v10, v12
	v_mul_f32_e32 v11, v20, v20
	v_mov_b32_e32 v12, 0x3c0881c4
	v_fmac_f32_e32 v12, 0xb94c1982, v11
	v_fma_f32 v12, v11, v12, v27
	v_mul_f32_e32 v12, v11, v12
	v_fmac_f32_e32 v20, v20, v12
	v_mov_b32_e32 v12, 0xbab64f3b
	v_fmac_f32_e32 v12, 0x37d75334, v11
	v_fma_f32 v12, v11, v12, v28
	v_fma_f32 v12, v11, v12, v29
	v_fma_f32 v11, v11, v12, 1.0
	v_and_b32_e32 v12, 1, v14
	v_cmp_eq_u32_e32 vcc, 0, v12
	v_lshlrev_b32_e32 v12, 30, v14
	v_cndmask_b32_e64 v11, -v20, v11, vcc
	v_and_b32_e32 v12, 0x80000000, v12
	v_xor_b32_e32 v10, v10, v3
	v_xor_b32_e32 v11, v12, v11
	v_mul_f32_e32 v10, v10, v11
	v_cmp_class_f32_e64 vcc, v3, s43
	v_cndmask_b32_e32 v3, v33, v10, vcc
.LBB157_119:                            ;   in Loop: Header=BB157_7 Depth=1
	s_or_b64 exec, exec, s[30:31]
	v_add_u32_e32 v2, -2.0, v2
	v_bfi_b32 v11, s41, 0, v3
.LBB157_120:                            ;   in Loop: Header=BB157_7 Depth=1
	s_or_b64 exec, exec, s[28:29]
	v_mov_b32_e32 v10, v2
.LBB157_121:                            ;   in Loop: Header=BB157_7 Depth=1
	s_or_b64 exec, exec, s[26:27]
	v_and_b32_e32 v18, 0x7fffffff, v4
	v_cmp_gt_u32_e32 vcc, s42, v18
	s_and_saveexec_b64 s[0:1], vcc
	s_xor_b64 s[26:27], exec, s[0:1]
	s_cbranch_execz .LBB157_143
; %bb.122:                              ;   in Loop: Header=BB157_7 Depth=1
	v_cmp_class_f32_e64 s[0:1], v5, s43
	s_and_saveexec_b64 s[2:3], s[0:1]
	s_xor_b64 s[28:29], exec, s[2:3]
	s_cbranch_execz .LBB157_140
; %bb.123:                              ;   in Loop: Header=BB157_7 Depth=1
	v_and_b32_e32 v2, 0x7fffffff, v5
	v_cmp_gt_u32_e32 vcc, s44, v18
	s_and_saveexec_b64 s[0:1], vcc
	s_xor_b64 s[30:31], exec, s[0:1]
	s_cbranch_execz .LBB157_129
; %bb.124:                              ;   in Loop: Header=BB157_7 Depth=1
	v_cmp_nlt_f32_e64 s[0:1], |v5|, s45
                                        ; implicit-def: $vgpr12
                                        ; implicit-def: $vgpr3
	s_and_saveexec_b64 s[2:3], s[0:1]
	s_xor_b64 s[34:35], exec, s[2:3]
	s_cbranch_execz .LBB157_126
; %bb.125:                              ;   in Loop: Header=BB157_7 Depth=1
	v_lshrrev_b32_e32 v3, 23, v2
	v_add_u32_e32 v3, 0xffffff88, v3
	v_cmp_lt_u32_e32 vcc, 63, v3
	v_cndmask_b32_e32 v12, 0, v30, vcc
	v_add_u32_e32 v3, v12, v3
	v_cmp_lt_u32_e64 s[0:1], 31, v3
	v_cndmask_b32_e64 v12, 0, v31, s[0:1]
	v_add_u32_e32 v3, v12, v3
	v_cmp_lt_u32_e64 s[2:3], 31, v3
	v_cndmask_b32_e64 v12, 0, v31, s[2:3]
	v_add_u32_e32 v3, v12, v3
	v_and_b32_e32 v12, 0x7fffff, v2
	v_or_b32_e32 v20, 0x800000, v12
	v_mad_u64_u32 v[12:13], s[6:7], v20, s46, 0
	v_mov_b32_e32 v14, v13
	v_mad_u64_u32 v[34:35], s[6:7], v20, s47, v[14:15]
	v_mov_b32_e32 v14, v35
	;; [unrolled: 2-line block ×6, first 2 shown]
	v_mad_u64_u32 v[44:45], s[6:7], v20, s52, v[14:15]
	v_cndmask_b32_e32 v13, v42, v38, vcc
	v_cndmask_b32_e32 v14, v44, v40, vcc
	;; [unrolled: 1-line block ×3, first 2 shown]
	v_cndmask_b32_e64 v20, v14, v13, s[0:1]
	v_cndmask_b32_e64 v14, v35, v14, s[0:1]
	v_cndmask_b32_e32 v35, v40, v36, vcc
	v_cndmask_b32_e64 v13, v13, v35, s[0:1]
	v_sub_u32_e32 v37, 32, v3
	v_cmp_eq_u32_e64 s[6:7], 0, v3
	v_cndmask_b32_e32 v3, v38, v34, vcc
	v_cndmask_b32_e64 v14, v14, v20, s[2:3]
	v_cndmask_b32_e64 v20, v20, v13, s[2:3]
	v_cndmask_b32_e64 v34, v35, v3, s[0:1]
	v_alignbit_b32 v39, v14, v20, v37
	v_cndmask_b32_e64 v13, v13, v34, s[2:3]
	v_cndmask_b32_e32 v12, v36, v12, vcc
	v_cndmask_b32_e64 v14, v39, v14, s[6:7]
	v_alignbit_b32 v35, v20, v13, v37
	v_cndmask_b32_e64 v3, v3, v12, s[0:1]
	v_cndmask_b32_e64 v20, v35, v20, s[6:7]
	v_bfe_u32 v39, v14, 29, 1
	v_cndmask_b32_e64 v3, v34, v3, s[2:3]
	v_alignbit_b32 v35, v14, v20, 30
	v_sub_u32_e32 v40, 0, v39
	v_alignbit_b32 v12, v13, v3, v37
	v_xor_b32_e32 v41, v35, v40
	v_cndmask_b32_e64 v12, v12, v13, s[6:7]
	v_alignbit_b32 v13, v20, v12, 30
	v_ffbh_u32_e32 v20, v41
	v_add_u32_e32 v20, 1, v20
	v_cmp_ne_u32_e32 vcc, v35, v40
	v_cndmask_b32_e32 v20, 33, v20, vcc
	v_alignbit_b32 v3, v12, v3, 30
	v_xor_b32_e32 v13, v13, v40
	v_sub_u32_e32 v34, 32, v20
	v_xor_b32_e32 v3, v3, v40
	v_alignbit_b32 v35, v41, v13, v34
	v_alignbit_b32 v3, v13, v3, v34
	;; [unrolled: 1-line block ×3, first 2 shown]
	v_ffbh_u32_e32 v13, v12
	v_min_u32_e32 v13, 32, v13
	v_lshrrev_b32_e32 v38, 29, v14
	v_sub_u32_e32 v34, 31, v13
	v_alignbit_b32 v3, v12, v3, v34
	v_lshlrev_b32_e32 v12, 31, v38
	v_or_b32_e32 v34, 0x33800000, v12
	v_add_lshl_u32 v13, v13, v20, 23
	v_lshrrev_b32_e32 v3, 9, v3
	v_sub_u32_e32 v13, v34, v13
	v_or_b32_e32 v3, v13, v3
	v_alignbit_b32 v13, v20, v35, 9
	v_or_b32_e32 v12, v13, v12
	v_xor_b32_e32 v12, 1.0, v12
	v_mul_f32_e32 v13, 0x3fc90fda, v12
	v_fma_f32 v20, v12, s53, -v13
	v_fmac_f32_e32 v20, 0x33a22168, v12
	v_fmac_f32_e32 v20, 0x3fc90fda, v3
	v_lshrrev_b32_e32 v12, 30, v14
	v_add_f32_e32 v3, v13, v20
	v_add_u32_e32 v12, v39, v12
.LBB157_126:                            ;   in Loop: Header=BB157_7 Depth=1
	s_andn2_saveexec_b64 s[0:1], s[34:35]
; %bb.127:                              ;   in Loop: Header=BB157_7 Depth=1
	v_mul_f32_e64 v3, |v5|, s54
	v_rndne_f32_e32 v13, v3
	v_cvt_i32_f32_e32 v12, v13
	v_fma_f32 v3, v13, s55, |v5|
	v_fmac_f32_e32 v3, 0xb3a22168, v13
	v_fmac_f32_e32 v3, 0xa7c234c4, v13
; %bb.128:                              ;   in Loop: Header=BB157_7 Depth=1
	s_or_b64 exec, exec, s[0:1]
	v_mul_f32_e32 v13, v3, v3
	v_mov_b32_e32 v14, 0xbf039337
	v_fmac_f32_e32 v14, 0x3c971480, v13
	v_fma_f32 v14, v13, v14, v1
	v_rcp_f32_e32 v14, v14
	v_mov_b32_e32 v20, 0x3ec54587
	v_fmac_f32_e32 v20, 0xbc8cedd3, v13
	v_and_b32_e32 v12, 1, v12
	v_mul_f32_e32 v14, v20, v14
	v_mul_f32_e32 v13, v13, v14
	v_fma_f32 v14, v13, v3, v3
	v_rcp_f32_e32 v20, v14
	v_sub_f32_e32 v34, v14, v3
	v_fma_f32 v3, v13, v3, -v34
	v_cmp_eq_u32_e32 vcc, 0, v12
	v_fma_f32 v13, v14, -v20, 1.0
	v_fma_f32 v3, v3, -v20, v13
	v_fma_f32 v3, v3, -v20, -v20
	v_cndmask_b32_e32 v3, v3, v14, vcc
	v_add_f32_e64 v14, |v4|, s56
	v_sub_f32_e64 v13, v14, |v4|
	v_sub_f32_e32 v12, v13, v14
	v_pk_add_f32 v[12:13], v[18:19], v[12:13]
	v_sub_f32_e32 v12, v12, v13
	v_add_f32_e32 v12, 0x3102e308, v12
	v_add_f32_e32 v13, v14, v12
	v_sub_f32_e32 v14, v14, v13
	v_add_f32_e32 v12, v12, v14
	v_mul_f32_e32 v14, 0x3fb8aa3b, v13
	v_rndne_f32_e32 v14, v14
	v_fmac_f32_e32 v13, 0xbf317200, v14
	v_add_f32_e32 v18, v12, v13
	v_mul_f32_e32 v20, 0x35bfbc00, v14
	v_sub_f32_e32 v34, v18, v20
	v_sub_f32_e32 v13, v13, v18
	;; [unrolled: 1-line block ×3, first 2 shown]
	v_add_f32_e32 v12, v12, v13
	v_sub_f32_e32 v18, v18, v20
	v_add_f32_e32 v18, v12, v18
	v_add_f32_e32 v35, v34, v18
	v_mul_f32_e32 v13, 0x2ea39ef3, v14
	v_mov_b32_e32 v12, v35
	v_pk_add_f32 v[36:37], v[34:35], v[12:13] neg_lo:[0,1] neg_hi:[0,1]
	v_sub_f32_e32 v12, v35, v37
	v_sub_f32_e32 v12, v12, v13
	v_add_f32_e32 v13, v18, v36
	v_add_f32_e32 v12, v13, v12
	;; [unrolled: 1-line block ×3, first 2 shown]
	v_sub_f32_e32 v20, v37, v13
	v_mov_b32_e32 v18, 0x3c091de6
	v_add_f32_e32 v12, v12, v20
	v_mul_f32_e32 v34, v13, v13
	v_fmac_f32_e32 v18, 0x3ab42872, v13
	v_add_f32_e32 v20, v12, v12
	v_fma_f32 v35, v13, v13, -v34
	v_fma_f32 v18, v13, v18, v17
	v_fmac_f32_e32 v35, v13, v20
	v_fma_f32 v18, v13, v18, v24
	v_add_f32_e32 v20, v34, v35
	v_fma_f32 v18, v13, v18, v25
	v_sub_f32_e32 v34, v20, v34
	v_sub_f32_e32 v34, v35, v34
	v_mul_f32_e32 v35, v18, v20
	v_fma_f32 v20, v20, v18, -v35
	v_fmac_f32_e32 v20, v34, v18
	v_add_f32_e32 v18, v35, v20
	v_sub_f32_e32 v34, v18, v35
	v_sub_f32_e32 v34, v20, v34
	v_add_f32_e32 v20, v13, v18
	v_sub_f32_e32 v13, v20, v13
	v_sub_f32_e32 v13, v18, v13
	v_add_f32_e32 v12, v12, v34
	v_add_f32_e32 v12, v12, v13
	;; [unrolled: 1-line block ×3, first 2 shown]
	v_add_f32_e32 v35, 1.0, v34
	v_pk_add_f32 v[36:37], v[34:35], v[20:21] neg_lo:[0,1] neg_hi:[0,1]
	v_pk_add_f32 v[38:39], v[34:35], s[22:23]
	v_mov_b32_e32 v37, v39
	v_mov_b32_e32 v13, v34
	v_cvt_i32_f32_e32 v14, v14
	v_pk_add_f32 v[12:13], v[12:13], v[36:37] neg_lo:[0,1] neg_hi:[0,1]
	v_add_f32_e32 v12, v12, v13
	v_add_f32_e32 v13, v35, v12
	v_ldexp_f32 v18, v13, v14
	v_rcp_f32_e32 v20, v18
	v_sub_f32_e32 v13, v13, v35
	v_sub_f32_e32 v12, v12, v13
	v_ldexp_f32 v12, v12, v14
	v_mul_f32_e32 v13, v18, v20
	v_fma_f32 v14, v20, v18, -v13
	v_fmac_f32_e32 v14, v20, v12
	v_add_f32_e32 v34, v13, v14
	v_sub_f32_e32 v35, 1.0, v34
	v_sub_f32_e32 v36, 1.0, v35
	v_sub_f32_e32 v13, v34, v13
	v_sub_f32_e32 v36, v36, v34
	v_sub_f32_e32 v13, v13, v14
	v_add_f32_e32 v13, v13, v36
	v_add_f32_e32 v14, v35, v13
	v_mul_f32_e32 v34, v20, v14
	v_mul_f32_e32 v36, v18, v34
	v_fma_f32 v37, v34, v18, -v36
	v_fmac_f32_e32 v37, v34, v12
	v_sub_f32_e32 v35, v35, v14
	v_add_f32_e32 v13, v13, v35
	v_add_f32_e32 v35, v36, v37
	v_sub_f32_e32 v38, v14, v35
	v_sub_f32_e32 v14, v14, v38
	;; [unrolled: 1-line block ×4, first 2 shown]
	v_add_f32_e32 v13, v13, v14
	v_sub_f32_e32 v14, v36, v37
	v_add_f32_e32 v13, v14, v13
	v_add_f32_e32 v13, v38, v13
	v_add_f32_e32 v14, v20, v34
	v_mul_f32_e32 v13, v20, v13
	v_sub_f32_e32 v20, v14, v20
	v_sub_f32_e32 v20, v34, v20
	v_add_f32_e32 v13, v20, v13
	v_add_f32_e32 v20, v14, v13
	v_sub_f32_e32 v14, v20, v14
	v_sub_f32_e32 v13, v13, v14
	v_ldexp_f32 v14, v20, -2
	v_sub_f32_e32 v20, v18, v14
	v_sub_f32_e32 v18, v18, v20
	;; [unrolled: 1-line block ×3, first 2 shown]
	v_ldexp_f32 v13, v13, -2
	v_add_f32_e32 v12, v12, v14
	v_sub_f32_e32 v12, v12, v13
	v_add_f32_e32 v12, v20, v12
	v_cmp_ngt_f32_e64 vcc, |v4|, s57
	v_cndmask_b32_e32 v12, v32, v12, vcc
	v_cmp_lt_f32_e64 s[0:1], |v4|, s58
	v_cndmask_b32_e64 v12, v12, |v4|, s[0:1]
	v_bfi_b32 v4, s41, v12, v4
	v_fma_f32 v12, v4, v4, 1.0
	v_mul_f32_e32 v13, 0x4f800000, v12
	v_cmp_gt_f32_e32 vcc, s59, v12
	v_cndmask_b32_e32 v12, v12, v13, vcc
	v_sqrt_f32_e32 v13, v12
	v_xor_b32_e32 v2, v2, v3
	v_xor_b32_e32 v2, v2, v5
	v_fma_f32 v3, v2, v2, 1.0
	v_add_u32_e32 v5, -1, v13
	v_fma_f32 v14, -v5, v13, v12
	v_cmp_ge_f32_e64 s[0:1], 0, v14
	v_add_u32_e32 v14, 1, v13
	v_cndmask_b32_e64 v5, v13, v5, s[0:1]
	v_fma_f32 v13, -v14, v13, v12
	v_cmp_lt_f32_e64 s[0:1], 0, v13
	v_cndmask_b32_e64 v5, v5, v14, s[0:1]
	v_mul_f32_e32 v13, 0x37800000, v5
	v_cndmask_b32_e32 v5, v5, v13, vcc
	v_cmp_class_f32_e32 vcc, v12, v26
	v_cndmask_b32_e32 v5, v5, v12, vcc
	v_mul_f32_e32 v12, v4, v3
	v_mul_f32_e32 v3, v5, v3
	v_fma_f32 v13, v4, v12, 1.0
	v_mul_f32_e32 v3, v4, v3
	v_div_scale_f32 v4, s[0:1], v13, v13, v3
	v_rcp_f32_e32 v5, v4
	v_fma_f32 v12, -v4, v5, 1.0
	v_fmac_f32_e32 v5, v12, v5
	v_div_scale_f32 v12, vcc, v3, v13, v3
	v_mul_f32_e32 v14, v12, v5
	v_fma_f32 v18, -v4, v14, v12
	v_fmac_f32_e32 v14, v18, v5
	v_div_scale_f32 v18, s[0:1], v13, v13, v2
	v_rcp_f32_e32 v20, v18
	v_fma_f32 v4, -v4, v14, v12
	v_div_fmas_f32 v4, v4, v5, v14
	v_div_fixup_f32 v12, v4, v13, v3
	v_fma_f32 v3, -v18, v20, 1.0
	v_fmac_f32_e32 v20, v3, v20
	v_div_scale_f32 v3, vcc, v2, v13, v2
	v_mul_f32_e32 v4, v3, v20
	v_fma_f32 v5, -v18, v4, v3
	v_fmac_f32_e32 v4, v5, v20
	v_fma_f32 v3, -v18, v4, v3
	v_div_fmas_f32 v3, v3, v20, v4
	v_div_fixup_f32 v13, v3, v13, v2
                                        ; implicit-def: $vgpr2_vgpr3_vgpr4_vgpr5
                                        ; implicit-def: $vgpr2
.LBB157_129:                            ;   in Loop: Header=BB157_7 Depth=1
	s_andn2_saveexec_b64 s[30:31], s[30:31]
	s_cbranch_execz .LBB157_139
; %bb.130:                              ;   in Loop: Header=BB157_7 Depth=1
	v_lshrrev_b32_e32 v3, 23, v2
	v_and_b32_e32 v12, 0x7fffff, v2
	v_cmp_nlt_f32_e64 s[34:35], |v5|, s45
	v_add_u32_e32 v18, 0xffffff88, v3
	v_or_b32_e32 v13, 0x800000, v12
                                        ; implicit-def: $vgpr3
                                        ; implicit-def: $vgpr12
	s_and_saveexec_b64 s[0:1], s[34:35]
	s_xor_b64 s[36:37], exec, s[0:1]
	s_cbranch_execz .LBB157_132
; %bb.131:                              ;   in Loop: Header=BB157_7 Depth=1
	v_mad_u64_u32 v[34:35], s[6:7], v13, s46, 0
	v_mov_b32_e32 v14, v35
	v_mad_u64_u32 v[36:37], s[6:7], v13, s47, v[14:15]
	v_mov_b32_e32 v14, v37
	v_mad_u64_u32 v[38:39], s[6:7], v13, s48, v[14:15]
	v_cmp_lt_u32_e32 vcc, 63, v18
	v_mov_b32_e32 v14, v39
	v_cndmask_b32_e32 v3, 0, v30, vcc
	v_mad_u64_u32 v[40:41], s[6:7], v13, s49, v[14:15]
	v_add_u32_e32 v3, v3, v18
	v_mov_b32_e32 v14, v41
	v_cmp_lt_u32_e64 s[0:1], 31, v3
	v_mad_u64_u32 v[42:43], s[6:7], v13, s50, v[14:15]
	v_cndmask_b32_e64 v12, 0, v31, s[0:1]
	v_mov_b32_e32 v14, v43
	v_add_u32_e32 v3, v12, v3
	v_mad_u64_u32 v[44:45], s[6:7], v13, s51, v[14:15]
	v_cmp_lt_u32_e64 s[2:3], 31, v3
	v_mov_b32_e32 v14, v45
	v_cndmask_b32_e64 v12, 0, v31, s[2:3]
	v_mad_u64_u32 v[46:47], s[6:7], v13, s52, v[14:15]
	v_add_u32_e32 v3, v12, v3
	v_cndmask_b32_e32 v12, v44, v40, vcc
	v_cndmask_b32_e32 v14, v46, v42, vcc
	;; [unrolled: 1-line block ×3, first 2 shown]
	v_cndmask_b32_e64 v20, v14, v12, s[0:1]
	v_cndmask_b32_e64 v14, v35, v14, s[0:1]
	v_cndmask_b32_e32 v35, v42, v38, vcc
	v_cndmask_b32_e64 v12, v12, v35, s[0:1]
	v_cndmask_b32_e64 v14, v14, v20, s[2:3]
	v_cndmask_b32_e64 v20, v20, v12, s[2:3]
	v_sub_u32_e32 v37, 32, v3
	v_alignbit_b32 v39, v14, v20, v37
	v_cmp_eq_u32_e64 s[6:7], 0, v3
	v_cndmask_b32_e64 v3, v39, v14, s[6:7]
	v_cndmask_b32_e32 v14, v40, v36, vcc
	v_cndmask_b32_e64 v35, v35, v14, s[0:1]
	v_cndmask_b32_e64 v12, v12, v35, s[2:3]
	v_alignbit_b32 v36, v20, v12, v37
	v_cndmask_b32_e32 v34, v38, v34, vcc
	v_cndmask_b32_e64 v20, v36, v20, s[6:7]
	v_bfe_u32 v40, v3, 29, 1
	v_cndmask_b32_e64 v14, v14, v34, s[0:1]
	v_alignbit_b32 v36, v3, v20, 30
	v_sub_u32_e32 v41, 0, v40
	v_cndmask_b32_e64 v14, v35, v14, s[2:3]
	v_xor_b32_e32 v42, v36, v41
	v_alignbit_b32 v34, v12, v14, v37
	v_cndmask_b32_e64 v12, v34, v12, s[6:7]
	v_ffbh_u32_e32 v34, v42
	v_add_u32_e32 v34, 1, v34
	v_cmp_ne_u32_e32 vcc, v36, v41
	v_alignbit_b32 v20, v20, v12, 30
	v_cndmask_b32_e32 v34, 33, v34, vcc
	v_alignbit_b32 v12, v12, v14, 30
	v_xor_b32_e32 v20, v20, v41
	v_sub_u32_e32 v35, 32, v34
	v_xor_b32_e32 v12, v12, v41
	v_alignbit_b32 v36, v42, v20, v35
	v_alignbit_b32 v12, v20, v12, v35
	;; [unrolled: 1-line block ×3, first 2 shown]
	v_ffbh_u32_e32 v20, v14
	v_min_u32_e32 v20, 32, v20
	v_lshrrev_b32_e32 v39, 29, v3
	v_sub_u32_e32 v35, 31, v20
	v_alignbit_b32 v12, v14, v12, v35
	v_lshlrev_b32_e32 v14, 31, v39
	v_or_b32_e32 v35, 0x33800000, v14
	v_add_lshl_u32 v20, v20, v34, 23
	v_lshrrev_b32_e32 v12, 9, v12
	v_sub_u32_e32 v20, v35, v20
	v_or_b32_e32 v12, v20, v12
	v_alignbit_b32 v20, v34, v36, 9
	v_or_b32_e32 v14, v20, v14
	v_xor_b32_e32 v14, 1.0, v14
	v_mul_f32_e32 v20, 0x3fc90fda, v14
	v_fma_f32 v34, v14, s53, -v20
	v_fmac_f32_e32 v34, 0x33a22168, v14
	v_fmac_f32_e32 v34, 0x3fc90fda, v12
	v_lshrrev_b32_e32 v3, 30, v3
	v_add_f32_e32 v12, v20, v34
	v_add_u32_e32 v3, v40, v3
	s_andn2_saveexec_b64 s[0:1], s[36:37]
	s_branch .LBB157_133
.LBB157_132:                            ;   in Loop: Header=BB157_7 Depth=1
	s_andn2_saveexec_b64 s[0:1], s[36:37]
.LBB157_133:                            ;   in Loop: Header=BB157_7 Depth=1
	v_mul_f32_e64 v3, |v5|, s54
	v_rndne_f32_e32 v14, v3
	v_cvt_i32_f32_e32 v3, v14
	v_fma_f32 v12, v14, s55, |v5|
	v_fmac_f32_e32 v12, 0xb3a22168, v14
	v_fmac_f32_e32 v12, 0xa7c234c4, v14
; %bb.134:                              ;   in Loop: Header=BB157_7 Depth=1
	s_or_b64 exec, exec, s[0:1]
                                        ; implicit-def: $vgpr14
                                        ; implicit-def: $vgpr20
	s_and_saveexec_b64 s[0:1], s[34:35]
	s_xor_b64 s[34:35], exec, s[0:1]
	s_cbranch_execz .LBB157_136
; %bb.135:                              ;   in Loop: Header=BB157_7 Depth=1
	v_cmp_lt_u32_e32 vcc, 63, v18
	v_cndmask_b32_e32 v14, 0, v30, vcc
	v_add_u32_e32 v14, v14, v18
	v_cmp_lt_u32_e64 s[0:1], 31, v14
	v_cndmask_b32_e64 v18, 0, v31, s[0:1]
	v_add_u32_e32 v14, v18, v14
	v_cmp_lt_u32_e64 s[2:3], 31, v14
	v_cndmask_b32_e64 v18, 0, v31, s[2:3]
	v_mad_u64_u32 v[34:35], s[6:7], v13, s46, 0
	v_add_u32_e32 v18, v18, v14
	v_mov_b32_e32 v14, v35
	v_mad_u64_u32 v[36:37], s[6:7], v13, s47, v[14:15]
	v_mov_b32_e32 v14, v37
	v_mad_u64_u32 v[38:39], s[6:7], v13, s48, v[14:15]
	;; [unrolled: 2-line block ×6, first 2 shown]
	v_cndmask_b32_e32 v20, v44, v40, vcc
	v_cndmask_b32_e32 v13, v46, v42, vcc
	;; [unrolled: 1-line block ×3, first 2 shown]
	v_cndmask_b32_e64 v14, v13, v20, s[0:1]
	v_cndmask_b32_e64 v13, v35, v13, s[0:1]
	v_cndmask_b32_e32 v35, v42, v38, vcc
	v_cndmask_b32_e64 v20, v20, v35, s[0:1]
	v_sub_u32_e32 v37, 32, v18
	v_cmp_eq_u32_e64 s[6:7], 0, v18
	v_cndmask_b32_e32 v18, v40, v36, vcc
	v_cndmask_b32_e64 v13, v13, v14, s[2:3]
	v_cndmask_b32_e64 v14, v14, v20, s[2:3]
	;; [unrolled: 1-line block ×3, first 2 shown]
	v_alignbit_b32 v39, v13, v14, v37
	v_cndmask_b32_e64 v20, v20, v35, s[2:3]
	v_cndmask_b32_e64 v13, v39, v13, s[6:7]
	v_alignbit_b32 v36, v14, v20, v37
	v_cndmask_b32_e32 v34, v38, v34, vcc
	v_cndmask_b32_e64 v14, v36, v14, s[6:7]
	v_bfe_u32 v40, v13, 29, 1
	v_cndmask_b32_e64 v18, v18, v34, s[0:1]
	v_alignbit_b32 v36, v13, v14, 30
	v_sub_u32_e32 v41, 0, v40
	v_cndmask_b32_e64 v18, v35, v18, s[2:3]
	v_xor_b32_e32 v42, v36, v41
	v_alignbit_b32 v34, v20, v18, v37
	v_cndmask_b32_e64 v20, v34, v20, s[6:7]
	v_ffbh_u32_e32 v34, v42
	v_add_u32_e32 v34, 1, v34
	v_cmp_ne_u32_e32 vcc, v36, v41
	v_alignbit_b32 v14, v14, v20, 30
	v_cndmask_b32_e32 v34, 33, v34, vcc
	v_alignbit_b32 v18, v20, v18, 30
	v_xor_b32_e32 v14, v14, v41
	v_sub_u32_e32 v35, 32, v34
	v_xor_b32_e32 v18, v18, v41
	v_alignbit_b32 v36, v42, v14, v35
	v_alignbit_b32 v14, v14, v18, v35
	;; [unrolled: 1-line block ×3, first 2 shown]
	v_ffbh_u32_e32 v20, v18
	v_min_u32_e32 v20, 32, v20
	v_lshrrev_b32_e32 v39, 29, v13
	v_sub_u32_e32 v35, 31, v20
	v_alignbit_b32 v14, v18, v14, v35
	v_lshlrev_b32_e32 v18, 31, v39
	v_or_b32_e32 v35, 0x33800000, v18
	v_add_lshl_u32 v20, v20, v34, 23
	v_lshrrev_b32_e32 v14, 9, v14
	v_sub_u32_e32 v20, v35, v20
	v_or_b32_e32 v14, v20, v14
	v_alignbit_b32 v20, v34, v36, 9
	v_or_b32_e32 v18, v20, v18
	v_xor_b32_e32 v18, 1.0, v18
	v_mul_f32_e32 v20, 0x3fc90fda, v18
	v_fma_f32 v34, v18, s53, -v20
	v_fmac_f32_e32 v34, 0x33a22168, v18
	v_fmac_f32_e32 v34, 0x3fc90fda, v14
	v_lshrrev_b32_e32 v13, 30, v13
	v_add_f32_e32 v20, v20, v34
	v_add_u32_e32 v14, v40, v13
	s_andn2_saveexec_b64 s[0:1], s[34:35]
	s_cbranch_execnz .LBB157_137
	s_branch .LBB157_138
.LBB157_136:                            ;   in Loop: Header=BB157_7 Depth=1
	s_andn2_saveexec_b64 s[0:1], s[34:35]
.LBB157_137:                            ;   in Loop: Header=BB157_7 Depth=1
	v_mul_f32_e64 v13, |v5|, s54
	v_rndne_f32_e32 v13, v13
	v_cvt_i32_f32_e32 v14, v13
	v_fma_f32 v20, v13, s55, |v5|
	v_fmac_f32_e32 v20, 0xb3a22168, v13
	v_fmac_f32_e32 v20, 0xa7c234c4, v13
.LBB157_138:                            ;   in Loop: Header=BB157_7 Depth=1
	s_or_b64 exec, exec, s[0:1]
	v_mul_f32_e32 v13, v12, v12
	v_mov_b32_e32 v18, 0x3c0881c4
	v_fmac_f32_e32 v18, 0xb94c1982, v13
	v_fma_f32 v18, v13, v18, v27
	v_mul_f32_e32 v18, v13, v18
	v_fmac_f32_e32 v12, v12, v18
	v_mov_b32_e32 v18, 0xbab64f3b
	v_fmac_f32_e32 v18, 0x37d75334, v13
	v_fma_f32 v18, v13, v18, v28
	v_fma_f32 v18, v13, v18, v29
	v_fma_f32 v13, v13, v18, 1.0
	v_and_b32_e32 v18, 1, v3
	v_lshlrev_b32_e32 v3, 30, v3
	v_and_b32_e32 v3, 0x80000000, v3
	v_cmp_eq_u32_e32 vcc, 0, v18
	v_xor_b32_e32 v2, v2, v3
	v_mul_f32_e64 v3, |v4|, s60
	v_cndmask_b32_e32 v12, v13, v12, vcc
	v_rndne_f32_e32 v13, v3
	v_sub_f32_e32 v18, v3, v13
	v_fma_f32 v3, |v4|, s60, -v3
	v_fma_f32 v3, |v4|, s61, v3
	v_add_f32_e32 v3, v18, v3
	v_exp_f32_e32 v3, v3
	v_cvt_i32_f32_e32 v13, v13
	v_xor_b32_e32 v2, v2, v12
	v_cmp_ngt_f32_e64 vcc, |v4|, s62
	v_xor_b32_e32 v2, v2, v5
	v_ldexp_f32 v3, v3, v13
	v_cndmask_b32_e32 v3, 0, v3, vcc
	v_cmp_nlt_f32_e64 vcc, |v4|, s63
	v_bfi_b32 v12, s41, 1.0, v4
	v_mul_f32_e32 v4, v20, v20
	v_mov_b32_e32 v5, 0x3c0881c4
	v_fmac_f32_e32 v5, 0xb94c1982, v4
	v_fma_f32 v5, v4, v5, v27
	v_mul_f32_e32 v5, v4, v5
	v_fmac_f32_e32 v20, v20, v5
	v_mov_b32_e32 v5, 0xbab64f3b
	v_fmac_f32_e32 v5, 0x37d75334, v4
	v_fma_f32 v5, v4, v5, v28
	v_fma_f32 v5, v4, v5, v29
	v_fma_f32 v4, v4, v5, 1.0
	v_and_b32_e32 v5, 1, v14
	v_cndmask_b32_e32 v3, v32, v3, vcc
	v_cmp_eq_u32_e32 vcc, 0, v5
	v_lshlrev_b32_e32 v5, 30, v14
	v_cndmask_b32_e64 v4, -v20, v4, vcc
	v_and_b32_e32 v5, 0x80000000, v5
	v_mul_f32_e32 v2, 4.0, v2
	v_xor_b32_e32 v4, v5, v4
	v_mul_f32_e32 v2, v2, v4
	v_mul_f32_e32 v2, v3, v2
	;; [unrolled: 1-line block ×3, first 2 shown]
.LBB157_139:                            ;   in Loop: Header=BB157_7 Depth=1
	s_or_b64 exec, exec, s[30:31]
                                        ; implicit-def: $vgpr2_vgpr3_vgpr4_vgpr5
.LBB157_140:                            ;   in Loop: Header=BB157_7 Depth=1
	s_andn2_saveexec_b64 s[0:1], s[28:29]
; %bb.141:                              ;   in Loop: Header=BB157_7 Depth=1
	v_sub_f32_e32 v13, v5, v5
	v_mov_b32_e32 v12, v13
; %bb.142:                              ;   in Loop: Header=BB157_7 Depth=1
	s_or_b64 exec, exec, s[0:1]
                                        ; implicit-def: $vgpr4
.LBB157_143:                            ;   in Loop: Header=BB157_7 Depth=1
	s_andn2_saveexec_b64 s[26:27], s[26:27]
	s_cbranch_execz .LBB157_6
; %bb.144:                              ;   in Loop: Header=BB157_7 Depth=1
	v_and_b32_e32 v2, 0x7fffff, v4
	v_cmp_ne_u32_e32 vcc, 0, v2
	s_and_saveexec_b64 s[0:1], vcc
	s_xor_b64 s[0:1], exec, s[0:1]
; %bb.145:                              ;   in Loop: Header=BB157_7 Depth=1
	v_mul_f32_e32 v2, v4, v5
	v_cmp_eq_f32_e32 vcc, 0, v5
	v_cndmask_b32_e32 v13, v2, v5, vcc
; %bb.146:                              ;   in Loop: Header=BB157_7 Depth=1
	s_andn2_saveexec_b64 s[28:29], s[0:1]
	s_cbranch_execz .LBB157_5
; %bb.147:                              ;   in Loop: Header=BB157_7 Depth=1
	v_cmp_neq_f32_e64 s[0:1], |v5|, s42
	s_and_saveexec_b64 s[30:31], s[0:1]
	s_cbranch_execz .LBB157_4
; %bb.148:                              ;   in Loop: Header=BB157_7 Depth=1
	v_and_b32_e32 v2, 0x7fffffff, v5
	v_lshrrev_b32_e32 v3, 23, v2
	v_and_b32_e32 v12, 0x7fffff, v2
	v_cmp_nlt_f32_e64 s[34:35], |v5|, s45
	v_add_u32_e32 v18, 0xffffff88, v3
	v_or_b32_e32 v13, 0x800000, v12
                                        ; implicit-def: $vgpr3
                                        ; implicit-def: $vgpr12
	s_and_saveexec_b64 s[0:1], s[34:35]
	s_xor_b64 s[36:37], exec, s[0:1]
	s_cbranch_execz .LBB157_150
; %bb.149:                              ;   in Loop: Header=BB157_7 Depth=1
	v_mad_u64_u32 v[34:35], s[6:7], v13, s46, 0
	v_mov_b32_e32 v14, v35
	v_mad_u64_u32 v[36:37], s[6:7], v13, s47, v[14:15]
	v_mov_b32_e32 v14, v37
	v_mad_u64_u32 v[38:39], s[6:7], v13, s48, v[14:15]
	v_cmp_lt_u32_e32 vcc, 63, v18
	v_mov_b32_e32 v14, v39
	v_cndmask_b32_e32 v3, 0, v30, vcc
	v_mad_u64_u32 v[40:41], s[6:7], v13, s49, v[14:15]
	v_add_u32_e32 v3, v3, v18
	v_mov_b32_e32 v14, v41
	v_cmp_lt_u32_e64 s[0:1], 31, v3
	v_mad_u64_u32 v[42:43], s[6:7], v13, s50, v[14:15]
	v_cndmask_b32_e64 v12, 0, v31, s[0:1]
	v_mov_b32_e32 v14, v43
	v_add_u32_e32 v3, v12, v3
	v_mad_u64_u32 v[44:45], s[6:7], v13, s51, v[14:15]
	v_cmp_lt_u32_e64 s[2:3], 31, v3
	v_mov_b32_e32 v14, v45
	v_cndmask_b32_e64 v12, 0, v31, s[2:3]
	v_mad_u64_u32 v[46:47], s[6:7], v13, s52, v[14:15]
	v_add_u32_e32 v3, v12, v3
	v_cndmask_b32_e32 v12, v44, v40, vcc
	v_cndmask_b32_e32 v14, v46, v42, vcc
	;; [unrolled: 1-line block ×3, first 2 shown]
	v_cndmask_b32_e64 v20, v14, v12, s[0:1]
	v_cndmask_b32_e64 v14, v35, v14, s[0:1]
	v_cndmask_b32_e32 v35, v42, v38, vcc
	v_cndmask_b32_e64 v12, v12, v35, s[0:1]
	v_cndmask_b32_e64 v14, v14, v20, s[2:3]
	;; [unrolled: 1-line block ×3, first 2 shown]
	v_sub_u32_e32 v37, 32, v3
	v_alignbit_b32 v39, v14, v20, v37
	v_cmp_eq_u32_e64 s[6:7], 0, v3
	v_cndmask_b32_e64 v3, v39, v14, s[6:7]
	v_cndmask_b32_e32 v14, v40, v36, vcc
	v_cndmask_b32_e64 v35, v35, v14, s[0:1]
	v_cndmask_b32_e64 v12, v12, v35, s[2:3]
	v_alignbit_b32 v36, v20, v12, v37
	v_cndmask_b32_e32 v34, v38, v34, vcc
	v_cndmask_b32_e64 v20, v36, v20, s[6:7]
	v_bfe_u32 v40, v3, 29, 1
	v_cndmask_b32_e64 v14, v14, v34, s[0:1]
	v_alignbit_b32 v36, v3, v20, 30
	v_sub_u32_e32 v41, 0, v40
	v_cndmask_b32_e64 v14, v35, v14, s[2:3]
	v_xor_b32_e32 v42, v36, v41
	v_alignbit_b32 v34, v12, v14, v37
	v_cndmask_b32_e64 v12, v34, v12, s[6:7]
	v_ffbh_u32_e32 v34, v42
	v_add_u32_e32 v34, 1, v34
	v_cmp_ne_u32_e32 vcc, v36, v41
	v_alignbit_b32 v20, v20, v12, 30
	v_cndmask_b32_e32 v34, 33, v34, vcc
	v_alignbit_b32 v12, v12, v14, 30
	v_xor_b32_e32 v20, v20, v41
	v_sub_u32_e32 v35, 32, v34
	v_xor_b32_e32 v12, v12, v41
	v_alignbit_b32 v36, v42, v20, v35
	v_alignbit_b32 v12, v20, v12, v35
	;; [unrolled: 1-line block ×3, first 2 shown]
	v_ffbh_u32_e32 v20, v14
	v_min_u32_e32 v20, 32, v20
	v_lshrrev_b32_e32 v39, 29, v3
	v_sub_u32_e32 v35, 31, v20
	v_alignbit_b32 v12, v14, v12, v35
	v_lshlrev_b32_e32 v14, 31, v39
	v_or_b32_e32 v35, 0x33800000, v14
	v_add_lshl_u32 v20, v20, v34, 23
	v_lshrrev_b32_e32 v12, 9, v12
	v_sub_u32_e32 v20, v35, v20
	v_or_b32_e32 v12, v20, v12
	v_alignbit_b32 v20, v34, v36, 9
	v_or_b32_e32 v14, v20, v14
	v_xor_b32_e32 v14, 1.0, v14
	v_mul_f32_e32 v20, 0x3fc90fda, v14
	v_fma_f32 v34, v14, s53, -v20
	v_fmac_f32_e32 v34, 0x33a22168, v14
	v_fmac_f32_e32 v34, 0x3fc90fda, v12
	v_lshrrev_b32_e32 v3, 30, v3
	v_add_f32_e32 v12, v20, v34
	v_add_u32_e32 v3, v40, v3
.LBB157_150:                            ;   in Loop: Header=BB157_7 Depth=1
	s_or_saveexec_b64 s[0:1], s[36:37]
	v_mul_f32_e64 v14, |v5|, s54
	v_rndne_f32_e32 v34, v14
	s_xor_b64 exec, exec, s[0:1]
; %bb.151:                              ;   in Loop: Header=BB157_7 Depth=1
	v_cvt_i32_f32_e32 v3, v34
	v_fma_f32 v12, v34, s55, |v5|
	v_fmac_f32_e32 v12, 0xb3a22168, v34
	v_fmac_f32_e32 v12, 0xa7c234c4, v34
; %bb.152:                              ;   in Loop: Header=BB157_7 Depth=1
	s_or_b64 exec, exec, s[0:1]
                                        ; implicit-def: $vgpr14
                                        ; implicit-def: $vgpr20
	s_and_saveexec_b64 s[0:1], s[34:35]
	s_xor_b64 s[34:35], exec, s[0:1]
	s_cbranch_execz .LBB157_154
; %bb.153:                              ;   in Loop: Header=BB157_7 Depth=1
	v_cmp_lt_u32_e32 vcc, 63, v18
	v_cndmask_b32_e32 v14, 0, v30, vcc
	v_add_u32_e32 v14, v14, v18
	v_cmp_lt_u32_e64 s[0:1], 31, v14
	v_cndmask_b32_e64 v18, 0, v31, s[0:1]
	v_add_u32_e32 v14, v18, v14
	v_cmp_lt_u32_e64 s[2:3], 31, v14
	v_cndmask_b32_e64 v18, 0, v31, s[2:3]
	v_mad_u64_u32 v[34:35], s[6:7], v13, s46, 0
	v_add_u32_e32 v18, v18, v14
	v_mov_b32_e32 v14, v35
	v_mad_u64_u32 v[36:37], s[6:7], v13, s47, v[14:15]
	v_mov_b32_e32 v14, v37
	v_mad_u64_u32 v[38:39], s[6:7], v13, s48, v[14:15]
	;; [unrolled: 2-line block ×6, first 2 shown]
	v_cndmask_b32_e32 v20, v44, v40, vcc
	v_cndmask_b32_e32 v13, v46, v42, vcc
	;; [unrolled: 1-line block ×3, first 2 shown]
	v_cndmask_b32_e64 v14, v13, v20, s[0:1]
	v_cndmask_b32_e64 v13, v35, v13, s[0:1]
	v_cndmask_b32_e32 v35, v42, v38, vcc
	v_cndmask_b32_e64 v20, v20, v35, s[0:1]
	v_sub_u32_e32 v37, 32, v18
	v_cmp_eq_u32_e64 s[6:7], 0, v18
	v_cndmask_b32_e32 v18, v40, v36, vcc
	v_cndmask_b32_e64 v13, v13, v14, s[2:3]
	v_cndmask_b32_e64 v14, v14, v20, s[2:3]
	;; [unrolled: 1-line block ×3, first 2 shown]
	v_alignbit_b32 v39, v13, v14, v37
	v_cndmask_b32_e64 v20, v20, v35, s[2:3]
	v_cndmask_b32_e64 v13, v39, v13, s[6:7]
	v_alignbit_b32 v36, v14, v20, v37
	v_cndmask_b32_e32 v34, v38, v34, vcc
	v_cndmask_b32_e64 v14, v36, v14, s[6:7]
	v_bfe_u32 v40, v13, 29, 1
	v_cndmask_b32_e64 v18, v18, v34, s[0:1]
	v_alignbit_b32 v36, v13, v14, 30
	v_sub_u32_e32 v41, 0, v40
	v_cndmask_b32_e64 v18, v35, v18, s[2:3]
	v_xor_b32_e32 v42, v36, v41
	v_alignbit_b32 v34, v20, v18, v37
	v_cndmask_b32_e64 v20, v34, v20, s[6:7]
	v_ffbh_u32_e32 v34, v42
	v_add_u32_e32 v34, 1, v34
	v_cmp_ne_u32_e32 vcc, v36, v41
	v_alignbit_b32 v14, v14, v20, 30
	v_cndmask_b32_e32 v34, 33, v34, vcc
	v_alignbit_b32 v18, v20, v18, 30
	v_xor_b32_e32 v14, v14, v41
	v_sub_u32_e32 v35, 32, v34
	v_xor_b32_e32 v18, v18, v41
	v_alignbit_b32 v36, v42, v14, v35
	v_alignbit_b32 v14, v14, v18, v35
	;; [unrolled: 1-line block ×3, first 2 shown]
	v_ffbh_u32_e32 v20, v18
	v_min_u32_e32 v20, 32, v20
	v_lshrrev_b32_e32 v39, 29, v13
	v_sub_u32_e32 v35, 31, v20
	v_alignbit_b32 v14, v18, v14, v35
	v_lshlrev_b32_e32 v18, 31, v39
	v_or_b32_e32 v35, 0x33800000, v18
	v_add_lshl_u32 v20, v20, v34, 23
	v_lshrrev_b32_e32 v14, 9, v14
	v_sub_u32_e32 v20, v35, v20
	v_or_b32_e32 v14, v20, v14
	v_alignbit_b32 v20, v34, v36, 9
	v_or_b32_e32 v18, v20, v18
	v_xor_b32_e32 v18, 1.0, v18
	v_mul_f32_e32 v20, 0x3fc90fda, v18
	v_fma_f32 v34, v18, s53, -v20
	v_fmac_f32_e32 v34, 0x33a22168, v18
	v_fmac_f32_e32 v34, 0x3fc90fda, v14
	v_lshrrev_b32_e32 v13, 30, v13
	v_add_f32_e32 v20, v20, v34
	v_add_u32_e32 v14, v40, v13
                                        ; implicit-def: $vgpr34
	s_andn2_saveexec_b64 s[0:1], s[34:35]
	s_cbranch_execz .LBB157_3
	s_branch .LBB157_155
.LBB157_154:                            ;   in Loop: Header=BB157_7 Depth=1
	s_andn2_saveexec_b64 s[0:1], s[34:35]
	s_cbranch_execz .LBB157_3
.LBB157_155:                            ;   in Loop: Header=BB157_7 Depth=1
	v_cvt_i32_f32_e32 v14, v34
	v_fma_f32 v20, v34, s55, |v5|
	v_fmac_f32_e32 v20, 0xb3a22168, v34
	v_fmac_f32_e32 v20, 0xa7c234c4, v34
	s_branch .LBB157_3
.LBB157_156:
	s_or_b64 exec, exec, s[18:19]
	s_mov_b64 s[0:1], 0
.LBB157_157:
	s_andn2_b64 vcc, exec, s[0:1]
	s_cbranch_vccnz .LBB157_329
; %bb.158:
	v_cmp_lt_i64_e64 s[0:1], s[16:17], 1
	s_and_b64 vcc, exec, s[0:1]
	s_cbranch_vccnz .LBB157_329
; %bb.159:
	s_load_dword s0, s[4:5], 0xc5c
	v_mov_b32_e32 v4, 0x10000
	v_mov_b32_e32 v5, 0
	v_cmp_lt_u64_e32 vcc, s[16:17], v[4:5]
	v_lshlrev_b32_e32 v2, 3, v0
	s_waitcnt lgkmcnt(0)
	s_and_b32 s2, s0, 0xffff
	s_and_b64 s[0:1], vcc, exec
	v_mov_b32_e32 v15, s11
	v_add_co_u32_e32 v4, vcc, s10, v2
	v_addc_co_u32_e32 v1, vcc, 0, v15, vcc
	v_mov_b32_e32 v3, 0
	v_mov_b32_e32 v17, s9
	v_add_co_u32_e32 v6, vcc, s8, v2
	v_addc_co_u32_e32 v5, vcc, 0, v17, vcc
	v_mad_u64_u32 v[10:11], s[0:1], s2, 24, v[2:3]
	v_add_co_u32_e32 v8, vcc, s10, v10
	v_addc_co_u32_e32 v7, vcc, v15, v11, vcc
	v_add_co_u32_e32 v10, vcc, s8, v10
	s_mul_i32 s4, s2, 3
	v_addc_co_u32_e32 v9, vcc, v17, v11, vcc
	v_add_co_u32_e32 v19, vcc, s4, v0
	v_addc_co_u32_e64 v32, s[0:1], 0, 0, vcc
	s_cselect_b32 s19, s17, 0
	s_cselect_b32 s18, s16, 0x10000
	s_lshl_b32 s0, s2, 4
	v_add_co_u32_e32 v2, vcc, s0, v2
	v_addc_co_u32_e64 v13, s[0:1], 0, 0, vcc
	v_add_co_u32_e32 v12, vcc, s10, v2
	v_addc_co_u32_e32 v11, vcc, v15, v13, vcc
	v_add_co_u32_e32 v14, vcc, s8, v2
	s_lshl_b32 s3, s2, 1
	v_addc_co_u32_e32 v13, vcc, v17, v13, vcc
	v_add_co_u32_e32 v33, vcc, s3, v0
	v_addc_co_u32_e64 v34, s[0:1], 0, 0, vcc
	v_add_co_u32_e32 v35, vcc, s2, v0
	v_lshlrev_b32_e32 v2, 3, v35
	v_addc_co_u32_e64 v36, s[0:1], 0, 0, vcc
	v_add_co_u32_e32 v16, vcc, s10, v2
	v_addc_co_u32_e32 v15, vcc, 0, v15, vcc
	v_add_co_u32_e32 v18, vcc, s8, v2
	s_mov_b32 s22, 0
	s_lshl_b32 s33, s2, 2
	s_lshl_b32 s36, s2, 5
	v_addc_co_u32_e32 v17, vcc, 0, v17, vcc
	s_mov_b64 s[20:21], 0
	s_brev_b32 s37, -2
	s_mov_b32 s38, 0x7f800000
	s_movk_i32 s39, 0x1f8
	s_mov_b32 s40, 0x41300000
	s_brev_b32 s41, 18
	s_mov_b32 s42, 0xfe5163ab
	s_mov_b32 s43, 0x3c439041
	;; [unrolled: 1-line block ×10, first 2 shown]
	v_mov_b32_e32 v37, 0x3f93f425
	s_mov_b32 s52, 0xbf317218
	v_mov_b32_e32 v21, 0x3f317218
	v_mov_b32_e32 v38, 0x3d2aadcc
	;; [unrolled: 1-line block ×4, first 2 shown]
	s_mov_b32 s23, -1.0
	s_mov_b32 s53, 0x42b2d4fc
	s_mov_b32 s54, 0x39800000
	;; [unrolled: 1-line block ×3, first 2 shown]
	v_mov_b32_e32 v41, 0x260
	v_mov_b32_e32 v42, 0xbe2aaa9d
	;; [unrolled: 1-line block ×4, first 2 shown]
	s_mov_b32 s56, 0xbfb8aa3b
	s_mov_b32 s57, 0xb2a5705f
	;; [unrolled: 1-line block ×4, first 2 shown]
	v_not_b32_e32 v45, 63
	v_not_b32_e32 v46, 31
	v_mov_b32_e32 v23, -1.0
	v_mov_b32_e32 v47, 0x7f800000
	v_mov_b32_e32 v48, 0x7fc00000
	s_branch .LBB157_161
.LBB157_160:                            ;   in Loop: Header=BB157_161 Depth=1
	s_or_b64 exec, exec, s[0:1]
	s_add_u32 s20, s20, s33
	s_addc_u32 s21, s21, 0
	v_pk_mov_b32 v[24:25], s[16:17], s[16:17] op_sel:[0,1]
	v_cmp_ge_i64_e32 vcc, s[20:21], v[24:25]
	v_mov_b32_e32 v24, 0xffff
	v_mov_b32_e32 v25, 0
	v_cmp_gt_u64_e64 s[0:1], s[20:21], v[24:25]
	s_or_b64 s[0:1], vcc, s[0:1]
	v_mov_b32_e32 v2, s22
	v_add_co_u32_e32 v4, vcc, s36, v4
	v_addc_co_u32_e32 v1, vcc, v1, v2, vcc
	v_add_co_u32_e32 v6, vcc, s36, v6
	v_addc_co_u32_e32 v5, vcc, v5, v2, vcc
	;; [unrolled: 2-line block ×8, first 2 shown]
	s_and_b64 vcc, exec, s[0:1]
	s_cbranch_vccnz .LBB157_329
.LBB157_161:                            ; =>This Inner Loop Header: Depth=1
	v_mov_b32_e32 v2, s21
	v_add_co_u32_e32 v24, vcc, s20, v0
	v_addc_co_u32_e32 v25, vcc, 0, v2, vcc
	v_cmp_gt_u64_e64 s[0:1], s[18:19], v[24:25]
	v_mov_b32_e32 v26, 0
	v_mov_b32_e32 v27, 0
	s_and_saveexec_b64 s[2:3], s[0:1]
	s_cbranch_execz .LBB157_163
; %bb.162:                              ;   in Loop: Header=BB157_161 Depth=1
	v_mov_b32_e32 v2, s15
	v_add_co_u32_e32 v24, vcc, s14, v4
	v_addc_co_u32_e32 v25, vcc, v1, v2, vcc
	global_load_dwordx2 v[26:27], v[24:25], off
.LBB157_163:                            ;   in Loop: Header=BB157_161 Depth=1
	s_or_b64 exec, exec, s[2:3]
	v_mov_b32_e32 v2, s21
	v_add_co_u32_e32 v24, vcc, s20, v35
	v_addc_co_u32_e32 v25, vcc, v36, v2, vcc
	v_cmp_gt_u64_e64 s[2:3], s[18:19], v[24:25]
	v_mov_b32_e32 v24, 0
	v_mov_b32_e32 v28, 0
	;; [unrolled: 1-line block ×3, first 2 shown]
	s_and_saveexec_b64 s[4:5], s[2:3]
	s_cbranch_execz .LBB157_165
; %bb.164:                              ;   in Loop: Header=BB157_161 Depth=1
	v_mov_b32_e32 v2, s15
	v_add_co_u32_e32 v28, vcc, s14, v16
	v_addc_co_u32_e32 v29, vcc, v15, v2, vcc
	global_load_dwordx2 v[28:29], v[28:29], off
.LBB157_165:                            ;   in Loop: Header=BB157_161 Depth=1
	s_or_b64 exec, exec, s[4:5]
	v_mov_b32_e32 v2, s21
	v_add_co_u32_e32 v30, vcc, s20, v33
	v_addc_co_u32_e32 v31, vcc, v34, v2, vcc
	v_cmp_gt_u64_e64 s[4:5], s[18:19], v[30:31]
	v_mov_b32_e32 v25, 0
	s_and_saveexec_b64 s[6:7], s[4:5]
	s_cbranch_execz .LBB157_167
; %bb.166:                              ;   in Loop: Header=BB157_161 Depth=1
	v_mov_b32_e32 v2, s15
	v_add_co_u32_e32 v24, vcc, s14, v12
	v_addc_co_u32_e32 v25, vcc, v11, v2, vcc
	global_load_dwordx2 v[24:25], v[24:25], off
.LBB157_167:                            ;   in Loop: Header=BB157_161 Depth=1
	s_or_b64 exec, exec, s[6:7]
	v_mov_b32_e32 v2, s21
	v_add_co_u32_e32 v30, vcc, s20, v19
	v_addc_co_u32_e32 v31, vcc, v32, v2, vcc
	v_cmp_gt_u64_e64 s[6:7], s[18:19], v[30:31]
	v_mov_b32_e32 v30, 0
	v_mov_b32_e32 v31, 0
	s_and_saveexec_b64 s[8:9], s[6:7]
	s_cbranch_execz .LBB157_169
; %bb.168:                              ;   in Loop: Header=BB157_161 Depth=1
	v_mov_b32_e32 v2, s15
	v_add_co_u32_e32 v30, vcc, s14, v8
	v_addc_co_u32_e32 v31, vcc, v7, v2, vcc
	global_load_dwordx2 v[30:31], v[30:31], off
.LBB157_169:                            ;   in Loop: Header=BB157_161 Depth=1
	s_or_b64 exec, exec, s[8:9]
	s_waitcnt vmcnt(0)
	v_and_b32_e32 v20, 0x7fffffff, v26
	v_cmp_gt_u32_e32 vcc, s38, v20
	s_and_saveexec_b64 s[8:9], vcc
	s_xor_b64 s[24:25], exec, s[8:9]
	s_cbranch_execz .LBB157_190
; %bb.170:                              ;   in Loop: Header=BB157_161 Depth=1
	v_cmp_class_f32_e64 s[8:9], v27, s39
	s_and_saveexec_b64 s[10:11], s[8:9]
	s_xor_b64 s[26:27], exec, s[10:11]
	s_cbranch_execz .LBB157_187
; %bb.171:                              ;   in Loop: Header=BB157_161 Depth=1
	v_and_b32_e32 v49, 0x7fffffff, v27
	v_cmp_gt_u32_e32 vcc, s40, v20
	s_and_saveexec_b64 s[8:9], vcc
	s_xor_b64 s[28:29], exec, s[8:9]
	s_cbranch_execz .LBB157_177
; %bb.172:                              ;   in Loop: Header=BB157_161 Depth=1
	v_cmp_nlt_f32_e64 s[8:9], |v27|, s41
                                        ; implicit-def: $vgpr22
                                        ; implicit-def: $vgpr2
	s_and_saveexec_b64 s[10:11], s[8:9]
	s_xor_b64 s[30:31], exec, s[10:11]
	s_cbranch_execz .LBB157_174
; %bb.173:                              ;   in Loop: Header=BB157_161 Depth=1
	v_lshrrev_b32_e32 v2, 23, v49
	v_add_u32_e32 v2, 0xffffff88, v2
	v_cmp_lt_u32_e32 vcc, 63, v2
	v_cndmask_b32_e32 v22, 0, v45, vcc
	v_add_u32_e32 v2, v22, v2
	v_cmp_lt_u32_e64 s[8:9], 31, v2
	v_cndmask_b32_e64 v22, 0, v46, s[8:9]
	v_add_u32_e32 v2, v22, v2
	v_cmp_lt_u32_e64 s[10:11], 31, v2
	v_cndmask_b32_e64 v22, 0, v46, s[10:11]
	v_add_u32_e32 v22, v22, v2
	v_and_b32_e32 v2, 0x7fffff, v49
	v_or_b32_e32 v62, 0x800000, v2
	v_mad_u64_u32 v[50:51], s[12:13], v62, s42, 0
	v_mov_b32_e32 v2, v51
	v_mad_u64_u32 v[52:53], s[12:13], v62, s43, v[2:3]
	v_mov_b32_e32 v2, v53
	;; [unrolled: 2-line block ×6, first 2 shown]
	v_mad_u64_u32 v[62:63], s[12:13], v62, s48, v[2:3]
	v_cndmask_b32_e32 v51, v60, v56, vcc
	v_cndmask_b32_e32 v2, v62, v58, vcc
	v_cndmask_b32_e32 v55, v63, v60, vcc
	v_cndmask_b32_e64 v53, v2, v51, s[8:9]
	v_cndmask_b32_e64 v2, v55, v2, s[8:9]
	v_cndmask_b32_e32 v55, v58, v54, vcc
	v_cndmask_b32_e64 v51, v51, v55, s[8:9]
	v_cndmask_b32_e64 v2, v2, v53, s[10:11]
	;; [unrolled: 1-line block ×3, first 2 shown]
	v_sub_u32_e32 v57, 32, v22
	v_alignbit_b32 v58, v2, v53, v57
	v_cmp_eq_u32_e64 s[12:13], 0, v22
	v_cndmask_b32_e64 v22, v58, v2, s[12:13]
	v_cndmask_b32_e32 v2, v56, v52, vcc
	v_cndmask_b32_e64 v52, v55, v2, s[8:9]
	v_cndmask_b32_e64 v51, v51, v52, s[10:11]
	v_alignbit_b32 v55, v53, v51, v57
	v_cndmask_b32_e64 v53, v55, v53, s[12:13]
	v_bfe_u32 v58, v22, 29, 1
	v_cndmask_b32_e32 v50, v54, v50, vcc
	v_alignbit_b32 v55, v22, v53, 30
	v_sub_u32_e32 v59, 0, v58
	v_cndmask_b32_e64 v2, v2, v50, s[8:9]
	v_xor_b32_e32 v60, v55, v59
	v_cndmask_b32_e64 v2, v52, v2, s[10:11]
	v_alignbit_b32 v50, v51, v2, v57
	v_ffbh_u32_e32 v52, v60
	v_cndmask_b32_e64 v50, v50, v51, s[12:13]
	v_add_u32_e32 v52, 1, v52
	v_cmp_ne_u32_e32 vcc, v55, v59
	v_alignbit_b32 v51, v53, v50, 30
	v_cndmask_b32_e32 v52, 33, v52, vcc
	v_alignbit_b32 v2, v50, v2, 30
	v_xor_b32_e32 v51, v51, v59
	v_sub_u32_e32 v53, 32, v52
	v_xor_b32_e32 v2, v2, v59
	v_alignbit_b32 v54, v60, v51, v53
	v_alignbit_b32 v2, v51, v2, v53
	v_alignbit_b32 v50, v54, v2, 9
	v_ffbh_u32_e32 v51, v50
	v_min_u32_e32 v51, 32, v51
	v_lshrrev_b32_e32 v56, 29, v22
	v_sub_u32_e32 v53, 31, v51
	v_alignbit_b32 v2, v50, v2, v53
	v_lshlrev_b32_e32 v50, 31, v56
	v_or_b32_e32 v53, 0x33800000, v50
	v_add_lshl_u32 v51, v51, v52, 23
	v_lshrrev_b32_e32 v2, 9, v2
	v_sub_u32_e32 v51, v53, v51
	v_or_b32_e32 v2, v51, v2
	v_alignbit_b32 v51, v52, v54, 9
	v_or_b32_e32 v50, v51, v50
	v_xor_b32_e32 v50, 1.0, v50
	v_mul_f32_e32 v51, 0x3fc90fda, v50
	v_fma_f32 v52, v50, s49, -v51
	v_fmac_f32_e32 v52, 0x33a22168, v50
	v_fmac_f32_e32 v52, 0x3fc90fda, v2
	v_lshrrev_b32_e32 v22, 30, v22
	v_add_f32_e32 v2, v51, v52
	v_add_u32_e32 v22, v58, v22
.LBB157_174:                            ;   in Loop: Header=BB157_161 Depth=1
	s_andn2_saveexec_b64 s[8:9], s[30:31]
; %bb.175:                              ;   in Loop: Header=BB157_161 Depth=1
	v_mul_f32_e64 v2, |v27|, s50
	v_rndne_f32_e32 v50, v2
	v_cvt_i32_f32_e32 v22, v50
	v_fma_f32 v2, v50, s51, |v27|
	v_fmac_f32_e32 v2, 0xb3a22168, v50
	v_fmac_f32_e32 v2, 0xa7c234c4, v50
; %bb.176:                              ;   in Loop: Header=BB157_161 Depth=1
	s_or_b64 exec, exec, s[8:9]
	v_mul_f32_e32 v50, v2, v2
	v_mov_b32_e32 v51, 0xbf039337
	v_fmac_f32_e32 v51, 0x3c971480, v50
	v_fma_f32 v51, v50, v51, v37
	v_rcp_f32_e32 v51, v51
	v_mov_b32_e32 v52, 0x3ec54587
	v_fmac_f32_e32 v52, 0xbc8cedd3, v50
	v_and_b32_e32 v22, 1, v22
	v_mul_f32_e32 v51, v52, v51
	v_mul_f32_e32 v50, v50, v51
	v_fma_f32 v51, v50, v2, v2
	v_rcp_f32_e32 v52, v51
	v_sub_f32_e32 v53, v51, v2
	v_fma_f32 v2, v50, v2, -v53
	v_cmp_eq_u32_e32 vcc, 0, v22
	v_fma_f32 v50, v51, -v52, 1.0
	v_fma_f32 v2, v2, -v52, v50
	v_fma_f32 v2, v2, -v52, -v52
	v_add_f32_e64 v22, |v26|, s52
	v_cndmask_b32_e32 v2, v2, v51, vcc
	v_sub_f32_e64 v51, v22, |v26|
	v_sub_f32_e32 v50, v51, v22
	v_pk_add_f32 v[50:51], v[20:21], v[50:51]
	v_sub_f32_e32 v20, v50, v51
	v_add_f32_e32 v20, 0x3102e308, v20
	v_add_f32_e32 v50, v22, v20
	v_sub_f32_e32 v22, v22, v50
	v_add_f32_e32 v20, v20, v22
	v_mul_f32_e32 v22, 0x3fb8aa3b, v50
	v_rndne_f32_e32 v58, v22
	v_fmac_f32_e32 v50, 0xbf317200, v58
	v_add_f32_e32 v22, v20, v50
	v_sub_f32_e32 v50, v50, v22
	v_add_f32_e32 v20, v20, v50
	v_mul_f32_e32 v50, 0x35bfbc00, v58
	v_sub_f32_e32 v52, v22, v50
	v_sub_f32_e32 v22, v22, v52
	;; [unrolled: 1-line block ×3, first 2 shown]
	v_add_f32_e32 v20, v20, v22
	v_add_f32_e32 v53, v52, v20
	v_mul_f32_e32 v51, 0x2ea39ef3, v58
	v_mov_b32_e32 v50, v53
	v_pk_add_f32 v[54:55], v[52:53], v[50:51] neg_lo:[0,1] neg_hi:[0,1]
	v_sub_f32_e32 v22, v53, v55
	v_sub_f32_e32 v22, v22, v51
	v_add_f32_e32 v20, v20, v54
	v_add_f32_e32 v20, v20, v22
	;; [unrolled: 1-line block ×3, first 2 shown]
	v_sub_f32_e32 v51, v55, v50
	v_mov_b32_e32 v22, 0x3c091de6
	v_add_f32_e32 v20, v20, v51
	v_mul_f32_e32 v52, v50, v50
	v_fmac_f32_e32 v22, 0x3ab42872, v50
	v_add_f32_e32 v51, v20, v20
	v_fma_f32 v53, v50, v50, -v52
	v_fma_f32 v22, v50, v22, v38
	v_fmac_f32_e32 v53, v50, v51
	v_fma_f32 v22, v50, v22, v39
	v_add_f32_e32 v51, v52, v53
	v_fma_f32 v22, v50, v22, v40
	v_sub_f32_e32 v52, v51, v52
	v_sub_f32_e32 v52, v53, v52
	v_mul_f32_e32 v53, v22, v51
	v_fma_f32 v51, v51, v22, -v53
	v_fmac_f32_e32 v51, v52, v22
	v_add_f32_e32 v52, v53, v51
	v_sub_f32_e32 v22, v52, v53
	v_sub_f32_e32 v51, v51, v22
	v_add_f32_e32 v22, v50, v52
	v_sub_f32_e32 v50, v22, v50
	v_sub_f32_e32 v50, v52, v50
	v_add_f32_e32 v20, v20, v51
	v_add_f32_e32 v50, v20, v50
	;; [unrolled: 1-line block ×3, first 2 shown]
	v_add_f32_e32 v53, 1.0, v52
	v_pk_add_f32 v[54:55], v[52:53], v[22:23] neg_lo:[0,1] neg_hi:[0,1]
	v_pk_add_f32 v[56:57], v[52:53], s[22:23]
	v_mov_b32_e32 v55, v57
	v_mov_b32_e32 v51, v52
	v_cvt_i32_f32_e32 v20, v58
	v_pk_add_f32 v[50:51], v[50:51], v[54:55] neg_lo:[0,1] neg_hi:[0,1]
	v_add_f32_e32 v22, v50, v51
	v_add_f32_e32 v50, v53, v22
	v_ldexp_f32 v51, v50, v20
	v_rcp_f32_e32 v52, v51
	v_sub_f32_e32 v50, v50, v53
	v_sub_f32_e32 v22, v22, v50
	v_ldexp_f32 v20, v22, v20
	v_mul_f32_e32 v22, v51, v52
	v_fma_f32 v50, v52, v51, -v22
	v_fmac_f32_e32 v50, v52, v20
	v_add_f32_e32 v53, v22, v50
	v_sub_f32_e32 v54, 1.0, v53
	v_sub_f32_e32 v55, 1.0, v54
	v_sub_f32_e32 v22, v53, v22
	v_sub_f32_e32 v55, v55, v53
	;; [unrolled: 1-line block ×3, first 2 shown]
	v_add_f32_e32 v22, v22, v55
	v_add_f32_e32 v50, v54, v22
	v_mul_f32_e32 v53, v52, v50
	v_mul_f32_e32 v55, v51, v53
	v_fma_f32 v56, v53, v51, -v55
	v_fmac_f32_e32 v56, v53, v20
	v_sub_f32_e32 v54, v54, v50
	v_add_f32_e32 v22, v22, v54
	v_add_f32_e32 v54, v55, v56
	v_sub_f32_e32 v57, v50, v54
	v_sub_f32_e32 v50, v50, v57
	v_sub_f32_e32 v55, v54, v55
	v_sub_f32_e32 v50, v50, v54
	v_add_f32_e32 v22, v22, v50
	v_sub_f32_e32 v50, v55, v56
	v_add_f32_e32 v22, v50, v22
	v_add_f32_e32 v22, v57, v22
	;; [unrolled: 1-line block ×3, first 2 shown]
	v_mul_f32_e32 v22, v52, v22
	v_sub_f32_e32 v52, v50, v52
	v_sub_f32_e32 v52, v53, v52
	v_add_f32_e32 v22, v52, v22
	v_add_f32_e32 v52, v50, v22
	v_sub_f32_e32 v50, v52, v50
	v_sub_f32_e32 v22, v22, v50
	v_ldexp_f32 v50, v52, -2
	v_sub_f32_e32 v52, v51, v50
	v_sub_f32_e32 v51, v51, v52
	;; [unrolled: 1-line block ×3, first 2 shown]
	v_ldexp_f32 v22, v22, -2
	v_add_f32_e32 v20, v20, v50
	v_sub_f32_e32 v20, v20, v22
	v_add_f32_e32 v20, v52, v20
	v_cmp_ngt_f32_e64 vcc, |v26|, s53
	v_cndmask_b32_e32 v20, v47, v20, vcc
	v_cmp_lt_f32_e64 s[8:9], |v26|, s54
	v_cndmask_b32_e64 v20, v20, |v26|, s[8:9]
	v_bfi_b32 v20, s37, v20, v26
	v_fma_f32 v22, v20, v20, 1.0
	v_mul_f32_e32 v26, 0x4f800000, v22
	v_cmp_gt_f32_e32 vcc, s55, v22
	v_cndmask_b32_e32 v22, v22, v26, vcc
	v_sqrt_f32_e32 v26, v22
	v_xor_b32_e32 v2, v49, v2
	v_xor_b32_e32 v2, v2, v27
	v_fma_f32 v27, v2, v2, 1.0
	v_add_u32_e32 v49, -1, v26
	v_fma_f32 v50, -v49, v26, v22
	v_cmp_ge_f32_e64 s[8:9], 0, v50
	v_add_u32_e32 v50, 1, v26
	v_cndmask_b32_e64 v49, v26, v49, s[8:9]
	v_fma_f32 v26, -v50, v26, v22
	v_cmp_lt_f32_e64 s[8:9], 0, v26
	v_cndmask_b32_e64 v26, v49, v50, s[8:9]
	v_mul_f32_e32 v49, 0x37800000, v26
	v_cndmask_b32_e32 v26, v26, v49, vcc
	v_cmp_class_f32_e32 vcc, v22, v41
	v_cndmask_b32_e32 v22, v26, v22, vcc
	v_mul_f32_e32 v26, v20, v27
	v_mul_f32_e32 v22, v22, v27
	v_fma_f32 v49, v20, v26, 1.0
	v_mul_f32_e32 v20, v20, v22
	v_div_scale_f32 v22, s[8:9], v49, v49, v20
	v_rcp_f32_e32 v26, v22
	v_fma_f32 v27, -v22, v26, 1.0
	v_fmac_f32_e32 v26, v27, v26
	v_div_scale_f32 v27, vcc, v20, v49, v20
	v_mul_f32_e32 v50, v27, v26
	v_fma_f32 v51, -v22, v50, v27
	v_fmac_f32_e32 v50, v51, v26
	v_fma_f32 v22, -v22, v50, v27
	v_div_scale_f32 v27, s[8:9], v49, v49, v2
	v_rcp_f32_e32 v51, v27
	v_div_fmas_f32 v22, v22, v26, v50
	v_div_fixup_f32 v26, v22, v49, v20
	v_fma_f32 v20, -v27, v51, 1.0
	v_fmac_f32_e32 v51, v20, v51
	v_div_scale_f32 v20, vcc, v2, v49, v2
	v_mul_f32_e32 v22, v20, v51
	v_fma_f32 v50, -v27, v22, v20
	v_fmac_f32_e32 v22, v50, v51
	v_fma_f32 v20, -v27, v22, v20
	v_div_fmas_f32 v20, v20, v51, v22
	v_div_fixup_f32 v27, v20, v49, v2
                                        ; implicit-def: $vgpr49
.LBB157_177:                            ;   in Loop: Header=BB157_161 Depth=1
	s_andn2_saveexec_b64 s[28:29], s[28:29]
	s_cbranch_execz .LBB157_197
; %bb.178:                              ;   in Loop: Header=BB157_161 Depth=1
	v_cmp_nlt_f32_e64 s[30:31], |v27|, s41
                                        ; implicit-def: $vgpr20
                                        ; implicit-def: $vgpr22
	s_and_saveexec_b64 s[8:9], s[30:31]
	s_xor_b64 s[34:35], exec, s[8:9]
	s_cbranch_execz .LBB157_180
; %bb.179:                              ;   in Loop: Header=BB157_161 Depth=1
	v_lshrrev_b32_e32 v2, 23, v49
	v_add_u32_e32 v2, 0xffffff88, v2
	v_cmp_lt_u32_e32 vcc, 63, v2
	v_cndmask_b32_e32 v20, 0, v45, vcc
	v_add_u32_e32 v2, v20, v2
	v_cmp_lt_u32_e64 s[8:9], 31, v2
	v_cndmask_b32_e64 v20, 0, v46, s[8:9]
	v_add_u32_e32 v2, v20, v2
	v_cmp_lt_u32_e64 s[10:11], 31, v2
	v_cndmask_b32_e64 v20, 0, v46, s[10:11]
	v_add_u32_e32 v20, v20, v2
	v_and_b32_e32 v2, 0x7fffff, v49
	v_or_b32_e32 v22, 0x800000, v2
	v_mad_u64_u32 v[50:51], s[12:13], v22, s42, 0
	v_mov_b32_e32 v2, v51
	v_mad_u64_u32 v[52:53], s[12:13], v22, s43, v[2:3]
	v_mov_b32_e32 v2, v53
	;; [unrolled: 2-line block ×6, first 2 shown]
	v_mad_u64_u32 v[62:63], s[12:13], v22, s48, v[2:3]
	v_cndmask_b32_e32 v51, v60, v56, vcc
	v_cndmask_b32_e32 v2, v62, v58, vcc
	;; [unrolled: 1-line block ×3, first 2 shown]
	v_cndmask_b32_e64 v22, v2, v51, s[8:9]
	v_cndmask_b32_e64 v2, v53, v2, s[8:9]
	v_cndmask_b32_e32 v53, v58, v54, vcc
	v_cndmask_b32_e64 v51, v51, v53, s[8:9]
	v_sub_u32_e32 v55, 32, v20
	v_cmp_eq_u32_e64 s[12:13], 0, v20
	v_cndmask_b32_e32 v20, v56, v52, vcc
	v_cndmask_b32_e64 v2, v2, v22, s[10:11]
	v_cndmask_b32_e64 v22, v22, v51, s[10:11]
	;; [unrolled: 1-line block ×3, first 2 shown]
	v_alignbit_b32 v57, v2, v22, v55
	v_cndmask_b32_e64 v51, v51, v52, s[10:11]
	v_cndmask_b32_e64 v2, v57, v2, s[12:13]
	v_alignbit_b32 v53, v22, v51, v55
	v_cndmask_b32_e32 v50, v54, v50, vcc
	v_cndmask_b32_e64 v22, v53, v22, s[12:13]
	v_bfe_u32 v57, v2, 29, 1
	v_cndmask_b32_e64 v20, v20, v50, s[8:9]
	v_alignbit_b32 v53, v2, v22, 30
	v_sub_u32_e32 v58, 0, v57
	v_cndmask_b32_e64 v20, v52, v20, s[10:11]
	v_xor_b32_e32 v59, v53, v58
	v_alignbit_b32 v50, v51, v20, v55
	v_cndmask_b32_e64 v50, v50, v51, s[12:13]
	v_ffbh_u32_e32 v51, v59
	v_add_u32_e32 v51, 1, v51
	v_cmp_ne_u32_e32 vcc, v53, v58
	v_alignbit_b32 v22, v22, v50, 30
	v_cndmask_b32_e32 v51, 33, v51, vcc
	v_alignbit_b32 v20, v50, v20, 30
	v_xor_b32_e32 v22, v22, v58
	v_sub_u32_e32 v52, 32, v51
	v_xor_b32_e32 v20, v20, v58
	v_alignbit_b32 v53, v59, v22, v52
	v_alignbit_b32 v20, v22, v20, v52
	;; [unrolled: 1-line block ×3, first 2 shown]
	v_ffbh_u32_e32 v50, v22
	v_min_u32_e32 v50, 32, v50
	v_lshrrev_b32_e32 v56, 29, v2
	v_sub_u32_e32 v52, 31, v50
	v_alignbit_b32 v20, v22, v20, v52
	v_lshlrev_b32_e32 v22, 31, v56
	v_or_b32_e32 v52, 0x33800000, v22
	v_add_lshl_u32 v50, v50, v51, 23
	v_lshrrev_b32_e32 v20, 9, v20
	v_sub_u32_e32 v50, v52, v50
	v_or_b32_e32 v20, v50, v20
	v_alignbit_b32 v50, v51, v53, 9
	v_or_b32_e32 v22, v50, v22
	v_xor_b32_e32 v22, 1.0, v22
	v_mul_f32_e32 v50, 0x3fc90fda, v22
	v_fma_f32 v51, v22, s49, -v50
	v_fmac_f32_e32 v51, 0x33a22168, v22
	v_fmac_f32_e32 v51, 0x3fc90fda, v20
	v_lshrrev_b32_e32 v2, 30, v2
	v_add_f32_e32 v22, v50, v51
	v_add_u32_e32 v20, v57, v2
	s_andn2_saveexec_b64 s[8:9], s[34:35]
	s_branch .LBB157_181
.LBB157_180:                            ;   in Loop: Header=BB157_161 Depth=1
	s_andn2_saveexec_b64 s[8:9], s[34:35]
.LBB157_181:                            ;   in Loop: Header=BB157_161 Depth=1
	v_mul_f32_e64 v2, |v27|, s50
	v_rndne_f32_e32 v2, v2
	v_cvt_i32_f32_e32 v20, v2
	v_fma_f32 v22, v2, s51, |v27|
	v_fmac_f32_e32 v22, 0xb3a22168, v2
	v_fmac_f32_e32 v22, 0xa7c234c4, v2
; %bb.182:                              ;   in Loop: Header=BB157_161 Depth=1
	s_or_b64 exec, exec, s[8:9]
                                        ; implicit-def: $vgpr2
                                        ; implicit-def: $vgpr50
	s_and_saveexec_b64 s[8:9], s[30:31]
	s_xor_b64 s[30:31], exec, s[8:9]
	s_cbranch_execz .LBB157_184
; %bb.183:                              ;   in Loop: Header=BB157_161 Depth=1
	v_lshrrev_b32_e32 v2, 23, v49
	v_add_u32_e32 v2, 0xffffff88, v2
	v_cmp_lt_u32_e32 vcc, 63, v2
	v_cndmask_b32_e32 v50, 0, v45, vcc
	v_add_u32_e32 v2, v50, v2
	v_cmp_lt_u32_e64 s[8:9], 31, v2
	v_cndmask_b32_e64 v50, 0, v46, s[8:9]
	v_add_u32_e32 v2, v50, v2
	v_cmp_lt_u32_e64 s[10:11], 31, v2
	v_cndmask_b32_e64 v50, 0, v46, s[10:11]
	v_add_u32_e32 v64, v50, v2
	v_and_b32_e32 v2, 0x7fffff, v49
	v_or_b32_e32 v62, 0x800000, v2
	v_mad_u64_u32 v[50:51], s[12:13], v62, s42, 0
	v_mov_b32_e32 v2, v51
	v_mad_u64_u32 v[52:53], s[12:13], v62, s43, v[2:3]
	v_mov_b32_e32 v2, v53
	v_mad_u64_u32 v[54:55], s[12:13], v62, s44, v[2:3]
	v_mov_b32_e32 v2, v55
	v_mad_u64_u32 v[56:57], s[12:13], v62, s45, v[2:3]
	v_mov_b32_e32 v2, v57
	v_mad_u64_u32 v[58:59], s[12:13], v62, s46, v[2:3]
	v_mov_b32_e32 v2, v59
	v_mad_u64_u32 v[60:61], s[12:13], v62, s47, v[2:3]
	v_mov_b32_e32 v2, v61
	v_mad_u64_u32 v[62:63], s[12:13], v62, s48, v[2:3]
	v_cndmask_b32_e32 v51, v60, v56, vcc
	v_cndmask_b32_e32 v2, v62, v58, vcc
	;; [unrolled: 1-line block ×3, first 2 shown]
	v_cndmask_b32_e64 v53, v2, v51, s[8:9]
	v_cndmask_b32_e64 v2, v55, v2, s[8:9]
	v_cndmask_b32_e32 v55, v58, v54, vcc
	v_cndmask_b32_e64 v51, v51, v55, s[8:9]
	v_cndmask_b32_e32 v52, v56, v52, vcc
	v_cndmask_b32_e64 v2, v2, v53, s[10:11]
	v_cndmask_b32_e64 v53, v53, v51, s[10:11]
	v_sub_u32_e32 v57, 32, v64
	v_cndmask_b32_e64 v55, v55, v52, s[8:9]
	v_alignbit_b32 v58, v2, v53, v57
	v_cmp_eq_u32_e64 s[12:13], 0, v64
	v_cndmask_b32_e64 v51, v51, v55, s[10:11]
	v_cndmask_b32_e32 v50, v54, v50, vcc
	v_cndmask_b32_e64 v2, v58, v2, s[12:13]
	v_alignbit_b32 v56, v53, v51, v57
	v_cndmask_b32_e64 v50, v52, v50, s[8:9]
	v_cndmask_b32_e64 v53, v56, v53, s[12:13]
	v_bfe_u32 v59, v2, 29, 1
	v_cndmask_b32_e64 v50, v55, v50, s[10:11]
	v_alignbit_b32 v56, v2, v53, 30
	v_sub_u32_e32 v60, 0, v59
	v_alignbit_b32 v52, v51, v50, v57
	v_xor_b32_e32 v61, v56, v60
	v_cndmask_b32_e64 v51, v52, v51, s[12:13]
	v_alignbit_b32 v52, v53, v51, 30
	v_ffbh_u32_e32 v53, v61
	v_add_u32_e32 v53, 1, v53
	v_cmp_ne_u32_e32 vcc, v56, v60
	v_cndmask_b32_e32 v53, 33, v53, vcc
	v_alignbit_b32 v50, v51, v50, 30
	v_xor_b32_e32 v52, v52, v60
	v_sub_u32_e32 v54, 32, v53
	v_xor_b32_e32 v50, v50, v60
	v_alignbit_b32 v55, v61, v52, v54
	v_alignbit_b32 v50, v52, v50, v54
	;; [unrolled: 1-line block ×3, first 2 shown]
	v_ffbh_u32_e32 v52, v51
	v_min_u32_e32 v52, 32, v52
	v_lshrrev_b32_e32 v58, 29, v2
	v_sub_u32_e32 v54, 31, v52
	v_alignbit_b32 v50, v51, v50, v54
	v_lshlrev_b32_e32 v51, 31, v58
	v_or_b32_e32 v54, 0x33800000, v51
	v_add_lshl_u32 v52, v52, v53, 23
	v_lshrrev_b32_e32 v50, 9, v50
	v_sub_u32_e32 v52, v54, v52
	v_or_b32_e32 v50, v52, v50
	v_alignbit_b32 v52, v53, v55, 9
	v_or_b32_e32 v51, v52, v51
	v_xor_b32_e32 v51, 1.0, v51
	v_mul_f32_e32 v52, 0x3fc90fda, v51
	v_fma_f32 v53, v51, s49, -v52
	v_fmac_f32_e32 v53, 0x33a22168, v51
	v_fmac_f32_e32 v53, 0x3fc90fda, v50
	v_lshrrev_b32_e32 v2, 30, v2
	v_add_f32_e32 v50, v52, v53
	v_add_u32_e32 v2, v59, v2
	s_andn2_saveexec_b64 s[8:9], s[30:31]
	s_cbranch_execnz .LBB157_185
	s_branch .LBB157_186
.LBB157_184:                            ;   in Loop: Header=BB157_161 Depth=1
	s_andn2_saveexec_b64 s[8:9], s[30:31]
.LBB157_185:                            ;   in Loop: Header=BB157_161 Depth=1
	v_mul_f32_e64 v2, |v27|, s50
	v_rndne_f32_e32 v51, v2
	v_cvt_i32_f32_e32 v2, v51
	v_fma_f32 v50, v51, s51, |v27|
	v_fmac_f32_e32 v50, 0xb3a22168, v51
	v_fmac_f32_e32 v50, 0xa7c234c4, v51
.LBB157_186:                            ;   in Loop: Header=BB157_161 Depth=1
	s_or_b64 exec, exec, s[8:9]
	v_mul_f32_e32 v51, v22, v22
	v_mov_b32_e32 v52, 0x3c0881c4
	v_fmac_f32_e32 v52, 0xb94c1982, v51
	v_fma_f32 v52, v51, v52, v42
	v_mul_f32_e32 v52, v51, v52
	v_fmac_f32_e32 v22, v22, v52
	v_mov_b32_e32 v52, 0xbab64f3b
	v_fmac_f32_e32 v52, 0x37d75334, v51
	v_fma_f32 v52, v51, v52, v43
	v_fma_f32 v52, v51, v52, v44
	v_fma_f32 v51, v51, v52, 1.0
	v_and_b32_e32 v52, 1, v20
	v_lshlrev_b32_e32 v20, 30, v20
	v_and_b32_e32 v20, 0x80000000, v20
	v_cmp_eq_u32_e32 vcc, 0, v52
	v_xor_b32_e32 v20, v49, v20
	v_mul_f32_e64 v49, |v26|, s56
	v_cndmask_b32_e32 v22, v51, v22, vcc
	v_rndne_f32_e32 v51, v49
	v_sub_f32_e32 v52, v49, v51
	v_fma_f32 v49, |v26|, s56, -v49
	v_fma_f32 v49, |v26|, s57, v49
	v_add_f32_e32 v49, v52, v49
	v_exp_f32_e32 v49, v49
	v_cvt_i32_f32_e32 v51, v51
	v_xor_b32_e32 v20, v20, v22
	v_xor_b32_e32 v20, v20, v27
	v_mul_f32_e32 v27, v50, v50
	v_ldexp_f32 v22, v49, v51
	v_mov_b32_e32 v49, 0x3c0881c4
	v_fmac_f32_e32 v49, 0xb94c1982, v27
	v_fma_f32 v49, v27, v49, v42
	v_mul_f32_e32 v49, v27, v49
	v_fmac_f32_e32 v50, v50, v49
	v_mov_b32_e32 v49, 0xbab64f3b
	v_fmac_f32_e32 v49, 0x37d75334, v27
	v_fma_f32 v49, v27, v49, v43
	v_cmp_ngt_f32_e64 vcc, |v26|, s58
	v_fma_f32 v49, v27, v49, v44
	v_cndmask_b32_e32 v22, 0, v22, vcc
	v_cmp_nlt_f32_e64 vcc, |v26|, s59
	v_fma_f32 v27, v27, v49, 1.0
	v_and_b32_e32 v49, 1, v2
	v_cndmask_b32_e32 v22, v47, v22, vcc
	v_cmp_eq_u32_e32 vcc, 0, v49
	v_lshlrev_b32_e32 v2, 30, v2
	v_cndmask_b32_e64 v27, -v50, v27, vcc
	v_and_b32_e32 v2, 0x80000000, v2
	v_mul_f32_e32 v20, 4.0, v20
	v_xor_b32_e32 v2, v2, v27
	v_mul_f32_e32 v2, v20, v2
	v_mul_f32_e32 v2, v22, v2
	v_bfi_b32 v26, s37, 1.0, v26
	v_mul_f32_e32 v27, v22, v2
	s_or_b64 exec, exec, s[28:29]
.LBB157_187:                            ;   in Loop: Header=BB157_161 Depth=1
	s_andn2_saveexec_b64 s[8:9], s[26:27]
.LBB157_188:                            ;   in Loop: Header=BB157_161 Depth=1
	v_sub_f32_e32 v27, v27, v27
	v_mov_b32_e32 v26, v27
.LBB157_189:                            ;   in Loop: Header=BB157_161 Depth=1
	s_or_b64 exec, exec, s[8:9]
.LBB157_190:                            ;   in Loop: Header=BB157_161 Depth=1
	s_andn2_saveexec_b64 s[24:25], s[24:25]
	s_cbranch_execz .LBB157_207
; %bb.191:                              ;   in Loop: Header=BB157_161 Depth=1
	v_and_b32_e32 v2, 0x7fffff, v26
	v_cmp_ne_u32_e32 vcc, 0, v2
	s_and_saveexec_b64 s[8:9], vcc
	s_xor_b64 s[8:9], exec, s[8:9]
; %bb.192:                              ;   in Loop: Header=BB157_161 Depth=1
	v_mul_f32_e32 v2, v27, v26
	v_cmp_eq_f32_e32 vcc, 0, v27
	v_cndmask_b32_e32 v27, v2, v27, vcc
; %bb.193:                              ;   in Loop: Header=BB157_161 Depth=1
	s_andn2_saveexec_b64 s[26:27], s[8:9]
	s_cbranch_execz .LBB157_206
; %bb.194:                              ;   in Loop: Header=BB157_161 Depth=1
	v_cmp_neq_f32_e64 s[8:9], |v27|, s38
	s_and_saveexec_b64 s[28:29], s[8:9]
	s_cbranch_execz .LBB157_205
; %bb.195:                              ;   in Loop: Header=BB157_161 Depth=1
	v_and_b32_e32 v20, 0x7fffffff, v27
	v_cmp_nlt_f32_e64 s[30:31], |v27|, s41
                                        ; implicit-def: $vgpr22
                                        ; implicit-def: $vgpr49
	s_and_saveexec_b64 s[8:9], s[30:31]
	s_xor_b64 s[34:35], exec, s[8:9]
	s_cbranch_execz .LBB157_198
; %bb.196:                              ;   in Loop: Header=BB157_161 Depth=1
	v_lshrrev_b32_e32 v2, 23, v20
	v_add_u32_e32 v2, 0xffffff88, v2
	v_cmp_lt_u32_e32 vcc, 63, v2
	v_cndmask_b32_e32 v22, 0, v45, vcc
	v_add_u32_e32 v2, v22, v2
	v_cmp_lt_u32_e64 s[8:9], 31, v2
	v_cndmask_b32_e64 v22, 0, v46, s[8:9]
	v_add_u32_e32 v2, v22, v2
	v_cmp_lt_u32_e64 s[10:11], 31, v2
	v_cndmask_b32_e64 v22, 0, v46, s[10:11]
	v_add_u32_e32 v22, v22, v2
	v_and_b32_e32 v2, 0x7fffff, v20
	v_or_b32_e32 v49, 0x800000, v2
	v_mad_u64_u32 v[50:51], s[12:13], v49, s42, 0
	v_mov_b32_e32 v2, v51
	v_mad_u64_u32 v[52:53], s[12:13], v49, s43, v[2:3]
	v_mov_b32_e32 v2, v53
	;; [unrolled: 2-line block ×6, first 2 shown]
	v_mad_u64_u32 v[62:63], s[12:13], v49, s48, v[2:3]
	v_cndmask_b32_e32 v51, v60, v56, vcc
	v_cndmask_b32_e32 v2, v62, v58, vcc
	;; [unrolled: 1-line block ×3, first 2 shown]
	v_cndmask_b32_e64 v49, v2, v51, s[8:9]
	v_cndmask_b32_e64 v2, v53, v2, s[8:9]
	v_cndmask_b32_e32 v53, v58, v54, vcc
	v_cndmask_b32_e64 v51, v51, v53, s[8:9]
	v_sub_u32_e32 v55, 32, v22
	v_cmp_eq_u32_e64 s[12:13], 0, v22
	v_cndmask_b32_e32 v22, v56, v52, vcc
	v_cndmask_b32_e64 v2, v2, v49, s[10:11]
	v_cndmask_b32_e64 v49, v49, v51, s[10:11]
	;; [unrolled: 1-line block ×3, first 2 shown]
	v_alignbit_b32 v57, v2, v49, v55
	v_cndmask_b32_e64 v51, v51, v52, s[10:11]
	v_cndmask_b32_e64 v2, v57, v2, s[12:13]
	v_alignbit_b32 v53, v49, v51, v55
	v_cndmask_b32_e32 v50, v54, v50, vcc
	v_cndmask_b32_e64 v49, v53, v49, s[12:13]
	v_bfe_u32 v57, v2, 29, 1
	v_cndmask_b32_e64 v22, v22, v50, s[8:9]
	v_alignbit_b32 v53, v2, v49, 30
	v_sub_u32_e32 v58, 0, v57
	v_cndmask_b32_e64 v22, v52, v22, s[10:11]
	v_xor_b32_e32 v59, v53, v58
	v_alignbit_b32 v50, v51, v22, v55
	v_cndmask_b32_e64 v50, v50, v51, s[12:13]
	v_ffbh_u32_e32 v51, v59
	v_add_u32_e32 v51, 1, v51
	v_cmp_ne_u32_e32 vcc, v53, v58
	v_alignbit_b32 v49, v49, v50, 30
	v_cndmask_b32_e32 v51, 33, v51, vcc
	v_alignbit_b32 v22, v50, v22, 30
	v_xor_b32_e32 v49, v49, v58
	v_sub_u32_e32 v52, 32, v51
	v_xor_b32_e32 v22, v22, v58
	v_alignbit_b32 v53, v59, v49, v52
	v_alignbit_b32 v22, v49, v22, v52
	;; [unrolled: 1-line block ×3, first 2 shown]
	v_ffbh_u32_e32 v50, v49
	v_min_u32_e32 v50, 32, v50
	v_lshrrev_b32_e32 v56, 29, v2
	v_sub_u32_e32 v52, 31, v50
	v_alignbit_b32 v22, v49, v22, v52
	v_lshlrev_b32_e32 v49, 31, v56
	v_or_b32_e32 v52, 0x33800000, v49
	v_add_lshl_u32 v50, v50, v51, 23
	v_lshrrev_b32_e32 v22, 9, v22
	v_sub_u32_e32 v50, v52, v50
	v_or_b32_e32 v22, v50, v22
	v_alignbit_b32 v50, v51, v53, 9
	v_or_b32_e32 v49, v50, v49
	v_xor_b32_e32 v49, 1.0, v49
	v_mul_f32_e32 v50, 0x3fc90fda, v49
	v_fma_f32 v51, v49, s49, -v50
	v_fmac_f32_e32 v51, 0x33a22168, v49
	v_fmac_f32_e32 v51, 0x3fc90fda, v22
	v_lshrrev_b32_e32 v2, 30, v2
	v_add_f32_e32 v49, v50, v51
	v_add_u32_e32 v22, v57, v2
	s_andn2_saveexec_b64 s[8:9], s[34:35]
	s_branch .LBB157_199
.LBB157_197:                            ;   in Loop: Header=BB157_161 Depth=1
	s_or_b64 exec, exec, s[28:29]
	s_andn2_saveexec_b64 s[8:9], s[26:27]
	s_cbranch_execnz .LBB157_188
	s_branch .LBB157_189
.LBB157_198:                            ;   in Loop: Header=BB157_161 Depth=1
	s_andn2_saveexec_b64 s[8:9], s[34:35]
.LBB157_199:                            ;   in Loop: Header=BB157_161 Depth=1
	v_mul_f32_e64 v2, |v27|, s50
	v_rndne_f32_e32 v2, v2
	v_cvt_i32_f32_e32 v22, v2
	v_fma_f32 v49, v2, s51, |v27|
	v_fmac_f32_e32 v49, 0xb3a22168, v2
	v_fmac_f32_e32 v49, 0xa7c234c4, v2
; %bb.200:                              ;   in Loop: Header=BB157_161 Depth=1
	s_or_b64 exec, exec, s[8:9]
                                        ; implicit-def: $vgpr2
                                        ; implicit-def: $vgpr50
	s_and_saveexec_b64 s[8:9], s[30:31]
	s_xor_b64 s[30:31], exec, s[8:9]
	s_cbranch_execz .LBB157_202
; %bb.201:                              ;   in Loop: Header=BB157_161 Depth=1
	v_lshrrev_b32_e32 v2, 23, v20
	v_add_u32_e32 v2, 0xffffff88, v2
	v_cmp_lt_u32_e32 vcc, 63, v2
	v_cndmask_b32_e32 v50, 0, v45, vcc
	v_add_u32_e32 v2, v50, v2
	v_cmp_lt_u32_e64 s[8:9], 31, v2
	v_cndmask_b32_e64 v50, 0, v46, s[8:9]
	v_add_u32_e32 v2, v50, v2
	v_cmp_lt_u32_e64 s[10:11], 31, v2
	v_cndmask_b32_e64 v50, 0, v46, s[10:11]
	v_add_u32_e32 v64, v50, v2
	v_and_b32_e32 v2, 0x7fffff, v20
	v_or_b32_e32 v62, 0x800000, v2
	v_mad_u64_u32 v[50:51], s[12:13], v62, s42, 0
	v_mov_b32_e32 v2, v51
	v_mad_u64_u32 v[52:53], s[12:13], v62, s43, v[2:3]
	v_mov_b32_e32 v2, v53
	;; [unrolled: 2-line block ×6, first 2 shown]
	v_mad_u64_u32 v[62:63], s[12:13], v62, s48, v[2:3]
	v_cndmask_b32_e32 v51, v60, v56, vcc
	v_cndmask_b32_e32 v2, v62, v58, vcc
	;; [unrolled: 1-line block ×3, first 2 shown]
	v_cndmask_b32_e64 v53, v2, v51, s[8:9]
	v_cndmask_b32_e64 v2, v55, v2, s[8:9]
	v_cndmask_b32_e32 v55, v58, v54, vcc
	v_cndmask_b32_e64 v51, v51, v55, s[8:9]
	v_cndmask_b32_e32 v52, v56, v52, vcc
	v_cndmask_b32_e64 v2, v2, v53, s[10:11]
	v_cndmask_b32_e64 v53, v53, v51, s[10:11]
	v_sub_u32_e32 v57, 32, v64
	v_cndmask_b32_e64 v55, v55, v52, s[8:9]
	v_alignbit_b32 v58, v2, v53, v57
	v_cmp_eq_u32_e64 s[12:13], 0, v64
	v_cndmask_b32_e64 v51, v51, v55, s[10:11]
	v_cndmask_b32_e32 v50, v54, v50, vcc
	v_cndmask_b32_e64 v2, v58, v2, s[12:13]
	v_alignbit_b32 v56, v53, v51, v57
	v_cndmask_b32_e64 v50, v52, v50, s[8:9]
	v_cndmask_b32_e64 v53, v56, v53, s[12:13]
	v_bfe_u32 v59, v2, 29, 1
	v_cndmask_b32_e64 v50, v55, v50, s[10:11]
	v_alignbit_b32 v56, v2, v53, 30
	v_sub_u32_e32 v60, 0, v59
	v_alignbit_b32 v52, v51, v50, v57
	v_xor_b32_e32 v61, v56, v60
	v_cndmask_b32_e64 v51, v52, v51, s[12:13]
	v_alignbit_b32 v52, v53, v51, 30
	v_ffbh_u32_e32 v53, v61
	v_add_u32_e32 v53, 1, v53
	v_cmp_ne_u32_e32 vcc, v56, v60
	v_cndmask_b32_e32 v53, 33, v53, vcc
	v_alignbit_b32 v50, v51, v50, 30
	v_xor_b32_e32 v52, v52, v60
	v_sub_u32_e32 v54, 32, v53
	v_xor_b32_e32 v50, v50, v60
	v_alignbit_b32 v55, v61, v52, v54
	v_alignbit_b32 v50, v52, v50, v54
	;; [unrolled: 1-line block ×3, first 2 shown]
	v_ffbh_u32_e32 v52, v51
	v_min_u32_e32 v52, 32, v52
	v_lshrrev_b32_e32 v58, 29, v2
	v_sub_u32_e32 v54, 31, v52
	v_alignbit_b32 v50, v51, v50, v54
	v_lshlrev_b32_e32 v51, 31, v58
	v_or_b32_e32 v54, 0x33800000, v51
	v_add_lshl_u32 v52, v52, v53, 23
	v_lshrrev_b32_e32 v50, 9, v50
	v_sub_u32_e32 v52, v54, v52
	v_or_b32_e32 v50, v52, v50
	v_alignbit_b32 v52, v53, v55, 9
	v_or_b32_e32 v51, v52, v51
	v_xor_b32_e32 v51, 1.0, v51
	v_mul_f32_e32 v52, 0x3fc90fda, v51
	v_fma_f32 v53, v51, s49, -v52
	v_fmac_f32_e32 v53, 0x33a22168, v51
	v_fmac_f32_e32 v53, 0x3fc90fda, v50
	v_lshrrev_b32_e32 v2, 30, v2
	v_add_f32_e32 v50, v52, v53
	v_add_u32_e32 v2, v59, v2
	s_andn2_saveexec_b64 s[8:9], s[30:31]
	s_cbranch_execnz .LBB157_203
	s_branch .LBB157_204
.LBB157_202:                            ;   in Loop: Header=BB157_161 Depth=1
	s_andn2_saveexec_b64 s[8:9], s[30:31]
.LBB157_203:                            ;   in Loop: Header=BB157_161 Depth=1
	v_mul_f32_e64 v2, |v27|, s50
	v_rndne_f32_e32 v51, v2
	v_cvt_i32_f32_e32 v2, v51
	v_fma_f32 v50, v51, s51, |v27|
	v_fmac_f32_e32 v50, 0xb3a22168, v51
	v_fmac_f32_e32 v50, 0xa7c234c4, v51
.LBB157_204:                            ;   in Loop: Header=BB157_161 Depth=1
	s_or_b64 exec, exec, s[8:9]
	v_mul_f32_e32 v51, v49, v49
	v_mov_b32_e32 v52, 0x3c0881c4
	v_fmac_f32_e32 v52, 0xb94c1982, v51
	v_fma_f32 v52, v51, v52, v42
	v_mul_f32_e32 v52, v51, v52
	v_fmac_f32_e32 v49, v49, v52
	v_mov_b32_e32 v52, 0xbab64f3b
	v_fmac_f32_e32 v52, 0x37d75334, v51
	v_fma_f32 v52, v51, v52, v43
	v_fma_f32 v52, v51, v52, v44
	v_fma_f32 v51, v51, v52, 1.0
	v_and_b32_e32 v52, 1, v22
	v_lshlrev_b32_e32 v22, 30, v22
	v_cmp_eq_u32_e32 vcc, 0, v52
	v_and_b32_e32 v22, 0x80000000, v22
	v_cndmask_b32_e32 v49, v51, v49, vcc
	v_xor_b32_e32 v20, v20, v22
	v_xor_b32_e32 v20, v20, v49
	v_mul_f32_e32 v22, v50, v50
	v_mov_b32_e32 v49, 0x3c0881c4
	v_fmac_f32_e32 v49, 0xb94c1982, v22
	v_fma_f32 v49, v22, v49, v42
	v_mul_f32_e32 v49, v22, v49
	v_fmac_f32_e32 v50, v50, v49
	v_mov_b32_e32 v49, 0xbab64f3b
	v_fmac_f32_e32 v49, 0x37d75334, v22
	v_fma_f32 v49, v22, v49, v43
	v_fma_f32 v49, v22, v49, v44
	v_fma_f32 v22, v22, v49, 1.0
	v_and_b32_e32 v49, 1, v2
	v_cmp_eq_u32_e32 vcc, 0, v49
	v_lshlrev_b32_e32 v2, 30, v2
	v_cndmask_b32_e64 v22, -v50, v22, vcc
	v_and_b32_e32 v2, 0x80000000, v2
	v_xor_b32_e32 v20, v20, v27
	v_xor_b32_e32 v2, v2, v22
	v_mul_f32_e32 v2, v20, v2
	v_cmp_class_f32_e64 vcc, v27, s39
	v_cndmask_b32_e32 v27, v48, v2, vcc
.LBB157_205:                            ;   in Loop: Header=BB157_161 Depth=1
	s_or_b64 exec, exec, s[28:29]
	v_add_u32_e32 v26, -2.0, v26
	v_bfi_b32 v27, s37, 0, v27
.LBB157_206:                            ;   in Loop: Header=BB157_161 Depth=1
	s_or_b64 exec, exec, s[26:27]
.LBB157_207:                            ;   in Loop: Header=BB157_161 Depth=1
	s_or_b64 exec, exec, s[24:25]
	v_and_b32_e32 v20, 0x7fffffff, v28
	v_cmp_gt_u32_e32 vcc, s38, v20
	s_and_saveexec_b64 s[8:9], vcc
	s_xor_b64 s[24:25], exec, s[8:9]
	s_cbranch_execz .LBB157_229
; %bb.208:                              ;   in Loop: Header=BB157_161 Depth=1
	v_cmp_class_f32_e64 s[8:9], v29, s39
	s_and_saveexec_b64 s[10:11], s[8:9]
	s_xor_b64 s[26:27], exec, s[10:11]
	s_cbranch_execz .LBB157_226
; %bb.209:                              ;   in Loop: Header=BB157_161 Depth=1
	v_and_b32_e32 v49, 0x7fffffff, v29
	v_cmp_gt_u32_e32 vcc, s40, v20
	s_and_saveexec_b64 s[8:9], vcc
	s_xor_b64 s[28:29], exec, s[8:9]
	s_cbranch_execz .LBB157_215
; %bb.210:                              ;   in Loop: Header=BB157_161 Depth=1
	v_cmp_nlt_f32_e64 s[8:9], |v29|, s41
                                        ; implicit-def: $vgpr22
                                        ; implicit-def: $vgpr2
	s_and_saveexec_b64 s[10:11], s[8:9]
	s_xor_b64 s[30:31], exec, s[10:11]
	s_cbranch_execz .LBB157_212
; %bb.211:                              ;   in Loop: Header=BB157_161 Depth=1
	v_lshrrev_b32_e32 v2, 23, v49
	v_add_u32_e32 v2, 0xffffff88, v2
	v_cmp_lt_u32_e32 vcc, 63, v2
	v_cndmask_b32_e32 v22, 0, v45, vcc
	v_add_u32_e32 v2, v22, v2
	v_cmp_lt_u32_e64 s[8:9], 31, v2
	v_cndmask_b32_e64 v22, 0, v46, s[8:9]
	v_add_u32_e32 v2, v22, v2
	v_cmp_lt_u32_e64 s[10:11], 31, v2
	v_cndmask_b32_e64 v22, 0, v46, s[10:11]
	v_add_u32_e32 v22, v22, v2
	v_and_b32_e32 v2, 0x7fffff, v49
	v_or_b32_e32 v62, 0x800000, v2
	v_mad_u64_u32 v[50:51], s[12:13], v62, s42, 0
	v_mov_b32_e32 v2, v51
	v_mad_u64_u32 v[52:53], s[12:13], v62, s43, v[2:3]
	v_mov_b32_e32 v2, v53
	;; [unrolled: 2-line block ×6, first 2 shown]
	v_mad_u64_u32 v[62:63], s[12:13], v62, s48, v[2:3]
	v_cndmask_b32_e32 v51, v60, v56, vcc
	v_cndmask_b32_e32 v2, v62, v58, vcc
	;; [unrolled: 1-line block ×3, first 2 shown]
	v_cndmask_b32_e64 v53, v2, v51, s[8:9]
	v_cndmask_b32_e64 v2, v55, v2, s[8:9]
	v_cndmask_b32_e32 v55, v58, v54, vcc
	v_cndmask_b32_e64 v51, v51, v55, s[8:9]
	v_cndmask_b32_e64 v2, v2, v53, s[10:11]
	;; [unrolled: 1-line block ×3, first 2 shown]
	v_sub_u32_e32 v57, 32, v22
	v_alignbit_b32 v58, v2, v53, v57
	v_cmp_eq_u32_e64 s[12:13], 0, v22
	v_cndmask_b32_e64 v22, v58, v2, s[12:13]
	v_cndmask_b32_e32 v2, v56, v52, vcc
	v_cndmask_b32_e64 v52, v55, v2, s[8:9]
	v_cndmask_b32_e64 v51, v51, v52, s[10:11]
	v_alignbit_b32 v55, v53, v51, v57
	v_cndmask_b32_e64 v53, v55, v53, s[12:13]
	v_bfe_u32 v58, v22, 29, 1
	v_cndmask_b32_e32 v50, v54, v50, vcc
	v_alignbit_b32 v55, v22, v53, 30
	v_sub_u32_e32 v59, 0, v58
	v_cndmask_b32_e64 v2, v2, v50, s[8:9]
	v_xor_b32_e32 v60, v55, v59
	v_cndmask_b32_e64 v2, v52, v2, s[10:11]
	v_alignbit_b32 v50, v51, v2, v57
	v_ffbh_u32_e32 v52, v60
	v_cndmask_b32_e64 v50, v50, v51, s[12:13]
	v_add_u32_e32 v52, 1, v52
	v_cmp_ne_u32_e32 vcc, v55, v59
	v_alignbit_b32 v51, v53, v50, 30
	v_cndmask_b32_e32 v52, 33, v52, vcc
	v_alignbit_b32 v2, v50, v2, 30
	v_xor_b32_e32 v51, v51, v59
	v_sub_u32_e32 v53, 32, v52
	v_xor_b32_e32 v2, v2, v59
	v_alignbit_b32 v54, v60, v51, v53
	v_alignbit_b32 v2, v51, v2, v53
	v_alignbit_b32 v50, v54, v2, 9
	v_ffbh_u32_e32 v51, v50
	v_min_u32_e32 v51, 32, v51
	v_lshrrev_b32_e32 v56, 29, v22
	v_sub_u32_e32 v53, 31, v51
	v_alignbit_b32 v2, v50, v2, v53
	v_lshlrev_b32_e32 v50, 31, v56
	v_or_b32_e32 v53, 0x33800000, v50
	v_add_lshl_u32 v51, v51, v52, 23
	v_lshrrev_b32_e32 v2, 9, v2
	v_sub_u32_e32 v51, v53, v51
	v_or_b32_e32 v2, v51, v2
	v_alignbit_b32 v51, v52, v54, 9
	v_or_b32_e32 v50, v51, v50
	v_xor_b32_e32 v50, 1.0, v50
	v_mul_f32_e32 v51, 0x3fc90fda, v50
	v_fma_f32 v52, v50, s49, -v51
	v_fmac_f32_e32 v52, 0x33a22168, v50
	v_fmac_f32_e32 v52, 0x3fc90fda, v2
	v_lshrrev_b32_e32 v22, 30, v22
	v_add_f32_e32 v2, v51, v52
	v_add_u32_e32 v22, v58, v22
.LBB157_212:                            ;   in Loop: Header=BB157_161 Depth=1
	s_andn2_saveexec_b64 s[8:9], s[30:31]
; %bb.213:                              ;   in Loop: Header=BB157_161 Depth=1
	v_mul_f32_e64 v2, |v29|, s50
	v_rndne_f32_e32 v50, v2
	v_cvt_i32_f32_e32 v22, v50
	v_fma_f32 v2, v50, s51, |v29|
	v_fmac_f32_e32 v2, 0xb3a22168, v50
	v_fmac_f32_e32 v2, 0xa7c234c4, v50
; %bb.214:                              ;   in Loop: Header=BB157_161 Depth=1
	s_or_b64 exec, exec, s[8:9]
	v_mul_f32_e32 v50, v2, v2
	v_mov_b32_e32 v51, 0xbf039337
	v_fmac_f32_e32 v51, 0x3c971480, v50
	v_fma_f32 v51, v50, v51, v37
	v_rcp_f32_e32 v51, v51
	v_mov_b32_e32 v52, 0x3ec54587
	v_fmac_f32_e32 v52, 0xbc8cedd3, v50
	v_and_b32_e32 v22, 1, v22
	v_mul_f32_e32 v51, v52, v51
	v_mul_f32_e32 v50, v50, v51
	v_fma_f32 v51, v50, v2, v2
	v_rcp_f32_e32 v52, v51
	v_sub_f32_e32 v53, v51, v2
	v_fma_f32 v2, v50, v2, -v53
	v_cmp_eq_u32_e32 vcc, 0, v22
	v_fma_f32 v50, v51, -v52, 1.0
	v_fma_f32 v2, v2, -v52, v50
	v_fma_f32 v2, v2, -v52, -v52
	v_add_f32_e64 v22, |v28|, s52
	v_cndmask_b32_e32 v2, v2, v51, vcc
	v_sub_f32_e64 v51, v22, |v28|
	v_sub_f32_e32 v50, v51, v22
	v_pk_add_f32 v[50:51], v[20:21], v[50:51]
	v_sub_f32_e32 v20, v50, v51
	v_add_f32_e32 v20, 0x3102e308, v20
	v_add_f32_e32 v50, v22, v20
	v_sub_f32_e32 v22, v22, v50
	v_add_f32_e32 v20, v20, v22
	v_mul_f32_e32 v22, 0x3fb8aa3b, v50
	v_rndne_f32_e32 v58, v22
	v_fmac_f32_e32 v50, 0xbf317200, v58
	v_add_f32_e32 v22, v20, v50
	v_sub_f32_e32 v50, v50, v22
	v_add_f32_e32 v20, v20, v50
	v_mul_f32_e32 v50, 0x35bfbc00, v58
	v_sub_f32_e32 v52, v22, v50
	v_sub_f32_e32 v22, v22, v52
	;; [unrolled: 1-line block ×3, first 2 shown]
	v_add_f32_e32 v20, v20, v22
	v_add_f32_e32 v53, v52, v20
	v_mul_f32_e32 v51, 0x2ea39ef3, v58
	v_mov_b32_e32 v50, v53
	v_pk_add_f32 v[54:55], v[52:53], v[50:51] neg_lo:[0,1] neg_hi:[0,1]
	v_sub_f32_e32 v22, v53, v55
	v_sub_f32_e32 v22, v22, v51
	v_add_f32_e32 v20, v20, v54
	v_add_f32_e32 v20, v20, v22
	;; [unrolled: 1-line block ×3, first 2 shown]
	v_sub_f32_e32 v51, v55, v50
	v_mov_b32_e32 v22, 0x3c091de6
	v_add_f32_e32 v20, v20, v51
	v_mul_f32_e32 v52, v50, v50
	v_fmac_f32_e32 v22, 0x3ab42872, v50
	v_add_f32_e32 v51, v20, v20
	v_fma_f32 v53, v50, v50, -v52
	v_fma_f32 v22, v50, v22, v38
	v_fmac_f32_e32 v53, v50, v51
	v_fma_f32 v22, v50, v22, v39
	v_add_f32_e32 v51, v52, v53
	v_fma_f32 v22, v50, v22, v40
	v_sub_f32_e32 v52, v51, v52
	v_sub_f32_e32 v52, v53, v52
	v_mul_f32_e32 v53, v22, v51
	v_fma_f32 v51, v51, v22, -v53
	v_fmac_f32_e32 v51, v52, v22
	v_add_f32_e32 v52, v53, v51
	v_sub_f32_e32 v22, v52, v53
	v_sub_f32_e32 v51, v51, v22
	v_add_f32_e32 v22, v50, v52
	v_sub_f32_e32 v50, v22, v50
	v_sub_f32_e32 v50, v52, v50
	v_add_f32_e32 v20, v20, v51
	v_add_f32_e32 v50, v20, v50
	;; [unrolled: 1-line block ×3, first 2 shown]
	v_add_f32_e32 v53, 1.0, v52
	v_pk_add_f32 v[54:55], v[52:53], v[22:23] neg_lo:[0,1] neg_hi:[0,1]
	v_pk_add_f32 v[56:57], v[52:53], s[22:23]
	v_mov_b32_e32 v55, v57
	v_mov_b32_e32 v51, v52
	v_cvt_i32_f32_e32 v20, v58
	v_pk_add_f32 v[50:51], v[50:51], v[54:55] neg_lo:[0,1] neg_hi:[0,1]
	v_add_f32_e32 v22, v50, v51
	v_add_f32_e32 v50, v53, v22
	v_ldexp_f32 v51, v50, v20
	v_rcp_f32_e32 v52, v51
	v_sub_f32_e32 v50, v50, v53
	v_sub_f32_e32 v22, v22, v50
	v_ldexp_f32 v20, v22, v20
	v_mul_f32_e32 v22, v51, v52
	v_fma_f32 v50, v52, v51, -v22
	v_fmac_f32_e32 v50, v52, v20
	v_add_f32_e32 v53, v22, v50
	v_sub_f32_e32 v54, 1.0, v53
	v_sub_f32_e32 v55, 1.0, v54
	v_sub_f32_e32 v22, v53, v22
	v_sub_f32_e32 v55, v55, v53
	;; [unrolled: 1-line block ×3, first 2 shown]
	v_add_f32_e32 v22, v22, v55
	v_add_f32_e32 v50, v54, v22
	v_mul_f32_e32 v53, v52, v50
	v_mul_f32_e32 v55, v51, v53
	v_fma_f32 v56, v53, v51, -v55
	v_fmac_f32_e32 v56, v53, v20
	v_sub_f32_e32 v54, v54, v50
	v_add_f32_e32 v22, v22, v54
	v_add_f32_e32 v54, v55, v56
	v_sub_f32_e32 v57, v50, v54
	v_sub_f32_e32 v50, v50, v57
	;; [unrolled: 1-line block ×4, first 2 shown]
	v_add_f32_e32 v22, v22, v50
	v_sub_f32_e32 v50, v55, v56
	v_add_f32_e32 v22, v50, v22
	v_add_f32_e32 v22, v57, v22
	;; [unrolled: 1-line block ×3, first 2 shown]
	v_mul_f32_e32 v22, v52, v22
	v_sub_f32_e32 v52, v50, v52
	v_sub_f32_e32 v52, v53, v52
	v_add_f32_e32 v22, v52, v22
	v_add_f32_e32 v52, v50, v22
	v_sub_f32_e32 v50, v52, v50
	v_sub_f32_e32 v22, v22, v50
	v_ldexp_f32 v50, v52, -2
	v_sub_f32_e32 v52, v51, v50
	v_sub_f32_e32 v51, v51, v52
	;; [unrolled: 1-line block ×3, first 2 shown]
	v_ldexp_f32 v22, v22, -2
	v_add_f32_e32 v20, v20, v50
	v_sub_f32_e32 v20, v20, v22
	v_add_f32_e32 v20, v52, v20
	v_cmp_ngt_f32_e64 vcc, |v28|, s53
	v_cndmask_b32_e32 v20, v47, v20, vcc
	v_cmp_lt_f32_e64 s[8:9], |v28|, s54
	v_cndmask_b32_e64 v20, v20, |v28|, s[8:9]
	v_bfi_b32 v20, s37, v20, v28
	v_fma_f32 v22, v20, v20, 1.0
	v_mul_f32_e32 v28, 0x4f800000, v22
	v_cmp_gt_f32_e32 vcc, s55, v22
	v_cndmask_b32_e32 v22, v22, v28, vcc
	v_sqrt_f32_e32 v28, v22
	v_xor_b32_e32 v2, v49, v2
	v_xor_b32_e32 v2, v2, v29
	v_fma_f32 v29, v2, v2, 1.0
	v_add_u32_e32 v49, -1, v28
	v_fma_f32 v50, -v49, v28, v22
	v_cmp_ge_f32_e64 s[8:9], 0, v50
	v_add_u32_e32 v50, 1, v28
	v_cndmask_b32_e64 v49, v28, v49, s[8:9]
	v_fma_f32 v28, -v50, v28, v22
	v_cmp_lt_f32_e64 s[8:9], 0, v28
	v_cndmask_b32_e64 v28, v49, v50, s[8:9]
	v_mul_f32_e32 v49, 0x37800000, v28
	v_cndmask_b32_e32 v28, v28, v49, vcc
	v_cmp_class_f32_e32 vcc, v22, v41
	v_cndmask_b32_e32 v22, v28, v22, vcc
	v_mul_f32_e32 v28, v20, v29
	v_mul_f32_e32 v22, v22, v29
	v_fma_f32 v49, v20, v28, 1.0
	v_mul_f32_e32 v20, v20, v22
	v_div_scale_f32 v22, s[8:9], v49, v49, v20
	v_rcp_f32_e32 v28, v22
	v_fma_f32 v29, -v22, v28, 1.0
	v_fmac_f32_e32 v28, v29, v28
	v_div_scale_f32 v29, vcc, v20, v49, v20
	v_mul_f32_e32 v50, v29, v28
	v_fma_f32 v51, -v22, v50, v29
	v_fmac_f32_e32 v50, v51, v28
	v_fma_f32 v22, -v22, v50, v29
	v_div_scale_f32 v29, s[8:9], v49, v49, v2
	v_rcp_f32_e32 v51, v29
	v_div_fmas_f32 v22, v22, v28, v50
	v_div_fixup_f32 v28, v22, v49, v20
	v_fma_f32 v20, -v29, v51, 1.0
	v_fmac_f32_e32 v51, v20, v51
	v_div_scale_f32 v20, vcc, v2, v49, v2
	v_mul_f32_e32 v22, v20, v51
	v_fma_f32 v50, -v29, v22, v20
	v_fmac_f32_e32 v22, v50, v51
	v_fma_f32 v20, -v29, v22, v20
	v_div_fmas_f32 v20, v20, v51, v22
	v_div_fixup_f32 v29, v20, v49, v2
                                        ; implicit-def: $vgpr49
.LBB157_215:                            ;   in Loop: Header=BB157_161 Depth=1
	s_andn2_saveexec_b64 s[28:29], s[28:29]
	s_cbranch_execz .LBB157_225
; %bb.216:                              ;   in Loop: Header=BB157_161 Depth=1
	v_cmp_nlt_f32_e64 s[30:31], |v29|, s41
                                        ; implicit-def: $vgpr20
                                        ; implicit-def: $vgpr22
	s_and_saveexec_b64 s[8:9], s[30:31]
	s_xor_b64 s[34:35], exec, s[8:9]
	s_cbranch_execz .LBB157_218
; %bb.217:                              ;   in Loop: Header=BB157_161 Depth=1
	v_lshrrev_b32_e32 v2, 23, v49
	v_add_u32_e32 v2, 0xffffff88, v2
	v_cmp_lt_u32_e32 vcc, 63, v2
	v_cndmask_b32_e32 v20, 0, v45, vcc
	v_add_u32_e32 v2, v20, v2
	v_cmp_lt_u32_e64 s[8:9], 31, v2
	v_cndmask_b32_e64 v20, 0, v46, s[8:9]
	v_add_u32_e32 v2, v20, v2
	v_cmp_lt_u32_e64 s[10:11], 31, v2
	v_cndmask_b32_e64 v20, 0, v46, s[10:11]
	v_add_u32_e32 v20, v20, v2
	v_and_b32_e32 v2, 0x7fffff, v49
	v_or_b32_e32 v22, 0x800000, v2
	v_mad_u64_u32 v[50:51], s[12:13], v22, s42, 0
	v_mov_b32_e32 v2, v51
	v_mad_u64_u32 v[52:53], s[12:13], v22, s43, v[2:3]
	v_mov_b32_e32 v2, v53
	;; [unrolled: 2-line block ×6, first 2 shown]
	v_mad_u64_u32 v[62:63], s[12:13], v22, s48, v[2:3]
	v_cndmask_b32_e32 v51, v60, v56, vcc
	v_cndmask_b32_e32 v2, v62, v58, vcc
	;; [unrolled: 1-line block ×3, first 2 shown]
	v_cndmask_b32_e64 v22, v2, v51, s[8:9]
	v_cndmask_b32_e64 v2, v53, v2, s[8:9]
	v_cndmask_b32_e32 v53, v58, v54, vcc
	v_cndmask_b32_e64 v51, v51, v53, s[8:9]
	v_sub_u32_e32 v55, 32, v20
	v_cmp_eq_u32_e64 s[12:13], 0, v20
	v_cndmask_b32_e32 v20, v56, v52, vcc
	v_cndmask_b32_e64 v2, v2, v22, s[10:11]
	v_cndmask_b32_e64 v22, v22, v51, s[10:11]
	;; [unrolled: 1-line block ×3, first 2 shown]
	v_alignbit_b32 v57, v2, v22, v55
	v_cndmask_b32_e64 v51, v51, v52, s[10:11]
	v_cndmask_b32_e64 v2, v57, v2, s[12:13]
	v_alignbit_b32 v53, v22, v51, v55
	v_cndmask_b32_e32 v50, v54, v50, vcc
	v_cndmask_b32_e64 v22, v53, v22, s[12:13]
	v_bfe_u32 v57, v2, 29, 1
	v_cndmask_b32_e64 v20, v20, v50, s[8:9]
	v_alignbit_b32 v53, v2, v22, 30
	v_sub_u32_e32 v58, 0, v57
	v_cndmask_b32_e64 v20, v52, v20, s[10:11]
	v_xor_b32_e32 v59, v53, v58
	v_alignbit_b32 v50, v51, v20, v55
	v_cndmask_b32_e64 v50, v50, v51, s[12:13]
	v_ffbh_u32_e32 v51, v59
	v_add_u32_e32 v51, 1, v51
	v_cmp_ne_u32_e32 vcc, v53, v58
	v_alignbit_b32 v22, v22, v50, 30
	v_cndmask_b32_e32 v51, 33, v51, vcc
	v_alignbit_b32 v20, v50, v20, 30
	v_xor_b32_e32 v22, v22, v58
	v_sub_u32_e32 v52, 32, v51
	v_xor_b32_e32 v20, v20, v58
	v_alignbit_b32 v53, v59, v22, v52
	v_alignbit_b32 v20, v22, v20, v52
	;; [unrolled: 1-line block ×3, first 2 shown]
	v_ffbh_u32_e32 v50, v22
	v_min_u32_e32 v50, 32, v50
	v_lshrrev_b32_e32 v56, 29, v2
	v_sub_u32_e32 v52, 31, v50
	v_alignbit_b32 v20, v22, v20, v52
	v_lshlrev_b32_e32 v22, 31, v56
	v_or_b32_e32 v52, 0x33800000, v22
	v_add_lshl_u32 v50, v50, v51, 23
	v_lshrrev_b32_e32 v20, 9, v20
	v_sub_u32_e32 v50, v52, v50
	v_or_b32_e32 v20, v50, v20
	v_alignbit_b32 v50, v51, v53, 9
	v_or_b32_e32 v22, v50, v22
	v_xor_b32_e32 v22, 1.0, v22
	v_mul_f32_e32 v50, 0x3fc90fda, v22
	v_fma_f32 v51, v22, s49, -v50
	v_fmac_f32_e32 v51, 0x33a22168, v22
	v_fmac_f32_e32 v51, 0x3fc90fda, v20
	v_lshrrev_b32_e32 v2, 30, v2
	v_add_f32_e32 v22, v50, v51
	v_add_u32_e32 v20, v57, v2
	s_andn2_saveexec_b64 s[8:9], s[34:35]
	s_branch .LBB157_219
.LBB157_218:                            ;   in Loop: Header=BB157_161 Depth=1
	s_andn2_saveexec_b64 s[8:9], s[34:35]
.LBB157_219:                            ;   in Loop: Header=BB157_161 Depth=1
	v_mul_f32_e64 v2, |v29|, s50
	v_rndne_f32_e32 v2, v2
	v_cvt_i32_f32_e32 v20, v2
	v_fma_f32 v22, v2, s51, |v29|
	v_fmac_f32_e32 v22, 0xb3a22168, v2
	v_fmac_f32_e32 v22, 0xa7c234c4, v2
; %bb.220:                              ;   in Loop: Header=BB157_161 Depth=1
	s_or_b64 exec, exec, s[8:9]
                                        ; implicit-def: $vgpr2
                                        ; implicit-def: $vgpr50
	s_and_saveexec_b64 s[8:9], s[30:31]
	s_xor_b64 s[30:31], exec, s[8:9]
	s_cbranch_execz .LBB157_222
; %bb.221:                              ;   in Loop: Header=BB157_161 Depth=1
	v_lshrrev_b32_e32 v2, 23, v49
	v_add_u32_e32 v2, 0xffffff88, v2
	v_cmp_lt_u32_e32 vcc, 63, v2
	v_cndmask_b32_e32 v50, 0, v45, vcc
	v_add_u32_e32 v2, v50, v2
	v_cmp_lt_u32_e64 s[8:9], 31, v2
	v_cndmask_b32_e64 v50, 0, v46, s[8:9]
	v_add_u32_e32 v2, v50, v2
	v_cmp_lt_u32_e64 s[10:11], 31, v2
	v_cndmask_b32_e64 v50, 0, v46, s[10:11]
	v_add_u32_e32 v64, v50, v2
	v_and_b32_e32 v2, 0x7fffff, v49
	v_or_b32_e32 v62, 0x800000, v2
	v_mad_u64_u32 v[50:51], s[12:13], v62, s42, 0
	v_mov_b32_e32 v2, v51
	v_mad_u64_u32 v[52:53], s[12:13], v62, s43, v[2:3]
	v_mov_b32_e32 v2, v53
	;; [unrolled: 2-line block ×6, first 2 shown]
	v_mad_u64_u32 v[62:63], s[12:13], v62, s48, v[2:3]
	v_cndmask_b32_e32 v51, v60, v56, vcc
	v_cndmask_b32_e32 v2, v62, v58, vcc
	;; [unrolled: 1-line block ×3, first 2 shown]
	v_cndmask_b32_e64 v53, v2, v51, s[8:9]
	v_cndmask_b32_e64 v2, v55, v2, s[8:9]
	v_cndmask_b32_e32 v55, v58, v54, vcc
	v_cndmask_b32_e64 v51, v51, v55, s[8:9]
	v_cndmask_b32_e32 v52, v56, v52, vcc
	v_cndmask_b32_e64 v2, v2, v53, s[10:11]
	v_cndmask_b32_e64 v53, v53, v51, s[10:11]
	v_sub_u32_e32 v57, 32, v64
	v_cndmask_b32_e64 v55, v55, v52, s[8:9]
	v_alignbit_b32 v58, v2, v53, v57
	v_cmp_eq_u32_e64 s[12:13], 0, v64
	v_cndmask_b32_e64 v51, v51, v55, s[10:11]
	v_cndmask_b32_e32 v50, v54, v50, vcc
	v_cndmask_b32_e64 v2, v58, v2, s[12:13]
	v_alignbit_b32 v56, v53, v51, v57
	v_cndmask_b32_e64 v50, v52, v50, s[8:9]
	v_cndmask_b32_e64 v53, v56, v53, s[12:13]
	v_bfe_u32 v59, v2, 29, 1
	v_cndmask_b32_e64 v50, v55, v50, s[10:11]
	v_alignbit_b32 v56, v2, v53, 30
	v_sub_u32_e32 v60, 0, v59
	v_alignbit_b32 v52, v51, v50, v57
	v_xor_b32_e32 v61, v56, v60
	v_cndmask_b32_e64 v51, v52, v51, s[12:13]
	v_alignbit_b32 v52, v53, v51, 30
	v_ffbh_u32_e32 v53, v61
	v_add_u32_e32 v53, 1, v53
	v_cmp_ne_u32_e32 vcc, v56, v60
	v_cndmask_b32_e32 v53, 33, v53, vcc
	v_alignbit_b32 v50, v51, v50, 30
	v_xor_b32_e32 v52, v52, v60
	v_sub_u32_e32 v54, 32, v53
	v_xor_b32_e32 v50, v50, v60
	v_alignbit_b32 v55, v61, v52, v54
	v_alignbit_b32 v50, v52, v50, v54
	;; [unrolled: 1-line block ×3, first 2 shown]
	v_ffbh_u32_e32 v52, v51
	v_min_u32_e32 v52, 32, v52
	v_lshrrev_b32_e32 v58, 29, v2
	v_sub_u32_e32 v54, 31, v52
	v_alignbit_b32 v50, v51, v50, v54
	v_lshlrev_b32_e32 v51, 31, v58
	v_or_b32_e32 v54, 0x33800000, v51
	v_add_lshl_u32 v52, v52, v53, 23
	v_lshrrev_b32_e32 v50, 9, v50
	v_sub_u32_e32 v52, v54, v52
	v_or_b32_e32 v50, v52, v50
	v_alignbit_b32 v52, v53, v55, 9
	v_or_b32_e32 v51, v52, v51
	v_xor_b32_e32 v51, 1.0, v51
	v_mul_f32_e32 v52, 0x3fc90fda, v51
	v_fma_f32 v53, v51, s49, -v52
	v_fmac_f32_e32 v53, 0x33a22168, v51
	v_fmac_f32_e32 v53, 0x3fc90fda, v50
	v_lshrrev_b32_e32 v2, 30, v2
	v_add_f32_e32 v50, v52, v53
	v_add_u32_e32 v2, v59, v2
	s_andn2_saveexec_b64 s[8:9], s[30:31]
	s_cbranch_execnz .LBB157_223
	s_branch .LBB157_224
.LBB157_222:                            ;   in Loop: Header=BB157_161 Depth=1
	s_andn2_saveexec_b64 s[8:9], s[30:31]
.LBB157_223:                            ;   in Loop: Header=BB157_161 Depth=1
	v_mul_f32_e64 v2, |v29|, s50
	v_rndne_f32_e32 v51, v2
	v_cvt_i32_f32_e32 v2, v51
	v_fma_f32 v50, v51, s51, |v29|
	v_fmac_f32_e32 v50, 0xb3a22168, v51
	v_fmac_f32_e32 v50, 0xa7c234c4, v51
.LBB157_224:                            ;   in Loop: Header=BB157_161 Depth=1
	s_or_b64 exec, exec, s[8:9]
	v_mul_f32_e32 v51, v22, v22
	v_mov_b32_e32 v52, 0x3c0881c4
	v_fmac_f32_e32 v52, 0xb94c1982, v51
	v_fma_f32 v52, v51, v52, v42
	v_mul_f32_e32 v52, v51, v52
	v_fmac_f32_e32 v22, v22, v52
	v_mov_b32_e32 v52, 0xbab64f3b
	v_fmac_f32_e32 v52, 0x37d75334, v51
	v_fma_f32 v52, v51, v52, v43
	v_fma_f32 v52, v51, v52, v44
	v_fma_f32 v51, v51, v52, 1.0
	v_and_b32_e32 v52, 1, v20
	v_lshlrev_b32_e32 v20, 30, v20
	v_and_b32_e32 v20, 0x80000000, v20
	v_cmp_eq_u32_e32 vcc, 0, v52
	v_xor_b32_e32 v20, v49, v20
	v_mul_f32_e64 v49, |v28|, s56
	v_cndmask_b32_e32 v22, v51, v22, vcc
	v_rndne_f32_e32 v51, v49
	v_sub_f32_e32 v52, v49, v51
	v_fma_f32 v49, |v28|, s56, -v49
	v_fma_f32 v49, |v28|, s57, v49
	v_add_f32_e32 v49, v52, v49
	v_exp_f32_e32 v49, v49
	v_cvt_i32_f32_e32 v51, v51
	v_xor_b32_e32 v20, v20, v22
	v_xor_b32_e32 v20, v20, v29
	v_mul_f32_e32 v29, v50, v50
	v_ldexp_f32 v22, v49, v51
	v_mov_b32_e32 v49, 0x3c0881c4
	v_fmac_f32_e32 v49, 0xb94c1982, v29
	v_fma_f32 v49, v29, v49, v42
	v_mul_f32_e32 v49, v29, v49
	v_fmac_f32_e32 v50, v50, v49
	v_mov_b32_e32 v49, 0xbab64f3b
	v_fmac_f32_e32 v49, 0x37d75334, v29
	v_fma_f32 v49, v29, v49, v43
	v_cmp_ngt_f32_e64 vcc, |v28|, s58
	v_fma_f32 v49, v29, v49, v44
	v_cndmask_b32_e32 v22, 0, v22, vcc
	v_cmp_nlt_f32_e64 vcc, |v28|, s59
	v_fma_f32 v29, v29, v49, 1.0
	v_and_b32_e32 v49, 1, v2
	v_cndmask_b32_e32 v22, v47, v22, vcc
	v_cmp_eq_u32_e32 vcc, 0, v49
	v_lshlrev_b32_e32 v2, 30, v2
	v_cndmask_b32_e64 v29, -v50, v29, vcc
	v_and_b32_e32 v2, 0x80000000, v2
	v_mul_f32_e32 v20, 4.0, v20
	v_xor_b32_e32 v2, v2, v29
	v_mul_f32_e32 v2, v20, v2
	v_mul_f32_e32 v2, v22, v2
	v_bfi_b32 v28, s37, 1.0, v28
	v_mul_f32_e32 v29, v22, v2
.LBB157_225:                            ;   in Loop: Header=BB157_161 Depth=1
	s_or_b64 exec, exec, s[28:29]
.LBB157_226:                            ;   in Loop: Header=BB157_161 Depth=1
	s_andn2_saveexec_b64 s[8:9], s[26:27]
; %bb.227:                              ;   in Loop: Header=BB157_161 Depth=1
	v_sub_f32_e32 v29, v29, v29
	v_mov_b32_e32 v28, v29
; %bb.228:                              ;   in Loop: Header=BB157_161 Depth=1
	s_or_b64 exec, exec, s[8:9]
.LBB157_229:                            ;   in Loop: Header=BB157_161 Depth=1
	s_andn2_saveexec_b64 s[24:25], s[24:25]
	s_cbranch_execz .LBB157_245
; %bb.230:                              ;   in Loop: Header=BB157_161 Depth=1
	v_and_b32_e32 v2, 0x7fffff, v28
	v_cmp_ne_u32_e32 vcc, 0, v2
	s_and_saveexec_b64 s[8:9], vcc
	s_xor_b64 s[8:9], exec, s[8:9]
; %bb.231:                              ;   in Loop: Header=BB157_161 Depth=1
	v_mul_f32_e32 v2, v29, v28
	v_cmp_eq_f32_e32 vcc, 0, v29
	v_cndmask_b32_e32 v29, v2, v29, vcc
; %bb.232:                              ;   in Loop: Header=BB157_161 Depth=1
	s_andn2_saveexec_b64 s[26:27], s[8:9]
	s_cbranch_execz .LBB157_244
; %bb.233:                              ;   in Loop: Header=BB157_161 Depth=1
	v_cmp_neq_f32_e64 s[8:9], |v29|, s38
	s_and_saveexec_b64 s[28:29], s[8:9]
	s_cbranch_execz .LBB157_243
; %bb.234:                              ;   in Loop: Header=BB157_161 Depth=1
	v_and_b32_e32 v20, 0x7fffffff, v29
	v_cmp_nlt_f32_e64 s[30:31], |v29|, s41
                                        ; implicit-def: $vgpr22
                                        ; implicit-def: $vgpr49
	s_and_saveexec_b64 s[8:9], s[30:31]
	s_xor_b64 s[34:35], exec, s[8:9]
	s_cbranch_execz .LBB157_236
; %bb.235:                              ;   in Loop: Header=BB157_161 Depth=1
	v_lshrrev_b32_e32 v2, 23, v20
	v_add_u32_e32 v2, 0xffffff88, v2
	v_cmp_lt_u32_e32 vcc, 63, v2
	v_cndmask_b32_e32 v22, 0, v45, vcc
	v_add_u32_e32 v2, v22, v2
	v_cmp_lt_u32_e64 s[8:9], 31, v2
	v_cndmask_b32_e64 v22, 0, v46, s[8:9]
	v_add_u32_e32 v2, v22, v2
	v_cmp_lt_u32_e64 s[10:11], 31, v2
	v_cndmask_b32_e64 v22, 0, v46, s[10:11]
	v_add_u32_e32 v22, v22, v2
	v_and_b32_e32 v2, 0x7fffff, v20
	v_or_b32_e32 v49, 0x800000, v2
	v_mad_u64_u32 v[50:51], s[12:13], v49, s42, 0
	v_mov_b32_e32 v2, v51
	v_mad_u64_u32 v[52:53], s[12:13], v49, s43, v[2:3]
	v_mov_b32_e32 v2, v53
	;; [unrolled: 2-line block ×6, first 2 shown]
	v_mad_u64_u32 v[62:63], s[12:13], v49, s48, v[2:3]
	v_cndmask_b32_e32 v51, v60, v56, vcc
	v_cndmask_b32_e32 v2, v62, v58, vcc
	;; [unrolled: 1-line block ×3, first 2 shown]
	v_cndmask_b32_e64 v49, v2, v51, s[8:9]
	v_cndmask_b32_e64 v2, v53, v2, s[8:9]
	v_cndmask_b32_e32 v53, v58, v54, vcc
	v_cndmask_b32_e64 v51, v51, v53, s[8:9]
	v_sub_u32_e32 v55, 32, v22
	v_cmp_eq_u32_e64 s[12:13], 0, v22
	v_cndmask_b32_e32 v22, v56, v52, vcc
	v_cndmask_b32_e64 v2, v2, v49, s[10:11]
	v_cndmask_b32_e64 v49, v49, v51, s[10:11]
	;; [unrolled: 1-line block ×3, first 2 shown]
	v_alignbit_b32 v57, v2, v49, v55
	v_cndmask_b32_e64 v51, v51, v52, s[10:11]
	v_cndmask_b32_e64 v2, v57, v2, s[12:13]
	v_alignbit_b32 v53, v49, v51, v55
	v_cndmask_b32_e32 v50, v54, v50, vcc
	v_cndmask_b32_e64 v49, v53, v49, s[12:13]
	v_bfe_u32 v57, v2, 29, 1
	v_cndmask_b32_e64 v22, v22, v50, s[8:9]
	v_alignbit_b32 v53, v2, v49, 30
	v_sub_u32_e32 v58, 0, v57
	v_cndmask_b32_e64 v22, v52, v22, s[10:11]
	v_xor_b32_e32 v59, v53, v58
	v_alignbit_b32 v50, v51, v22, v55
	v_cndmask_b32_e64 v50, v50, v51, s[12:13]
	v_ffbh_u32_e32 v51, v59
	v_add_u32_e32 v51, 1, v51
	v_cmp_ne_u32_e32 vcc, v53, v58
	v_alignbit_b32 v49, v49, v50, 30
	v_cndmask_b32_e32 v51, 33, v51, vcc
	v_alignbit_b32 v22, v50, v22, 30
	v_xor_b32_e32 v49, v49, v58
	v_sub_u32_e32 v52, 32, v51
	v_xor_b32_e32 v22, v22, v58
	v_alignbit_b32 v53, v59, v49, v52
	v_alignbit_b32 v22, v49, v22, v52
	;; [unrolled: 1-line block ×3, first 2 shown]
	v_ffbh_u32_e32 v50, v49
	v_min_u32_e32 v50, 32, v50
	v_lshrrev_b32_e32 v56, 29, v2
	v_sub_u32_e32 v52, 31, v50
	v_alignbit_b32 v22, v49, v22, v52
	v_lshlrev_b32_e32 v49, 31, v56
	v_or_b32_e32 v52, 0x33800000, v49
	v_add_lshl_u32 v50, v50, v51, 23
	v_lshrrev_b32_e32 v22, 9, v22
	v_sub_u32_e32 v50, v52, v50
	v_or_b32_e32 v22, v50, v22
	v_alignbit_b32 v50, v51, v53, 9
	v_or_b32_e32 v49, v50, v49
	v_xor_b32_e32 v49, 1.0, v49
	v_mul_f32_e32 v50, 0x3fc90fda, v49
	v_fma_f32 v51, v49, s49, -v50
	v_fmac_f32_e32 v51, 0x33a22168, v49
	v_fmac_f32_e32 v51, 0x3fc90fda, v22
	v_lshrrev_b32_e32 v2, 30, v2
	v_add_f32_e32 v49, v50, v51
	v_add_u32_e32 v22, v57, v2
	s_andn2_saveexec_b64 s[8:9], s[34:35]
	s_branch .LBB157_237
.LBB157_236:                            ;   in Loop: Header=BB157_161 Depth=1
	s_andn2_saveexec_b64 s[8:9], s[34:35]
.LBB157_237:                            ;   in Loop: Header=BB157_161 Depth=1
	v_mul_f32_e64 v2, |v29|, s50
	v_rndne_f32_e32 v2, v2
	v_cvt_i32_f32_e32 v22, v2
	v_fma_f32 v49, v2, s51, |v29|
	v_fmac_f32_e32 v49, 0xb3a22168, v2
	v_fmac_f32_e32 v49, 0xa7c234c4, v2
; %bb.238:                              ;   in Loop: Header=BB157_161 Depth=1
	s_or_b64 exec, exec, s[8:9]
                                        ; implicit-def: $vgpr2
                                        ; implicit-def: $vgpr50
	s_and_saveexec_b64 s[8:9], s[30:31]
	s_xor_b64 s[30:31], exec, s[8:9]
	s_cbranch_execz .LBB157_240
; %bb.239:                              ;   in Loop: Header=BB157_161 Depth=1
	v_lshrrev_b32_e32 v2, 23, v20
	v_add_u32_e32 v2, 0xffffff88, v2
	v_cmp_lt_u32_e32 vcc, 63, v2
	v_cndmask_b32_e32 v50, 0, v45, vcc
	v_add_u32_e32 v2, v50, v2
	v_cmp_lt_u32_e64 s[8:9], 31, v2
	v_cndmask_b32_e64 v50, 0, v46, s[8:9]
	v_add_u32_e32 v2, v50, v2
	v_cmp_lt_u32_e64 s[10:11], 31, v2
	v_cndmask_b32_e64 v50, 0, v46, s[10:11]
	v_add_u32_e32 v64, v50, v2
	v_and_b32_e32 v2, 0x7fffff, v20
	v_or_b32_e32 v62, 0x800000, v2
	v_mad_u64_u32 v[50:51], s[12:13], v62, s42, 0
	v_mov_b32_e32 v2, v51
	v_mad_u64_u32 v[52:53], s[12:13], v62, s43, v[2:3]
	v_mov_b32_e32 v2, v53
	;; [unrolled: 2-line block ×6, first 2 shown]
	v_mad_u64_u32 v[62:63], s[12:13], v62, s48, v[2:3]
	v_cndmask_b32_e32 v51, v60, v56, vcc
	v_cndmask_b32_e32 v2, v62, v58, vcc
	;; [unrolled: 1-line block ×3, first 2 shown]
	v_cndmask_b32_e64 v53, v2, v51, s[8:9]
	v_cndmask_b32_e64 v2, v55, v2, s[8:9]
	v_cndmask_b32_e32 v55, v58, v54, vcc
	v_cndmask_b32_e64 v51, v51, v55, s[8:9]
	v_cndmask_b32_e32 v52, v56, v52, vcc
	v_cndmask_b32_e64 v2, v2, v53, s[10:11]
	v_cndmask_b32_e64 v53, v53, v51, s[10:11]
	v_sub_u32_e32 v57, 32, v64
	v_cndmask_b32_e64 v55, v55, v52, s[8:9]
	v_alignbit_b32 v58, v2, v53, v57
	v_cmp_eq_u32_e64 s[12:13], 0, v64
	v_cndmask_b32_e64 v51, v51, v55, s[10:11]
	v_cndmask_b32_e32 v50, v54, v50, vcc
	v_cndmask_b32_e64 v2, v58, v2, s[12:13]
	v_alignbit_b32 v56, v53, v51, v57
	v_cndmask_b32_e64 v50, v52, v50, s[8:9]
	v_cndmask_b32_e64 v53, v56, v53, s[12:13]
	v_bfe_u32 v59, v2, 29, 1
	v_cndmask_b32_e64 v50, v55, v50, s[10:11]
	v_alignbit_b32 v56, v2, v53, 30
	v_sub_u32_e32 v60, 0, v59
	v_alignbit_b32 v52, v51, v50, v57
	v_xor_b32_e32 v61, v56, v60
	v_cndmask_b32_e64 v51, v52, v51, s[12:13]
	v_alignbit_b32 v52, v53, v51, 30
	v_ffbh_u32_e32 v53, v61
	v_add_u32_e32 v53, 1, v53
	v_cmp_ne_u32_e32 vcc, v56, v60
	v_cndmask_b32_e32 v53, 33, v53, vcc
	v_alignbit_b32 v50, v51, v50, 30
	v_xor_b32_e32 v52, v52, v60
	v_sub_u32_e32 v54, 32, v53
	v_xor_b32_e32 v50, v50, v60
	v_alignbit_b32 v55, v61, v52, v54
	v_alignbit_b32 v50, v52, v50, v54
	;; [unrolled: 1-line block ×3, first 2 shown]
	v_ffbh_u32_e32 v52, v51
	v_min_u32_e32 v52, 32, v52
	v_lshrrev_b32_e32 v58, 29, v2
	v_sub_u32_e32 v54, 31, v52
	v_alignbit_b32 v50, v51, v50, v54
	v_lshlrev_b32_e32 v51, 31, v58
	v_or_b32_e32 v54, 0x33800000, v51
	v_add_lshl_u32 v52, v52, v53, 23
	v_lshrrev_b32_e32 v50, 9, v50
	v_sub_u32_e32 v52, v54, v52
	v_or_b32_e32 v50, v52, v50
	v_alignbit_b32 v52, v53, v55, 9
	v_or_b32_e32 v51, v52, v51
	v_xor_b32_e32 v51, 1.0, v51
	v_mul_f32_e32 v52, 0x3fc90fda, v51
	v_fma_f32 v53, v51, s49, -v52
	v_fmac_f32_e32 v53, 0x33a22168, v51
	v_fmac_f32_e32 v53, 0x3fc90fda, v50
	v_lshrrev_b32_e32 v2, 30, v2
	v_add_f32_e32 v50, v52, v53
	v_add_u32_e32 v2, v59, v2
	s_andn2_saveexec_b64 s[8:9], s[30:31]
	s_cbranch_execnz .LBB157_241
	s_branch .LBB157_242
.LBB157_240:                            ;   in Loop: Header=BB157_161 Depth=1
	s_andn2_saveexec_b64 s[8:9], s[30:31]
.LBB157_241:                            ;   in Loop: Header=BB157_161 Depth=1
	v_mul_f32_e64 v2, |v29|, s50
	v_rndne_f32_e32 v51, v2
	v_cvt_i32_f32_e32 v2, v51
	v_fma_f32 v50, v51, s51, |v29|
	v_fmac_f32_e32 v50, 0xb3a22168, v51
	v_fmac_f32_e32 v50, 0xa7c234c4, v51
.LBB157_242:                            ;   in Loop: Header=BB157_161 Depth=1
	s_or_b64 exec, exec, s[8:9]
	v_mul_f32_e32 v51, v49, v49
	v_mov_b32_e32 v52, 0x3c0881c4
	v_fmac_f32_e32 v52, 0xb94c1982, v51
	v_fma_f32 v52, v51, v52, v42
	v_mul_f32_e32 v52, v51, v52
	v_fmac_f32_e32 v49, v49, v52
	v_mov_b32_e32 v52, 0xbab64f3b
	v_fmac_f32_e32 v52, 0x37d75334, v51
	v_fma_f32 v52, v51, v52, v43
	v_fma_f32 v52, v51, v52, v44
	v_fma_f32 v51, v51, v52, 1.0
	v_and_b32_e32 v52, 1, v22
	v_lshlrev_b32_e32 v22, 30, v22
	v_cmp_eq_u32_e32 vcc, 0, v52
	v_and_b32_e32 v22, 0x80000000, v22
	v_cndmask_b32_e32 v49, v51, v49, vcc
	v_xor_b32_e32 v20, v20, v22
	v_xor_b32_e32 v20, v20, v49
	v_mul_f32_e32 v22, v50, v50
	v_mov_b32_e32 v49, 0x3c0881c4
	v_fmac_f32_e32 v49, 0xb94c1982, v22
	v_fma_f32 v49, v22, v49, v42
	v_mul_f32_e32 v49, v22, v49
	v_fmac_f32_e32 v50, v50, v49
	v_mov_b32_e32 v49, 0xbab64f3b
	v_fmac_f32_e32 v49, 0x37d75334, v22
	v_fma_f32 v49, v22, v49, v43
	v_fma_f32 v49, v22, v49, v44
	v_fma_f32 v22, v22, v49, 1.0
	v_and_b32_e32 v49, 1, v2
	v_cmp_eq_u32_e32 vcc, 0, v49
	v_lshlrev_b32_e32 v2, 30, v2
	v_cndmask_b32_e64 v22, -v50, v22, vcc
	v_and_b32_e32 v2, 0x80000000, v2
	v_xor_b32_e32 v20, v20, v29
	v_xor_b32_e32 v2, v2, v22
	v_mul_f32_e32 v2, v20, v2
	v_cmp_class_f32_e64 vcc, v29, s39
	v_cndmask_b32_e32 v29, v48, v2, vcc
.LBB157_243:                            ;   in Loop: Header=BB157_161 Depth=1
	s_or_b64 exec, exec, s[28:29]
	v_add_u32_e32 v28, -2.0, v28
	v_bfi_b32 v29, s37, 0, v29
.LBB157_244:                            ;   in Loop: Header=BB157_161 Depth=1
	s_or_b64 exec, exec, s[26:27]
.LBB157_245:                            ;   in Loop: Header=BB157_161 Depth=1
	s_or_b64 exec, exec, s[24:25]
	v_and_b32_e32 v20, 0x7fffffff, v24
	v_cmp_gt_u32_e32 vcc, s38, v20
	s_and_saveexec_b64 s[8:9], vcc
	s_xor_b64 s[24:25], exec, s[8:9]
	s_cbranch_execz .LBB157_267
; %bb.246:                              ;   in Loop: Header=BB157_161 Depth=1
	v_cmp_class_f32_e64 s[8:9], v25, s39
	s_and_saveexec_b64 s[10:11], s[8:9]
	s_xor_b64 s[26:27], exec, s[10:11]
	s_cbranch_execz .LBB157_264
; %bb.247:                              ;   in Loop: Header=BB157_161 Depth=1
	v_and_b32_e32 v49, 0x7fffffff, v25
	v_cmp_gt_u32_e32 vcc, s40, v20
	s_and_saveexec_b64 s[8:9], vcc
	s_xor_b64 s[28:29], exec, s[8:9]
	s_cbranch_execz .LBB157_253
; %bb.248:                              ;   in Loop: Header=BB157_161 Depth=1
	v_cmp_nlt_f32_e64 s[8:9], |v25|, s41
                                        ; implicit-def: $vgpr22
                                        ; implicit-def: $vgpr2
	s_and_saveexec_b64 s[10:11], s[8:9]
	s_xor_b64 s[30:31], exec, s[10:11]
	s_cbranch_execz .LBB157_250
; %bb.249:                              ;   in Loop: Header=BB157_161 Depth=1
	v_lshrrev_b32_e32 v2, 23, v49
	v_add_u32_e32 v2, 0xffffff88, v2
	v_cmp_lt_u32_e32 vcc, 63, v2
	v_cndmask_b32_e32 v22, 0, v45, vcc
	v_add_u32_e32 v2, v22, v2
	v_cmp_lt_u32_e64 s[8:9], 31, v2
	v_cndmask_b32_e64 v22, 0, v46, s[8:9]
	v_add_u32_e32 v2, v22, v2
	v_cmp_lt_u32_e64 s[10:11], 31, v2
	v_cndmask_b32_e64 v22, 0, v46, s[10:11]
	v_add_u32_e32 v22, v22, v2
	v_and_b32_e32 v2, 0x7fffff, v49
	v_or_b32_e32 v62, 0x800000, v2
	v_mad_u64_u32 v[50:51], s[12:13], v62, s42, 0
	v_mov_b32_e32 v2, v51
	v_mad_u64_u32 v[52:53], s[12:13], v62, s43, v[2:3]
	v_mov_b32_e32 v2, v53
	;; [unrolled: 2-line block ×6, first 2 shown]
	v_mad_u64_u32 v[62:63], s[12:13], v62, s48, v[2:3]
	v_cndmask_b32_e32 v51, v60, v56, vcc
	v_cndmask_b32_e32 v2, v62, v58, vcc
	;; [unrolled: 1-line block ×3, first 2 shown]
	v_cndmask_b32_e64 v53, v2, v51, s[8:9]
	v_cndmask_b32_e64 v2, v55, v2, s[8:9]
	v_cndmask_b32_e32 v55, v58, v54, vcc
	v_cndmask_b32_e64 v51, v51, v55, s[8:9]
	v_cndmask_b32_e64 v2, v2, v53, s[10:11]
	;; [unrolled: 1-line block ×3, first 2 shown]
	v_sub_u32_e32 v57, 32, v22
	v_alignbit_b32 v58, v2, v53, v57
	v_cmp_eq_u32_e64 s[12:13], 0, v22
	v_cndmask_b32_e64 v22, v58, v2, s[12:13]
	v_cndmask_b32_e32 v2, v56, v52, vcc
	v_cndmask_b32_e64 v52, v55, v2, s[8:9]
	v_cndmask_b32_e64 v51, v51, v52, s[10:11]
	v_alignbit_b32 v55, v53, v51, v57
	v_cndmask_b32_e64 v53, v55, v53, s[12:13]
	v_bfe_u32 v58, v22, 29, 1
	v_cndmask_b32_e32 v50, v54, v50, vcc
	v_alignbit_b32 v55, v22, v53, 30
	v_sub_u32_e32 v59, 0, v58
	v_cndmask_b32_e64 v2, v2, v50, s[8:9]
	v_xor_b32_e32 v60, v55, v59
	v_cndmask_b32_e64 v2, v52, v2, s[10:11]
	v_alignbit_b32 v50, v51, v2, v57
	v_ffbh_u32_e32 v52, v60
	v_cndmask_b32_e64 v50, v50, v51, s[12:13]
	v_add_u32_e32 v52, 1, v52
	v_cmp_ne_u32_e32 vcc, v55, v59
	v_alignbit_b32 v51, v53, v50, 30
	v_cndmask_b32_e32 v52, 33, v52, vcc
	v_alignbit_b32 v2, v50, v2, 30
	v_xor_b32_e32 v51, v51, v59
	v_sub_u32_e32 v53, 32, v52
	v_xor_b32_e32 v2, v2, v59
	v_alignbit_b32 v54, v60, v51, v53
	v_alignbit_b32 v2, v51, v2, v53
	;; [unrolled: 1-line block ×3, first 2 shown]
	v_ffbh_u32_e32 v51, v50
	v_min_u32_e32 v51, 32, v51
	v_lshrrev_b32_e32 v56, 29, v22
	v_sub_u32_e32 v53, 31, v51
	v_alignbit_b32 v2, v50, v2, v53
	v_lshlrev_b32_e32 v50, 31, v56
	v_or_b32_e32 v53, 0x33800000, v50
	v_add_lshl_u32 v51, v51, v52, 23
	v_lshrrev_b32_e32 v2, 9, v2
	v_sub_u32_e32 v51, v53, v51
	v_or_b32_e32 v2, v51, v2
	v_alignbit_b32 v51, v52, v54, 9
	v_or_b32_e32 v50, v51, v50
	v_xor_b32_e32 v50, 1.0, v50
	v_mul_f32_e32 v51, 0x3fc90fda, v50
	v_fma_f32 v52, v50, s49, -v51
	v_fmac_f32_e32 v52, 0x33a22168, v50
	v_fmac_f32_e32 v52, 0x3fc90fda, v2
	v_lshrrev_b32_e32 v22, 30, v22
	v_add_f32_e32 v2, v51, v52
	v_add_u32_e32 v22, v58, v22
.LBB157_250:                            ;   in Loop: Header=BB157_161 Depth=1
	s_andn2_saveexec_b64 s[8:9], s[30:31]
; %bb.251:                              ;   in Loop: Header=BB157_161 Depth=1
	v_mul_f32_e64 v2, |v25|, s50
	v_rndne_f32_e32 v50, v2
	v_cvt_i32_f32_e32 v22, v50
	v_fma_f32 v2, v50, s51, |v25|
	v_fmac_f32_e32 v2, 0xb3a22168, v50
	v_fmac_f32_e32 v2, 0xa7c234c4, v50
; %bb.252:                              ;   in Loop: Header=BB157_161 Depth=1
	s_or_b64 exec, exec, s[8:9]
	v_mul_f32_e32 v50, v2, v2
	v_mov_b32_e32 v51, 0xbf039337
	v_fmac_f32_e32 v51, 0x3c971480, v50
	v_fma_f32 v51, v50, v51, v37
	v_rcp_f32_e32 v51, v51
	v_mov_b32_e32 v52, 0x3ec54587
	v_fmac_f32_e32 v52, 0xbc8cedd3, v50
	v_and_b32_e32 v22, 1, v22
	v_mul_f32_e32 v51, v52, v51
	v_mul_f32_e32 v50, v50, v51
	v_fma_f32 v51, v50, v2, v2
	v_rcp_f32_e32 v52, v51
	v_sub_f32_e32 v53, v51, v2
	v_fma_f32 v2, v50, v2, -v53
	v_cmp_eq_u32_e32 vcc, 0, v22
	v_fma_f32 v50, v51, -v52, 1.0
	v_fma_f32 v2, v2, -v52, v50
	v_fma_f32 v2, v2, -v52, -v52
	v_add_f32_e64 v22, |v24|, s52
	v_cndmask_b32_e32 v2, v2, v51, vcc
	v_sub_f32_e64 v51, v22, |v24|
	v_sub_f32_e32 v50, v51, v22
	v_pk_add_f32 v[50:51], v[20:21], v[50:51]
	v_sub_f32_e32 v20, v50, v51
	v_add_f32_e32 v20, 0x3102e308, v20
	v_add_f32_e32 v50, v22, v20
	v_sub_f32_e32 v22, v22, v50
	v_add_f32_e32 v20, v20, v22
	v_mul_f32_e32 v22, 0x3fb8aa3b, v50
	v_rndne_f32_e32 v58, v22
	v_fmac_f32_e32 v50, 0xbf317200, v58
	v_add_f32_e32 v22, v20, v50
	v_sub_f32_e32 v50, v50, v22
	v_add_f32_e32 v20, v20, v50
	v_mul_f32_e32 v50, 0x35bfbc00, v58
	v_sub_f32_e32 v52, v22, v50
	v_sub_f32_e32 v22, v22, v52
	;; [unrolled: 1-line block ×3, first 2 shown]
	v_add_f32_e32 v20, v20, v22
	v_add_f32_e32 v53, v52, v20
	v_mul_f32_e32 v51, 0x2ea39ef3, v58
	v_mov_b32_e32 v50, v53
	v_pk_add_f32 v[54:55], v[52:53], v[50:51] neg_lo:[0,1] neg_hi:[0,1]
	v_sub_f32_e32 v22, v53, v55
	v_sub_f32_e32 v22, v22, v51
	v_add_f32_e32 v20, v20, v54
	v_add_f32_e32 v20, v20, v22
	;; [unrolled: 1-line block ×3, first 2 shown]
	v_sub_f32_e32 v51, v55, v50
	v_mov_b32_e32 v22, 0x3c091de6
	v_add_f32_e32 v20, v20, v51
	v_mul_f32_e32 v52, v50, v50
	v_fmac_f32_e32 v22, 0x3ab42872, v50
	v_add_f32_e32 v51, v20, v20
	v_fma_f32 v53, v50, v50, -v52
	v_fma_f32 v22, v50, v22, v38
	v_fmac_f32_e32 v53, v50, v51
	v_fma_f32 v22, v50, v22, v39
	v_add_f32_e32 v51, v52, v53
	v_fma_f32 v22, v50, v22, v40
	v_sub_f32_e32 v52, v51, v52
	v_sub_f32_e32 v52, v53, v52
	v_mul_f32_e32 v53, v22, v51
	v_fma_f32 v51, v51, v22, -v53
	v_fmac_f32_e32 v51, v52, v22
	v_add_f32_e32 v52, v53, v51
	v_sub_f32_e32 v22, v52, v53
	v_sub_f32_e32 v51, v51, v22
	v_add_f32_e32 v22, v50, v52
	v_sub_f32_e32 v50, v22, v50
	v_sub_f32_e32 v50, v52, v50
	v_add_f32_e32 v20, v20, v51
	v_add_f32_e32 v50, v20, v50
	;; [unrolled: 1-line block ×3, first 2 shown]
	v_add_f32_e32 v53, 1.0, v52
	v_pk_add_f32 v[54:55], v[52:53], v[22:23] neg_lo:[0,1] neg_hi:[0,1]
	v_pk_add_f32 v[56:57], v[52:53], s[22:23]
	v_mov_b32_e32 v55, v57
	v_mov_b32_e32 v51, v52
	v_cvt_i32_f32_e32 v20, v58
	v_pk_add_f32 v[50:51], v[50:51], v[54:55] neg_lo:[0,1] neg_hi:[0,1]
	v_add_f32_e32 v22, v50, v51
	v_add_f32_e32 v50, v53, v22
	v_ldexp_f32 v51, v50, v20
	v_rcp_f32_e32 v52, v51
	v_sub_f32_e32 v50, v50, v53
	v_sub_f32_e32 v22, v22, v50
	v_ldexp_f32 v20, v22, v20
	v_mul_f32_e32 v22, v51, v52
	v_fma_f32 v50, v52, v51, -v22
	v_fmac_f32_e32 v50, v52, v20
	v_add_f32_e32 v53, v22, v50
	v_sub_f32_e32 v54, 1.0, v53
	v_sub_f32_e32 v55, 1.0, v54
	v_sub_f32_e32 v22, v53, v22
	v_sub_f32_e32 v55, v55, v53
	v_sub_f32_e32 v22, v22, v50
	v_add_f32_e32 v22, v22, v55
	v_add_f32_e32 v50, v54, v22
	v_mul_f32_e32 v53, v52, v50
	v_mul_f32_e32 v55, v51, v53
	v_fma_f32 v56, v53, v51, -v55
	v_fmac_f32_e32 v56, v53, v20
	v_sub_f32_e32 v54, v54, v50
	v_add_f32_e32 v22, v22, v54
	v_add_f32_e32 v54, v55, v56
	v_sub_f32_e32 v57, v50, v54
	v_sub_f32_e32 v50, v50, v57
	;; [unrolled: 1-line block ×4, first 2 shown]
	v_add_f32_e32 v22, v22, v50
	v_sub_f32_e32 v50, v55, v56
	v_add_f32_e32 v22, v50, v22
	v_add_f32_e32 v22, v57, v22
	;; [unrolled: 1-line block ×3, first 2 shown]
	v_mul_f32_e32 v22, v52, v22
	v_sub_f32_e32 v52, v50, v52
	v_sub_f32_e32 v52, v53, v52
	v_add_f32_e32 v22, v52, v22
	v_add_f32_e32 v52, v50, v22
	v_sub_f32_e32 v50, v52, v50
	v_sub_f32_e32 v22, v22, v50
	v_ldexp_f32 v50, v52, -2
	v_sub_f32_e32 v52, v51, v50
	v_sub_f32_e32 v51, v51, v52
	;; [unrolled: 1-line block ×3, first 2 shown]
	v_ldexp_f32 v22, v22, -2
	v_add_f32_e32 v20, v20, v50
	v_sub_f32_e32 v20, v20, v22
	v_add_f32_e32 v20, v52, v20
	v_cmp_ngt_f32_e64 vcc, |v24|, s53
	v_cndmask_b32_e32 v20, v47, v20, vcc
	v_cmp_lt_f32_e64 s[8:9], |v24|, s54
	v_cndmask_b32_e64 v20, v20, |v24|, s[8:9]
	v_bfi_b32 v20, s37, v20, v24
	v_fma_f32 v22, v20, v20, 1.0
	v_mul_f32_e32 v24, 0x4f800000, v22
	v_cmp_gt_f32_e32 vcc, s55, v22
	v_cndmask_b32_e32 v22, v22, v24, vcc
	v_sqrt_f32_e32 v24, v22
	v_xor_b32_e32 v2, v49, v2
	v_xor_b32_e32 v2, v2, v25
	v_fma_f32 v25, v2, v2, 1.0
	v_add_u32_e32 v49, -1, v24
	v_fma_f32 v50, -v49, v24, v22
	v_cmp_ge_f32_e64 s[8:9], 0, v50
	v_add_u32_e32 v50, 1, v24
	v_cndmask_b32_e64 v49, v24, v49, s[8:9]
	v_fma_f32 v24, -v50, v24, v22
	v_cmp_lt_f32_e64 s[8:9], 0, v24
	v_cndmask_b32_e64 v24, v49, v50, s[8:9]
	v_mul_f32_e32 v49, 0x37800000, v24
	v_cndmask_b32_e32 v24, v24, v49, vcc
	v_cmp_class_f32_e32 vcc, v22, v41
	v_cndmask_b32_e32 v22, v24, v22, vcc
	v_mul_f32_e32 v24, v20, v25
	v_mul_f32_e32 v22, v22, v25
	v_fma_f32 v49, v20, v24, 1.0
	v_mul_f32_e32 v20, v20, v22
	v_div_scale_f32 v22, s[8:9], v49, v49, v20
	v_rcp_f32_e32 v24, v22
	v_fma_f32 v25, -v22, v24, 1.0
	v_fmac_f32_e32 v24, v25, v24
	v_div_scale_f32 v25, vcc, v20, v49, v20
	v_mul_f32_e32 v50, v25, v24
	v_fma_f32 v51, -v22, v50, v25
	v_fmac_f32_e32 v50, v51, v24
	v_fma_f32 v22, -v22, v50, v25
	v_div_scale_f32 v25, s[8:9], v49, v49, v2
	v_rcp_f32_e32 v51, v25
	v_div_fmas_f32 v22, v22, v24, v50
	v_div_fixup_f32 v24, v22, v49, v20
	v_fma_f32 v20, -v25, v51, 1.0
	v_fmac_f32_e32 v51, v20, v51
	v_div_scale_f32 v20, vcc, v2, v49, v2
	v_mul_f32_e32 v22, v20, v51
	v_fma_f32 v50, -v25, v22, v20
	v_fmac_f32_e32 v22, v50, v51
	v_fma_f32 v20, -v25, v22, v20
	v_div_fmas_f32 v20, v20, v51, v22
	v_div_fixup_f32 v25, v20, v49, v2
                                        ; implicit-def: $vgpr49
.LBB157_253:                            ;   in Loop: Header=BB157_161 Depth=1
	s_andn2_saveexec_b64 s[28:29], s[28:29]
	s_cbranch_execz .LBB157_263
; %bb.254:                              ;   in Loop: Header=BB157_161 Depth=1
	v_cmp_nlt_f32_e64 s[30:31], |v25|, s41
                                        ; implicit-def: $vgpr20
                                        ; implicit-def: $vgpr22
	s_and_saveexec_b64 s[8:9], s[30:31]
	s_xor_b64 s[34:35], exec, s[8:9]
	s_cbranch_execz .LBB157_256
; %bb.255:                              ;   in Loop: Header=BB157_161 Depth=1
	v_lshrrev_b32_e32 v2, 23, v49
	v_add_u32_e32 v2, 0xffffff88, v2
	v_cmp_lt_u32_e32 vcc, 63, v2
	v_cndmask_b32_e32 v20, 0, v45, vcc
	v_add_u32_e32 v2, v20, v2
	v_cmp_lt_u32_e64 s[8:9], 31, v2
	v_cndmask_b32_e64 v20, 0, v46, s[8:9]
	v_add_u32_e32 v2, v20, v2
	v_cmp_lt_u32_e64 s[10:11], 31, v2
	v_cndmask_b32_e64 v20, 0, v46, s[10:11]
	v_add_u32_e32 v20, v20, v2
	v_and_b32_e32 v2, 0x7fffff, v49
	v_or_b32_e32 v22, 0x800000, v2
	v_mad_u64_u32 v[50:51], s[12:13], v22, s42, 0
	v_mov_b32_e32 v2, v51
	v_mad_u64_u32 v[52:53], s[12:13], v22, s43, v[2:3]
	v_mov_b32_e32 v2, v53
	;; [unrolled: 2-line block ×6, first 2 shown]
	v_mad_u64_u32 v[62:63], s[12:13], v22, s48, v[2:3]
	v_cndmask_b32_e32 v51, v60, v56, vcc
	v_cndmask_b32_e32 v2, v62, v58, vcc
	;; [unrolled: 1-line block ×3, first 2 shown]
	v_cndmask_b32_e64 v22, v2, v51, s[8:9]
	v_cndmask_b32_e64 v2, v53, v2, s[8:9]
	v_cndmask_b32_e32 v53, v58, v54, vcc
	v_cndmask_b32_e64 v51, v51, v53, s[8:9]
	v_sub_u32_e32 v55, 32, v20
	v_cmp_eq_u32_e64 s[12:13], 0, v20
	v_cndmask_b32_e32 v20, v56, v52, vcc
	v_cndmask_b32_e64 v2, v2, v22, s[10:11]
	v_cndmask_b32_e64 v22, v22, v51, s[10:11]
	;; [unrolled: 1-line block ×3, first 2 shown]
	v_alignbit_b32 v57, v2, v22, v55
	v_cndmask_b32_e64 v51, v51, v52, s[10:11]
	v_cndmask_b32_e64 v2, v57, v2, s[12:13]
	v_alignbit_b32 v53, v22, v51, v55
	v_cndmask_b32_e32 v50, v54, v50, vcc
	v_cndmask_b32_e64 v22, v53, v22, s[12:13]
	v_bfe_u32 v57, v2, 29, 1
	v_cndmask_b32_e64 v20, v20, v50, s[8:9]
	v_alignbit_b32 v53, v2, v22, 30
	v_sub_u32_e32 v58, 0, v57
	v_cndmask_b32_e64 v20, v52, v20, s[10:11]
	v_xor_b32_e32 v59, v53, v58
	v_alignbit_b32 v50, v51, v20, v55
	v_cndmask_b32_e64 v50, v50, v51, s[12:13]
	v_ffbh_u32_e32 v51, v59
	v_add_u32_e32 v51, 1, v51
	v_cmp_ne_u32_e32 vcc, v53, v58
	v_alignbit_b32 v22, v22, v50, 30
	v_cndmask_b32_e32 v51, 33, v51, vcc
	v_alignbit_b32 v20, v50, v20, 30
	v_xor_b32_e32 v22, v22, v58
	v_sub_u32_e32 v52, 32, v51
	v_xor_b32_e32 v20, v20, v58
	v_alignbit_b32 v53, v59, v22, v52
	v_alignbit_b32 v20, v22, v20, v52
	;; [unrolled: 1-line block ×3, first 2 shown]
	v_ffbh_u32_e32 v50, v22
	v_min_u32_e32 v50, 32, v50
	v_lshrrev_b32_e32 v56, 29, v2
	v_sub_u32_e32 v52, 31, v50
	v_alignbit_b32 v20, v22, v20, v52
	v_lshlrev_b32_e32 v22, 31, v56
	v_or_b32_e32 v52, 0x33800000, v22
	v_add_lshl_u32 v50, v50, v51, 23
	v_lshrrev_b32_e32 v20, 9, v20
	v_sub_u32_e32 v50, v52, v50
	v_or_b32_e32 v20, v50, v20
	v_alignbit_b32 v50, v51, v53, 9
	v_or_b32_e32 v22, v50, v22
	v_xor_b32_e32 v22, 1.0, v22
	v_mul_f32_e32 v50, 0x3fc90fda, v22
	v_fma_f32 v51, v22, s49, -v50
	v_fmac_f32_e32 v51, 0x33a22168, v22
	v_fmac_f32_e32 v51, 0x3fc90fda, v20
	v_lshrrev_b32_e32 v2, 30, v2
	v_add_f32_e32 v22, v50, v51
	v_add_u32_e32 v20, v57, v2
	s_andn2_saveexec_b64 s[8:9], s[34:35]
	s_branch .LBB157_257
.LBB157_256:                            ;   in Loop: Header=BB157_161 Depth=1
	s_andn2_saveexec_b64 s[8:9], s[34:35]
.LBB157_257:                            ;   in Loop: Header=BB157_161 Depth=1
	v_mul_f32_e64 v2, |v25|, s50
	v_rndne_f32_e32 v2, v2
	v_cvt_i32_f32_e32 v20, v2
	v_fma_f32 v22, v2, s51, |v25|
	v_fmac_f32_e32 v22, 0xb3a22168, v2
	v_fmac_f32_e32 v22, 0xa7c234c4, v2
; %bb.258:                              ;   in Loop: Header=BB157_161 Depth=1
	s_or_b64 exec, exec, s[8:9]
                                        ; implicit-def: $vgpr2
                                        ; implicit-def: $vgpr50
	s_and_saveexec_b64 s[8:9], s[30:31]
	s_xor_b64 s[30:31], exec, s[8:9]
	s_cbranch_execz .LBB157_260
; %bb.259:                              ;   in Loop: Header=BB157_161 Depth=1
	v_lshrrev_b32_e32 v2, 23, v49
	v_add_u32_e32 v2, 0xffffff88, v2
	v_cmp_lt_u32_e32 vcc, 63, v2
	v_cndmask_b32_e32 v50, 0, v45, vcc
	v_add_u32_e32 v2, v50, v2
	v_cmp_lt_u32_e64 s[8:9], 31, v2
	v_cndmask_b32_e64 v50, 0, v46, s[8:9]
	v_add_u32_e32 v2, v50, v2
	v_cmp_lt_u32_e64 s[10:11], 31, v2
	v_cndmask_b32_e64 v50, 0, v46, s[10:11]
	v_add_u32_e32 v64, v50, v2
	v_and_b32_e32 v2, 0x7fffff, v49
	v_or_b32_e32 v62, 0x800000, v2
	v_mad_u64_u32 v[50:51], s[12:13], v62, s42, 0
	v_mov_b32_e32 v2, v51
	v_mad_u64_u32 v[52:53], s[12:13], v62, s43, v[2:3]
	v_mov_b32_e32 v2, v53
	;; [unrolled: 2-line block ×6, first 2 shown]
	v_mad_u64_u32 v[62:63], s[12:13], v62, s48, v[2:3]
	v_cndmask_b32_e32 v51, v60, v56, vcc
	v_cndmask_b32_e32 v2, v62, v58, vcc
	;; [unrolled: 1-line block ×3, first 2 shown]
	v_cndmask_b32_e64 v53, v2, v51, s[8:9]
	v_cndmask_b32_e64 v2, v55, v2, s[8:9]
	v_cndmask_b32_e32 v55, v58, v54, vcc
	v_cndmask_b32_e64 v51, v51, v55, s[8:9]
	v_cndmask_b32_e32 v52, v56, v52, vcc
	v_cndmask_b32_e64 v2, v2, v53, s[10:11]
	v_cndmask_b32_e64 v53, v53, v51, s[10:11]
	v_sub_u32_e32 v57, 32, v64
	v_cndmask_b32_e64 v55, v55, v52, s[8:9]
	v_alignbit_b32 v58, v2, v53, v57
	v_cmp_eq_u32_e64 s[12:13], 0, v64
	v_cndmask_b32_e64 v51, v51, v55, s[10:11]
	v_cndmask_b32_e32 v50, v54, v50, vcc
	v_cndmask_b32_e64 v2, v58, v2, s[12:13]
	v_alignbit_b32 v56, v53, v51, v57
	v_cndmask_b32_e64 v50, v52, v50, s[8:9]
	v_cndmask_b32_e64 v53, v56, v53, s[12:13]
	v_bfe_u32 v59, v2, 29, 1
	v_cndmask_b32_e64 v50, v55, v50, s[10:11]
	v_alignbit_b32 v56, v2, v53, 30
	v_sub_u32_e32 v60, 0, v59
	v_alignbit_b32 v52, v51, v50, v57
	v_xor_b32_e32 v61, v56, v60
	v_cndmask_b32_e64 v51, v52, v51, s[12:13]
	v_alignbit_b32 v52, v53, v51, 30
	v_ffbh_u32_e32 v53, v61
	v_add_u32_e32 v53, 1, v53
	v_cmp_ne_u32_e32 vcc, v56, v60
	v_cndmask_b32_e32 v53, 33, v53, vcc
	v_alignbit_b32 v50, v51, v50, 30
	v_xor_b32_e32 v52, v52, v60
	v_sub_u32_e32 v54, 32, v53
	v_xor_b32_e32 v50, v50, v60
	v_alignbit_b32 v55, v61, v52, v54
	v_alignbit_b32 v50, v52, v50, v54
	;; [unrolled: 1-line block ×3, first 2 shown]
	v_ffbh_u32_e32 v52, v51
	v_min_u32_e32 v52, 32, v52
	v_lshrrev_b32_e32 v58, 29, v2
	v_sub_u32_e32 v54, 31, v52
	v_alignbit_b32 v50, v51, v50, v54
	v_lshlrev_b32_e32 v51, 31, v58
	v_or_b32_e32 v54, 0x33800000, v51
	v_add_lshl_u32 v52, v52, v53, 23
	v_lshrrev_b32_e32 v50, 9, v50
	v_sub_u32_e32 v52, v54, v52
	v_or_b32_e32 v50, v52, v50
	v_alignbit_b32 v52, v53, v55, 9
	v_or_b32_e32 v51, v52, v51
	v_xor_b32_e32 v51, 1.0, v51
	v_mul_f32_e32 v52, 0x3fc90fda, v51
	v_fma_f32 v53, v51, s49, -v52
	v_fmac_f32_e32 v53, 0x33a22168, v51
	v_fmac_f32_e32 v53, 0x3fc90fda, v50
	v_lshrrev_b32_e32 v2, 30, v2
	v_add_f32_e32 v50, v52, v53
	v_add_u32_e32 v2, v59, v2
	s_andn2_saveexec_b64 s[8:9], s[30:31]
	s_cbranch_execnz .LBB157_261
	s_branch .LBB157_262
.LBB157_260:                            ;   in Loop: Header=BB157_161 Depth=1
	s_andn2_saveexec_b64 s[8:9], s[30:31]
.LBB157_261:                            ;   in Loop: Header=BB157_161 Depth=1
	v_mul_f32_e64 v2, |v25|, s50
	v_rndne_f32_e32 v51, v2
	v_cvt_i32_f32_e32 v2, v51
	v_fma_f32 v50, v51, s51, |v25|
	v_fmac_f32_e32 v50, 0xb3a22168, v51
	v_fmac_f32_e32 v50, 0xa7c234c4, v51
.LBB157_262:                            ;   in Loop: Header=BB157_161 Depth=1
	s_or_b64 exec, exec, s[8:9]
	v_mul_f32_e32 v51, v22, v22
	v_mov_b32_e32 v52, 0x3c0881c4
	v_fmac_f32_e32 v52, 0xb94c1982, v51
	v_fma_f32 v52, v51, v52, v42
	v_mul_f32_e32 v52, v51, v52
	v_fmac_f32_e32 v22, v22, v52
	v_mov_b32_e32 v52, 0xbab64f3b
	v_fmac_f32_e32 v52, 0x37d75334, v51
	v_fma_f32 v52, v51, v52, v43
	v_fma_f32 v52, v51, v52, v44
	v_fma_f32 v51, v51, v52, 1.0
	v_and_b32_e32 v52, 1, v20
	v_lshlrev_b32_e32 v20, 30, v20
	v_and_b32_e32 v20, 0x80000000, v20
	v_cmp_eq_u32_e32 vcc, 0, v52
	v_xor_b32_e32 v20, v49, v20
	v_mul_f32_e64 v49, |v24|, s56
	v_cndmask_b32_e32 v22, v51, v22, vcc
	v_rndne_f32_e32 v51, v49
	v_sub_f32_e32 v52, v49, v51
	v_fma_f32 v49, |v24|, s56, -v49
	v_fma_f32 v49, |v24|, s57, v49
	v_add_f32_e32 v49, v52, v49
	v_exp_f32_e32 v49, v49
	v_cvt_i32_f32_e32 v51, v51
	v_xor_b32_e32 v20, v20, v22
	v_xor_b32_e32 v20, v20, v25
	v_mul_f32_e32 v25, v50, v50
	v_ldexp_f32 v22, v49, v51
	v_mov_b32_e32 v49, 0x3c0881c4
	v_fmac_f32_e32 v49, 0xb94c1982, v25
	v_fma_f32 v49, v25, v49, v42
	v_mul_f32_e32 v49, v25, v49
	v_fmac_f32_e32 v50, v50, v49
	v_mov_b32_e32 v49, 0xbab64f3b
	v_fmac_f32_e32 v49, 0x37d75334, v25
	v_fma_f32 v49, v25, v49, v43
	v_cmp_ngt_f32_e64 vcc, |v24|, s58
	v_fma_f32 v49, v25, v49, v44
	v_cndmask_b32_e32 v22, 0, v22, vcc
	v_cmp_nlt_f32_e64 vcc, |v24|, s59
	v_fma_f32 v25, v25, v49, 1.0
	v_and_b32_e32 v49, 1, v2
	v_cndmask_b32_e32 v22, v47, v22, vcc
	v_cmp_eq_u32_e32 vcc, 0, v49
	v_lshlrev_b32_e32 v2, 30, v2
	v_cndmask_b32_e64 v25, -v50, v25, vcc
	v_and_b32_e32 v2, 0x80000000, v2
	v_mul_f32_e32 v20, 4.0, v20
	v_xor_b32_e32 v2, v2, v25
	v_mul_f32_e32 v2, v20, v2
	v_mul_f32_e32 v2, v22, v2
	v_bfi_b32 v24, s37, 1.0, v24
	v_mul_f32_e32 v25, v22, v2
.LBB157_263:                            ;   in Loop: Header=BB157_161 Depth=1
	s_or_b64 exec, exec, s[28:29]
.LBB157_264:                            ;   in Loop: Header=BB157_161 Depth=1
	s_andn2_saveexec_b64 s[8:9], s[26:27]
; %bb.265:                              ;   in Loop: Header=BB157_161 Depth=1
	v_sub_f32_e32 v25, v25, v25
	v_mov_b32_e32 v24, v25
; %bb.266:                              ;   in Loop: Header=BB157_161 Depth=1
	s_or_b64 exec, exec, s[8:9]
.LBB157_267:                            ;   in Loop: Header=BB157_161 Depth=1
	s_andn2_saveexec_b64 s[24:25], s[24:25]
	s_cbranch_execz .LBB157_283
; %bb.268:                              ;   in Loop: Header=BB157_161 Depth=1
	v_and_b32_e32 v2, 0x7fffff, v24
	v_cmp_ne_u32_e32 vcc, 0, v2
	s_and_saveexec_b64 s[8:9], vcc
	s_xor_b64 s[8:9], exec, s[8:9]
; %bb.269:                              ;   in Loop: Header=BB157_161 Depth=1
	v_mul_f32_e32 v2, v25, v24
	v_cmp_eq_f32_e32 vcc, 0, v25
	v_cndmask_b32_e32 v25, v2, v25, vcc
; %bb.270:                              ;   in Loop: Header=BB157_161 Depth=1
	s_andn2_saveexec_b64 s[26:27], s[8:9]
	s_cbranch_execz .LBB157_282
; %bb.271:                              ;   in Loop: Header=BB157_161 Depth=1
	v_cmp_neq_f32_e64 s[8:9], |v25|, s38
	s_and_saveexec_b64 s[28:29], s[8:9]
	s_cbranch_execz .LBB157_281
; %bb.272:                              ;   in Loop: Header=BB157_161 Depth=1
	v_and_b32_e32 v20, 0x7fffffff, v25
	v_cmp_nlt_f32_e64 s[30:31], |v25|, s41
                                        ; implicit-def: $vgpr22
                                        ; implicit-def: $vgpr49
	s_and_saveexec_b64 s[8:9], s[30:31]
	s_xor_b64 s[34:35], exec, s[8:9]
	s_cbranch_execz .LBB157_274
; %bb.273:                              ;   in Loop: Header=BB157_161 Depth=1
	v_lshrrev_b32_e32 v2, 23, v20
	v_add_u32_e32 v2, 0xffffff88, v2
	v_cmp_lt_u32_e32 vcc, 63, v2
	v_cndmask_b32_e32 v22, 0, v45, vcc
	v_add_u32_e32 v2, v22, v2
	v_cmp_lt_u32_e64 s[8:9], 31, v2
	v_cndmask_b32_e64 v22, 0, v46, s[8:9]
	v_add_u32_e32 v2, v22, v2
	v_cmp_lt_u32_e64 s[10:11], 31, v2
	v_cndmask_b32_e64 v22, 0, v46, s[10:11]
	v_add_u32_e32 v22, v22, v2
	v_and_b32_e32 v2, 0x7fffff, v20
	v_or_b32_e32 v49, 0x800000, v2
	v_mad_u64_u32 v[50:51], s[12:13], v49, s42, 0
	v_mov_b32_e32 v2, v51
	v_mad_u64_u32 v[52:53], s[12:13], v49, s43, v[2:3]
	v_mov_b32_e32 v2, v53
	;; [unrolled: 2-line block ×6, first 2 shown]
	v_mad_u64_u32 v[62:63], s[12:13], v49, s48, v[2:3]
	v_cndmask_b32_e32 v51, v60, v56, vcc
	v_cndmask_b32_e32 v2, v62, v58, vcc
	;; [unrolled: 1-line block ×3, first 2 shown]
	v_cndmask_b32_e64 v49, v2, v51, s[8:9]
	v_cndmask_b32_e64 v2, v53, v2, s[8:9]
	v_cndmask_b32_e32 v53, v58, v54, vcc
	v_cndmask_b32_e64 v51, v51, v53, s[8:9]
	v_sub_u32_e32 v55, 32, v22
	v_cmp_eq_u32_e64 s[12:13], 0, v22
	v_cndmask_b32_e32 v22, v56, v52, vcc
	v_cndmask_b32_e64 v2, v2, v49, s[10:11]
	v_cndmask_b32_e64 v49, v49, v51, s[10:11]
	;; [unrolled: 1-line block ×3, first 2 shown]
	v_alignbit_b32 v57, v2, v49, v55
	v_cndmask_b32_e64 v51, v51, v52, s[10:11]
	v_cndmask_b32_e64 v2, v57, v2, s[12:13]
	v_alignbit_b32 v53, v49, v51, v55
	v_cndmask_b32_e32 v50, v54, v50, vcc
	v_cndmask_b32_e64 v49, v53, v49, s[12:13]
	v_bfe_u32 v57, v2, 29, 1
	v_cndmask_b32_e64 v22, v22, v50, s[8:9]
	v_alignbit_b32 v53, v2, v49, 30
	v_sub_u32_e32 v58, 0, v57
	v_cndmask_b32_e64 v22, v52, v22, s[10:11]
	v_xor_b32_e32 v59, v53, v58
	v_alignbit_b32 v50, v51, v22, v55
	v_cndmask_b32_e64 v50, v50, v51, s[12:13]
	v_ffbh_u32_e32 v51, v59
	v_add_u32_e32 v51, 1, v51
	v_cmp_ne_u32_e32 vcc, v53, v58
	v_alignbit_b32 v49, v49, v50, 30
	v_cndmask_b32_e32 v51, 33, v51, vcc
	v_alignbit_b32 v22, v50, v22, 30
	v_xor_b32_e32 v49, v49, v58
	v_sub_u32_e32 v52, 32, v51
	v_xor_b32_e32 v22, v22, v58
	v_alignbit_b32 v53, v59, v49, v52
	v_alignbit_b32 v22, v49, v22, v52
	;; [unrolled: 1-line block ×3, first 2 shown]
	v_ffbh_u32_e32 v50, v49
	v_min_u32_e32 v50, 32, v50
	v_lshrrev_b32_e32 v56, 29, v2
	v_sub_u32_e32 v52, 31, v50
	v_alignbit_b32 v22, v49, v22, v52
	v_lshlrev_b32_e32 v49, 31, v56
	v_or_b32_e32 v52, 0x33800000, v49
	v_add_lshl_u32 v50, v50, v51, 23
	v_lshrrev_b32_e32 v22, 9, v22
	v_sub_u32_e32 v50, v52, v50
	v_or_b32_e32 v22, v50, v22
	v_alignbit_b32 v50, v51, v53, 9
	v_or_b32_e32 v49, v50, v49
	v_xor_b32_e32 v49, 1.0, v49
	v_mul_f32_e32 v50, 0x3fc90fda, v49
	v_fma_f32 v51, v49, s49, -v50
	v_fmac_f32_e32 v51, 0x33a22168, v49
	v_fmac_f32_e32 v51, 0x3fc90fda, v22
	v_lshrrev_b32_e32 v2, 30, v2
	v_add_f32_e32 v49, v50, v51
	v_add_u32_e32 v22, v57, v2
	s_andn2_saveexec_b64 s[8:9], s[34:35]
	s_branch .LBB157_275
.LBB157_274:                            ;   in Loop: Header=BB157_161 Depth=1
	s_andn2_saveexec_b64 s[8:9], s[34:35]
.LBB157_275:                            ;   in Loop: Header=BB157_161 Depth=1
	v_mul_f32_e64 v2, |v25|, s50
	v_rndne_f32_e32 v2, v2
	v_cvt_i32_f32_e32 v22, v2
	v_fma_f32 v49, v2, s51, |v25|
	v_fmac_f32_e32 v49, 0xb3a22168, v2
	v_fmac_f32_e32 v49, 0xa7c234c4, v2
; %bb.276:                              ;   in Loop: Header=BB157_161 Depth=1
	s_or_b64 exec, exec, s[8:9]
                                        ; implicit-def: $vgpr2
                                        ; implicit-def: $vgpr50
	s_and_saveexec_b64 s[8:9], s[30:31]
	s_xor_b64 s[30:31], exec, s[8:9]
	s_cbranch_execz .LBB157_278
; %bb.277:                              ;   in Loop: Header=BB157_161 Depth=1
	v_lshrrev_b32_e32 v2, 23, v20
	v_add_u32_e32 v2, 0xffffff88, v2
	v_cmp_lt_u32_e32 vcc, 63, v2
	v_cndmask_b32_e32 v50, 0, v45, vcc
	v_add_u32_e32 v2, v50, v2
	v_cmp_lt_u32_e64 s[8:9], 31, v2
	v_cndmask_b32_e64 v50, 0, v46, s[8:9]
	v_add_u32_e32 v2, v50, v2
	v_cmp_lt_u32_e64 s[10:11], 31, v2
	v_cndmask_b32_e64 v50, 0, v46, s[10:11]
	v_add_u32_e32 v64, v50, v2
	v_and_b32_e32 v2, 0x7fffff, v20
	v_or_b32_e32 v62, 0x800000, v2
	v_mad_u64_u32 v[50:51], s[12:13], v62, s42, 0
	v_mov_b32_e32 v2, v51
	v_mad_u64_u32 v[52:53], s[12:13], v62, s43, v[2:3]
	v_mov_b32_e32 v2, v53
	;; [unrolled: 2-line block ×6, first 2 shown]
	v_mad_u64_u32 v[62:63], s[12:13], v62, s48, v[2:3]
	v_cndmask_b32_e32 v51, v60, v56, vcc
	v_cndmask_b32_e32 v2, v62, v58, vcc
	;; [unrolled: 1-line block ×3, first 2 shown]
	v_cndmask_b32_e64 v53, v2, v51, s[8:9]
	v_cndmask_b32_e64 v2, v55, v2, s[8:9]
	v_cndmask_b32_e32 v55, v58, v54, vcc
	v_cndmask_b32_e64 v51, v51, v55, s[8:9]
	v_cndmask_b32_e32 v52, v56, v52, vcc
	v_cndmask_b32_e64 v2, v2, v53, s[10:11]
	v_cndmask_b32_e64 v53, v53, v51, s[10:11]
	v_sub_u32_e32 v57, 32, v64
	v_cndmask_b32_e64 v55, v55, v52, s[8:9]
	v_alignbit_b32 v58, v2, v53, v57
	v_cmp_eq_u32_e64 s[12:13], 0, v64
	v_cndmask_b32_e64 v51, v51, v55, s[10:11]
	v_cndmask_b32_e32 v50, v54, v50, vcc
	v_cndmask_b32_e64 v2, v58, v2, s[12:13]
	v_alignbit_b32 v56, v53, v51, v57
	v_cndmask_b32_e64 v50, v52, v50, s[8:9]
	v_cndmask_b32_e64 v53, v56, v53, s[12:13]
	v_bfe_u32 v59, v2, 29, 1
	v_cndmask_b32_e64 v50, v55, v50, s[10:11]
	v_alignbit_b32 v56, v2, v53, 30
	v_sub_u32_e32 v60, 0, v59
	v_alignbit_b32 v52, v51, v50, v57
	v_xor_b32_e32 v61, v56, v60
	v_cndmask_b32_e64 v51, v52, v51, s[12:13]
	v_alignbit_b32 v52, v53, v51, 30
	v_ffbh_u32_e32 v53, v61
	v_add_u32_e32 v53, 1, v53
	v_cmp_ne_u32_e32 vcc, v56, v60
	v_cndmask_b32_e32 v53, 33, v53, vcc
	v_alignbit_b32 v50, v51, v50, 30
	v_xor_b32_e32 v52, v52, v60
	v_sub_u32_e32 v54, 32, v53
	v_xor_b32_e32 v50, v50, v60
	v_alignbit_b32 v55, v61, v52, v54
	v_alignbit_b32 v50, v52, v50, v54
	;; [unrolled: 1-line block ×3, first 2 shown]
	v_ffbh_u32_e32 v52, v51
	v_min_u32_e32 v52, 32, v52
	v_lshrrev_b32_e32 v58, 29, v2
	v_sub_u32_e32 v54, 31, v52
	v_alignbit_b32 v50, v51, v50, v54
	v_lshlrev_b32_e32 v51, 31, v58
	v_or_b32_e32 v54, 0x33800000, v51
	v_add_lshl_u32 v52, v52, v53, 23
	v_lshrrev_b32_e32 v50, 9, v50
	v_sub_u32_e32 v52, v54, v52
	v_or_b32_e32 v50, v52, v50
	v_alignbit_b32 v52, v53, v55, 9
	v_or_b32_e32 v51, v52, v51
	v_xor_b32_e32 v51, 1.0, v51
	v_mul_f32_e32 v52, 0x3fc90fda, v51
	v_fma_f32 v53, v51, s49, -v52
	v_fmac_f32_e32 v53, 0x33a22168, v51
	v_fmac_f32_e32 v53, 0x3fc90fda, v50
	v_lshrrev_b32_e32 v2, 30, v2
	v_add_f32_e32 v50, v52, v53
	v_add_u32_e32 v2, v59, v2
	s_andn2_saveexec_b64 s[8:9], s[30:31]
	s_cbranch_execnz .LBB157_279
	s_branch .LBB157_280
.LBB157_278:                            ;   in Loop: Header=BB157_161 Depth=1
	s_andn2_saveexec_b64 s[8:9], s[30:31]
.LBB157_279:                            ;   in Loop: Header=BB157_161 Depth=1
	v_mul_f32_e64 v2, |v25|, s50
	v_rndne_f32_e32 v51, v2
	v_cvt_i32_f32_e32 v2, v51
	v_fma_f32 v50, v51, s51, |v25|
	v_fmac_f32_e32 v50, 0xb3a22168, v51
	v_fmac_f32_e32 v50, 0xa7c234c4, v51
.LBB157_280:                            ;   in Loop: Header=BB157_161 Depth=1
	s_or_b64 exec, exec, s[8:9]
	v_mul_f32_e32 v51, v49, v49
	v_mov_b32_e32 v52, 0x3c0881c4
	v_fmac_f32_e32 v52, 0xb94c1982, v51
	v_fma_f32 v52, v51, v52, v42
	v_mul_f32_e32 v52, v51, v52
	v_fmac_f32_e32 v49, v49, v52
	v_mov_b32_e32 v52, 0xbab64f3b
	v_fmac_f32_e32 v52, 0x37d75334, v51
	v_fma_f32 v52, v51, v52, v43
	v_fma_f32 v52, v51, v52, v44
	v_fma_f32 v51, v51, v52, 1.0
	v_and_b32_e32 v52, 1, v22
	v_lshlrev_b32_e32 v22, 30, v22
	v_cmp_eq_u32_e32 vcc, 0, v52
	v_and_b32_e32 v22, 0x80000000, v22
	v_cndmask_b32_e32 v49, v51, v49, vcc
	v_xor_b32_e32 v20, v20, v22
	v_xor_b32_e32 v20, v20, v49
	v_mul_f32_e32 v22, v50, v50
	v_mov_b32_e32 v49, 0x3c0881c4
	v_fmac_f32_e32 v49, 0xb94c1982, v22
	v_fma_f32 v49, v22, v49, v42
	v_mul_f32_e32 v49, v22, v49
	v_fmac_f32_e32 v50, v50, v49
	v_mov_b32_e32 v49, 0xbab64f3b
	v_fmac_f32_e32 v49, 0x37d75334, v22
	v_fma_f32 v49, v22, v49, v43
	v_fma_f32 v49, v22, v49, v44
	v_fma_f32 v22, v22, v49, 1.0
	v_and_b32_e32 v49, 1, v2
	v_cmp_eq_u32_e32 vcc, 0, v49
	v_lshlrev_b32_e32 v2, 30, v2
	v_cndmask_b32_e64 v22, -v50, v22, vcc
	v_and_b32_e32 v2, 0x80000000, v2
	v_xor_b32_e32 v20, v20, v25
	v_xor_b32_e32 v2, v2, v22
	v_mul_f32_e32 v2, v20, v2
	v_cmp_class_f32_e64 vcc, v25, s39
	v_cndmask_b32_e32 v25, v48, v2, vcc
.LBB157_281:                            ;   in Loop: Header=BB157_161 Depth=1
	s_or_b64 exec, exec, s[28:29]
	v_add_u32_e32 v24, -2.0, v24
	v_bfi_b32 v25, s37, 0, v25
.LBB157_282:                            ;   in Loop: Header=BB157_161 Depth=1
	s_or_b64 exec, exec, s[26:27]
.LBB157_283:                            ;   in Loop: Header=BB157_161 Depth=1
	s_or_b64 exec, exec, s[24:25]
	v_and_b32_e32 v20, 0x7fffffff, v30
	v_cmp_gt_u32_e32 vcc, s38, v20
	s_and_saveexec_b64 s[8:9], vcc
	s_xor_b64 s[24:25], exec, s[8:9]
	s_cbranch_execz .LBB157_294
; %bb.284:                              ;   in Loop: Header=BB157_161 Depth=1
	v_cmp_class_f32_e64 s[8:9], v31, s39
	s_and_saveexec_b64 s[10:11], s[8:9]
	s_xor_b64 s[26:27], exec, s[10:11]
	s_cbranch_execz .LBB157_313
; %bb.285:                              ;   in Loop: Header=BB157_161 Depth=1
	v_and_b32_e32 v49, 0x7fffffff, v31
	v_cmp_gt_u32_e32 vcc, s40, v20
	s_and_saveexec_b64 s[8:9], vcc
	s_xor_b64 s[28:29], exec, s[8:9]
	s_cbranch_execz .LBB157_291
; %bb.286:                              ;   in Loop: Header=BB157_161 Depth=1
	v_cmp_nlt_f32_e64 s[8:9], |v31|, s41
                                        ; implicit-def: $vgpr22
                                        ; implicit-def: $vgpr2
	s_and_saveexec_b64 s[10:11], s[8:9]
	s_xor_b64 s[30:31], exec, s[10:11]
	s_cbranch_execz .LBB157_288
; %bb.287:                              ;   in Loop: Header=BB157_161 Depth=1
	v_lshrrev_b32_e32 v2, 23, v49
	v_add_u32_e32 v2, 0xffffff88, v2
	v_cmp_lt_u32_e32 vcc, 63, v2
	v_cndmask_b32_e32 v22, 0, v45, vcc
	v_add_u32_e32 v2, v22, v2
	v_cmp_lt_u32_e64 s[8:9], 31, v2
	v_cndmask_b32_e64 v22, 0, v46, s[8:9]
	v_add_u32_e32 v2, v22, v2
	v_cmp_lt_u32_e64 s[10:11], 31, v2
	v_cndmask_b32_e64 v22, 0, v46, s[10:11]
	v_add_u32_e32 v22, v22, v2
	v_and_b32_e32 v2, 0x7fffff, v49
	v_or_b32_e32 v62, 0x800000, v2
	v_mad_u64_u32 v[50:51], s[12:13], v62, s42, 0
	v_mov_b32_e32 v2, v51
	v_mad_u64_u32 v[52:53], s[12:13], v62, s43, v[2:3]
	v_mov_b32_e32 v2, v53
	;; [unrolled: 2-line block ×6, first 2 shown]
	v_mad_u64_u32 v[62:63], s[12:13], v62, s48, v[2:3]
	v_cndmask_b32_e32 v51, v60, v56, vcc
	v_cndmask_b32_e32 v2, v62, v58, vcc
	;; [unrolled: 1-line block ×3, first 2 shown]
	v_cndmask_b32_e64 v53, v2, v51, s[8:9]
	v_cndmask_b32_e64 v2, v55, v2, s[8:9]
	v_cndmask_b32_e32 v55, v58, v54, vcc
	v_cndmask_b32_e64 v51, v51, v55, s[8:9]
	v_cndmask_b32_e64 v2, v2, v53, s[10:11]
	;; [unrolled: 1-line block ×3, first 2 shown]
	v_sub_u32_e32 v57, 32, v22
	v_alignbit_b32 v58, v2, v53, v57
	v_cmp_eq_u32_e64 s[12:13], 0, v22
	v_cndmask_b32_e64 v22, v58, v2, s[12:13]
	v_cndmask_b32_e32 v2, v56, v52, vcc
	v_cndmask_b32_e64 v52, v55, v2, s[8:9]
	v_cndmask_b32_e64 v51, v51, v52, s[10:11]
	v_alignbit_b32 v55, v53, v51, v57
	v_cndmask_b32_e64 v53, v55, v53, s[12:13]
	v_bfe_u32 v58, v22, 29, 1
	v_cndmask_b32_e32 v50, v54, v50, vcc
	v_alignbit_b32 v55, v22, v53, 30
	v_sub_u32_e32 v59, 0, v58
	v_cndmask_b32_e64 v2, v2, v50, s[8:9]
	v_xor_b32_e32 v60, v55, v59
	v_cndmask_b32_e64 v2, v52, v2, s[10:11]
	v_alignbit_b32 v50, v51, v2, v57
	v_ffbh_u32_e32 v52, v60
	v_cndmask_b32_e64 v50, v50, v51, s[12:13]
	v_add_u32_e32 v52, 1, v52
	v_cmp_ne_u32_e32 vcc, v55, v59
	v_alignbit_b32 v51, v53, v50, 30
	v_cndmask_b32_e32 v52, 33, v52, vcc
	v_alignbit_b32 v2, v50, v2, 30
	v_xor_b32_e32 v51, v51, v59
	v_sub_u32_e32 v53, 32, v52
	v_xor_b32_e32 v2, v2, v59
	v_alignbit_b32 v54, v60, v51, v53
	v_alignbit_b32 v2, v51, v2, v53
	;; [unrolled: 1-line block ×3, first 2 shown]
	v_ffbh_u32_e32 v51, v50
	v_min_u32_e32 v51, 32, v51
	v_lshrrev_b32_e32 v56, 29, v22
	v_sub_u32_e32 v53, 31, v51
	v_alignbit_b32 v2, v50, v2, v53
	v_lshlrev_b32_e32 v50, 31, v56
	v_or_b32_e32 v53, 0x33800000, v50
	v_add_lshl_u32 v51, v51, v52, 23
	v_lshrrev_b32_e32 v2, 9, v2
	v_sub_u32_e32 v51, v53, v51
	v_or_b32_e32 v2, v51, v2
	v_alignbit_b32 v51, v52, v54, 9
	v_or_b32_e32 v50, v51, v50
	v_xor_b32_e32 v50, 1.0, v50
	v_mul_f32_e32 v51, 0x3fc90fda, v50
	v_fma_f32 v52, v50, s49, -v51
	v_fmac_f32_e32 v52, 0x33a22168, v50
	v_fmac_f32_e32 v52, 0x3fc90fda, v2
	v_lshrrev_b32_e32 v22, 30, v22
	v_add_f32_e32 v2, v51, v52
	v_add_u32_e32 v22, v58, v22
.LBB157_288:                            ;   in Loop: Header=BB157_161 Depth=1
	s_andn2_saveexec_b64 s[8:9], s[30:31]
; %bb.289:                              ;   in Loop: Header=BB157_161 Depth=1
	v_mul_f32_e64 v2, |v31|, s50
	v_rndne_f32_e32 v50, v2
	v_cvt_i32_f32_e32 v22, v50
	v_fma_f32 v2, v50, s51, |v31|
	v_fmac_f32_e32 v2, 0xb3a22168, v50
	v_fmac_f32_e32 v2, 0xa7c234c4, v50
; %bb.290:                              ;   in Loop: Header=BB157_161 Depth=1
	s_or_b64 exec, exec, s[8:9]
	v_mul_f32_e32 v50, v2, v2
	v_mov_b32_e32 v51, 0xbf039337
	v_fmac_f32_e32 v51, 0x3c971480, v50
	v_fma_f32 v51, v50, v51, v37
	v_rcp_f32_e32 v51, v51
	v_mov_b32_e32 v52, 0x3ec54587
	v_fmac_f32_e32 v52, 0xbc8cedd3, v50
	v_and_b32_e32 v22, 1, v22
	v_mul_f32_e32 v51, v52, v51
	v_mul_f32_e32 v50, v50, v51
	v_fma_f32 v51, v50, v2, v2
	v_rcp_f32_e32 v52, v51
	v_sub_f32_e32 v53, v51, v2
	v_fma_f32 v2, v50, v2, -v53
	v_cmp_eq_u32_e32 vcc, 0, v22
	v_fma_f32 v50, v51, -v52, 1.0
	v_fma_f32 v2, v2, -v52, v50
	v_fma_f32 v2, v2, -v52, -v52
	v_add_f32_e64 v22, |v30|, s52
	v_cndmask_b32_e32 v2, v2, v51, vcc
	v_sub_f32_e64 v51, v22, |v30|
	v_sub_f32_e32 v50, v51, v22
	v_pk_add_f32 v[50:51], v[20:21], v[50:51]
	v_sub_f32_e32 v20, v50, v51
	v_add_f32_e32 v20, 0x3102e308, v20
	v_add_f32_e32 v50, v22, v20
	v_sub_f32_e32 v22, v22, v50
	v_add_f32_e32 v20, v20, v22
	v_mul_f32_e32 v22, 0x3fb8aa3b, v50
	v_rndne_f32_e32 v58, v22
	v_fmac_f32_e32 v50, 0xbf317200, v58
	v_add_f32_e32 v22, v20, v50
	v_sub_f32_e32 v50, v50, v22
	v_add_f32_e32 v20, v20, v50
	v_mul_f32_e32 v50, 0x35bfbc00, v58
	v_sub_f32_e32 v52, v22, v50
	v_sub_f32_e32 v22, v22, v52
	;; [unrolled: 1-line block ×3, first 2 shown]
	v_add_f32_e32 v20, v20, v22
	v_add_f32_e32 v53, v52, v20
	v_mul_f32_e32 v51, 0x2ea39ef3, v58
	v_mov_b32_e32 v50, v53
	v_pk_add_f32 v[54:55], v[52:53], v[50:51] neg_lo:[0,1] neg_hi:[0,1]
	v_sub_f32_e32 v22, v53, v55
	v_sub_f32_e32 v22, v22, v51
	v_add_f32_e32 v20, v20, v54
	v_add_f32_e32 v20, v20, v22
	;; [unrolled: 1-line block ×3, first 2 shown]
	v_sub_f32_e32 v51, v55, v50
	v_mov_b32_e32 v22, 0x3c091de6
	v_add_f32_e32 v20, v20, v51
	v_mul_f32_e32 v52, v50, v50
	v_fmac_f32_e32 v22, 0x3ab42872, v50
	v_add_f32_e32 v51, v20, v20
	v_fma_f32 v53, v50, v50, -v52
	v_fma_f32 v22, v50, v22, v38
	v_fmac_f32_e32 v53, v50, v51
	v_fma_f32 v22, v50, v22, v39
	v_add_f32_e32 v51, v52, v53
	v_fma_f32 v22, v50, v22, v40
	v_sub_f32_e32 v52, v51, v52
	v_sub_f32_e32 v52, v53, v52
	v_mul_f32_e32 v53, v22, v51
	v_fma_f32 v51, v51, v22, -v53
	v_fmac_f32_e32 v51, v52, v22
	v_add_f32_e32 v52, v53, v51
	v_sub_f32_e32 v22, v52, v53
	v_sub_f32_e32 v51, v51, v22
	v_add_f32_e32 v22, v50, v52
	v_sub_f32_e32 v50, v22, v50
	v_sub_f32_e32 v50, v52, v50
	v_add_f32_e32 v20, v20, v51
	v_add_f32_e32 v50, v20, v50
	;; [unrolled: 1-line block ×3, first 2 shown]
	v_add_f32_e32 v53, 1.0, v52
	v_pk_add_f32 v[54:55], v[52:53], v[22:23] neg_lo:[0,1] neg_hi:[0,1]
	v_pk_add_f32 v[56:57], v[52:53], s[22:23]
	v_mov_b32_e32 v55, v57
	v_mov_b32_e32 v51, v52
	v_cvt_i32_f32_e32 v20, v58
	v_pk_add_f32 v[50:51], v[50:51], v[54:55] neg_lo:[0,1] neg_hi:[0,1]
	v_add_f32_e32 v22, v50, v51
	v_add_f32_e32 v50, v53, v22
	v_ldexp_f32 v51, v50, v20
	v_rcp_f32_e32 v52, v51
	v_sub_f32_e32 v50, v50, v53
	v_sub_f32_e32 v22, v22, v50
	v_ldexp_f32 v20, v22, v20
	v_mul_f32_e32 v22, v51, v52
	v_fma_f32 v50, v52, v51, -v22
	v_fmac_f32_e32 v50, v52, v20
	v_add_f32_e32 v53, v22, v50
	v_sub_f32_e32 v54, 1.0, v53
	v_sub_f32_e32 v55, 1.0, v54
	v_sub_f32_e32 v22, v53, v22
	v_sub_f32_e32 v55, v55, v53
	;; [unrolled: 1-line block ×3, first 2 shown]
	v_add_f32_e32 v22, v22, v55
	v_add_f32_e32 v50, v54, v22
	v_mul_f32_e32 v53, v52, v50
	v_mul_f32_e32 v55, v51, v53
	v_fma_f32 v56, v53, v51, -v55
	v_fmac_f32_e32 v56, v53, v20
	v_sub_f32_e32 v54, v54, v50
	v_add_f32_e32 v22, v22, v54
	v_add_f32_e32 v54, v55, v56
	v_sub_f32_e32 v57, v50, v54
	v_sub_f32_e32 v50, v50, v57
	;; [unrolled: 1-line block ×4, first 2 shown]
	v_add_f32_e32 v22, v22, v50
	v_sub_f32_e32 v50, v55, v56
	v_add_f32_e32 v22, v50, v22
	v_add_f32_e32 v22, v57, v22
	;; [unrolled: 1-line block ×3, first 2 shown]
	v_mul_f32_e32 v22, v52, v22
	v_sub_f32_e32 v52, v50, v52
	v_sub_f32_e32 v52, v53, v52
	v_add_f32_e32 v22, v52, v22
	v_add_f32_e32 v52, v50, v22
	v_sub_f32_e32 v50, v52, v50
	v_sub_f32_e32 v22, v22, v50
	v_ldexp_f32 v50, v52, -2
	v_sub_f32_e32 v52, v51, v50
	v_sub_f32_e32 v51, v51, v52
	;; [unrolled: 1-line block ×3, first 2 shown]
	v_ldexp_f32 v22, v22, -2
	v_add_f32_e32 v20, v20, v50
	v_sub_f32_e32 v20, v20, v22
	v_add_f32_e32 v20, v52, v20
	v_cmp_ngt_f32_e64 vcc, |v30|, s53
	v_cndmask_b32_e32 v20, v47, v20, vcc
	v_cmp_lt_f32_e64 s[8:9], |v30|, s54
	v_cndmask_b32_e64 v20, v20, |v30|, s[8:9]
	v_bfi_b32 v20, s37, v20, v30
	v_fma_f32 v22, v20, v20, 1.0
	v_mul_f32_e32 v30, 0x4f800000, v22
	v_cmp_gt_f32_e32 vcc, s55, v22
	v_cndmask_b32_e32 v22, v22, v30, vcc
	v_sqrt_f32_e32 v30, v22
	v_xor_b32_e32 v2, v49, v2
	v_xor_b32_e32 v2, v2, v31
	v_fma_f32 v31, v2, v2, 1.0
	v_add_u32_e32 v49, -1, v30
	v_fma_f32 v50, -v49, v30, v22
	v_cmp_ge_f32_e64 s[8:9], 0, v50
	v_add_u32_e32 v50, 1, v30
	v_cndmask_b32_e64 v49, v30, v49, s[8:9]
	v_fma_f32 v30, -v50, v30, v22
	v_cmp_lt_f32_e64 s[8:9], 0, v30
	v_cndmask_b32_e64 v30, v49, v50, s[8:9]
	v_mul_f32_e32 v49, 0x37800000, v30
	v_cndmask_b32_e32 v30, v30, v49, vcc
	v_cmp_class_f32_e32 vcc, v22, v41
	v_cndmask_b32_e32 v22, v30, v22, vcc
	v_mul_f32_e32 v30, v20, v31
	v_mul_f32_e32 v22, v22, v31
	v_fma_f32 v49, v20, v30, 1.0
	v_mul_f32_e32 v20, v20, v22
	v_div_scale_f32 v22, s[8:9], v49, v49, v20
	v_rcp_f32_e32 v30, v22
	v_fma_f32 v31, -v22, v30, 1.0
	v_fmac_f32_e32 v30, v31, v30
	v_div_scale_f32 v31, vcc, v20, v49, v20
	v_mul_f32_e32 v50, v31, v30
	v_fma_f32 v51, -v22, v50, v31
	v_fmac_f32_e32 v50, v51, v30
	v_fma_f32 v22, -v22, v50, v31
	v_div_scale_f32 v31, s[8:9], v49, v49, v2
	v_rcp_f32_e32 v51, v31
	v_div_fmas_f32 v22, v22, v30, v50
	v_div_fixup_f32 v30, v22, v49, v20
	v_fma_f32 v20, -v31, v51, 1.0
	v_fmac_f32_e32 v51, v20, v51
	v_div_scale_f32 v20, vcc, v2, v49, v2
	v_mul_f32_e32 v22, v20, v51
	v_fma_f32 v50, -v31, v22, v20
	v_fmac_f32_e32 v22, v50, v51
	v_fma_f32 v20, -v31, v22, v20
	v_div_fmas_f32 v20, v20, v51, v22
	v_div_fixup_f32 v31, v20, v49, v2
                                        ; implicit-def: $vgpr49
.LBB157_291:                            ;   in Loop: Header=BB157_161 Depth=1
	s_andn2_saveexec_b64 s[28:29], s[28:29]
	s_cbranch_execz .LBB157_312
; %bb.292:                              ;   in Loop: Header=BB157_161 Depth=1
	v_cmp_nlt_f32_e64 s[30:31], |v31|, s41
                                        ; implicit-def: $vgpr20
                                        ; implicit-def: $vgpr22
	s_and_saveexec_b64 s[8:9], s[30:31]
	s_xor_b64 s[34:35], exec, s[8:9]
	s_cbranch_execz .LBB157_301
; %bb.293:                              ;   in Loop: Header=BB157_161 Depth=1
	v_lshrrev_b32_e32 v2, 23, v49
	v_add_u32_e32 v2, 0xffffff88, v2
	v_cmp_lt_u32_e32 vcc, 63, v2
	v_cndmask_b32_e32 v20, 0, v45, vcc
	v_add_u32_e32 v2, v20, v2
	v_cmp_lt_u32_e64 s[8:9], 31, v2
	v_cndmask_b32_e64 v20, 0, v46, s[8:9]
	v_add_u32_e32 v2, v20, v2
	v_cmp_lt_u32_e64 s[10:11], 31, v2
	v_cndmask_b32_e64 v20, 0, v46, s[10:11]
	v_add_u32_e32 v20, v20, v2
	v_and_b32_e32 v2, 0x7fffff, v49
	v_or_b32_e32 v22, 0x800000, v2
	v_mad_u64_u32 v[50:51], s[12:13], v22, s42, 0
	v_mov_b32_e32 v2, v51
	v_mad_u64_u32 v[52:53], s[12:13], v22, s43, v[2:3]
	v_mov_b32_e32 v2, v53
	;; [unrolled: 2-line block ×6, first 2 shown]
	v_mad_u64_u32 v[62:63], s[12:13], v22, s48, v[2:3]
	v_cndmask_b32_e32 v51, v60, v56, vcc
	v_cndmask_b32_e32 v2, v62, v58, vcc
	;; [unrolled: 1-line block ×3, first 2 shown]
	v_cndmask_b32_e64 v22, v2, v51, s[8:9]
	v_cndmask_b32_e64 v2, v53, v2, s[8:9]
	v_cndmask_b32_e32 v53, v58, v54, vcc
	v_cndmask_b32_e64 v51, v51, v53, s[8:9]
	v_sub_u32_e32 v55, 32, v20
	v_cmp_eq_u32_e64 s[12:13], 0, v20
	v_cndmask_b32_e32 v20, v56, v52, vcc
	v_cndmask_b32_e64 v2, v2, v22, s[10:11]
	v_cndmask_b32_e64 v22, v22, v51, s[10:11]
	;; [unrolled: 1-line block ×3, first 2 shown]
	v_alignbit_b32 v57, v2, v22, v55
	v_cndmask_b32_e64 v51, v51, v52, s[10:11]
	v_cndmask_b32_e64 v2, v57, v2, s[12:13]
	v_alignbit_b32 v53, v22, v51, v55
	v_cndmask_b32_e32 v50, v54, v50, vcc
	v_cndmask_b32_e64 v22, v53, v22, s[12:13]
	v_bfe_u32 v57, v2, 29, 1
	v_cndmask_b32_e64 v20, v20, v50, s[8:9]
	v_alignbit_b32 v53, v2, v22, 30
	v_sub_u32_e32 v58, 0, v57
	v_cndmask_b32_e64 v20, v52, v20, s[10:11]
	v_xor_b32_e32 v59, v53, v58
	v_alignbit_b32 v50, v51, v20, v55
	v_cndmask_b32_e64 v50, v50, v51, s[12:13]
	v_ffbh_u32_e32 v51, v59
	v_add_u32_e32 v51, 1, v51
	v_cmp_ne_u32_e32 vcc, v53, v58
	v_alignbit_b32 v22, v22, v50, 30
	v_cndmask_b32_e32 v51, 33, v51, vcc
	v_alignbit_b32 v20, v50, v20, 30
	v_xor_b32_e32 v22, v22, v58
	v_sub_u32_e32 v52, 32, v51
	v_xor_b32_e32 v20, v20, v58
	v_alignbit_b32 v53, v59, v22, v52
	v_alignbit_b32 v20, v22, v20, v52
	;; [unrolled: 1-line block ×3, first 2 shown]
	v_ffbh_u32_e32 v50, v22
	v_min_u32_e32 v50, 32, v50
	v_lshrrev_b32_e32 v56, 29, v2
	v_sub_u32_e32 v52, 31, v50
	v_alignbit_b32 v20, v22, v20, v52
	v_lshlrev_b32_e32 v22, 31, v56
	v_or_b32_e32 v52, 0x33800000, v22
	v_add_lshl_u32 v50, v50, v51, 23
	v_lshrrev_b32_e32 v20, 9, v20
	v_sub_u32_e32 v50, v52, v50
	v_or_b32_e32 v20, v50, v20
	v_alignbit_b32 v50, v51, v53, 9
	v_or_b32_e32 v22, v50, v22
	v_xor_b32_e32 v22, 1.0, v22
	v_mul_f32_e32 v50, 0x3fc90fda, v22
	v_fma_f32 v51, v22, s49, -v50
	v_fmac_f32_e32 v51, 0x33a22168, v22
	v_fmac_f32_e32 v51, 0x3fc90fda, v20
	v_lshrrev_b32_e32 v2, 30, v2
	v_add_f32_e32 v22, v50, v51
	v_add_u32_e32 v20, v57, v2
	s_andn2_saveexec_b64 s[8:9], s[34:35]
	s_branch .LBB157_302
.LBB157_294:                            ;   in Loop: Header=BB157_161 Depth=1
	s_andn2_saveexec_b64 s[24:25], s[24:25]
	s_cbranch_execz .LBB157_316
.LBB157_295:                            ;   in Loop: Header=BB157_161 Depth=1
	v_and_b32_e32 v2, 0x7fffff, v30
	v_cmp_ne_u32_e32 vcc, 0, v2
	s_and_saveexec_b64 s[8:9], vcc
	s_xor_b64 s[8:9], exec, s[8:9]
; %bb.296:                              ;   in Loop: Header=BB157_161 Depth=1
	v_mul_f32_e32 v2, v31, v30
	v_cmp_eq_f32_e32 vcc, 0, v31
	v_cndmask_b32_e32 v31, v2, v31, vcc
; %bb.297:                              ;   in Loop: Header=BB157_161 Depth=1
	s_andn2_saveexec_b64 s[26:27], s[8:9]
	s_cbranch_execz .LBB157_324
; %bb.298:                              ;   in Loop: Header=BB157_161 Depth=1
	v_cmp_neq_f32_e64 s[8:9], |v31|, s38
	s_and_saveexec_b64 s[28:29], s[8:9]
	s_cbranch_execz .LBB157_323
; %bb.299:                              ;   in Loop: Header=BB157_161 Depth=1
	v_and_b32_e32 v20, 0x7fffffff, v31
	v_cmp_nlt_f32_e64 s[30:31], |v31|, s41
                                        ; implicit-def: $vgpr22
                                        ; implicit-def: $vgpr49
	s_and_saveexec_b64 s[8:9], s[30:31]
	s_xor_b64 s[34:35], exec, s[8:9]
	s_cbranch_execz .LBB157_305
; %bb.300:                              ;   in Loop: Header=BB157_161 Depth=1
	v_lshrrev_b32_e32 v2, 23, v20
	v_add_u32_e32 v2, 0xffffff88, v2
	v_cmp_lt_u32_e32 vcc, 63, v2
	v_cndmask_b32_e32 v22, 0, v45, vcc
	v_add_u32_e32 v2, v22, v2
	v_cmp_lt_u32_e64 s[8:9], 31, v2
	v_cndmask_b32_e64 v22, 0, v46, s[8:9]
	v_add_u32_e32 v2, v22, v2
	v_cmp_lt_u32_e64 s[10:11], 31, v2
	v_cndmask_b32_e64 v22, 0, v46, s[10:11]
	v_add_u32_e32 v22, v22, v2
	v_and_b32_e32 v2, 0x7fffff, v20
	v_or_b32_e32 v49, 0x800000, v2
	v_mad_u64_u32 v[50:51], s[12:13], v49, s42, 0
	v_mov_b32_e32 v2, v51
	v_mad_u64_u32 v[52:53], s[12:13], v49, s43, v[2:3]
	v_mov_b32_e32 v2, v53
	;; [unrolled: 2-line block ×6, first 2 shown]
	v_mad_u64_u32 v[62:63], s[12:13], v49, s48, v[2:3]
	v_cndmask_b32_e32 v51, v60, v56, vcc
	v_cndmask_b32_e32 v2, v62, v58, vcc
	;; [unrolled: 1-line block ×3, first 2 shown]
	v_cndmask_b32_e64 v49, v2, v51, s[8:9]
	v_cndmask_b32_e64 v2, v53, v2, s[8:9]
	v_cndmask_b32_e32 v53, v58, v54, vcc
	v_cndmask_b32_e64 v51, v51, v53, s[8:9]
	v_sub_u32_e32 v55, 32, v22
	v_cmp_eq_u32_e64 s[12:13], 0, v22
	v_cndmask_b32_e32 v22, v56, v52, vcc
	v_cndmask_b32_e64 v2, v2, v49, s[10:11]
	v_cndmask_b32_e64 v49, v49, v51, s[10:11]
	;; [unrolled: 1-line block ×3, first 2 shown]
	v_alignbit_b32 v57, v2, v49, v55
	v_cndmask_b32_e64 v51, v51, v52, s[10:11]
	v_cndmask_b32_e64 v2, v57, v2, s[12:13]
	v_alignbit_b32 v53, v49, v51, v55
	v_cndmask_b32_e32 v50, v54, v50, vcc
	v_cndmask_b32_e64 v49, v53, v49, s[12:13]
	v_bfe_u32 v57, v2, 29, 1
	v_cndmask_b32_e64 v22, v22, v50, s[8:9]
	v_alignbit_b32 v53, v2, v49, 30
	v_sub_u32_e32 v58, 0, v57
	v_cndmask_b32_e64 v22, v52, v22, s[10:11]
	v_xor_b32_e32 v59, v53, v58
	v_alignbit_b32 v50, v51, v22, v55
	v_cndmask_b32_e64 v50, v50, v51, s[12:13]
	v_ffbh_u32_e32 v51, v59
	v_add_u32_e32 v51, 1, v51
	v_cmp_ne_u32_e32 vcc, v53, v58
	v_alignbit_b32 v49, v49, v50, 30
	v_cndmask_b32_e32 v51, 33, v51, vcc
	v_alignbit_b32 v22, v50, v22, 30
	v_xor_b32_e32 v49, v49, v58
	v_sub_u32_e32 v52, 32, v51
	v_xor_b32_e32 v22, v22, v58
	v_alignbit_b32 v53, v59, v49, v52
	v_alignbit_b32 v22, v49, v22, v52
	;; [unrolled: 1-line block ×3, first 2 shown]
	v_ffbh_u32_e32 v50, v49
	v_min_u32_e32 v50, 32, v50
	v_lshrrev_b32_e32 v56, 29, v2
	v_sub_u32_e32 v52, 31, v50
	v_alignbit_b32 v22, v49, v22, v52
	v_lshlrev_b32_e32 v49, 31, v56
	v_or_b32_e32 v52, 0x33800000, v49
	v_add_lshl_u32 v50, v50, v51, 23
	v_lshrrev_b32_e32 v22, 9, v22
	v_sub_u32_e32 v50, v52, v50
	v_or_b32_e32 v22, v50, v22
	v_alignbit_b32 v50, v51, v53, 9
	v_or_b32_e32 v49, v50, v49
	v_xor_b32_e32 v49, 1.0, v49
	v_mul_f32_e32 v50, 0x3fc90fda, v49
	v_fma_f32 v51, v49, s49, -v50
	v_fmac_f32_e32 v51, 0x33a22168, v49
	v_fmac_f32_e32 v51, 0x3fc90fda, v22
	v_lshrrev_b32_e32 v2, 30, v2
	v_add_f32_e32 v49, v50, v51
	v_add_u32_e32 v22, v57, v2
	s_andn2_saveexec_b64 s[8:9], s[34:35]
	s_branch .LBB157_306
.LBB157_301:                            ;   in Loop: Header=BB157_161 Depth=1
	s_andn2_saveexec_b64 s[8:9], s[34:35]
.LBB157_302:                            ;   in Loop: Header=BB157_161 Depth=1
	v_mul_f32_e64 v2, |v31|, s50
	v_rndne_f32_e32 v2, v2
	v_cvt_i32_f32_e32 v20, v2
	v_fma_f32 v22, v2, s51, |v31|
	v_fmac_f32_e32 v22, 0xb3a22168, v2
	v_fmac_f32_e32 v22, 0xa7c234c4, v2
; %bb.303:                              ;   in Loop: Header=BB157_161 Depth=1
	s_or_b64 exec, exec, s[8:9]
                                        ; implicit-def: $vgpr2
                                        ; implicit-def: $vgpr50
	s_and_saveexec_b64 s[8:9], s[30:31]
	s_xor_b64 s[30:31], exec, s[8:9]
	s_cbranch_execz .LBB157_309
; %bb.304:                              ;   in Loop: Header=BB157_161 Depth=1
	v_lshrrev_b32_e32 v2, 23, v49
	v_add_u32_e32 v2, 0xffffff88, v2
	v_cmp_lt_u32_e32 vcc, 63, v2
	v_cndmask_b32_e32 v50, 0, v45, vcc
	v_add_u32_e32 v2, v50, v2
	v_cmp_lt_u32_e64 s[8:9], 31, v2
	v_cndmask_b32_e64 v50, 0, v46, s[8:9]
	v_add_u32_e32 v2, v50, v2
	v_cmp_lt_u32_e64 s[10:11], 31, v2
	v_cndmask_b32_e64 v50, 0, v46, s[10:11]
	v_add_u32_e32 v64, v50, v2
	v_and_b32_e32 v2, 0x7fffff, v49
	v_or_b32_e32 v62, 0x800000, v2
	v_mad_u64_u32 v[50:51], s[12:13], v62, s42, 0
	v_mov_b32_e32 v2, v51
	v_mad_u64_u32 v[52:53], s[12:13], v62, s43, v[2:3]
	v_mov_b32_e32 v2, v53
	;; [unrolled: 2-line block ×6, first 2 shown]
	v_mad_u64_u32 v[62:63], s[12:13], v62, s48, v[2:3]
	v_cndmask_b32_e32 v51, v60, v56, vcc
	v_cndmask_b32_e32 v2, v62, v58, vcc
	;; [unrolled: 1-line block ×3, first 2 shown]
	v_cndmask_b32_e64 v53, v2, v51, s[8:9]
	v_cndmask_b32_e64 v2, v55, v2, s[8:9]
	v_cndmask_b32_e32 v55, v58, v54, vcc
	v_cndmask_b32_e64 v51, v51, v55, s[8:9]
	v_cndmask_b32_e32 v52, v56, v52, vcc
	v_cndmask_b32_e64 v2, v2, v53, s[10:11]
	v_cndmask_b32_e64 v53, v53, v51, s[10:11]
	v_sub_u32_e32 v57, 32, v64
	v_cndmask_b32_e64 v55, v55, v52, s[8:9]
	v_alignbit_b32 v58, v2, v53, v57
	v_cmp_eq_u32_e64 s[12:13], 0, v64
	v_cndmask_b32_e64 v51, v51, v55, s[10:11]
	v_cndmask_b32_e32 v50, v54, v50, vcc
	v_cndmask_b32_e64 v2, v58, v2, s[12:13]
	v_alignbit_b32 v56, v53, v51, v57
	v_cndmask_b32_e64 v50, v52, v50, s[8:9]
	v_cndmask_b32_e64 v53, v56, v53, s[12:13]
	v_bfe_u32 v59, v2, 29, 1
	v_cndmask_b32_e64 v50, v55, v50, s[10:11]
	v_alignbit_b32 v56, v2, v53, 30
	v_sub_u32_e32 v60, 0, v59
	v_alignbit_b32 v52, v51, v50, v57
	v_xor_b32_e32 v61, v56, v60
	v_cndmask_b32_e64 v51, v52, v51, s[12:13]
	v_alignbit_b32 v52, v53, v51, 30
	v_ffbh_u32_e32 v53, v61
	v_add_u32_e32 v53, 1, v53
	v_cmp_ne_u32_e32 vcc, v56, v60
	v_cndmask_b32_e32 v53, 33, v53, vcc
	v_alignbit_b32 v50, v51, v50, 30
	v_xor_b32_e32 v52, v52, v60
	v_sub_u32_e32 v54, 32, v53
	v_xor_b32_e32 v50, v50, v60
	v_alignbit_b32 v55, v61, v52, v54
	v_alignbit_b32 v50, v52, v50, v54
	;; [unrolled: 1-line block ×3, first 2 shown]
	v_ffbh_u32_e32 v52, v51
	v_min_u32_e32 v52, 32, v52
	v_lshrrev_b32_e32 v58, 29, v2
	v_sub_u32_e32 v54, 31, v52
	v_alignbit_b32 v50, v51, v50, v54
	v_lshlrev_b32_e32 v51, 31, v58
	v_or_b32_e32 v54, 0x33800000, v51
	v_add_lshl_u32 v52, v52, v53, 23
	v_lshrrev_b32_e32 v50, 9, v50
	v_sub_u32_e32 v52, v54, v52
	v_or_b32_e32 v50, v52, v50
	v_alignbit_b32 v52, v53, v55, 9
	v_or_b32_e32 v51, v52, v51
	v_xor_b32_e32 v51, 1.0, v51
	v_mul_f32_e32 v52, 0x3fc90fda, v51
	v_fma_f32 v53, v51, s49, -v52
	v_fmac_f32_e32 v53, 0x33a22168, v51
	v_fmac_f32_e32 v53, 0x3fc90fda, v50
	v_lshrrev_b32_e32 v2, 30, v2
	v_add_f32_e32 v50, v52, v53
	v_add_u32_e32 v2, v59, v2
	s_andn2_saveexec_b64 s[8:9], s[30:31]
	s_cbranch_execnz .LBB157_310
	s_branch .LBB157_311
.LBB157_305:                            ;   in Loop: Header=BB157_161 Depth=1
	s_andn2_saveexec_b64 s[8:9], s[34:35]
.LBB157_306:                            ;   in Loop: Header=BB157_161 Depth=1
	v_mul_f32_e64 v2, |v31|, s50
	v_rndne_f32_e32 v2, v2
	v_cvt_i32_f32_e32 v22, v2
	v_fma_f32 v49, v2, s51, |v31|
	v_fmac_f32_e32 v49, 0xb3a22168, v2
	v_fmac_f32_e32 v49, 0xa7c234c4, v2
; %bb.307:                              ;   in Loop: Header=BB157_161 Depth=1
	s_or_b64 exec, exec, s[8:9]
                                        ; implicit-def: $vgpr2
                                        ; implicit-def: $vgpr50
	s_and_saveexec_b64 s[8:9], s[30:31]
	s_xor_b64 s[30:31], exec, s[8:9]
	s_cbranch_execz .LBB157_320
; %bb.308:                              ;   in Loop: Header=BB157_161 Depth=1
	v_lshrrev_b32_e32 v2, 23, v20
	v_add_u32_e32 v2, 0xffffff88, v2
	v_cmp_lt_u32_e32 vcc, 63, v2
	v_cndmask_b32_e32 v50, 0, v45, vcc
	v_add_u32_e32 v2, v50, v2
	v_cmp_lt_u32_e64 s[8:9], 31, v2
	v_cndmask_b32_e64 v50, 0, v46, s[8:9]
	v_add_u32_e32 v2, v50, v2
	v_cmp_lt_u32_e64 s[10:11], 31, v2
	v_cndmask_b32_e64 v50, 0, v46, s[10:11]
	v_add_u32_e32 v64, v50, v2
	v_and_b32_e32 v2, 0x7fffff, v20
	v_or_b32_e32 v62, 0x800000, v2
	v_mad_u64_u32 v[50:51], s[12:13], v62, s42, 0
	v_mov_b32_e32 v2, v51
	v_mad_u64_u32 v[52:53], s[12:13], v62, s43, v[2:3]
	v_mov_b32_e32 v2, v53
	;; [unrolled: 2-line block ×6, first 2 shown]
	v_mad_u64_u32 v[62:63], s[12:13], v62, s48, v[2:3]
	v_cndmask_b32_e32 v51, v60, v56, vcc
	v_cndmask_b32_e32 v2, v62, v58, vcc
	;; [unrolled: 1-line block ×3, first 2 shown]
	v_cndmask_b32_e64 v53, v2, v51, s[8:9]
	v_cndmask_b32_e64 v2, v55, v2, s[8:9]
	v_cndmask_b32_e32 v55, v58, v54, vcc
	v_cndmask_b32_e64 v51, v51, v55, s[8:9]
	v_cndmask_b32_e32 v52, v56, v52, vcc
	v_cndmask_b32_e64 v2, v2, v53, s[10:11]
	v_cndmask_b32_e64 v53, v53, v51, s[10:11]
	v_sub_u32_e32 v57, 32, v64
	v_cndmask_b32_e64 v55, v55, v52, s[8:9]
	v_alignbit_b32 v58, v2, v53, v57
	v_cmp_eq_u32_e64 s[12:13], 0, v64
	v_cndmask_b32_e64 v51, v51, v55, s[10:11]
	v_cndmask_b32_e32 v50, v54, v50, vcc
	v_cndmask_b32_e64 v2, v58, v2, s[12:13]
	v_alignbit_b32 v56, v53, v51, v57
	v_cndmask_b32_e64 v50, v52, v50, s[8:9]
	v_cndmask_b32_e64 v53, v56, v53, s[12:13]
	v_bfe_u32 v59, v2, 29, 1
	v_cndmask_b32_e64 v50, v55, v50, s[10:11]
	v_alignbit_b32 v56, v2, v53, 30
	v_sub_u32_e32 v60, 0, v59
	v_alignbit_b32 v52, v51, v50, v57
	v_xor_b32_e32 v61, v56, v60
	v_cndmask_b32_e64 v51, v52, v51, s[12:13]
	v_alignbit_b32 v52, v53, v51, 30
	v_ffbh_u32_e32 v53, v61
	v_add_u32_e32 v53, 1, v53
	v_cmp_ne_u32_e32 vcc, v56, v60
	v_cndmask_b32_e32 v53, 33, v53, vcc
	v_alignbit_b32 v50, v51, v50, 30
	v_xor_b32_e32 v52, v52, v60
	v_sub_u32_e32 v54, 32, v53
	v_xor_b32_e32 v50, v50, v60
	v_alignbit_b32 v55, v61, v52, v54
	v_alignbit_b32 v50, v52, v50, v54
	;; [unrolled: 1-line block ×3, first 2 shown]
	v_ffbh_u32_e32 v52, v51
	v_min_u32_e32 v52, 32, v52
	v_lshrrev_b32_e32 v58, 29, v2
	v_sub_u32_e32 v54, 31, v52
	v_alignbit_b32 v50, v51, v50, v54
	v_lshlrev_b32_e32 v51, 31, v58
	v_or_b32_e32 v54, 0x33800000, v51
	v_add_lshl_u32 v52, v52, v53, 23
	v_lshrrev_b32_e32 v50, 9, v50
	v_sub_u32_e32 v52, v54, v52
	v_or_b32_e32 v50, v52, v50
	v_alignbit_b32 v52, v53, v55, 9
	v_or_b32_e32 v51, v52, v51
	v_xor_b32_e32 v51, 1.0, v51
	v_mul_f32_e32 v52, 0x3fc90fda, v51
	v_fma_f32 v53, v51, s49, -v52
	v_fmac_f32_e32 v53, 0x33a22168, v51
	v_fmac_f32_e32 v53, 0x3fc90fda, v50
	v_lshrrev_b32_e32 v2, 30, v2
	v_add_f32_e32 v50, v52, v53
	v_add_u32_e32 v2, v59, v2
	s_andn2_saveexec_b64 s[8:9], s[30:31]
	s_cbranch_execnz .LBB157_321
	s_branch .LBB157_322
.LBB157_309:                            ;   in Loop: Header=BB157_161 Depth=1
	s_andn2_saveexec_b64 s[8:9], s[30:31]
.LBB157_310:                            ;   in Loop: Header=BB157_161 Depth=1
	v_mul_f32_e64 v2, |v31|, s50
	v_rndne_f32_e32 v51, v2
	v_cvt_i32_f32_e32 v2, v51
	v_fma_f32 v50, v51, s51, |v31|
	v_fmac_f32_e32 v50, 0xb3a22168, v51
	v_fmac_f32_e32 v50, 0xa7c234c4, v51
.LBB157_311:                            ;   in Loop: Header=BB157_161 Depth=1
	s_or_b64 exec, exec, s[8:9]
	v_mul_f32_e32 v51, v22, v22
	v_mov_b32_e32 v52, 0x3c0881c4
	v_fmac_f32_e32 v52, 0xb94c1982, v51
	v_fma_f32 v52, v51, v52, v42
	v_mul_f32_e32 v52, v51, v52
	v_fmac_f32_e32 v22, v22, v52
	v_mov_b32_e32 v52, 0xbab64f3b
	v_fmac_f32_e32 v52, 0x37d75334, v51
	v_fma_f32 v52, v51, v52, v43
	v_fma_f32 v52, v51, v52, v44
	v_fma_f32 v51, v51, v52, 1.0
	v_and_b32_e32 v52, 1, v20
	v_lshlrev_b32_e32 v20, 30, v20
	v_and_b32_e32 v20, 0x80000000, v20
	v_cmp_eq_u32_e32 vcc, 0, v52
	v_xor_b32_e32 v20, v49, v20
	v_mul_f32_e64 v49, |v30|, s56
	v_cndmask_b32_e32 v22, v51, v22, vcc
	v_rndne_f32_e32 v51, v49
	v_sub_f32_e32 v52, v49, v51
	v_fma_f32 v49, |v30|, s56, -v49
	v_fma_f32 v49, |v30|, s57, v49
	v_add_f32_e32 v49, v52, v49
	v_exp_f32_e32 v49, v49
	v_cvt_i32_f32_e32 v51, v51
	v_xor_b32_e32 v20, v20, v22
	v_xor_b32_e32 v20, v20, v31
	v_mul_f32_e32 v31, v50, v50
	v_ldexp_f32 v22, v49, v51
	v_mov_b32_e32 v49, 0x3c0881c4
	v_fmac_f32_e32 v49, 0xb94c1982, v31
	v_fma_f32 v49, v31, v49, v42
	v_mul_f32_e32 v49, v31, v49
	v_fmac_f32_e32 v50, v50, v49
	v_mov_b32_e32 v49, 0xbab64f3b
	v_fmac_f32_e32 v49, 0x37d75334, v31
	v_fma_f32 v49, v31, v49, v43
	v_cmp_ngt_f32_e64 vcc, |v30|, s58
	v_fma_f32 v49, v31, v49, v44
	v_cndmask_b32_e32 v22, 0, v22, vcc
	v_cmp_nlt_f32_e64 vcc, |v30|, s59
	v_fma_f32 v31, v31, v49, 1.0
	v_and_b32_e32 v49, 1, v2
	v_cndmask_b32_e32 v22, v47, v22, vcc
	v_cmp_eq_u32_e32 vcc, 0, v49
	v_lshlrev_b32_e32 v2, 30, v2
	v_cndmask_b32_e64 v31, -v50, v31, vcc
	v_and_b32_e32 v2, 0x80000000, v2
	v_mul_f32_e32 v20, 4.0, v20
	v_xor_b32_e32 v2, v2, v31
	v_mul_f32_e32 v2, v20, v2
	v_mul_f32_e32 v2, v22, v2
	v_bfi_b32 v30, s37, 1.0, v30
	v_mul_f32_e32 v31, v22, v2
.LBB157_312:                            ;   in Loop: Header=BB157_161 Depth=1
	s_or_b64 exec, exec, s[28:29]
.LBB157_313:                            ;   in Loop: Header=BB157_161 Depth=1
	s_andn2_saveexec_b64 s[8:9], s[26:27]
; %bb.314:                              ;   in Loop: Header=BB157_161 Depth=1
	v_sub_f32_e32 v31, v31, v31
	v_mov_b32_e32 v30, v31
; %bb.315:                              ;   in Loop: Header=BB157_161 Depth=1
	s_or_b64 exec, exec, s[8:9]
	s_andn2_saveexec_b64 s[24:25], s[24:25]
	s_cbranch_execnz .LBB157_295
.LBB157_316:                            ;   in Loop: Header=BB157_161 Depth=1
	s_or_b64 exec, exec, s[24:25]
	s_and_saveexec_b64 s[8:9], s[0:1]
	s_xor_b64 s[0:1], exec, s[8:9]
	s_cbranch_execz .LBB157_325
.LBB157_317:                            ;   in Loop: Header=BB157_161 Depth=1
	v_mov_b32_e32 v2, s15
	v_add_co_u32_e32 v50, vcc, s14, v6
	v_addc_co_u32_e32 v51, vcc, v5, v2, vcc
	global_store_dwordx2 v[50:51], v[26:27], off
	s_or_b64 exec, exec, s[0:1]
	s_and_saveexec_b64 s[0:1], s[2:3]
	s_cbranch_execnz .LBB157_326
.LBB157_318:                            ;   in Loop: Header=BB157_161 Depth=1
	s_or_b64 exec, exec, s[0:1]
	s_and_saveexec_b64 s[0:1], s[4:5]
	s_cbranch_execz .LBB157_327
.LBB157_319:                            ;   in Loop: Header=BB157_161 Depth=1
	v_mov_b32_e32 v2, s15
	v_add_co_u32_e32 v26, vcc, s14, v14
	v_addc_co_u32_e32 v27, vcc, v13, v2, vcc
	global_store_dwordx2 v[26:27], v[24:25], off
	s_or_b64 exec, exec, s[0:1]
	s_and_saveexec_b64 s[0:1], s[6:7]
	s_cbranch_execz .LBB157_160
	s_branch .LBB157_328
.LBB157_320:                            ;   in Loop: Header=BB157_161 Depth=1
	s_andn2_saveexec_b64 s[8:9], s[30:31]
.LBB157_321:                            ;   in Loop: Header=BB157_161 Depth=1
	v_mul_f32_e64 v2, |v31|, s50
	v_rndne_f32_e32 v51, v2
	v_cvt_i32_f32_e32 v2, v51
	v_fma_f32 v50, v51, s51, |v31|
	v_fmac_f32_e32 v50, 0xb3a22168, v51
	v_fmac_f32_e32 v50, 0xa7c234c4, v51
.LBB157_322:                            ;   in Loop: Header=BB157_161 Depth=1
	s_or_b64 exec, exec, s[8:9]
	v_mul_f32_e32 v51, v49, v49
	v_mov_b32_e32 v52, 0x3c0881c4
	v_fmac_f32_e32 v52, 0xb94c1982, v51
	v_fma_f32 v52, v51, v52, v42
	v_mul_f32_e32 v52, v51, v52
	v_fmac_f32_e32 v49, v49, v52
	v_mov_b32_e32 v52, 0xbab64f3b
	v_fmac_f32_e32 v52, 0x37d75334, v51
	v_fma_f32 v52, v51, v52, v43
	v_fma_f32 v52, v51, v52, v44
	v_fma_f32 v51, v51, v52, 1.0
	v_and_b32_e32 v52, 1, v22
	v_lshlrev_b32_e32 v22, 30, v22
	v_cmp_eq_u32_e32 vcc, 0, v52
	v_and_b32_e32 v22, 0x80000000, v22
	v_cndmask_b32_e32 v49, v51, v49, vcc
	v_xor_b32_e32 v20, v20, v22
	v_xor_b32_e32 v20, v20, v49
	v_mul_f32_e32 v22, v50, v50
	v_mov_b32_e32 v49, 0x3c0881c4
	v_fmac_f32_e32 v49, 0xb94c1982, v22
	v_fma_f32 v49, v22, v49, v42
	v_mul_f32_e32 v49, v22, v49
	v_fmac_f32_e32 v50, v50, v49
	v_mov_b32_e32 v49, 0xbab64f3b
	v_fmac_f32_e32 v49, 0x37d75334, v22
	v_fma_f32 v49, v22, v49, v43
	v_fma_f32 v49, v22, v49, v44
	v_fma_f32 v22, v22, v49, 1.0
	v_and_b32_e32 v49, 1, v2
	v_cmp_eq_u32_e32 vcc, 0, v49
	v_lshlrev_b32_e32 v2, 30, v2
	v_cndmask_b32_e64 v22, -v50, v22, vcc
	v_and_b32_e32 v2, 0x80000000, v2
	v_xor_b32_e32 v20, v20, v31
	v_xor_b32_e32 v2, v2, v22
	v_mul_f32_e32 v2, v20, v2
	v_cmp_class_f32_e64 vcc, v31, s39
	v_cndmask_b32_e32 v31, v48, v2, vcc
.LBB157_323:                            ;   in Loop: Header=BB157_161 Depth=1
	s_or_b64 exec, exec, s[28:29]
	v_add_u32_e32 v30, -2.0, v30
	v_bfi_b32 v31, s37, 0, v31
.LBB157_324:                            ;   in Loop: Header=BB157_161 Depth=1
	s_or_b64 exec, exec, s[26:27]
	s_or_b64 exec, exec, s[24:25]
	s_and_saveexec_b64 s[8:9], s[0:1]
	s_xor_b64 s[0:1], exec, s[8:9]
	s_cbranch_execnz .LBB157_317
.LBB157_325:                            ;   in Loop: Header=BB157_161 Depth=1
	s_or_b64 exec, exec, s[0:1]
	s_and_saveexec_b64 s[0:1], s[2:3]
	s_cbranch_execz .LBB157_318
.LBB157_326:                            ;   in Loop: Header=BB157_161 Depth=1
	v_mov_b32_e32 v2, s15
	v_add_co_u32_e32 v26, vcc, s14, v18
	v_addc_co_u32_e32 v27, vcc, v17, v2, vcc
	global_store_dwordx2 v[26:27], v[28:29], off
	s_or_b64 exec, exec, s[0:1]
	s_and_saveexec_b64 s[0:1], s[4:5]
	s_cbranch_execnz .LBB157_319
.LBB157_327:                            ;   in Loop: Header=BB157_161 Depth=1
	s_or_b64 exec, exec, s[0:1]
	s_and_saveexec_b64 s[0:1], s[6:7]
	s_cbranch_execz .LBB157_160
.LBB157_328:                            ;   in Loop: Header=BB157_161 Depth=1
	v_mov_b32_e32 v2, s15
	v_add_co_u32_e32 v24, vcc, s14, v10
	v_addc_co_u32_e32 v25, vcc, v9, v2, vcc
	global_store_dwordx2 v[24:25], v[30:31], off
	s_branch .LBB157_160
.LBB157_329:
	s_endpgm
	.section	.rodata,"a",@progbits
	.p2align	6, 0x0
	.amdhsa_kernel _ZN2at6native12_GLOBAL__N_125multi_tensor_apply_kernelINS1_18TensorListMetadataILi2EEENS1_14UnaryOpFunctorIN3c107complexIfEELi2ELi1ELi1EEEJNS0_4TanhIS8_EEEEEvT_T0_DpT1_
		.amdhsa_group_segment_fixed_size 0
		.amdhsa_private_segment_fixed_size 0
		.amdhsa_kernarg_size 3408
		.amdhsa_user_sgpr_count 6
		.amdhsa_user_sgpr_private_segment_buffer 1
		.amdhsa_user_sgpr_dispatch_ptr 0
		.amdhsa_user_sgpr_queue_ptr 0
		.amdhsa_user_sgpr_kernarg_segment_ptr 1
		.amdhsa_user_sgpr_dispatch_id 0
		.amdhsa_user_sgpr_flat_scratch_init 0
		.amdhsa_user_sgpr_kernarg_preload_length 0
		.amdhsa_user_sgpr_kernarg_preload_offset 0
		.amdhsa_user_sgpr_private_segment_size 0
		.amdhsa_uses_dynamic_stack 0
		.amdhsa_system_sgpr_private_segment_wavefront_offset 0
		.amdhsa_system_sgpr_workgroup_id_x 1
		.amdhsa_system_sgpr_workgroup_id_y 0
		.amdhsa_system_sgpr_workgroup_id_z 0
		.amdhsa_system_sgpr_workgroup_info 0
		.amdhsa_system_vgpr_workitem_id 0
		.amdhsa_next_free_vgpr 65
		.amdhsa_next_free_sgpr 64
		.amdhsa_accum_offset 68
		.amdhsa_reserve_vcc 1
		.amdhsa_reserve_flat_scratch 0
		.amdhsa_float_round_mode_32 0
		.amdhsa_float_round_mode_16_64 0
		.amdhsa_float_denorm_mode_32 3
		.amdhsa_float_denorm_mode_16_64 3
		.amdhsa_dx10_clamp 1
		.amdhsa_ieee_mode 1
		.amdhsa_fp16_overflow 0
		.amdhsa_tg_split 0
		.amdhsa_exception_fp_ieee_invalid_op 0
		.amdhsa_exception_fp_denorm_src 0
		.amdhsa_exception_fp_ieee_div_zero 0
		.amdhsa_exception_fp_ieee_overflow 0
		.amdhsa_exception_fp_ieee_underflow 0
		.amdhsa_exception_fp_ieee_inexact 0
		.amdhsa_exception_int_div_zero 0
	.end_amdhsa_kernel
	.section	.text._ZN2at6native12_GLOBAL__N_125multi_tensor_apply_kernelINS1_18TensorListMetadataILi2EEENS1_14UnaryOpFunctorIN3c107complexIfEELi2ELi1ELi1EEEJNS0_4TanhIS8_EEEEEvT_T0_DpT1_,"axG",@progbits,_ZN2at6native12_GLOBAL__N_125multi_tensor_apply_kernelINS1_18TensorListMetadataILi2EEENS1_14UnaryOpFunctorIN3c107complexIfEELi2ELi1ELi1EEEJNS0_4TanhIS8_EEEEEvT_T0_DpT1_,comdat
.Lfunc_end157:
	.size	_ZN2at6native12_GLOBAL__N_125multi_tensor_apply_kernelINS1_18TensorListMetadataILi2EEENS1_14UnaryOpFunctorIN3c107complexIfEELi2ELi1ELi1EEEJNS0_4TanhIS8_EEEEEvT_T0_DpT1_, .Lfunc_end157-_ZN2at6native12_GLOBAL__N_125multi_tensor_apply_kernelINS1_18TensorListMetadataILi2EEENS1_14UnaryOpFunctorIN3c107complexIfEELi2ELi1ELi1EEEJNS0_4TanhIS8_EEEEEvT_T0_DpT1_
                                        ; -- End function
	.section	.AMDGPU.csdata,"",@progbits
; Kernel info:
; codeLenInByte = 39216
; NumSgprs: 68
; NumVgprs: 65
; NumAgprs: 0
; TotalNumVgprs: 65
; ScratchSize: 0
; MemoryBound: 0
; FloatMode: 240
; IeeeMode: 1
; LDSByteSize: 0 bytes/workgroup (compile time only)
; SGPRBlocks: 8
; VGPRBlocks: 8
; NumSGPRsForWavesPerEU: 68
; NumVGPRsForWavesPerEU: 65
; AccumOffset: 68
; Occupancy: 7
; WaveLimiterHint : 0
; COMPUTE_PGM_RSRC2:SCRATCH_EN: 0
; COMPUTE_PGM_RSRC2:USER_SGPR: 6
; COMPUTE_PGM_RSRC2:TRAP_HANDLER: 0
; COMPUTE_PGM_RSRC2:TGID_X_EN: 1
; COMPUTE_PGM_RSRC2:TGID_Y_EN: 0
; COMPUTE_PGM_RSRC2:TGID_Z_EN: 0
; COMPUTE_PGM_RSRC2:TIDIG_COMP_CNT: 0
; COMPUTE_PGM_RSRC3_GFX90A:ACCUM_OFFSET: 16
; COMPUTE_PGM_RSRC3_GFX90A:TG_SPLIT: 0
	.section	.text._ZN2at6native12_GLOBAL__N_125multi_tensor_apply_kernelINS1_18TensorListMetadataILi2EEENS1_14UnaryOpFunctorIN3c104HalfELi2ELi1ELi1EEEJNS0_4TanhIfEEEEEvT_T0_DpT1_,"axG",@progbits,_ZN2at6native12_GLOBAL__N_125multi_tensor_apply_kernelINS1_18TensorListMetadataILi2EEENS1_14UnaryOpFunctorIN3c104HalfELi2ELi1ELi1EEEJNS0_4TanhIfEEEEEvT_T0_DpT1_,comdat
	.globl	_ZN2at6native12_GLOBAL__N_125multi_tensor_apply_kernelINS1_18TensorListMetadataILi2EEENS1_14UnaryOpFunctorIN3c104HalfELi2ELi1ELi1EEEJNS0_4TanhIfEEEEEvT_T0_DpT1_ ; -- Begin function _ZN2at6native12_GLOBAL__N_125multi_tensor_apply_kernelINS1_18TensorListMetadataILi2EEENS1_14UnaryOpFunctorIN3c104HalfELi2ELi1ELi1EEEJNS0_4TanhIfEEEEEvT_T0_DpT1_
	.p2align	8
	.type	_ZN2at6native12_GLOBAL__N_125multi_tensor_apply_kernelINS1_18TensorListMetadataILi2EEENS1_14UnaryOpFunctorIN3c104HalfELi2ELi1ELi1EEEJNS0_4TanhIfEEEEEvT_T0_DpT1_,@function
_ZN2at6native12_GLOBAL__N_125multi_tensor_apply_kernelINS1_18TensorListMetadataILi2EEENS1_14UnaryOpFunctorIN3c104HalfELi2ELi1ELi1EEEJNS0_4TanhIfEEEEEvT_T0_DpT1_: ; @_ZN2at6native12_GLOBAL__N_125multi_tensor_apply_kernelINS1_18TensorListMetadataILi2EEENS1_14UnaryOpFunctorIN3c104HalfELi2ELi1ELi1EEEJNS0_4TanhIfEEEEEvT_T0_DpT1_
; %bb.0:
	v_mov_b32_e32 v1, s6
	global_load_ubyte v1, v1, s[4:5] offset:1536
	s_add_u32 s0, s4, s6
	s_mul_hi_u32 s3, s6, 3
	s_mul_i32 s6, s6, 3
	s_addc_u32 s7, s5, 0
	s_add_u32 s2, s0, s6
	s_addc_u32 s3, s7, s3
	s_load_dword s14, s[2:3], 0x740
	s_mov_b32 s1, 0
	s_mov_b32 s13, s1
	;; [unrolled: 1-line block ×3, first 2 shown]
	s_waitcnt lgkmcnt(0)
	s_ashr_i32 s15, s14, 31
	s_lshl_b64 s[8:9], s[14:15], 17
	s_waitcnt vmcnt(0)
	v_readfirstlane_b32 s0, v1
	s_lshl_b32 s0, s0, 3
	s_load_dwordx2 s[6:7], s[4:5], s0 offset:0x0
	s_load_dwordx2 s[16:17], s[4:5], s0 offset:0x400
	;; [unrolled: 1-line block ×3, first 2 shown]
	s_waitcnt lgkmcnt(0)
	s_add_u32 s18, s6, s8
	s_addc_u32 s19, s7, s9
	s_and_b32 s0, s18, 7
	s_add_u32 s20, s2, s8
	s_addc_u32 s21, s3, s9
	s_and_b32 s12, s16, 3
	s_and_b32 s10, s20, 7
	s_or_b64 s[12:13], s[0:1], s[12:13]
	s_or_b64 s[12:13], s[10:11], s[12:13]
	s_lshl_b64 s[10:11], s[14:15], 16
	s_sub_u32 s10, s16, s10
	s_subb_u32 s11, s17, s11
	s_cmp_eq_u64 s[12:13], 0
	s_mov_b64 s[12:13], -1
	s_cbranch_scc0 .LBB158_21
; %bb.1:
	v_mov_b32_e32 v3, 0
	v_lshlrev_b32_e32 v2, 2, v0
	v_cmp_gt_i64_e32 vcc, s[10:11], v[2:3]
	s_and_saveexec_b64 s[12:13], vcc
	s_cbranch_execz .LBB158_20
; %bb.2:
	s_load_dword s0, s[4:5], 0xc5c
	v_lshlrev_b32_e32 v4, 3, v0
	s_mov_b64 s[14:15], 0
	s_mov_b32 s24, 0x3f200000
	s_mov_b32 s25, 0x3fb8aa3b
	s_waitcnt lgkmcnt(0)
	s_and_b32 s0, s0, 0xffff
	v_add_lshl_u32 v2, v0, s0, 2
	s_lshl_b32 s22, s0, 2
	s_lshl_b32 s23, s0, 3
	s_mov_b32 s26, 0xc2ce8ed0
	s_mov_b32 s27, 0x42b17218
	v_mov_b32_e32 v1, 0xbd5c1c4e
	v_mov_b32_e32 v5, 0x3e088382
	;; [unrolled: 1-line block ×3, first 2 shown]
	s_movk_i32 s28, 0x7fff
	s_mov_b64 s[16:17], 0xffff
	v_mov_b32_e32 v9, s1
	v_mov_b32_e32 v10, 0x7f800000
	s_branch .LBB158_4
.LBB158_3:                              ;   in Loop: Header=BB158_4 Depth=1
	s_or_b64 exec, exec, s[0:1]
	v_cvt_f16_f32_e32 v15, v15
	v_cvt_f16_f32_e32 v13, v13
	v_lshrrev_b32_e32 v14, 16, v14
	v_lshrrev_b32_e32 v6, 16, v6
	v_bfi_b32 v14, s28, v15, v14
	v_cvt_f16_f32_e32 v12, v12
	v_bfi_b32 v15, s28, v13, v6
	v_cvt_f16_f32_e32 v6, v16
	v_lshrrev_b32_e32 v11, 16, v11
	v_lshrrev_b32_e32 v7, 16, v7
	v_bfi_b32 v11, s28, v12, v11
	v_bfi_b32 v12, s28, v6, v7
	v_mov_b32_e32 v7, s21
	v_add_co_u32_e32 v6, vcc, s20, v4
	v_addc_co_u32_e32 v7, vcc, 0, v7, vcc
	v_cmp_le_i64_e32 vcc, s[10:11], v[2:3]
	v_cmp_lt_u64_e64 s[0:1], s[16:17], v[2:3]
	s_or_b64 s[0:1], vcc, s[0:1]
	s_add_u32 s18, s18, s23
	s_addc_u32 s19, s19, 0
	s_add_u32 s20, s20, s23
	s_addc_u32 s21, s21, 0
	s_and_b64 s[0:1], exec, s[0:1]
	v_add_co_u32_e32 v2, vcc, s22, v2
	v_pack_b32_f16 v13, v14, v12
	v_pack_b32_f16 v12, v11, v15
	s_or_b64 s[14:15], s[0:1], s[14:15]
	v_addc_co_u32_e32 v3, vcc, v3, v9, vcc
	global_store_dwordx2 v[6:7], v[12:13], off
	s_andn2_b64 exec, exec, s[14:15]
	s_cbranch_execz .LBB158_20
.LBB158_4:                              ; =>This Inner Loop Header: Depth=1
	v_mov_b32_e32 v7, s19
	v_add_co_u32_e32 v6, vcc, s18, v4
	v_addc_co_u32_e32 v7, vcc, 0, v7, vcc
	global_load_dwordx2 v[6:7], v[6:7], off
                                        ; implicit-def: $vgpr12
	s_waitcnt vmcnt(0)
	v_cvt_f32_f16_e32 v11, v6
	v_cmp_nlt_f32_e64 s[0:1], |v11|, s24
	s_and_saveexec_b64 s[30:31], s[0:1]
	s_xor_b64 s[0:1], exec, s[30:31]
	s_cbranch_execz .LBB158_6
; %bb.5:                                ;   in Loop: Header=BB158_4 Depth=1
	v_add_f32_e64 v12, |v11|, |v11|
	v_mul_f32_e32 v13, 0x3fb8aa3b, v12
	v_rndne_f32_e32 v14, v13
	v_sub_f32_e32 v15, v13, v14
	v_fma_f32 v13, v12, s25, -v13
	v_fmac_f32_e32 v13, 0x32a5705f, v12
	v_add_f32_e32 v13, v15, v13
	v_cvt_i32_f32_e32 v14, v14
	v_exp_f32_e32 v13, v13
	v_cmp_ngt_f32_e32 vcc, s26, v12
	v_ldexp_f32 v13, v13, v14
	v_cndmask_b32_e32 v13, 0, v13, vcc
	v_cmp_nlt_f32_e32 vcc, s27, v12
	v_cndmask_b32_e32 v12, v10, v13, vcc
	v_add_f32_e32 v12, 1.0, v12
	v_rcp_f32_e32 v12, v12
	v_fma_f32 v12, v12, -2.0, 1.0
.LBB158_6:                              ;   in Loop: Header=BB158_4 Depth=1
	s_andn2_saveexec_b64 s[0:1], s[0:1]
; %bb.7:                                ;   in Loop: Header=BB158_4 Depth=1
	v_mul_f32_e32 v12, v11, v11
	v_mov_b32_e32 v13, 0x3ca908c9
	v_fmac_f32_e32 v13, 0xbbbac73d, v12
	v_fma_f32 v13, v12, v13, v1
	v_fma_f32 v13, v12, v13, v5
	v_fma_f32 v13, v12, v13, v8
	v_mul_f32_e64 v13, |v11|, v13
	v_fma_f32 v12, v12, v13, |v11|
; %bb.8:                                ;   in Loop: Header=BB158_4 Depth=1
	s_or_b64 exec, exec, s[0:1]
	v_cvt_f32_f16_sdwa v6, v6 dst_sel:DWORD dst_unused:UNUSED_PAD src0_sel:WORD_1
                                        ; implicit-def: $vgpr13
	v_cmp_nlt_f32_e64 s[0:1], |v6|, s24
	s_and_saveexec_b64 s[30:31], s[0:1]
	s_xor_b64 s[0:1], exec, s[30:31]
	s_cbranch_execz .LBB158_10
; %bb.9:                                ;   in Loop: Header=BB158_4 Depth=1
	v_add_f32_e64 v13, |v6|, |v6|
	v_mul_f32_e32 v14, 0x3fb8aa3b, v13
	v_rndne_f32_e32 v15, v14
	v_sub_f32_e32 v16, v14, v15
	v_fma_f32 v14, v13, s25, -v14
	v_fmac_f32_e32 v14, 0x32a5705f, v13
	v_add_f32_e32 v14, v16, v14
	v_cvt_i32_f32_e32 v15, v15
	v_exp_f32_e32 v14, v14
	v_cmp_ngt_f32_e32 vcc, s26, v13
	v_ldexp_f32 v14, v14, v15
	v_cndmask_b32_e32 v14, 0, v14, vcc
	v_cmp_nlt_f32_e32 vcc, s27, v13
	v_cndmask_b32_e32 v13, v10, v14, vcc
	v_add_f32_e32 v13, 1.0, v13
	v_rcp_f32_e32 v13, v13
	v_fma_f32 v13, v13, -2.0, 1.0
.LBB158_10:                             ;   in Loop: Header=BB158_4 Depth=1
	s_andn2_saveexec_b64 s[0:1], s[0:1]
; %bb.11:                               ;   in Loop: Header=BB158_4 Depth=1
	v_mul_f32_e32 v13, v6, v6
	v_mov_b32_e32 v14, 0x3ca908c9
	v_fmac_f32_e32 v14, 0xbbbac73d, v13
	v_fma_f32 v14, v13, v14, v1
	v_fma_f32 v14, v13, v14, v5
	;; [unrolled: 1-line block ×3, first 2 shown]
	v_mul_f32_e64 v14, |v6|, v14
	v_fma_f32 v13, v13, v14, |v6|
; %bb.12:                               ;   in Loop: Header=BB158_4 Depth=1
	s_or_b64 exec, exec, s[0:1]
	v_cvt_f32_f16_e32 v14, v7
                                        ; implicit-def: $vgpr15
	v_cmp_nlt_f32_e64 s[0:1], |v14|, s24
	s_and_saveexec_b64 s[30:31], s[0:1]
	s_xor_b64 s[0:1], exec, s[30:31]
	s_cbranch_execz .LBB158_14
; %bb.13:                               ;   in Loop: Header=BB158_4 Depth=1
	v_add_f32_e64 v15, |v14|, |v14|
	v_mul_f32_e32 v16, 0x3fb8aa3b, v15
	v_rndne_f32_e32 v17, v16
	v_sub_f32_e32 v18, v16, v17
	v_fma_f32 v16, v15, s25, -v16
	v_fmac_f32_e32 v16, 0x32a5705f, v15
	v_add_f32_e32 v16, v18, v16
	v_cvt_i32_f32_e32 v17, v17
	v_exp_f32_e32 v16, v16
	v_cmp_ngt_f32_e32 vcc, s26, v15
	v_ldexp_f32 v16, v16, v17
	v_cndmask_b32_e32 v16, 0, v16, vcc
	v_cmp_nlt_f32_e32 vcc, s27, v15
	v_cndmask_b32_e32 v15, v10, v16, vcc
	v_add_f32_e32 v15, 1.0, v15
	v_rcp_f32_e32 v15, v15
	v_fma_f32 v15, v15, -2.0, 1.0
.LBB158_14:                             ;   in Loop: Header=BB158_4 Depth=1
	s_andn2_saveexec_b64 s[0:1], s[0:1]
; %bb.15:                               ;   in Loop: Header=BB158_4 Depth=1
	v_mul_f32_e32 v15, v14, v14
	v_mov_b32_e32 v16, 0x3ca908c9
	v_fmac_f32_e32 v16, 0xbbbac73d, v15
	v_fma_f32 v16, v15, v16, v1
	v_fma_f32 v16, v15, v16, v5
	;; [unrolled: 1-line block ×3, first 2 shown]
	v_mul_f32_e64 v16, |v14|, v16
	v_fma_f32 v15, v15, v16, |v14|
; %bb.16:                               ;   in Loop: Header=BB158_4 Depth=1
	s_or_b64 exec, exec, s[0:1]
	v_cvt_f32_f16_sdwa v7, v7 dst_sel:DWORD dst_unused:UNUSED_PAD src0_sel:WORD_1
                                        ; implicit-def: $vgpr16
	v_cmp_nlt_f32_e64 s[0:1], |v7|, s24
	s_and_saveexec_b64 s[30:31], s[0:1]
	s_xor_b64 s[0:1], exec, s[30:31]
	s_cbranch_execz .LBB158_18
; %bb.17:                               ;   in Loop: Header=BB158_4 Depth=1
	v_add_f32_e64 v16, |v7|, |v7|
	v_mul_f32_e32 v17, 0x3fb8aa3b, v16
	v_rndne_f32_e32 v18, v17
	v_sub_f32_e32 v19, v17, v18
	v_fma_f32 v17, v16, s25, -v17
	v_fmac_f32_e32 v17, 0x32a5705f, v16
	v_add_f32_e32 v17, v19, v17
	v_cvt_i32_f32_e32 v18, v18
	v_exp_f32_e32 v17, v17
	v_cmp_ngt_f32_e32 vcc, s26, v16
	v_ldexp_f32 v17, v17, v18
	v_cndmask_b32_e32 v17, 0, v17, vcc
	v_cmp_nlt_f32_e32 vcc, s27, v16
	v_cndmask_b32_e32 v16, v10, v17, vcc
	v_add_f32_e32 v16, 1.0, v16
	v_rcp_f32_e32 v16, v16
	v_fma_f32 v16, v16, -2.0, 1.0
.LBB158_18:                             ;   in Loop: Header=BB158_4 Depth=1
	s_andn2_saveexec_b64 s[0:1], s[0:1]
	s_cbranch_execz .LBB158_3
; %bb.19:                               ;   in Loop: Header=BB158_4 Depth=1
	v_mul_f32_e32 v16, v7, v7
	v_mov_b32_e32 v17, 0x3ca908c9
	v_fmac_f32_e32 v17, 0xbbbac73d, v16
	v_fma_f32 v17, v16, v17, v1
	v_fma_f32 v17, v16, v17, v5
	;; [unrolled: 1-line block ×3, first 2 shown]
	v_mul_f32_e64 v17, |v7|, v17
	v_fma_f32 v16, v16, v17, |v7|
	s_branch .LBB158_3
.LBB158_20:
	s_or_b64 exec, exec, s[12:13]
	s_mov_b64 s[12:13], 0
.LBB158_21:
	s_andn2_b64 vcc, exec, s[12:13]
	s_cbranch_vccnz .LBB158_57
; %bb.22:
	v_cmp_lt_i64_e64 s[0:1], s[10:11], 1
	s_and_b64 vcc, exec, s[0:1]
	s_cbranch_vccnz .LBB158_57
; %bb.23:
	s_load_dword s0, s[4:5], 0xc5c
	v_mov_b32_e32 v2, 0x10000
	v_mov_b32_e32 v3, 0
	v_cmp_lt_u64_e32 vcc, s[10:11], v[2:3]
	v_lshlrev_b32_e32 v10, 1, v0
	s_waitcnt lgkmcnt(0)
	s_and_b32 s4, s0, 0xffff
	s_and_b64 s[0:1], vcc, exec
	v_mov_b32_e32 v13, s7
	v_add_co_u32_e32 v2, vcc, s6, v10
	v_addc_co_u32_e32 v1, vcc, 0, v13, vcc
	v_mov_b32_e32 v11, 0
	v_mov_b32_e32 v15, s3
	v_add_co_u32_e32 v4, vcc, s2, v10
	v_addc_co_u32_e32 v3, vcc, 0, v15, vcc
	v_mad_u64_u32 v[8:9], s[0:1], s4, 6, v[10:11]
	v_add_co_u32_e32 v6, vcc, s6, v8
	v_addc_co_u32_e32 v5, vcc, v13, v9, vcc
	v_add_co_u32_e32 v8, vcc, s2, v8
	s_mul_i32 s14, s4, 3
	v_addc_co_u32_e32 v7, vcc, v15, v9, vcc
	s_cselect_b32 s13, s11, 0
	s_cselect_b32 s12, s10, 0x10000
	s_lshl_b32 s19, s4, 2
	v_add_co_u32_e32 v17, vcc, s14, v0
	v_addc_co_u32_e64 v18, s[0:1], 0, 0, vcc
	v_add_co_u32_e32 v11, vcc, s19, v10
	v_addc_co_u32_e64 v14, s[0:1], 0, 0, vcc
	v_add_co_u32_e32 v10, vcc, s6, v11
	v_addc_co_u32_e32 v9, vcc, v13, v14, vcc
	v_add_co_u32_e32 v12, vcc, s2, v11
	s_lshl_b32 s5, s4, 1
	v_addc_co_u32_e32 v11, vcc, v15, v14, vcc
	v_add_co_u32_e32 v19, vcc, s5, v0
	v_addc_co_u32_e64 v20, s[0:1], 0, 0, vcc
	v_add_co_u32_e32 v21, vcc, s4, v0
	v_lshlrev_b32_e32 v16, 1, v21
	v_addc_co_u32_e64 v22, s[0:1], 0, 0, vcc
	v_add_co_u32_e32 v14, vcc, s6, v16
	v_addc_co_u32_e32 v13, vcc, 0, v13, vcc
	v_add_co_u32_e32 v16, vcc, s2, v16
	s_mov_b32 s18, 0
	s_lshl_b32 s20, s4, 3
	v_addc_co_u32_e32 v15, vcc, 0, v15, vcc
	s_mov_b64 s[14:15], 0
	s_mov_b32 s21, 0x3f200000
	s_mov_b32 s22, 0x3fb8aa3b
	;; [unrolled: 1-line block ×4, first 2 shown]
	v_mov_b32_e32 v23, 0xbd5c1c4e
	v_mov_b32_e32 v24, 0x3e088382
	;; [unrolled: 1-line block ×3, first 2 shown]
	s_movk_i32 s25, 0x7fff
	v_mov_b32_e32 v26, 0x7f800000
	s_branch .LBB158_25
.LBB158_24:                             ;   in Loop: Header=BB158_25 Depth=1
	s_or_b64 exec, exec, s[0:1]
	s_add_u32 s14, s14, s19
	s_addc_u32 s15, s15, 0
	v_pk_mov_b32 v[28:29], s[10:11], s[10:11] op_sel:[0,1]
	v_cmp_ge_i64_e32 vcc, s[14:15], v[28:29]
	v_mov_b32_e32 v28, 0xffff
	v_mov_b32_e32 v29, 0
	v_cmp_gt_u64_e64 s[0:1], s[14:15], v[28:29]
	s_or_b64 s[0:1], vcc, s[0:1]
	v_mov_b32_e32 v27, s18
	v_add_co_u32_e32 v2, vcc, s20, v2
	v_addc_co_u32_e32 v1, vcc, v1, v27, vcc
	v_add_co_u32_e32 v4, vcc, s20, v4
	v_addc_co_u32_e32 v3, vcc, v3, v27, vcc
	;; [unrolled: 2-line block ×8, first 2 shown]
	s_and_b64 vcc, exec, s[0:1]
	s_cbranch_vccnz .LBB158_57
.LBB158_25:                             ; =>This Inner Loop Header: Depth=1
	v_mov_b32_e32 v27, s15
	v_add_co_u32_e32 v28, vcc, s14, v0
	v_addc_co_u32_e32 v29, vcc, 0, v27, vcc
	v_cmp_gt_u64_e32 vcc, s[12:13], v[28:29]
	v_mov_b32_e32 v27, 0
	s_and_saveexec_b64 s[2:3], vcc
	s_cbranch_execz .LBB158_27
; %bb.26:                               ;   in Loop: Header=BB158_25 Depth=1
	v_mov_b32_e32 v27, s9
	v_add_co_u32_e64 v28, s[0:1], s8, v2
	v_addc_co_u32_e64 v29, s[0:1], v1, v27, s[0:1]
	global_load_ushort v27, v[28:29], off
.LBB158_27:                             ;   in Loop: Header=BB158_25 Depth=1
	s_or_b64 exec, exec, s[2:3]
	v_mov_b32_e32 v29, s15
	v_add_co_u32_e64 v28, s[0:1], s14, v21
	v_addc_co_u32_e64 v29, s[0:1], v22, v29, s[0:1]
	v_cmp_gt_u64_e64 s[0:1], s[12:13], v[28:29]
	v_mov_b32_e32 v30, 0
	s_and_saveexec_b64 s[4:5], s[0:1]
	s_cbranch_execz .LBB158_29
; %bb.28:                               ;   in Loop: Header=BB158_25 Depth=1
	v_mov_b32_e32 v29, s9
	v_add_co_u32_e64 v28, s[2:3], s8, v14
	v_addc_co_u32_e64 v29, s[2:3], v13, v29, s[2:3]
	global_load_ushort v30, v[28:29], off
.LBB158_29:                             ;   in Loop: Header=BB158_25 Depth=1
	s_or_b64 exec, exec, s[4:5]
	v_mov_b32_e32 v29, s15
	v_add_co_u32_e64 v28, s[2:3], s14, v19
	v_addc_co_u32_e64 v29, s[2:3], v20, v29, s[2:3]
	v_cmp_gt_u64_e64 s[2:3], s[12:13], v[28:29]
	v_mov_b32_e32 v28, 0
	v_mov_b32_e32 v32, 0
	s_and_saveexec_b64 s[6:7], s[2:3]
	s_cbranch_execz .LBB158_31
; %bb.30:                               ;   in Loop: Header=BB158_25 Depth=1
	v_mov_b32_e32 v29, s9
	v_add_co_u32_e64 v32, s[4:5], s8, v10
	v_addc_co_u32_e64 v33, s[4:5], v9, v29, s[4:5]
	global_load_ushort v32, v[32:33], off
.LBB158_31:                             ;   in Loop: Header=BB158_25 Depth=1
	s_or_b64 exec, exec, s[6:7]
	v_mov_b32_e32 v29, s15
	v_add_co_u32_e64 v34, s[4:5], s14, v17
	v_addc_co_u32_e64 v35, s[4:5], v18, v29, s[4:5]
	v_cmp_gt_u64_e64 s[4:5], s[12:13], v[34:35]
	s_and_saveexec_b64 s[16:17], s[4:5]
	s_cbranch_execz .LBB158_33
; %bb.32:                               ;   in Loop: Header=BB158_25 Depth=1
	v_mov_b32_e32 v29, s9
	v_add_co_u32_e64 v28, s[6:7], s8, v6
	v_addc_co_u32_e64 v29, s[6:7], v5, v29, s[6:7]
	global_load_ushort v28, v[28:29], off
.LBB158_33:                             ;   in Loop: Header=BB158_25 Depth=1
	s_or_b64 exec, exec, s[16:17]
	s_waitcnt vmcnt(0)
	v_cvt_f32_f16_e32 v27, v27
                                        ; implicit-def: $vgpr29
	v_cmp_nlt_f32_e64 s[6:7], |v27|, s21
	s_and_saveexec_b64 s[16:17], s[6:7]
	s_xor_b64 s[16:17], exec, s[16:17]
	s_cbranch_execz .LBB158_35
; %bb.34:                               ;   in Loop: Header=BB158_25 Depth=1
	v_add_f32_e64 v29, |v27|, |v27|
	v_mul_f32_e32 v31, 0x3fb8aa3b, v29
	v_rndne_f32_e32 v33, v31
	v_sub_f32_e32 v34, v31, v33
	v_fma_f32 v31, v29, s22, -v31
	v_fmac_f32_e32 v31, 0x32a5705f, v29
	v_add_f32_e32 v31, v34, v31
	v_cvt_i32_f32_e32 v33, v33
	v_exp_f32_e32 v31, v31
	v_cmp_ngt_f32_e64 s[6:7], s23, v29
	v_ldexp_f32 v31, v31, v33
	v_cndmask_b32_e64 v31, 0, v31, s[6:7]
	v_cmp_nlt_f32_e64 s[6:7], s24, v29
	v_cndmask_b32_e64 v29, v26, v31, s[6:7]
	v_add_f32_e32 v29, 1.0, v29
	v_rcp_f32_e32 v29, v29
	v_fma_f32 v29, v29, -2.0, 1.0
.LBB158_35:                             ;   in Loop: Header=BB158_25 Depth=1
	s_andn2_saveexec_b64 s[6:7], s[16:17]
; %bb.36:                               ;   in Loop: Header=BB158_25 Depth=1
	v_mul_f32_e32 v29, v27, v27
	v_mov_b32_e32 v31, 0x3ca908c9
	v_fmac_f32_e32 v31, 0xbbbac73d, v29
	v_fma_f32 v31, v29, v31, v23
	v_fma_f32 v31, v29, v31, v24
	;; [unrolled: 1-line block ×3, first 2 shown]
	v_mul_f32_e64 v31, |v27|, v31
	v_fma_f32 v29, v29, v31, |v27|
; %bb.37:                               ;   in Loop: Header=BB158_25 Depth=1
	s_or_b64 exec, exec, s[6:7]
	v_cvt_f32_f16_e32 v30, v30
                                        ; implicit-def: $vgpr31
	v_cmp_nlt_f32_e64 s[6:7], |v30|, s21
	s_and_saveexec_b64 s[16:17], s[6:7]
	s_xor_b64 s[16:17], exec, s[16:17]
	s_cbranch_execz .LBB158_39
; %bb.38:                               ;   in Loop: Header=BB158_25 Depth=1
	v_add_f32_e64 v31, |v30|, |v30|
	v_mul_f32_e32 v33, 0x3fb8aa3b, v31
	v_rndne_f32_e32 v34, v33
	v_sub_f32_e32 v35, v33, v34
	v_fma_f32 v33, v31, s22, -v33
	v_fmac_f32_e32 v33, 0x32a5705f, v31
	v_add_f32_e32 v33, v35, v33
	v_cvt_i32_f32_e32 v34, v34
	v_exp_f32_e32 v33, v33
	v_cmp_ngt_f32_e64 s[6:7], s23, v31
	v_ldexp_f32 v33, v33, v34
	v_cndmask_b32_e64 v33, 0, v33, s[6:7]
	v_cmp_nlt_f32_e64 s[6:7], s24, v31
	v_cndmask_b32_e64 v31, v26, v33, s[6:7]
	v_add_f32_e32 v31, 1.0, v31
	v_rcp_f32_e32 v31, v31
	v_fma_f32 v31, v31, -2.0, 1.0
.LBB158_39:                             ;   in Loop: Header=BB158_25 Depth=1
	s_andn2_saveexec_b64 s[6:7], s[16:17]
; %bb.40:                               ;   in Loop: Header=BB158_25 Depth=1
	v_mul_f32_e32 v31, v30, v30
	v_mov_b32_e32 v33, 0x3ca908c9
	v_fmac_f32_e32 v33, 0xbbbac73d, v31
	v_fma_f32 v33, v31, v33, v23
	v_fma_f32 v33, v31, v33, v24
	;; [unrolled: 1-line block ×3, first 2 shown]
	v_mul_f32_e64 v33, |v30|, v33
	v_fma_f32 v31, v31, v33, |v30|
; %bb.41:                               ;   in Loop: Header=BB158_25 Depth=1
	s_or_b64 exec, exec, s[6:7]
	v_cvt_f32_f16_e32 v32, v32
                                        ; implicit-def: $vgpr33
	v_cmp_nlt_f32_e64 s[6:7], |v32|, s21
	s_and_saveexec_b64 s[16:17], s[6:7]
	s_xor_b64 s[16:17], exec, s[16:17]
	s_cbranch_execz .LBB158_43
; %bb.42:                               ;   in Loop: Header=BB158_25 Depth=1
	v_add_f32_e64 v33, |v32|, |v32|
	v_mul_f32_e32 v34, 0x3fb8aa3b, v33
	v_rndne_f32_e32 v35, v34
	v_sub_f32_e32 v36, v34, v35
	v_fma_f32 v34, v33, s22, -v34
	v_fmac_f32_e32 v34, 0x32a5705f, v33
	v_add_f32_e32 v34, v36, v34
	v_cvt_i32_f32_e32 v35, v35
	v_exp_f32_e32 v34, v34
	v_cmp_ngt_f32_e64 s[6:7], s23, v33
	v_ldexp_f32 v34, v34, v35
	v_cndmask_b32_e64 v34, 0, v34, s[6:7]
	v_cmp_nlt_f32_e64 s[6:7], s24, v33
	v_cndmask_b32_e64 v33, v26, v34, s[6:7]
	v_add_f32_e32 v33, 1.0, v33
	v_rcp_f32_e32 v33, v33
	v_fma_f32 v33, v33, -2.0, 1.0
.LBB158_43:                             ;   in Loop: Header=BB158_25 Depth=1
	s_andn2_saveexec_b64 s[6:7], s[16:17]
; %bb.44:                               ;   in Loop: Header=BB158_25 Depth=1
	v_mul_f32_e32 v33, v32, v32
	v_mov_b32_e32 v34, 0x3ca908c9
	v_fmac_f32_e32 v34, 0xbbbac73d, v33
	v_fma_f32 v34, v33, v34, v23
	v_fma_f32 v34, v33, v34, v24
	;; [unrolled: 1-line block ×3, first 2 shown]
	v_mul_f32_e64 v34, |v32|, v34
	v_fma_f32 v33, v33, v34, |v32|
; %bb.45:                               ;   in Loop: Header=BB158_25 Depth=1
	s_or_b64 exec, exec, s[6:7]
	v_cvt_f32_f16_e32 v28, v28
                                        ; implicit-def: $vgpr34
	v_cmp_nlt_f32_e64 s[6:7], |v28|, s21
	s_and_saveexec_b64 s[16:17], s[6:7]
	s_xor_b64 s[16:17], exec, s[16:17]
	s_cbranch_execnz .LBB158_51
; %bb.46:                               ;   in Loop: Header=BB158_25 Depth=1
	s_andn2_saveexec_b64 s[6:7], s[16:17]
	s_cbranch_execnz .LBB158_52
.LBB158_47:                             ;   in Loop: Header=BB158_25 Depth=1
	s_or_b64 exec, exec, s[6:7]
	s_and_saveexec_b64 s[6:7], vcc
	s_xor_b64 s[6:7], exec, s[6:7]
	s_cbranch_execnz .LBB158_53
.LBB158_48:                             ;   in Loop: Header=BB158_25 Depth=1
	s_or_b64 exec, exec, s[6:7]
	s_and_saveexec_b64 s[6:7], s[0:1]
	s_cbranch_execnz .LBB158_54
.LBB158_49:                             ;   in Loop: Header=BB158_25 Depth=1
	s_or_b64 exec, exec, s[6:7]
	s_and_saveexec_b64 s[0:1], s[2:3]
	s_cbranch_execnz .LBB158_55
.LBB158_50:                             ;   in Loop: Header=BB158_25 Depth=1
	s_or_b64 exec, exec, s[0:1]
	s_and_saveexec_b64 s[0:1], s[4:5]
	s_cbranch_execz .LBB158_24
	s_branch .LBB158_56
.LBB158_51:                             ;   in Loop: Header=BB158_25 Depth=1
	v_add_f32_e64 v34, |v28|, |v28|
	v_mul_f32_e32 v35, 0x3fb8aa3b, v34
	v_rndne_f32_e32 v36, v35
	v_sub_f32_e32 v37, v35, v36
	v_fma_f32 v35, v34, s22, -v35
	v_fmac_f32_e32 v35, 0x32a5705f, v34
	v_add_f32_e32 v35, v37, v35
	v_cvt_i32_f32_e32 v36, v36
	v_exp_f32_e32 v35, v35
	v_cmp_ngt_f32_e64 s[6:7], s23, v34
	v_ldexp_f32 v35, v35, v36
	v_cndmask_b32_e64 v35, 0, v35, s[6:7]
	v_cmp_nlt_f32_e64 s[6:7], s24, v34
	v_cndmask_b32_e64 v34, v26, v35, s[6:7]
	v_add_f32_e32 v34, 1.0, v34
	v_rcp_f32_e32 v34, v34
	v_fma_f32 v34, v34, -2.0, 1.0
	s_andn2_saveexec_b64 s[6:7], s[16:17]
	s_cbranch_execz .LBB158_47
.LBB158_52:                             ;   in Loop: Header=BB158_25 Depth=1
	v_mul_f32_e32 v34, v28, v28
	v_mov_b32_e32 v35, 0x3ca908c9
	v_fmac_f32_e32 v35, 0xbbbac73d, v34
	v_fma_f32 v35, v34, v35, v23
	v_fma_f32 v35, v34, v35, v24
	;; [unrolled: 1-line block ×3, first 2 shown]
	v_mul_f32_e64 v35, |v28|, v35
	v_fma_f32 v34, v34, v35, |v28|
	s_or_b64 exec, exec, s[6:7]
	s_and_saveexec_b64 s[6:7], vcc
	s_xor_b64 s[6:7], exec, s[6:7]
	s_cbranch_execz .LBB158_48
.LBB158_53:                             ;   in Loop: Header=BB158_25 Depth=1
	v_cvt_f16_f32_e32 v29, v29
	v_lshrrev_b32_e32 v27, 16, v27
	v_mov_b32_e32 v35, s9
	v_add_co_u32_e32 v36, vcc, s8, v4
	v_bfi_b32 v27, s25, v29, v27
	v_addc_co_u32_e32 v37, vcc, v3, v35, vcc
	global_store_short v[36:37], v27, off
	s_or_b64 exec, exec, s[6:7]
	s_and_saveexec_b64 s[6:7], s[0:1]
	s_cbranch_execz .LBB158_49
.LBB158_54:                             ;   in Loop: Header=BB158_25 Depth=1
	v_cvt_f16_f32_e32 v27, v31
	v_lshrrev_b32_e32 v29, 16, v30
	v_mov_b32_e32 v31, s9
	v_add_co_u32_e32 v30, vcc, s8, v16
	v_bfi_b32 v27, s25, v27, v29
	v_addc_co_u32_e32 v31, vcc, v15, v31, vcc
	global_store_short v[30:31], v27, off
	s_or_b64 exec, exec, s[6:7]
	s_and_saveexec_b64 s[0:1], s[2:3]
	s_cbranch_execz .LBB158_50
.LBB158_55:                             ;   in Loop: Header=BB158_25 Depth=1
	v_cvt_f16_f32_e32 v27, v33
	v_lshrrev_b32_e32 v29, 16, v32
	v_mov_b32_e32 v31, s9
	v_add_co_u32_e32 v30, vcc, s8, v12
	v_bfi_b32 v27, s25, v27, v29
	v_addc_co_u32_e32 v31, vcc, v11, v31, vcc
	global_store_short v[30:31], v27, off
	s_or_b64 exec, exec, s[0:1]
	s_and_saveexec_b64 s[0:1], s[4:5]
	s_cbranch_execz .LBB158_24
.LBB158_56:                             ;   in Loop: Header=BB158_25 Depth=1
	v_cvt_f16_f32_e32 v27, v34
	v_lshrrev_b32_e32 v28, 16, v28
	v_mov_b32_e32 v29, s9
	v_bfi_b32 v27, s25, v27, v28
	v_add_co_u32_e32 v28, vcc, s8, v8
	v_addc_co_u32_e32 v29, vcc, v7, v29, vcc
	global_store_short v[28:29], v27, off
	s_branch .LBB158_24
.LBB158_57:
	s_endpgm
	.section	.rodata,"a",@progbits
	.p2align	6, 0x0
	.amdhsa_kernel _ZN2at6native12_GLOBAL__N_125multi_tensor_apply_kernelINS1_18TensorListMetadataILi2EEENS1_14UnaryOpFunctorIN3c104HalfELi2ELi1ELi1EEEJNS0_4TanhIfEEEEEvT_T0_DpT1_
		.amdhsa_group_segment_fixed_size 0
		.amdhsa_private_segment_fixed_size 0
		.amdhsa_kernarg_size 3408
		.amdhsa_user_sgpr_count 6
		.amdhsa_user_sgpr_private_segment_buffer 1
		.amdhsa_user_sgpr_dispatch_ptr 0
		.amdhsa_user_sgpr_queue_ptr 0
		.amdhsa_user_sgpr_kernarg_segment_ptr 1
		.amdhsa_user_sgpr_dispatch_id 0
		.amdhsa_user_sgpr_flat_scratch_init 0
		.amdhsa_user_sgpr_kernarg_preload_length 0
		.amdhsa_user_sgpr_kernarg_preload_offset 0
		.amdhsa_user_sgpr_private_segment_size 0
		.amdhsa_uses_dynamic_stack 0
		.amdhsa_system_sgpr_private_segment_wavefront_offset 0
		.amdhsa_system_sgpr_workgroup_id_x 1
		.amdhsa_system_sgpr_workgroup_id_y 0
		.amdhsa_system_sgpr_workgroup_id_z 0
		.amdhsa_system_sgpr_workgroup_info 0
		.amdhsa_system_vgpr_workitem_id 0
		.amdhsa_next_free_vgpr 38
		.amdhsa_next_free_sgpr 32
		.amdhsa_accum_offset 40
		.amdhsa_reserve_vcc 1
		.amdhsa_reserve_flat_scratch 0
		.amdhsa_float_round_mode_32 0
		.amdhsa_float_round_mode_16_64 0
		.amdhsa_float_denorm_mode_32 3
		.amdhsa_float_denorm_mode_16_64 3
		.amdhsa_dx10_clamp 1
		.amdhsa_ieee_mode 1
		.amdhsa_fp16_overflow 0
		.amdhsa_tg_split 0
		.amdhsa_exception_fp_ieee_invalid_op 0
		.amdhsa_exception_fp_denorm_src 0
		.amdhsa_exception_fp_ieee_div_zero 0
		.amdhsa_exception_fp_ieee_overflow 0
		.amdhsa_exception_fp_ieee_underflow 0
		.amdhsa_exception_fp_ieee_inexact 0
		.amdhsa_exception_int_div_zero 0
	.end_amdhsa_kernel
	.section	.text._ZN2at6native12_GLOBAL__N_125multi_tensor_apply_kernelINS1_18TensorListMetadataILi2EEENS1_14UnaryOpFunctorIN3c104HalfELi2ELi1ELi1EEEJNS0_4TanhIfEEEEEvT_T0_DpT1_,"axG",@progbits,_ZN2at6native12_GLOBAL__N_125multi_tensor_apply_kernelINS1_18TensorListMetadataILi2EEENS1_14UnaryOpFunctorIN3c104HalfELi2ELi1ELi1EEEJNS0_4TanhIfEEEEEvT_T0_DpT1_,comdat
.Lfunc_end158:
	.size	_ZN2at6native12_GLOBAL__N_125multi_tensor_apply_kernelINS1_18TensorListMetadataILi2EEENS1_14UnaryOpFunctorIN3c104HalfELi2ELi1ELi1EEEJNS0_4TanhIfEEEEEvT_T0_DpT1_, .Lfunc_end158-_ZN2at6native12_GLOBAL__N_125multi_tensor_apply_kernelINS1_18TensorListMetadataILi2EEENS1_14UnaryOpFunctorIN3c104HalfELi2ELi1ELi1EEEJNS0_4TanhIfEEEEEvT_T0_DpT1_
                                        ; -- End function
	.section	.AMDGPU.csdata,"",@progbits
; Kernel info:
; codeLenInByte = 3040
; NumSgprs: 36
; NumVgprs: 38
; NumAgprs: 0
; TotalNumVgprs: 38
; ScratchSize: 0
; MemoryBound: 0
; FloatMode: 240
; IeeeMode: 1
; LDSByteSize: 0 bytes/workgroup (compile time only)
; SGPRBlocks: 4
; VGPRBlocks: 4
; NumSGPRsForWavesPerEU: 36
; NumVGPRsForWavesPerEU: 38
; AccumOffset: 40
; Occupancy: 8
; WaveLimiterHint : 0
; COMPUTE_PGM_RSRC2:SCRATCH_EN: 0
; COMPUTE_PGM_RSRC2:USER_SGPR: 6
; COMPUTE_PGM_RSRC2:TRAP_HANDLER: 0
; COMPUTE_PGM_RSRC2:TGID_X_EN: 1
; COMPUTE_PGM_RSRC2:TGID_Y_EN: 0
; COMPUTE_PGM_RSRC2:TGID_Z_EN: 0
; COMPUTE_PGM_RSRC2:TIDIG_COMP_CNT: 0
; COMPUTE_PGM_RSRC3_GFX90A:ACCUM_OFFSET: 9
; COMPUTE_PGM_RSRC3_GFX90A:TG_SPLIT: 0
	.section	.text._ZN2at6native12_GLOBAL__N_125multi_tensor_apply_kernelINS1_18TensorListMetadataILi2EEENS1_14UnaryOpFunctorIN3c108BFloat16ELi2ELi1ELi1EEEJNS0_4TanhIfEEEEEvT_T0_DpT1_,"axG",@progbits,_ZN2at6native12_GLOBAL__N_125multi_tensor_apply_kernelINS1_18TensorListMetadataILi2EEENS1_14UnaryOpFunctorIN3c108BFloat16ELi2ELi1ELi1EEEJNS0_4TanhIfEEEEEvT_T0_DpT1_,comdat
	.globl	_ZN2at6native12_GLOBAL__N_125multi_tensor_apply_kernelINS1_18TensorListMetadataILi2EEENS1_14UnaryOpFunctorIN3c108BFloat16ELi2ELi1ELi1EEEJNS0_4TanhIfEEEEEvT_T0_DpT1_ ; -- Begin function _ZN2at6native12_GLOBAL__N_125multi_tensor_apply_kernelINS1_18TensorListMetadataILi2EEENS1_14UnaryOpFunctorIN3c108BFloat16ELi2ELi1ELi1EEEJNS0_4TanhIfEEEEEvT_T0_DpT1_
	.p2align	8
	.type	_ZN2at6native12_GLOBAL__N_125multi_tensor_apply_kernelINS1_18TensorListMetadataILi2EEENS1_14UnaryOpFunctorIN3c108BFloat16ELi2ELi1ELi1EEEJNS0_4TanhIfEEEEEvT_T0_DpT1_,@function
_ZN2at6native12_GLOBAL__N_125multi_tensor_apply_kernelINS1_18TensorListMetadataILi2EEENS1_14UnaryOpFunctorIN3c108BFloat16ELi2ELi1ELi1EEEJNS0_4TanhIfEEEEEvT_T0_DpT1_: ; @_ZN2at6native12_GLOBAL__N_125multi_tensor_apply_kernelINS1_18TensorListMetadataILi2EEENS1_14UnaryOpFunctorIN3c108BFloat16ELi2ELi1ELi1EEEJNS0_4TanhIfEEEEEvT_T0_DpT1_
; %bb.0:
	v_mov_b32_e32 v1, s6
	global_load_ubyte v1, v1, s[4:5] offset:1536
	s_add_u32 s0, s4, s6
	s_mul_hi_u32 s2, s6, 3
	s_mul_i32 s6, s6, 3
	s_addc_u32 s3, s5, 0
	s_add_u32 s8, s0, s6
	s_addc_u32 s9, s3, s2
	s_mov_b32 s1, 0
	s_mov_b32 s17, s1
	;; [unrolled: 1-line block ×3, first 2 shown]
	s_waitcnt vmcnt(0)
	v_readfirstlane_b32 s0, v1
	s_lshl_b32 s0, s0, 3
	s_load_dword s12, s[8:9], 0x740
	s_load_dwordx2 s[6:7], s[4:5], s0 offset:0x0
	s_load_dwordx2 s[14:15], s[4:5], s0 offset:0x400
	;; [unrolled: 1-line block ×3, first 2 shown]
	s_waitcnt lgkmcnt(0)
	s_ashr_i32 s13, s12, 31
	s_and_b32 s0, s6, 7
	s_and_b32 s16, s14, 3
	s_and_b32 s10, s2, 7
	s_or_b64 s[16:17], s[0:1], s[16:17]
	s_lshl_b64 s[8:9], s[12:13], 17
	s_or_b64 s[16:17], s[10:11], s[16:17]
	s_lshl_b64 s[10:11], s[12:13], 16
	s_sub_u32 s10, s14, s10
	s_subb_u32 s11, s15, s11
	s_cmp_eq_u64 s[16:17], 0
	s_mov_b64 s[12:13], -1
	s_cbranch_scc0 .LBB159_21
; %bb.1:
	v_mov_b32_e32 v3, 0
	v_lshlrev_b32_e32 v2, 2, v0
	v_cmp_gt_i64_e32 vcc, s[10:11], v[2:3]
	s_and_saveexec_b64 s[12:13], vcc
	s_cbranch_execz .LBB159_20
; %bb.2:
	s_load_dword s0, s[4:5], 0xc5c
	v_lshlrev_b32_e32 v1, 3, v0
	v_mov_b32_e32 v2, s9
	v_add_co_u32_e32 v4, vcc, s8, v1
	s_waitcnt lgkmcnt(0)
	s_and_b32 s0, s0, 0xffff
	v_addc_co_u32_e32 v1, vcc, 0, v2, vcc
	s_lshl_b32 s18, s0, 3
	v_add_lshl_u32 v2, v0, s0, 2
	s_lshl_b32 s19, s0, 2
	s_mov_b64 s[14:15], 0
	v_mov_b32_e32 v5, s7
	s_mov_b32 s20, 0x3f200000
	s_mov_b32 s21, 0x3fb8aa3b
	;; [unrolled: 1-line block ×4, first 2 shown]
	v_mov_b32_e32 v8, 0xbd5c1c4e
	v_mov_b32_e32 v9, 0x3e088382
	;; [unrolled: 1-line block ×3, first 2 shown]
	s_brev_b32 s24, -2
	s_movk_i32 s25, 0x7fff
	v_mov_b32_e32 v11, s3
	v_mov_b32_e32 v12, 0x7fc00000
	s_mov_b64 s[16:17], 0xffff
	v_mov_b32_e32 v13, 0x7f800000
	v_mov_b32_e32 v14, 0x7fc0
	;; [unrolled: 1-line block ×4, first 2 shown]
	s_branch .LBB159_4
.LBB159_3:                              ;   in Loop: Header=BB159_4 Depth=1
	s_or_b64 exec, exec, s[0:1]
	v_bfi_b32 v21, s24, v21, v6
	v_bfe_u32 v6, v21, 16, 1
	v_add3_u32 v6, v21, v6, s25
	v_bfi_b32 v19, s24, v20, v19
	v_lshrrev_b32_e32 v23, 16, v6
	v_bfe_u32 v6, v19, 16, 1
	v_add3_u32 v6, v19, v6, s25
	v_bfi_b32 v17, s24, v18, v17
	v_and_b32_e32 v20, 0xffff0000, v6
	v_bfe_u32 v6, v17, 16, 1
	v_add3_u32 v6, v17, v6, s25
	v_bfi_b32 v22, s24, v22, v7
	v_lshrrev_b32_e32 v18, 16, v6
	v_bfe_u32 v6, v22, 16, 1
	v_add3_u32 v24, v22, v6, s25
	v_add_co_u32_e32 v6, vcc, s2, v4
	v_addc_co_u32_e32 v7, vcc, v11, v1, vcc
	v_and_b32_e32 v24, 0xffff0000, v24
	v_cmp_o_f32_e32 vcc, v22, v22
	v_cndmask_b32_e32 v22, v12, v24, vcc
	v_cmp_o_f32_e32 vcc, v21, v21
	v_cndmask_b32_e32 v21, v14, v23, vcc
	;; [unrolled: 2-line block ×4, first 2 shown]
	v_cmp_le_i64_e32 vcc, s[10:11], v[2:3]
	v_cmp_lt_u64_e64 s[0:1], s[16:17], v[2:3]
	s_or_b64 s[0:1], vcc, s[0:1]
	v_add_co_u32_e32 v4, vcc, s18, v4
	v_addc_co_u32_e32 v1, vcc, v1, v15, vcc
	v_or_b32_e32 v17, v19, v17
	s_and_b64 s[0:1], exec, s[0:1]
	v_add_co_u32_e32 v2, vcc, s19, v2
	v_or3_b32 v19, 0, v21, v22
	v_or3_b32 v18, v17, 0, 0
	s_or_b64 s[14:15], s[0:1], s[14:15]
	v_addc_co_u32_e32 v3, vcc, v3, v16, vcc
	global_store_dwordx2 v[6:7], v[18:19], off
	s_andn2_b64 exec, exec, s[14:15]
	s_cbranch_execz .LBB159_20
.LBB159_4:                              ; =>This Inner Loop Header: Depth=1
	v_add_co_u32_e32 v6, vcc, s6, v4
	v_addc_co_u32_e32 v7, vcc, v5, v1, vcc
	global_load_dwordx2 v[6:7], v[6:7], off
                                        ; implicit-def: $vgpr18
	s_waitcnt vmcnt(0)
	v_lshlrev_b32_e32 v17, 16, v6
	v_cmp_nlt_f32_e64 s[0:1], |v17|, s20
	s_and_saveexec_b64 s[26:27], s[0:1]
	s_xor_b64 s[0:1], exec, s[26:27]
	s_cbranch_execz .LBB159_6
; %bb.5:                                ;   in Loop: Header=BB159_4 Depth=1
	v_add_f32_e64 v18, |v17|, |v17|
	v_mul_f32_e32 v19, 0x3fb8aa3b, v18
	v_rndne_f32_e32 v20, v19
	v_sub_f32_e32 v21, v19, v20
	v_fma_f32 v19, v18, s21, -v19
	v_fmac_f32_e32 v19, 0x32a5705f, v18
	v_add_f32_e32 v19, v21, v19
	v_cvt_i32_f32_e32 v20, v20
	v_exp_f32_e32 v19, v19
	v_cmp_ngt_f32_e32 vcc, s22, v18
	v_ldexp_f32 v19, v19, v20
	v_cndmask_b32_e32 v19, 0, v19, vcc
	v_cmp_nlt_f32_e32 vcc, s23, v18
	v_cndmask_b32_e32 v18, v13, v19, vcc
	v_add_f32_e32 v18, 1.0, v18
	v_rcp_f32_e32 v18, v18
	v_fma_f32 v18, v18, -2.0, 1.0
.LBB159_6:                              ;   in Loop: Header=BB159_4 Depth=1
	s_andn2_saveexec_b64 s[0:1], s[0:1]
; %bb.7:                                ;   in Loop: Header=BB159_4 Depth=1
	v_mul_f32_e32 v18, v17, v17
	v_mov_b32_e32 v19, 0x3ca908c9
	v_fmac_f32_e32 v19, 0xbbbac73d, v18
	v_fma_f32 v19, v18, v19, v8
	v_fma_f32 v19, v18, v19, v9
	;; [unrolled: 1-line block ×3, first 2 shown]
	v_mul_f32_e64 v19, |v17|, v19
	v_fma_f32 v18, v18, v19, |v17|
; %bb.8:                                ;   in Loop: Header=BB159_4 Depth=1
	s_or_b64 exec, exec, s[0:1]
	v_and_b32_e32 v19, 0xffff0000, v6
	v_cmp_nlt_f32_e64 s[0:1], |v19|, s20
                                        ; implicit-def: $vgpr20
	s_and_saveexec_b64 s[26:27], s[0:1]
	s_xor_b64 s[0:1], exec, s[26:27]
	s_cbranch_execz .LBB159_10
; %bb.9:                                ;   in Loop: Header=BB159_4 Depth=1
	v_add_f32_e64 v20, |v19|, |v19|
	v_mul_f32_e32 v21, 0x3fb8aa3b, v20
	v_rndne_f32_e32 v22, v21
	v_sub_f32_e32 v23, v21, v22
	v_fma_f32 v21, v20, s21, -v21
	v_fmac_f32_e32 v21, 0x32a5705f, v20
	v_add_f32_e32 v21, v23, v21
	v_cvt_i32_f32_e32 v22, v22
	v_exp_f32_e32 v21, v21
	v_cmp_ngt_f32_e32 vcc, s22, v20
	v_ldexp_f32 v21, v21, v22
	v_cndmask_b32_e32 v21, 0, v21, vcc
	v_cmp_nlt_f32_e32 vcc, s23, v20
	v_cndmask_b32_e32 v20, v13, v21, vcc
	v_add_f32_e32 v20, 1.0, v20
	v_rcp_f32_e32 v20, v20
	v_fma_f32 v20, v20, -2.0, 1.0
.LBB159_10:                             ;   in Loop: Header=BB159_4 Depth=1
	s_andn2_saveexec_b64 s[0:1], s[0:1]
; %bb.11:                               ;   in Loop: Header=BB159_4 Depth=1
	v_mul_f32_e32 v20, v19, v19
	v_mov_b32_e32 v21, 0x3ca908c9
	v_fmac_f32_e32 v21, 0xbbbac73d, v20
	v_fma_f32 v21, v20, v21, v8
	v_fma_f32 v21, v20, v21, v9
	;; [unrolled: 1-line block ×3, first 2 shown]
	v_mul_f32_e64 v21, |v19|, v21
	v_fma_f32 v20, v20, v21, |v19|
; %bb.12:                               ;   in Loop: Header=BB159_4 Depth=1
	s_or_b64 exec, exec, s[0:1]
	v_alignbit_b32 v6, v7, v6, 16
	v_and_b32_e32 v6, 0xffff0000, v6
	v_cmp_nlt_f32_e64 s[0:1], |v6|, s20
                                        ; implicit-def: $vgpr21
	s_and_saveexec_b64 s[26:27], s[0:1]
	s_xor_b64 s[0:1], exec, s[26:27]
	s_cbranch_execz .LBB159_14
; %bb.13:                               ;   in Loop: Header=BB159_4 Depth=1
	v_add_f32_e64 v21, |v6|, |v6|
	v_mul_f32_e32 v22, 0x3fb8aa3b, v21
	v_rndne_f32_e32 v23, v22
	v_sub_f32_e32 v24, v22, v23
	v_fma_f32 v22, v21, s21, -v22
	v_fmac_f32_e32 v22, 0x32a5705f, v21
	v_add_f32_e32 v22, v24, v22
	v_cvt_i32_f32_e32 v23, v23
	v_exp_f32_e32 v22, v22
	v_cmp_ngt_f32_e32 vcc, s22, v21
	v_ldexp_f32 v22, v22, v23
	v_cndmask_b32_e32 v22, 0, v22, vcc
	v_cmp_nlt_f32_e32 vcc, s23, v21
	v_cndmask_b32_e32 v21, v13, v22, vcc
	v_add_f32_e32 v21, 1.0, v21
	v_rcp_f32_e32 v21, v21
	v_fma_f32 v21, v21, -2.0, 1.0
.LBB159_14:                             ;   in Loop: Header=BB159_4 Depth=1
	s_andn2_saveexec_b64 s[0:1], s[0:1]
; %bb.15:                               ;   in Loop: Header=BB159_4 Depth=1
	v_mul_f32_e32 v21, v6, v6
	v_mov_b32_e32 v22, 0x3ca908c9
	v_fmac_f32_e32 v22, 0xbbbac73d, v21
	v_fma_f32 v22, v21, v22, v8
	v_fma_f32 v22, v21, v22, v9
	;; [unrolled: 1-line block ×3, first 2 shown]
	v_mul_f32_e64 v22, |v6|, v22
	v_fma_f32 v21, v21, v22, |v6|
; %bb.16:                               ;   in Loop: Header=BB159_4 Depth=1
	s_or_b64 exec, exec, s[0:1]
	v_and_b32_e32 v7, 0xffff0000, v7
	v_cmp_nlt_f32_e64 s[0:1], |v7|, s20
                                        ; implicit-def: $vgpr22
	s_and_saveexec_b64 s[26:27], s[0:1]
	s_xor_b64 s[0:1], exec, s[26:27]
	s_cbranch_execz .LBB159_18
; %bb.17:                               ;   in Loop: Header=BB159_4 Depth=1
	v_add_f32_e64 v22, |v7|, |v7|
	v_mul_f32_e32 v23, 0x3fb8aa3b, v22
	v_rndne_f32_e32 v24, v23
	v_sub_f32_e32 v25, v23, v24
	v_fma_f32 v23, v22, s21, -v23
	v_fmac_f32_e32 v23, 0x32a5705f, v22
	v_add_f32_e32 v23, v25, v23
	v_cvt_i32_f32_e32 v24, v24
	v_exp_f32_e32 v23, v23
	v_cmp_ngt_f32_e32 vcc, s22, v22
	v_ldexp_f32 v23, v23, v24
	v_cndmask_b32_e32 v23, 0, v23, vcc
	v_cmp_nlt_f32_e32 vcc, s23, v22
	v_cndmask_b32_e32 v22, v13, v23, vcc
	v_add_f32_e32 v22, 1.0, v22
	v_rcp_f32_e32 v22, v22
	v_fma_f32 v22, v22, -2.0, 1.0
.LBB159_18:                             ;   in Loop: Header=BB159_4 Depth=1
	s_andn2_saveexec_b64 s[0:1], s[0:1]
	s_cbranch_execz .LBB159_3
; %bb.19:                               ;   in Loop: Header=BB159_4 Depth=1
	v_mul_f32_e32 v22, v7, v7
	v_mov_b32_e32 v23, 0x3ca908c9
	v_fmac_f32_e32 v23, 0xbbbac73d, v22
	v_fma_f32 v23, v22, v23, v8
	v_fma_f32 v23, v22, v23, v9
	;; [unrolled: 1-line block ×3, first 2 shown]
	v_mul_f32_e64 v23, |v7|, v23
	v_fma_f32 v22, v22, v23, |v7|
	s_branch .LBB159_3
.LBB159_20:
	s_or_b64 exec, exec, s[12:13]
	s_mov_b64 s[12:13], 0
.LBB159_21:
	s_andn2_b64 vcc, exec, s[12:13]
	s_cbranch_vccnz .LBB159_57
; %bb.22:
	v_cmp_lt_i64_e64 s[0:1], s[10:11], 1
	s_and_b64 vcc, exec, s[0:1]
	s_cbranch_vccnz .LBB159_57
; %bb.23:
	s_load_dword s0, s[4:5], 0xc5c
	v_mov_b32_e32 v2, 0x10000
	v_mov_b32_e32 v3, 0
	v_cmp_lt_u64_e32 vcc, s[10:11], v[2:3]
	v_lshlrev_b32_e32 v10, 1, v0
	s_waitcnt lgkmcnt(0)
	s_and_b32 s4, s0, 0xffff
	s_and_b64 s[0:1], vcc, exec
	v_mov_b32_e32 v13, s7
	v_add_co_u32_e32 v2, vcc, s6, v10
	v_addc_co_u32_e32 v1, vcc, 0, v13, vcc
	v_mov_b32_e32 v11, 0
	v_mov_b32_e32 v15, s3
	v_add_co_u32_e32 v4, vcc, s2, v10
	v_addc_co_u32_e32 v3, vcc, 0, v15, vcc
	v_mad_u64_u32 v[8:9], s[0:1], s4, 6, v[10:11]
	v_add_co_u32_e32 v6, vcc, s6, v8
	v_addc_co_u32_e32 v5, vcc, v13, v9, vcc
	v_add_co_u32_e32 v8, vcc, s2, v8
	s_mul_i32 s14, s4, 3
	v_addc_co_u32_e32 v7, vcc, v15, v9, vcc
	s_cselect_b32 s13, s11, 0
	s_cselect_b32 s12, s10, 0x10000
	s_lshl_b32 s19, s4, 2
	v_add_co_u32_e32 v17, vcc, s14, v0
	v_addc_co_u32_e64 v18, s[0:1], 0, 0, vcc
	v_add_co_u32_e32 v11, vcc, s19, v10
	v_addc_co_u32_e64 v14, s[0:1], 0, 0, vcc
	v_add_co_u32_e32 v10, vcc, s6, v11
	v_addc_co_u32_e32 v9, vcc, v13, v14, vcc
	v_add_co_u32_e32 v12, vcc, s2, v11
	s_lshl_b32 s5, s4, 1
	v_addc_co_u32_e32 v11, vcc, v15, v14, vcc
	v_add_co_u32_e32 v19, vcc, s5, v0
	v_addc_co_u32_e64 v20, s[0:1], 0, 0, vcc
	v_add_co_u32_e32 v21, vcc, s4, v0
	v_lshlrev_b32_e32 v16, 1, v21
	v_addc_co_u32_e64 v22, s[0:1], 0, 0, vcc
	v_add_co_u32_e32 v14, vcc, s6, v16
	v_addc_co_u32_e32 v13, vcc, 0, v13, vcc
	v_add_co_u32_e32 v16, vcc, s2, v16
	s_mov_b32 s18, 0
	s_lshl_b32 s20, s4, 3
	v_addc_co_u32_e32 v15, vcc, 0, v15, vcc
	s_mov_b64 s[14:15], 0
	s_mov_b32 s21, 0x3f200000
	s_mov_b32 s22, 0x3fb8aa3b
	;; [unrolled: 1-line block ×4, first 2 shown]
	v_mov_b32_e32 v23, 0xbd5c1c4e
	v_mov_b32_e32 v24, 0x3e088382
	;; [unrolled: 1-line block ×3, first 2 shown]
	s_brev_b32 s25, -2
	s_movk_i32 s26, 0x7fff
	v_mov_b32_e32 v26, 0x7f800000
	v_mov_b32_e32 v27, 0x7fc0
	s_branch .LBB159_25
.LBB159_24:                             ;   in Loop: Header=BB159_25 Depth=1
	s_or_b64 exec, exec, s[0:1]
	s_add_u32 s14, s14, s19
	s_addc_u32 s15, s15, 0
	v_pk_mov_b32 v[28:29], s[10:11], s[10:11] op_sel:[0,1]
	v_cmp_ge_i64_e32 vcc, s[14:15], v[28:29]
	v_mov_b32_e32 v28, 0xffff
	v_mov_b32_e32 v29, 0
	v_cmp_gt_u64_e64 s[0:1], s[14:15], v[28:29]
	s_or_b64 s[0:1], vcc, s[0:1]
	v_mov_b32_e32 v28, s18
	v_add_co_u32_e32 v2, vcc, s20, v2
	v_addc_co_u32_e32 v1, vcc, v1, v28, vcc
	v_add_co_u32_e32 v4, vcc, s20, v4
	v_addc_co_u32_e32 v3, vcc, v3, v28, vcc
	v_add_co_u32_e32 v6, vcc, s20, v6
	v_addc_co_u32_e32 v5, vcc, v5, v28, vcc
	v_add_co_u32_e32 v8, vcc, s20, v8
	v_addc_co_u32_e32 v7, vcc, v7, v28, vcc
	v_add_co_u32_e32 v10, vcc, s20, v10
	v_addc_co_u32_e32 v9, vcc, v9, v28, vcc
	v_add_co_u32_e32 v12, vcc, s20, v12
	v_addc_co_u32_e32 v11, vcc, v11, v28, vcc
	v_add_co_u32_e32 v14, vcc, s20, v14
	v_addc_co_u32_e32 v13, vcc, v13, v28, vcc
	v_add_co_u32_e32 v16, vcc, s20, v16
	v_addc_co_u32_e32 v15, vcc, v15, v28, vcc
	s_and_b64 vcc, exec, s[0:1]
	s_cbranch_vccnz .LBB159_57
.LBB159_25:                             ; =>This Inner Loop Header: Depth=1
	v_mov_b32_e32 v29, s15
	v_add_co_u32_e32 v28, vcc, s14, v0
	v_addc_co_u32_e32 v29, vcc, 0, v29, vcc
	v_cmp_gt_u64_e32 vcc, s[12:13], v[28:29]
	v_mov_b32_e32 v28, 0
	s_and_saveexec_b64 s[2:3], vcc
	s_cbranch_execz .LBB159_27
; %bb.26:                               ;   in Loop: Header=BB159_25 Depth=1
	v_mov_b32_e32 v29, s9
	v_add_co_u32_e64 v28, s[0:1], s8, v2
	v_addc_co_u32_e64 v29, s[0:1], v1, v29, s[0:1]
	global_load_ushort v28, v[28:29], off
.LBB159_27:                             ;   in Loop: Header=BB159_25 Depth=1
	s_or_b64 exec, exec, s[2:3]
	v_mov_b32_e32 v29, s15
	v_add_co_u32_e64 v30, s[0:1], s14, v21
	v_addc_co_u32_e64 v31, s[0:1], v22, v29, s[0:1]
	v_cmp_gt_u64_e64 s[0:1], s[12:13], v[30:31]
	v_mov_b32_e32 v31, 0
	s_and_saveexec_b64 s[4:5], s[0:1]
	s_cbranch_execz .LBB159_29
; %bb.28:                               ;   in Loop: Header=BB159_25 Depth=1
	v_mov_b32_e32 v29, s9
	v_add_co_u32_e64 v30, s[2:3], s8, v14
	v_addc_co_u32_e64 v31, s[2:3], v13, v29, s[2:3]
	global_load_ushort v31, v[30:31], off
.LBB159_29:                             ;   in Loop: Header=BB159_25 Depth=1
	s_or_b64 exec, exec, s[4:5]
	v_mov_b32_e32 v29, s15
	v_add_co_u32_e64 v32, s[2:3], s14, v19
	v_addc_co_u32_e64 v33, s[2:3], v20, v29, s[2:3]
	v_cmp_gt_u64_e64 s[2:3], s[12:13], v[32:33]
	v_mov_b32_e32 v29, 0
	v_mov_b32_e32 v33, 0
	s_and_saveexec_b64 s[6:7], s[2:3]
	s_cbranch_execz .LBB159_31
; %bb.30:                               ;   in Loop: Header=BB159_25 Depth=1
	v_mov_b32_e32 v30, s9
	v_add_co_u32_e64 v32, s[4:5], s8, v10
	v_addc_co_u32_e64 v33, s[4:5], v9, v30, s[4:5]
	global_load_ushort v33, v[32:33], off
.LBB159_31:                             ;   in Loop: Header=BB159_25 Depth=1
	s_or_b64 exec, exec, s[6:7]
	v_mov_b32_e32 v30, s15
	v_add_co_u32_e64 v34, s[4:5], s14, v17
	v_addc_co_u32_e64 v35, s[4:5], v18, v30, s[4:5]
	v_cmp_gt_u64_e64 s[4:5], s[12:13], v[34:35]
	s_and_saveexec_b64 s[16:17], s[4:5]
	s_cbranch_execz .LBB159_33
; %bb.32:                               ;   in Loop: Header=BB159_25 Depth=1
	v_mov_b32_e32 v29, s9
	v_add_co_u32_e64 v34, s[6:7], s8, v6
	v_addc_co_u32_e64 v35, s[6:7], v5, v29, s[6:7]
	global_load_ushort v29, v[34:35], off
.LBB159_33:                             ;   in Loop: Header=BB159_25 Depth=1
	s_or_b64 exec, exec, s[16:17]
	s_waitcnt vmcnt(0)
	v_lshlrev_b32_e32 v28, 16, v28
	v_cmp_nlt_f32_e64 s[6:7], |v28|, s21
                                        ; implicit-def: $vgpr30
	s_and_saveexec_b64 s[16:17], s[6:7]
	s_xor_b64 s[16:17], exec, s[16:17]
	s_cbranch_execz .LBB159_35
; %bb.34:                               ;   in Loop: Header=BB159_25 Depth=1
	v_add_f32_e64 v30, |v28|, |v28|
	v_mul_f32_e32 v32, 0x3fb8aa3b, v30
	v_rndne_f32_e32 v34, v32
	v_sub_f32_e32 v35, v32, v34
	v_fma_f32 v32, v30, s22, -v32
	v_fmac_f32_e32 v32, 0x32a5705f, v30
	v_add_f32_e32 v32, v35, v32
	v_cvt_i32_f32_e32 v34, v34
	v_exp_f32_e32 v32, v32
	v_cmp_ngt_f32_e64 s[6:7], s23, v30
	v_ldexp_f32 v32, v32, v34
	v_cndmask_b32_e64 v32, 0, v32, s[6:7]
	v_cmp_nlt_f32_e64 s[6:7], s24, v30
	v_cndmask_b32_e64 v30, v26, v32, s[6:7]
	v_add_f32_e32 v30, 1.0, v30
	v_rcp_f32_e32 v30, v30
	v_fma_f32 v30, v30, -2.0, 1.0
.LBB159_35:                             ;   in Loop: Header=BB159_25 Depth=1
	s_andn2_saveexec_b64 s[6:7], s[16:17]
; %bb.36:                               ;   in Loop: Header=BB159_25 Depth=1
	v_mul_f32_e32 v30, v28, v28
	v_mov_b32_e32 v32, 0x3ca908c9
	v_fmac_f32_e32 v32, 0xbbbac73d, v30
	v_fma_f32 v32, v30, v32, v23
	v_fma_f32 v32, v30, v32, v24
	;; [unrolled: 1-line block ×3, first 2 shown]
	v_mul_f32_e64 v32, |v28|, v32
	v_fma_f32 v30, v30, v32, |v28|
; %bb.37:                               ;   in Loop: Header=BB159_25 Depth=1
	s_or_b64 exec, exec, s[6:7]
	v_lshlrev_b32_e32 v31, 16, v31
	v_cmp_nlt_f32_e64 s[6:7], |v31|, s21
                                        ; implicit-def: $vgpr32
	s_and_saveexec_b64 s[16:17], s[6:7]
	s_xor_b64 s[16:17], exec, s[16:17]
	s_cbranch_execz .LBB159_39
; %bb.38:                               ;   in Loop: Header=BB159_25 Depth=1
	v_add_f32_e64 v32, |v31|, |v31|
	v_mul_f32_e32 v34, 0x3fb8aa3b, v32
	v_rndne_f32_e32 v35, v34
	v_sub_f32_e32 v36, v34, v35
	v_fma_f32 v34, v32, s22, -v34
	v_fmac_f32_e32 v34, 0x32a5705f, v32
	v_add_f32_e32 v34, v36, v34
	v_cvt_i32_f32_e32 v35, v35
	v_exp_f32_e32 v34, v34
	v_cmp_ngt_f32_e64 s[6:7], s23, v32
	v_ldexp_f32 v34, v34, v35
	v_cndmask_b32_e64 v34, 0, v34, s[6:7]
	v_cmp_nlt_f32_e64 s[6:7], s24, v32
	v_cndmask_b32_e64 v32, v26, v34, s[6:7]
	v_add_f32_e32 v32, 1.0, v32
	v_rcp_f32_e32 v32, v32
	v_fma_f32 v32, v32, -2.0, 1.0
.LBB159_39:                             ;   in Loop: Header=BB159_25 Depth=1
	s_andn2_saveexec_b64 s[6:7], s[16:17]
; %bb.40:                               ;   in Loop: Header=BB159_25 Depth=1
	v_mul_f32_e32 v32, v31, v31
	v_mov_b32_e32 v34, 0x3ca908c9
	v_fmac_f32_e32 v34, 0xbbbac73d, v32
	v_fma_f32 v34, v32, v34, v23
	v_fma_f32 v34, v32, v34, v24
	;; [unrolled: 1-line block ×3, first 2 shown]
	v_mul_f32_e64 v34, |v31|, v34
	v_fma_f32 v32, v32, v34, |v31|
; %bb.41:                               ;   in Loop: Header=BB159_25 Depth=1
	s_or_b64 exec, exec, s[6:7]
	v_lshlrev_b32_e32 v33, 16, v33
	v_cmp_nlt_f32_e64 s[6:7], |v33|, s21
                                        ; implicit-def: $vgpr34
	s_and_saveexec_b64 s[16:17], s[6:7]
	s_xor_b64 s[16:17], exec, s[16:17]
	s_cbranch_execz .LBB159_43
; %bb.42:                               ;   in Loop: Header=BB159_25 Depth=1
	v_add_f32_e64 v34, |v33|, |v33|
	v_mul_f32_e32 v35, 0x3fb8aa3b, v34
	v_rndne_f32_e32 v36, v35
	v_sub_f32_e32 v37, v35, v36
	v_fma_f32 v35, v34, s22, -v35
	v_fmac_f32_e32 v35, 0x32a5705f, v34
	v_add_f32_e32 v35, v37, v35
	v_cvt_i32_f32_e32 v36, v36
	v_exp_f32_e32 v35, v35
	v_cmp_ngt_f32_e64 s[6:7], s23, v34
	v_ldexp_f32 v35, v35, v36
	v_cndmask_b32_e64 v35, 0, v35, s[6:7]
	v_cmp_nlt_f32_e64 s[6:7], s24, v34
	v_cndmask_b32_e64 v34, v26, v35, s[6:7]
	v_add_f32_e32 v34, 1.0, v34
	v_rcp_f32_e32 v34, v34
	v_fma_f32 v34, v34, -2.0, 1.0
.LBB159_43:                             ;   in Loop: Header=BB159_25 Depth=1
	s_andn2_saveexec_b64 s[6:7], s[16:17]
; %bb.44:                               ;   in Loop: Header=BB159_25 Depth=1
	v_mul_f32_e32 v34, v33, v33
	v_mov_b32_e32 v35, 0x3ca908c9
	v_fmac_f32_e32 v35, 0xbbbac73d, v34
	v_fma_f32 v35, v34, v35, v23
	v_fma_f32 v35, v34, v35, v24
	;; [unrolled: 1-line block ×3, first 2 shown]
	v_mul_f32_e64 v35, |v33|, v35
	v_fma_f32 v34, v34, v35, |v33|
; %bb.45:                               ;   in Loop: Header=BB159_25 Depth=1
	s_or_b64 exec, exec, s[6:7]
	v_lshlrev_b32_e32 v29, 16, v29
	v_cmp_nlt_f32_e64 s[6:7], |v29|, s21
                                        ; implicit-def: $vgpr35
	s_and_saveexec_b64 s[16:17], s[6:7]
	s_xor_b64 s[16:17], exec, s[16:17]
	s_cbranch_execnz .LBB159_51
; %bb.46:                               ;   in Loop: Header=BB159_25 Depth=1
	s_andn2_saveexec_b64 s[6:7], s[16:17]
	s_cbranch_execnz .LBB159_52
.LBB159_47:                             ;   in Loop: Header=BB159_25 Depth=1
	s_or_b64 exec, exec, s[6:7]
	s_and_saveexec_b64 s[6:7], vcc
	s_xor_b64 s[6:7], exec, s[6:7]
	s_cbranch_execnz .LBB159_53
.LBB159_48:                             ;   in Loop: Header=BB159_25 Depth=1
	s_or_b64 exec, exec, s[6:7]
	s_and_saveexec_b64 s[6:7], s[0:1]
	s_cbranch_execnz .LBB159_54
.LBB159_49:                             ;   in Loop: Header=BB159_25 Depth=1
	s_or_b64 exec, exec, s[6:7]
	s_and_saveexec_b64 s[0:1], s[2:3]
	s_cbranch_execnz .LBB159_55
.LBB159_50:                             ;   in Loop: Header=BB159_25 Depth=1
	s_or_b64 exec, exec, s[0:1]
	s_and_saveexec_b64 s[0:1], s[4:5]
	s_cbranch_execz .LBB159_24
	s_branch .LBB159_56
.LBB159_51:                             ;   in Loop: Header=BB159_25 Depth=1
	v_add_f32_e64 v35, |v29|, |v29|
	v_mul_f32_e32 v36, 0x3fb8aa3b, v35
	v_rndne_f32_e32 v37, v36
	v_sub_f32_e32 v38, v36, v37
	v_fma_f32 v36, v35, s22, -v36
	v_fmac_f32_e32 v36, 0x32a5705f, v35
	v_add_f32_e32 v36, v38, v36
	v_cvt_i32_f32_e32 v37, v37
	v_exp_f32_e32 v36, v36
	v_cmp_ngt_f32_e64 s[6:7], s23, v35
	v_ldexp_f32 v36, v36, v37
	v_cndmask_b32_e64 v36, 0, v36, s[6:7]
	v_cmp_nlt_f32_e64 s[6:7], s24, v35
	v_cndmask_b32_e64 v35, v26, v36, s[6:7]
	v_add_f32_e32 v35, 1.0, v35
	v_rcp_f32_e32 v35, v35
	v_fma_f32 v35, v35, -2.0, 1.0
	s_andn2_saveexec_b64 s[6:7], s[16:17]
	s_cbranch_execz .LBB159_47
.LBB159_52:                             ;   in Loop: Header=BB159_25 Depth=1
	v_mul_f32_e32 v35, v29, v29
	v_mov_b32_e32 v36, 0x3ca908c9
	v_fmac_f32_e32 v36, 0xbbbac73d, v35
	v_fma_f32 v36, v35, v36, v23
	v_fma_f32 v36, v35, v36, v24
	;; [unrolled: 1-line block ×3, first 2 shown]
	v_mul_f32_e64 v36, |v29|, v36
	v_fma_f32 v35, v35, v36, |v29|
	s_or_b64 exec, exec, s[6:7]
	s_and_saveexec_b64 s[6:7], vcc
	s_xor_b64 s[6:7], exec, s[6:7]
	s_cbranch_execz .LBB159_48
.LBB159_53:                             ;   in Loop: Header=BB159_25 Depth=1
	v_bfi_b32 v28, s25, v30, v28
	v_bfe_u32 v30, v28, 16, 1
	v_add3_u32 v30, v28, v30, s26
	v_lshrrev_b32_e32 v30, 16, v30
	v_cmp_o_f32_e32 vcc, v28, v28
	v_cndmask_b32_e32 v28, v27, v30, vcc
	v_mov_b32_e32 v30, s9
	v_add_co_u32_e32 v36, vcc, s8, v4
	v_addc_co_u32_e32 v37, vcc, v3, v30, vcc
	global_store_short v[36:37], v28, off
	s_or_b64 exec, exec, s[6:7]
	s_and_saveexec_b64 s[6:7], s[0:1]
	s_cbranch_execz .LBB159_49
.LBB159_54:                             ;   in Loop: Header=BB159_25 Depth=1
	v_bfi_b32 v28, s25, v32, v31
	v_bfe_u32 v30, v28, 16, 1
	v_add3_u32 v30, v28, v30, s26
	v_lshrrev_b32_e32 v30, 16, v30
	v_cmp_o_f32_e32 vcc, v28, v28
	v_cndmask_b32_e32 v28, v27, v30, vcc
	v_mov_b32_e32 v31, s9
	v_add_co_u32_e32 v30, vcc, s8, v16
	v_addc_co_u32_e32 v31, vcc, v15, v31, vcc
	global_store_short v[30:31], v28, off
	s_or_b64 exec, exec, s[6:7]
	s_and_saveexec_b64 s[0:1], s[2:3]
	s_cbranch_execz .LBB159_50
.LBB159_55:                             ;   in Loop: Header=BB159_25 Depth=1
	v_bfi_b32 v28, s25, v34, v33
	v_bfe_u32 v30, v28, 16, 1
	v_add3_u32 v30, v28, v30, s26
	v_lshrrev_b32_e32 v30, 16, v30
	v_cmp_o_f32_e32 vcc, v28, v28
	v_cndmask_b32_e32 v28, v27, v30, vcc
	v_mov_b32_e32 v31, s9
	v_add_co_u32_e32 v30, vcc, s8, v12
	v_addc_co_u32_e32 v31, vcc, v11, v31, vcc
	global_store_short v[30:31], v28, off
	s_or_b64 exec, exec, s[0:1]
	s_and_saveexec_b64 s[0:1], s[4:5]
	s_cbranch_execz .LBB159_24
.LBB159_56:                             ;   in Loop: Header=BB159_25 Depth=1
	v_bfi_b32 v28, s25, v35, v29
	v_bfe_u32 v29, v28, 16, 1
	v_add3_u32 v29, v28, v29, s26
	v_lshrrev_b32_e32 v29, 16, v29
	v_cmp_o_f32_e32 vcc, v28, v28
	v_cndmask_b32_e32 v30, v27, v29, vcc
	v_mov_b32_e32 v29, s9
	v_add_co_u32_e32 v28, vcc, s8, v8
	v_addc_co_u32_e32 v29, vcc, v7, v29, vcc
	global_store_short v[28:29], v30, off
	s_branch .LBB159_24
.LBB159_57:
	s_endpgm
	.section	.rodata,"a",@progbits
	.p2align	6, 0x0
	.amdhsa_kernel _ZN2at6native12_GLOBAL__N_125multi_tensor_apply_kernelINS1_18TensorListMetadataILi2EEENS1_14UnaryOpFunctorIN3c108BFloat16ELi2ELi1ELi1EEEJNS0_4TanhIfEEEEEvT_T0_DpT1_
		.amdhsa_group_segment_fixed_size 0
		.amdhsa_private_segment_fixed_size 0
		.amdhsa_kernarg_size 3408
		.amdhsa_user_sgpr_count 6
		.amdhsa_user_sgpr_private_segment_buffer 1
		.amdhsa_user_sgpr_dispatch_ptr 0
		.amdhsa_user_sgpr_queue_ptr 0
		.amdhsa_user_sgpr_kernarg_segment_ptr 1
		.amdhsa_user_sgpr_dispatch_id 0
		.amdhsa_user_sgpr_flat_scratch_init 0
		.amdhsa_user_sgpr_kernarg_preload_length 0
		.amdhsa_user_sgpr_kernarg_preload_offset 0
		.amdhsa_user_sgpr_private_segment_size 0
		.amdhsa_uses_dynamic_stack 0
		.amdhsa_system_sgpr_private_segment_wavefront_offset 0
		.amdhsa_system_sgpr_workgroup_id_x 1
		.amdhsa_system_sgpr_workgroup_id_y 0
		.amdhsa_system_sgpr_workgroup_id_z 0
		.amdhsa_system_sgpr_workgroup_info 0
		.amdhsa_system_vgpr_workitem_id 0
		.amdhsa_next_free_vgpr 39
		.amdhsa_next_free_sgpr 28
		.amdhsa_accum_offset 40
		.amdhsa_reserve_vcc 1
		.amdhsa_reserve_flat_scratch 0
		.amdhsa_float_round_mode_32 0
		.amdhsa_float_round_mode_16_64 0
		.amdhsa_float_denorm_mode_32 3
		.amdhsa_float_denorm_mode_16_64 3
		.amdhsa_dx10_clamp 1
		.amdhsa_ieee_mode 1
		.amdhsa_fp16_overflow 0
		.amdhsa_tg_split 0
		.amdhsa_exception_fp_ieee_invalid_op 0
		.amdhsa_exception_fp_denorm_src 0
		.amdhsa_exception_fp_ieee_div_zero 0
		.amdhsa_exception_fp_ieee_overflow 0
		.amdhsa_exception_fp_ieee_underflow 0
		.amdhsa_exception_fp_ieee_inexact 0
		.amdhsa_exception_int_div_zero 0
	.end_amdhsa_kernel
	.section	.text._ZN2at6native12_GLOBAL__N_125multi_tensor_apply_kernelINS1_18TensorListMetadataILi2EEENS1_14UnaryOpFunctorIN3c108BFloat16ELi2ELi1ELi1EEEJNS0_4TanhIfEEEEEvT_T0_DpT1_,"axG",@progbits,_ZN2at6native12_GLOBAL__N_125multi_tensor_apply_kernelINS1_18TensorListMetadataILi2EEENS1_14UnaryOpFunctorIN3c108BFloat16ELi2ELi1ELi1EEEJNS0_4TanhIfEEEEEvT_T0_DpT1_,comdat
.Lfunc_end159:
	.size	_ZN2at6native12_GLOBAL__N_125multi_tensor_apply_kernelINS1_18TensorListMetadataILi2EEENS1_14UnaryOpFunctorIN3c108BFloat16ELi2ELi1ELi1EEEJNS0_4TanhIfEEEEEvT_T0_DpT1_, .Lfunc_end159-_ZN2at6native12_GLOBAL__N_125multi_tensor_apply_kernelINS1_18TensorListMetadataILi2EEENS1_14UnaryOpFunctorIN3c108BFloat16ELi2ELi1ELi1EEEJNS0_4TanhIfEEEEEvT_T0_DpT1_
                                        ; -- End function
	.section	.AMDGPU.csdata,"",@progbits
; Kernel info:
; codeLenInByte = 3244
; NumSgprs: 32
; NumVgprs: 39
; NumAgprs: 0
; TotalNumVgprs: 39
; ScratchSize: 0
; MemoryBound: 0
; FloatMode: 240
; IeeeMode: 1
; LDSByteSize: 0 bytes/workgroup (compile time only)
; SGPRBlocks: 3
; VGPRBlocks: 4
; NumSGPRsForWavesPerEU: 32
; NumVGPRsForWavesPerEU: 39
; AccumOffset: 40
; Occupancy: 8
; WaveLimiterHint : 0
; COMPUTE_PGM_RSRC2:SCRATCH_EN: 0
; COMPUTE_PGM_RSRC2:USER_SGPR: 6
; COMPUTE_PGM_RSRC2:TRAP_HANDLER: 0
; COMPUTE_PGM_RSRC2:TGID_X_EN: 1
; COMPUTE_PGM_RSRC2:TGID_Y_EN: 0
; COMPUTE_PGM_RSRC2:TGID_Z_EN: 0
; COMPUTE_PGM_RSRC2:TIDIG_COMP_CNT: 0
; COMPUTE_PGM_RSRC3_GFX90A:ACCUM_OFFSET: 9
; COMPUTE_PGM_RSRC3_GFX90A:TG_SPLIT: 0
	.section	.text._ZN2at6native12_GLOBAL__N_125multi_tensor_apply_kernelINS1_18TensorListMetadataILi1EEENS1_14UnaryOpFunctorIdLi1ELi1ELi0EEEJNS0_4TanhIdEEEEEvT_T0_DpT1_,"axG",@progbits,_ZN2at6native12_GLOBAL__N_125multi_tensor_apply_kernelINS1_18TensorListMetadataILi1EEENS1_14UnaryOpFunctorIdLi1ELi1ELi0EEEJNS0_4TanhIdEEEEEvT_T0_DpT1_,comdat
	.globl	_ZN2at6native12_GLOBAL__N_125multi_tensor_apply_kernelINS1_18TensorListMetadataILi1EEENS1_14UnaryOpFunctorIdLi1ELi1ELi0EEEJNS0_4TanhIdEEEEEvT_T0_DpT1_ ; -- Begin function _ZN2at6native12_GLOBAL__N_125multi_tensor_apply_kernelINS1_18TensorListMetadataILi1EEENS1_14UnaryOpFunctorIdLi1ELi1ELi0EEEJNS0_4TanhIdEEEEEvT_T0_DpT1_
	.p2align	8
	.type	_ZN2at6native12_GLOBAL__N_125multi_tensor_apply_kernelINS1_18TensorListMetadataILi1EEENS1_14UnaryOpFunctorIdLi1ELi1ELi0EEEJNS0_4TanhIdEEEEEvT_T0_DpT1_,@function
_ZN2at6native12_GLOBAL__N_125multi_tensor_apply_kernelINS1_18TensorListMetadataILi1EEENS1_14UnaryOpFunctorIdLi1ELi1ELi0EEEJNS0_4TanhIdEEEEEvT_T0_DpT1_: ; @_ZN2at6native12_GLOBAL__N_125multi_tensor_apply_kernelINS1_18TensorListMetadataILi1EEENS1_14UnaryOpFunctorIdLi1ELi1ELi0EEEJNS0_4TanhIdEEEEEvT_T0_DpT1_
; %bb.0:
	v_mov_b32_e32 v1, s6
	global_load_ubyte v1, v1, s[4:5] offset:1760
	s_add_u32 s0, s4, s6
	s_mul_hi_u32 s1, s6, 3
	s_mul_i32 s6, s6, 3
	s_addc_u32 s2, s5, 0
	s_add_u32 s0, s0, s6
	s_addc_u32 s1, s2, s1
	s_load_dword s0, s[0:1], 0x820
	s_mov_b32 s7, 0
	s_waitcnt vmcnt(0)
	v_readfirstlane_b32 s2, v1
	s_lshl_b32 s1, s2, 3
	s_load_dwordx2 s[2:3], s[4:5], s1 offset:0x370
	s_load_dwordx2 s[12:13], s[4:5], s1 offset:0x0
	s_waitcnt lgkmcnt(0)
	s_ashr_i32 s1, s0, 31
	s_lshl_b64 s[14:15], s[0:1], 19
	s_lshl_b64 s[0:1], s[0:1], 16
	s_and_b32 s6, s12, 31
	s_sub_u32 s10, s2, s0
	s_subb_u32 s11, s3, s1
	s_and_b32 s0, s2, 3
	s_mov_b32 s1, s7
	s_or_b64 s[0:1], s[6:7], s[0:1]
	s_cmp_eq_u64 s[0:1], 0
	s_cbranch_scc1 .LBB160_21
; %bb.1:
	v_cmp_lt_i64_e64 s[0:1], s[10:11], 1
	s_and_b64 vcc, exec, s[0:1]
	s_cbranch_vccnz .LBB160_20
; %bb.2:
	s_load_dword s0, s[4:5], 0xd3c
	v_mov_b32_e32 v2, 0x10000
	v_mov_b32_e32 v3, 0
	v_cmp_lt_u64_e32 vcc, s[10:11], v[2:3]
	v_lshlrev_b32_e32 v1, 3, v0
	s_waitcnt lgkmcnt(0)
	s_and_b32 s2, s0, 0xffff
	s_and_b64 s[0:1], vcc, exec
	s_cselect_b32 s17, s11, 0
	s_cselect_b32 s16, s10, 0x10000
	s_lshl_b32 s3, s2, 1
	s_lshl_b32 s38, s2, 2
	s_add_u32 s6, s12, s14
	s_addc_u32 s7, s13, s15
	v_mov_b32_e32 v3, s7
	v_add_co_u32_e32 v2, vcc, s6, v1
	s_mul_i32 s0, s2, 3
	v_addc_co_u32_e32 v3, vcc, 0, v3, vcc
	v_add_co_u32_e32 v1, vcc, s0, v0
	v_addc_co_u32_e64 v32, s[0:1], 0, 0, vcc
	v_add_co_u32_e32 v33, vcc, s3, v0
	v_addc_co_u32_e64 v34, s[0:1], 0, 0, vcc
	v_add_co_u32_e32 v35, vcc, s2, v0
	v_lshlrev_b32_e32 v4, 3, v35
	s_mov_b32 s33, 0
	v_addc_co_u32_e64 v36, s[0:1], 0, 0, vcc
	v_mov_b32_e32 v5, s7
	v_add_co_u32_e32 v4, vcc, s6, v4
	s_mov_b32 s20, 0
	s_mov_b32 s22, 0x652b82fe
	;; [unrolled: 1-line block ×7, first 2 shown]
	s_lshl_b32 s39, s2, 5
	s_mul_i32 s40, s2, 24
	s_mov_b32 s41, s33
	s_lshl_b32 s42, s2, 4
	s_mov_b32 s43, s33
	v_addc_co_u32_e32 v5, vcc, 0, v5, vcc
	s_mov_b64 s[18:19], 0
	s_brev_b32 s44, -2
	s_mov_b32 s21, 0x3e400000
	s_mov_b32 s23, 0x3ff71547
	s_mov_b32 s25, 0xbfe62e42
	s_mov_b32 s27, 0xbd53de6a
	s_mov_b32 s29, 0xbac9cc01
	s_mov_b32 s31, 0x3e5ade15
	s_mov_b32 s35, 0x40331000
	v_mov_b32_e32 v6, 0xfca7ab0c
	v_mov_b32_e32 v7, 0x3e928af3
	;; [unrolled: 1-line block ×19, first 2 shown]
	s_branch .LBB160_4
.LBB160_3:                              ;   in Loop: Header=BB160_4 Depth=1
	s_or_b64 exec, exec, s[0:1]
	s_add_u32 s18, s18, s38
	s_addc_u32 s19, s19, 0
	s_waitcnt vmcnt(0)
	v_pk_mov_b32 v[24:25], s[10:11], s[10:11] op_sel:[0,1]
	v_cmp_lt_i64_e32 vcc, s[18:19], v[24:25]
	v_mov_b32_e32 v24, 0x10000
	v_mov_b32_e32 v25, 0
	v_cmp_lt_u64_e64 s[0:1], s[18:19], v[24:25]
	s_and_b64 s[0:1], vcc, s[0:1]
	v_mov_b32_e32 v24, s33
	v_add_co_u32_e32 v2, vcc, s39, v2
	v_addc_co_u32_e32 v3, vcc, v3, v24, vcc
	v_add_co_u32_e32 v4, vcc, s39, v4
	v_addc_co_u32_e32 v5, vcc, v5, v24, vcc
	s_and_b64 vcc, exec, s[0:1]
	s_cbranch_vccz .LBB160_20
.LBB160_4:                              ; =>This Inner Loop Header: Depth=1
	v_mov_b32_e32 v25, s19
	v_add_co_u32_e32 v24, vcc, s18, v0
	v_addc_co_u32_e32 v25, vcc, 0, v25, vcc
	v_pk_mov_b32 v[28:29], 0, 0
	v_cmp_gt_u64_e64 s[6:7], s[16:17], v[24:25]
	v_pk_mov_b32 v[30:31], v[28:29], v[28:29] op_sel:[0,1]
	s_and_saveexec_b64 s[0:1], s[6:7]
	s_cbranch_execz .LBB160_6
; %bb.5:                                ;   in Loop: Header=BB160_4 Depth=1
	global_load_dwordx2 v[30:31], v[2:3], off
.LBB160_6:                              ;   in Loop: Header=BB160_4 Depth=1
	s_or_b64 exec, exec, s[0:1]
	v_mov_b32_e32 v25, s19
	v_add_co_u32_e32 v24, vcc, s18, v35
	v_addc_co_u32_e32 v25, vcc, v36, v25, vcc
	v_cmp_gt_u64_e64 s[2:3], s[16:17], v[24:25]
	s_and_saveexec_b64 s[0:1], s[2:3]
	s_cbranch_execz .LBB160_8
; %bb.7:                                ;   in Loop: Header=BB160_4 Depth=1
	global_load_dwordx2 v[28:29], v[4:5], off
.LBB160_8:                              ;   in Loop: Header=BB160_4 Depth=1
	s_or_b64 exec, exec, s[0:1]
	v_mov_b32_e32 v25, s19
	v_add_co_u32_e32 v24, vcc, s18, v33
	v_addc_co_u32_e32 v25, vcc, v34, v25, vcc
	v_cmp_gt_u64_e64 s[0:1], s[16:17], v[24:25]
	v_pk_mov_b32 v[24:25], 0, 0
	v_pk_mov_b32 v[26:27], v[24:25], v[24:25] op_sel:[0,1]
	s_and_saveexec_b64 s[8:9], s[0:1]
	s_cbranch_execz .LBB160_10
; %bb.9:                                ;   in Loop: Header=BB160_4 Depth=1
	v_mov_b32_e32 v27, s43
	v_add_co_u32_e32 v26, vcc, s42, v2
	v_addc_co_u32_e32 v27, vcc, v3, v27, vcc
	global_load_dwordx2 v[26:27], v[26:27], off
.LBB160_10:                             ;   in Loop: Header=BB160_4 Depth=1
	s_or_b64 exec, exec, s[8:9]
	v_mov_b32_e32 v39, s19
	v_add_co_u32_e32 v38, vcc, s18, v1
	v_addc_co_u32_e32 v39, vcc, v32, v39, vcc
	v_cmp_gt_u64_e32 vcc, s[16:17], v[38:39]
	s_and_saveexec_b64 s[36:37], vcc
	s_cbranch_execnz .LBB160_15
; %bb.11:                               ;   in Loop: Header=BB160_4 Depth=1
	s_or_b64 exec, exec, s[36:37]
	s_and_saveexec_b64 s[8:9], s[6:7]
	s_cbranch_execnz .LBB160_16
.LBB160_12:                             ;   in Loop: Header=BB160_4 Depth=1
	s_or_b64 exec, exec, s[8:9]
	s_and_saveexec_b64 s[6:7], s[2:3]
	s_cbranch_execnz .LBB160_17
.LBB160_13:                             ;   in Loop: Header=BB160_4 Depth=1
	s_or_b64 exec, exec, s[6:7]
	s_and_saveexec_b64 s[2:3], s[0:1]
	s_cbranch_execnz .LBB160_18
.LBB160_14:                             ;   in Loop: Header=BB160_4 Depth=1
	s_or_b64 exec, exec, s[2:3]
	s_and_saveexec_b64 s[0:1], vcc
	s_cbranch_execz .LBB160_3
	s_branch .LBB160_19
.LBB160_15:                             ;   in Loop: Header=BB160_4 Depth=1
	v_mov_b32_e32 v25, s41
	v_add_co_u32_e64 v24, s[8:9], s40, v2
	v_addc_co_u32_e64 v25, s[8:9], v3, v25, s[8:9]
	global_load_dwordx2 v[24:25], v[24:25], off
	s_or_b64 exec, exec, s[36:37]
	s_and_saveexec_b64 s[8:9], s[6:7]
	s_cbranch_execz .LBB160_12
.LBB160_16:                             ;   in Loop: Header=BB160_4 Depth=1
	s_waitcnt vmcnt(0)
	v_mul_f64 v[38:39], |v[30:31]|, s[22:23]
	v_rndne_f64_e32 v[38:39], v[38:39]
	v_fma_f64 v[40:41], v[38:39], s[24:25], |v[30:31]|
	v_add_f64 v[42:43], v[40:41], 0
	v_mul_f64 v[44:45], v[38:39], s[26:27]
	v_add_f64 v[46:47], v[42:43], v[44:45]
	v_add_f64 v[40:41], v[40:41], -v[42:43]
	v_add_f64 v[42:43], v[42:43], -v[46:47]
	v_add_f64 v[40:41], v[40:41], 0
	v_add_f64 v[42:43], v[42:43], v[44:45]
	;; [unrolled: 1-line block ×4, first 2 shown]
	v_mul_f64 v[44:45], v[38:39], s[28:29]
	v_add_f64 v[48:49], v[42:43], v[44:45]
	v_add_f64 v[46:47], v[46:47], -v[42:43]
	v_add_f64 v[42:43], v[42:43], -v[48:49]
	v_add_f64 v[40:41], v[40:41], v[46:47]
	v_add_f64 v[42:43], v[42:43], v[44:45]
	;; [unrolled: 1-line block ×4, first 2 shown]
	v_pk_mov_b32 v[50:51], v[6:7], v[6:7] op_sel:[0,1]
	v_fmac_f64_e32 v[50:51], s[30:31], v[42:43]
	v_pk_mov_b32 v[52:53], v[8:9], v[8:9] op_sel:[0,1]
	v_fmac_f64_e32 v[52:53], v[42:43], v[50:51]
	;; [unrolled: 2-line block ×4, first 2 shown]
	v_pk_mov_b32 v[50:51], v[14:15], v[14:15] op_sel:[0,1]
	v_add_f64 v[46:47], v[48:49], -v[42:43]
	v_fmac_f64_e32 v[50:51], v[42:43], v[52:53]
	v_pk_mov_b32 v[52:53], v[16:17], v[16:17] op_sel:[0,1]
	v_mul_f64 v[44:45], v[42:43], v[42:43]
	v_add_f64 v[40:41], v[40:41], v[46:47]
	v_fmac_f64_e32 v[52:53], v[42:43], v[50:51]
	v_pk_mov_b32 v[50:51], v[18:19], v[18:19] op_sel:[0,1]
	v_add_f64 v[46:47], v[40:41], v[40:41]
	v_fma_f64 v[48:49], v[42:43], v[42:43], -v[44:45]
	v_fmac_f64_e32 v[50:51], v[42:43], v[52:53]
	v_pk_mov_b32 v[52:53], v[20:21], v[20:21] op_sel:[0,1]
	v_fmac_f64_e32 v[48:49], v[42:43], v[46:47]
	v_fmac_f64_e32 v[52:53], v[42:43], v[50:51]
	v_pk_mov_b32 v[50:51], v[22:23], v[22:23] op_sel:[0,1]
	v_add_f64 v[46:47], v[44:45], v[48:49]
	v_fmac_f64_e32 v[50:51], v[42:43], v[52:53]
	v_mul_f64 v[52:53], v[46:47], v[50:51]
	v_add_f64 v[44:45], v[46:47], -v[44:45]
	v_add_f64 v[44:45], v[48:49], -v[44:45]
	v_fma_f64 v[46:47], v[46:47], v[50:51], -v[52:53]
	v_fmac_f64_e32 v[46:47], v[44:45], v[50:51]
	v_add_f64 v[44:45], v[52:53], v[46:47]
	v_add_f64 v[48:49], v[42:43], v[44:45]
	v_add_f64 v[50:51], v[44:45], -v[52:53]
	v_add_f64 v[46:47], v[46:47], -v[50:51]
	;; [unrolled: 1-line block ×3, first 2 shown]
	v_add_f64 v[40:41], v[40:41], v[46:47]
	v_add_f64 v[42:43], v[44:45], -v[42:43]
	v_add_f64 v[40:41], v[40:41], v[42:43]
	v_add_f64 v[42:43], v[48:49], v[40:41]
	v_add_f64 v[44:45], v[42:43], 1.0
	v_add_f64 v[46:47], v[42:43], -v[48:49]
	v_add_f64 v[40:41], v[40:41], -v[46:47]
	v_add_f64 v[46:47], v[44:45], -1.0
	v_add_f64 v[42:43], v[42:43], -v[46:47]
	v_add_f64 v[40:41], v[40:41], v[42:43]
	v_add_f64 v[42:43], v[44:45], v[40:41]
	v_cvt_i32_f64_e32 v50, v[38:39]
	v_ldexp_f64 v[38:39], v[42:43], v50
	v_rcp_f64_e32 v[46:47], v[38:39]
	v_add_f64 v[42:43], v[42:43], -v[44:45]
	v_add_f64 v[40:41], v[40:41], -v[42:43]
	v_ldexp_f64 v[40:41], v[40:41], v50
	v_fma_f64 v[48:49], -v[38:39], v[46:47], 1.0
	v_fmac_f64_e32 v[46:47], v[48:49], v[46:47]
	v_fma_f64 v[48:49], -v[38:39], v[46:47], 1.0
	v_fmac_f64_e32 v[46:47], v[48:49], v[46:47]
	v_mul_f64 v[48:49], v[38:39], v[46:47]
	v_fma_f64 v[42:43], v[46:47], v[38:39], -v[48:49]
	v_fmac_f64_e32 v[42:43], v[46:47], v[40:41]
	v_add_f64 v[44:45], v[48:49], v[42:43]
	v_add_f64 v[50:51], -v[44:45], 1.0
	v_add_f64 v[48:49], v[44:45], -v[48:49]
	v_add_f64 v[42:43], v[48:49], -v[42:43]
	v_add_f64 v[48:49], -v[50:51], 1.0
	v_add_f64 v[44:45], v[48:49], -v[44:45]
	v_add_f64 v[42:43], v[42:43], v[44:45]
	v_add_f64 v[44:45], v[50:51], v[42:43]
	v_mul_f64 v[48:49], v[46:47], v[44:45]
	v_mul_f64 v[56:57], v[38:39], v[48:49]
	v_add_f64 v[52:53], v[46:47], v[48:49]
	v_fma_f64 v[58:59], v[48:49], v[38:39], -v[56:57]
	v_add_f64 v[54:55], v[52:53], -v[46:47]
	v_fmac_f64_e32 v[58:59], v[48:49], v[40:41]
	v_add_f64 v[54:55], v[48:49], -v[54:55]
	v_add_f64 v[48:49], v[56:57], v[58:59]
	v_add_f64 v[60:61], v[44:45], -v[48:49]
	v_add_f64 v[50:51], v[50:51], -v[44:45]
	;; [unrolled: 1-line block ×4, first 2 shown]
	v_add_f64 v[42:43], v[42:43], v[50:51]
	v_add_f64 v[44:45], v[44:45], -v[48:49]
	v_add_f64 v[56:57], v[56:57], -v[58:59]
	v_add_f64 v[42:43], v[42:43], v[44:45]
	v_add_f64 v[42:43], v[56:57], v[42:43]
	;; [unrolled: 1-line block ×3, first 2 shown]
	v_mul_f64 v[42:43], v[46:47], v[42:43]
	v_add_f64 v[42:43], v[54:55], v[42:43]
	v_add_f64 v[44:45], v[52:53], v[42:43]
	v_add_f64 v[50:51], v[44:45], -v[52:53]
	v_add_f64 v[46:47], v[38:39], -v[44:45]
	;; [unrolled: 1-line block ×3, first 2 shown]
	v_add_f64 v[50:51], v[38:39], v[44:45]
	v_add_f64 v[48:49], v[38:39], -v[46:47]
	v_add_f64 v[38:39], v[50:51], -v[38:39]
	v_add_f64 v[52:53], v[40:41], v[42:43]
	v_add_f64 v[38:39], v[44:45], -v[38:39]
	v_add_f64 v[38:39], v[52:53], v[38:39]
	v_add_f64 v[48:49], v[48:49], -v[44:45]
	v_add_f64 v[44:45], v[50:51], v[38:39]
	v_rcp_f64_e32 v[52:53], v[44:45]
	v_add_f64 v[40:41], v[40:41], v[48:49]
	v_add_f64 v[40:41], v[40:41], -v[42:43]
	v_add_f64 v[42:43], v[46:47], v[40:41]
	v_fma_f64 v[48:49], -v[44:45], v[52:53], 1.0
	v_fmac_f64_e32 v[52:53], v[48:49], v[52:53]
	v_fma_f64 v[48:49], -v[44:45], v[52:53], 1.0
	v_fmac_f64_e32 v[52:53], v[48:49], v[52:53]
	v_mul_f64 v[48:49], v[42:43], v[52:53]
	v_mul_f64 v[54:55], v[44:45], v[48:49]
	v_add_f64 v[50:51], v[44:45], -v[50:51]
	v_add_f64 v[38:39], v[38:39], -v[50:51]
	v_fma_f64 v[44:45], v[48:49], v[44:45], -v[54:55]
	v_fmac_f64_e32 v[44:45], v[48:49], v[38:39]
	v_add_f64 v[38:39], v[54:55], v[44:45]
	v_add_f64 v[50:51], v[42:43], -v[38:39]
	v_add_f64 v[46:47], v[42:43], -v[46:47]
	;; [unrolled: 1-line block ×8, first 2 shown]
	v_add_f64 v[38:39], v[40:41], v[38:39]
	v_add_f64 v[38:39], v[50:51], v[38:39]
	v_mul_f64 v[38:39], v[52:53], v[38:39]
	v_add_f64 v[38:39], v[48:49], v[38:39]
	v_cmp_ngt_f64_e64 s[6:7], |v[30:31]|, s[34:35]
	v_and_b32_e32 v62, 0x7fffffff, v31
	v_cndmask_b32_e64 v39, v37, v39, s[6:7]
	v_cndmask_b32_e64 v38, 0, v38, s[6:7]
	v_cmp_lt_f64_e64 s[6:7], |v[30:31]|, s[20:21]
	v_cndmask_b32_e64 v30, v38, v30, s[6:7]
	v_cndmask_b32_e64 v38, v39, v62, s[6:7]
	v_bfi_b32 v31, s44, v38, v31
	global_store_dwordx2 v[2:3], v[30:31], off
	s_or_b64 exec, exec, s[8:9]
	s_and_saveexec_b64 s[6:7], s[2:3]
	s_cbranch_execz .LBB160_13
.LBB160_17:                             ;   in Loop: Header=BB160_4 Depth=1
	s_waitcnt vmcnt(0)
	v_mul_f64 v[30:31], |v[28:29]|, s[22:23]
	v_rndne_f64_e32 v[30:31], v[30:31]
	v_fma_f64 v[38:39], v[30:31], s[24:25], |v[28:29]|
	v_add_f64 v[40:41], v[38:39], 0
	v_mul_f64 v[42:43], v[30:31], s[26:27]
	v_add_f64 v[44:45], v[40:41], v[42:43]
	v_add_f64 v[38:39], v[38:39], -v[40:41]
	v_add_f64 v[40:41], v[40:41], -v[44:45]
	v_add_f64 v[38:39], v[38:39], 0
	v_add_f64 v[40:41], v[40:41], v[42:43]
	;; [unrolled: 1-line block ×4, first 2 shown]
	v_add_f64 v[42:43], v[44:45], -v[40:41]
	v_add_f64 v[38:39], v[38:39], v[42:43]
	v_mul_f64 v[42:43], v[30:31], s[28:29]
	v_add_f64 v[44:45], v[40:41], v[42:43]
	v_add_f64 v[40:41], v[40:41], -v[44:45]
	v_add_f64 v[40:41], v[40:41], v[42:43]
	v_add_f64 v[38:39], v[38:39], v[40:41]
	;; [unrolled: 1-line block ×3, first 2 shown]
	v_add_f64 v[42:43], v[44:45], -v[40:41]
	v_add_f64 v[38:39], v[38:39], v[42:43]
	v_pk_mov_b32 v[42:43], v[6:7], v[6:7] op_sel:[0,1]
	v_fmac_f64_e32 v[42:43], s[30:31], v[40:41]
	v_pk_mov_b32 v[44:45], v[8:9], v[8:9] op_sel:[0,1]
	v_fmac_f64_e32 v[44:45], v[40:41], v[42:43]
	v_pk_mov_b32 v[42:43], v[10:11], v[10:11] op_sel:[0,1]
	v_fmac_f64_e32 v[42:43], v[40:41], v[44:45]
	v_pk_mov_b32 v[44:45], v[12:13], v[12:13] op_sel:[0,1]
	v_fmac_f64_e32 v[44:45], v[40:41], v[42:43]
	v_pk_mov_b32 v[42:43], v[14:15], v[14:15] op_sel:[0,1]
	v_fmac_f64_e32 v[42:43], v[40:41], v[44:45]
	v_pk_mov_b32 v[44:45], v[16:17], v[16:17] op_sel:[0,1]
	v_fmac_f64_e32 v[44:45], v[40:41], v[42:43]
	v_pk_mov_b32 v[42:43], v[18:19], v[18:19] op_sel:[0,1]
	v_fmac_f64_e32 v[42:43], v[40:41], v[44:45]
	v_pk_mov_b32 v[44:45], v[20:21], v[20:21] op_sel:[0,1]
	v_fmac_f64_e32 v[44:45], v[40:41], v[42:43]
	v_pk_mov_b32 v[42:43], v[22:23], v[22:23] op_sel:[0,1]
	v_fmac_f64_e32 v[42:43], v[40:41], v[44:45]
	v_mul_f64 v[44:45], v[40:41], v[40:41]
	v_fma_f64 v[46:47], v[40:41], v[40:41], -v[44:45]
	v_add_f64 v[48:49], v[38:39], v[38:39]
	v_fmac_f64_e32 v[46:47], v[40:41], v[48:49]
	v_add_f64 v[48:49], v[44:45], v[46:47]
	v_add_f64 v[44:45], v[48:49], -v[44:45]
	v_add_f64 v[44:45], v[46:47], -v[44:45]
	v_mul_f64 v[46:47], v[48:49], v[42:43]
	v_fma_f64 v[48:49], v[48:49], v[42:43], -v[46:47]
	v_fmac_f64_e32 v[48:49], v[44:45], v[42:43]
	v_add_f64 v[42:43], v[46:47], v[48:49]
	v_add_f64 v[44:45], v[42:43], -v[46:47]
	v_add_f64 v[46:47], v[40:41], v[42:43]
	v_add_f64 v[44:45], v[48:49], -v[44:45]
	v_add_f64 v[40:41], v[46:47], -v[40:41]
	v_add_f64 v[40:41], v[42:43], -v[40:41]
	v_add_f64 v[38:39], v[38:39], v[44:45]
	v_add_f64 v[38:39], v[38:39], v[40:41]
	;; [unrolled: 1-line block ×3, first 2 shown]
	v_add_f64 v[42:43], v[40:41], -v[46:47]
	v_add_f64 v[38:39], v[38:39], -v[42:43]
	v_add_f64 v[42:43], v[40:41], 1.0
	v_add_f64 v[44:45], v[42:43], -1.0
	v_add_f64 v[40:41], v[40:41], -v[44:45]
	v_add_f64 v[38:39], v[38:39], v[40:41]
	v_add_f64 v[40:41], v[42:43], v[38:39]
	v_cvt_i32_f64_e32 v46, v[30:31]
	v_ldexp_f64 v[30:31], v[40:41], v46
	v_rcp_f64_e32 v[44:45], v[30:31]
	v_add_f64 v[40:41], v[40:41], -v[42:43]
	v_add_f64 v[38:39], v[38:39], -v[40:41]
	v_ldexp_f64 v[38:39], v[38:39], v46
	v_fma_f64 v[40:41], -v[30:31], v[44:45], 1.0
	v_fmac_f64_e32 v[44:45], v[40:41], v[44:45]
	v_fma_f64 v[40:41], -v[30:31], v[44:45], 1.0
	v_fmac_f64_e32 v[44:45], v[40:41], v[44:45]
	v_mul_f64 v[40:41], v[30:31], v[44:45]
	v_fma_f64 v[42:43], v[44:45], v[30:31], -v[40:41]
	v_fmac_f64_e32 v[42:43], v[44:45], v[38:39]
	v_add_f64 v[46:47], v[40:41], v[42:43]
	v_add_f64 v[48:49], -v[46:47], 1.0
	v_add_f64 v[40:41], v[46:47], -v[40:41]
	v_add_f64 v[50:51], -v[48:49], 1.0
	v_add_f64 v[46:47], v[50:51], -v[46:47]
	v_add_f64 v[40:41], v[40:41], -v[42:43]
	v_add_f64 v[40:41], v[40:41], v[46:47]
	v_add_f64 v[42:43], v[48:49], v[40:41]
	v_add_f64 v[46:47], v[48:49], -v[42:43]
	v_add_f64 v[40:41], v[40:41], v[46:47]
	v_mul_f64 v[46:47], v[44:45], v[42:43]
	v_mul_f64 v[48:49], v[30:31], v[46:47]
	v_fma_f64 v[50:51], v[46:47], v[30:31], -v[48:49]
	v_fmac_f64_e32 v[50:51], v[46:47], v[38:39]
	v_add_f64 v[52:53], v[48:49], v[50:51]
	v_add_f64 v[54:55], v[42:43], -v[52:53]
	v_add_f64 v[42:43], v[42:43], -v[54:55]
	;; [unrolled: 1-line block ×4, first 2 shown]
	v_add_f64 v[40:41], v[40:41], v[42:43]
	v_add_f64 v[42:43], v[48:49], -v[50:51]
	v_add_f64 v[40:41], v[42:43], v[40:41]
	v_add_f64 v[40:41], v[54:55], v[40:41]
	;; [unrolled: 1-line block ×3, first 2 shown]
	v_mul_f64 v[40:41], v[44:45], v[40:41]
	v_add_f64 v[44:45], v[42:43], -v[44:45]
	v_add_f64 v[44:45], v[46:47], -v[44:45]
	v_add_f64 v[40:41], v[44:45], v[40:41]
	v_add_f64 v[44:45], v[42:43], v[40:41]
	v_add_f64 v[42:43], v[44:45], -v[42:43]
	v_add_f64 v[40:41], v[40:41], -v[42:43]
	;; [unrolled: 1-line block ×4, first 2 shown]
	v_add_f64 v[50:51], v[30:31], v[44:45]
	v_add_f64 v[46:47], v[46:47], -v[44:45]
	v_add_f64 v[30:31], v[50:51], -v[30:31]
	v_add_f64 v[46:47], v[38:39], v[46:47]
	v_add_f64 v[30:31], v[44:45], -v[30:31]
	v_add_f64 v[38:39], v[38:39], v[40:41]
	v_add_f64 v[30:31], v[38:39], v[30:31]
	;; [unrolled: 1-line block ×3, first 2 shown]
	v_add_f64 v[46:47], v[46:47], -v[40:41]
	v_rcp_f64_e32 v[40:41], v[38:39]
	v_add_f64 v[44:45], v[38:39], -v[50:51]
	v_add_f64 v[30:31], v[30:31], -v[44:45]
	v_add_f64 v[48:49], v[42:43], v[46:47]
	v_fma_f64 v[44:45], -v[38:39], v[40:41], 1.0
	v_fmac_f64_e32 v[40:41], v[44:45], v[40:41]
	v_fma_f64 v[44:45], -v[38:39], v[40:41], 1.0
	v_fmac_f64_e32 v[40:41], v[44:45], v[40:41]
	v_add_f64 v[42:43], v[48:49], -v[42:43]
	v_mul_f64 v[44:45], v[48:49], v[40:41]
	v_add_f64 v[42:43], v[46:47], -v[42:43]
	v_mul_f64 v[46:47], v[38:39], v[44:45]
	v_fma_f64 v[38:39], v[44:45], v[38:39], -v[46:47]
	v_fmac_f64_e32 v[38:39], v[44:45], v[30:31]
	v_add_f64 v[30:31], v[46:47], v[38:39]
	v_add_f64 v[46:47], v[30:31], -v[46:47]
	v_add_f64 v[38:39], v[38:39], -v[46:47]
	;; [unrolled: 1-line block ×6, first 2 shown]
	v_add_f64 v[30:31], v[42:43], v[30:31]
	v_add_f64 v[30:31], v[46:47], v[30:31]
	v_mul_f64 v[30:31], v[40:41], v[30:31]
	v_add_f64 v[30:31], v[44:45], v[30:31]
	v_cmp_ngt_f64_e64 s[2:3], |v[28:29]|, s[34:35]
	v_and_b32_e32 v56, 0x7fffffff, v29
	v_cndmask_b32_e64 v31, v37, v31, s[2:3]
	v_cndmask_b32_e64 v30, 0, v30, s[2:3]
	v_cmp_lt_f64_e64 s[2:3], |v[28:29]|, s[20:21]
	v_cndmask_b32_e64 v28, v30, v28, s[2:3]
	v_cndmask_b32_e64 v30, v31, v56, s[2:3]
	v_bfi_b32 v29, s44, v30, v29
	global_store_dwordx2 v[4:5], v[28:29], off
	s_or_b64 exec, exec, s[6:7]
	s_and_saveexec_b64 s[2:3], s[0:1]
	s_cbranch_execz .LBB160_14
.LBB160_18:                             ;   in Loop: Header=BB160_4 Depth=1
	s_waitcnt vmcnt(0)
	v_mul_f64 v[28:29], |v[26:27]|, s[22:23]
	v_rndne_f64_e32 v[28:29], v[28:29]
	v_fma_f64 v[30:31], v[28:29], s[24:25], |v[26:27]|
	v_add_f64 v[38:39], v[30:31], 0
	v_mul_f64 v[40:41], v[28:29], s[26:27]
	v_add_f64 v[42:43], v[38:39], v[40:41]
	v_add_f64 v[30:31], v[30:31], -v[38:39]
	v_add_f64 v[38:39], v[38:39], -v[42:43]
	v_add_f64 v[30:31], v[30:31], 0
	v_add_f64 v[38:39], v[38:39], v[40:41]
	;; [unrolled: 1-line block ×4, first 2 shown]
	v_add_f64 v[40:41], v[42:43], -v[38:39]
	v_add_f64 v[30:31], v[30:31], v[40:41]
	v_mul_f64 v[40:41], v[28:29], s[28:29]
	v_add_f64 v[42:43], v[38:39], v[40:41]
	v_add_f64 v[38:39], v[38:39], -v[42:43]
	v_add_f64 v[38:39], v[38:39], v[40:41]
	v_add_f64 v[30:31], v[30:31], v[38:39]
	;; [unrolled: 1-line block ×3, first 2 shown]
	v_add_f64 v[40:41], v[42:43], -v[38:39]
	v_add_f64 v[30:31], v[30:31], v[40:41]
	v_pk_mov_b32 v[40:41], v[6:7], v[6:7] op_sel:[0,1]
	v_fmac_f64_e32 v[40:41], s[30:31], v[38:39]
	v_pk_mov_b32 v[42:43], v[8:9], v[8:9] op_sel:[0,1]
	v_fmac_f64_e32 v[42:43], v[38:39], v[40:41]
	;; [unrolled: 2-line block ×9, first 2 shown]
	v_mul_f64 v[42:43], v[38:39], v[38:39]
	v_fma_f64 v[44:45], v[38:39], v[38:39], -v[42:43]
	v_add_f64 v[46:47], v[30:31], v[30:31]
	v_fmac_f64_e32 v[44:45], v[38:39], v[46:47]
	v_add_f64 v[46:47], v[42:43], v[44:45]
	v_add_f64 v[42:43], v[46:47], -v[42:43]
	v_add_f64 v[42:43], v[44:45], -v[42:43]
	v_mul_f64 v[44:45], v[46:47], v[40:41]
	v_fma_f64 v[46:47], v[46:47], v[40:41], -v[44:45]
	v_fmac_f64_e32 v[46:47], v[42:43], v[40:41]
	v_add_f64 v[40:41], v[44:45], v[46:47]
	v_add_f64 v[42:43], v[40:41], -v[44:45]
	v_add_f64 v[44:45], v[38:39], v[40:41]
	v_add_f64 v[42:43], v[46:47], -v[42:43]
	v_add_f64 v[38:39], v[44:45], -v[38:39]
	;; [unrolled: 1-line block ×3, first 2 shown]
	v_add_f64 v[30:31], v[30:31], v[42:43]
	v_add_f64 v[30:31], v[30:31], v[38:39]
	;; [unrolled: 1-line block ×3, first 2 shown]
	v_add_f64 v[40:41], v[38:39], -v[44:45]
	v_add_f64 v[30:31], v[30:31], -v[40:41]
	v_add_f64 v[40:41], v[38:39], 1.0
	v_add_f64 v[42:43], v[40:41], -1.0
	v_add_f64 v[38:39], v[38:39], -v[42:43]
	v_add_f64 v[30:31], v[30:31], v[38:39]
	v_add_f64 v[38:39], v[40:41], v[30:31]
	v_cvt_i32_f64_e32 v44, v[28:29]
	v_ldexp_f64 v[28:29], v[38:39], v44
	v_rcp_f64_e32 v[42:43], v[28:29]
	v_add_f64 v[38:39], v[38:39], -v[40:41]
	v_add_f64 v[30:31], v[30:31], -v[38:39]
	v_ldexp_f64 v[30:31], v[30:31], v44
	v_fma_f64 v[38:39], -v[28:29], v[42:43], 1.0
	v_fmac_f64_e32 v[42:43], v[38:39], v[42:43]
	v_fma_f64 v[38:39], -v[28:29], v[42:43], 1.0
	v_fmac_f64_e32 v[42:43], v[38:39], v[42:43]
	v_mul_f64 v[38:39], v[28:29], v[42:43]
	v_fma_f64 v[40:41], v[42:43], v[28:29], -v[38:39]
	v_fmac_f64_e32 v[40:41], v[42:43], v[30:31]
	v_add_f64 v[44:45], v[38:39], v[40:41]
	v_add_f64 v[46:47], -v[44:45], 1.0
	v_add_f64 v[38:39], v[44:45], -v[38:39]
	v_add_f64 v[48:49], -v[46:47], 1.0
	v_add_f64 v[44:45], v[48:49], -v[44:45]
	v_add_f64 v[38:39], v[38:39], -v[40:41]
	v_add_f64 v[38:39], v[38:39], v[44:45]
	v_add_f64 v[40:41], v[46:47], v[38:39]
	v_add_f64 v[44:45], v[46:47], -v[40:41]
	v_add_f64 v[38:39], v[38:39], v[44:45]
	v_mul_f64 v[44:45], v[42:43], v[40:41]
	v_mul_f64 v[46:47], v[28:29], v[44:45]
	v_fma_f64 v[48:49], v[44:45], v[28:29], -v[46:47]
	v_fmac_f64_e32 v[48:49], v[44:45], v[30:31]
	v_add_f64 v[50:51], v[46:47], v[48:49]
	v_add_f64 v[52:53], v[40:41], -v[50:51]
	v_add_f64 v[40:41], v[40:41], -v[52:53]
	;; [unrolled: 1-line block ×4, first 2 shown]
	v_add_f64 v[38:39], v[38:39], v[40:41]
	v_add_f64 v[40:41], v[46:47], -v[48:49]
	v_add_f64 v[38:39], v[40:41], v[38:39]
	v_add_f64 v[38:39], v[52:53], v[38:39]
	;; [unrolled: 1-line block ×3, first 2 shown]
	v_mul_f64 v[38:39], v[42:43], v[38:39]
	v_add_f64 v[42:43], v[40:41], -v[42:43]
	v_add_f64 v[42:43], v[44:45], -v[42:43]
	v_add_f64 v[38:39], v[42:43], v[38:39]
	v_add_f64 v[42:43], v[40:41], v[38:39]
	v_add_f64 v[40:41], v[42:43], -v[40:41]
	v_add_f64 v[38:39], v[38:39], -v[40:41]
	;; [unrolled: 1-line block ×4, first 2 shown]
	v_add_f64 v[48:49], v[28:29], v[42:43]
	v_add_f64 v[44:45], v[44:45], -v[42:43]
	v_add_f64 v[28:29], v[48:49], -v[28:29]
	v_add_f64 v[44:45], v[30:31], v[44:45]
	v_add_f64 v[28:29], v[42:43], -v[28:29]
	v_add_f64 v[30:31], v[30:31], v[38:39]
	v_add_f64 v[28:29], v[30:31], v[28:29]
	v_add_f64 v[30:31], v[48:49], v[28:29]
	v_add_f64 v[44:45], v[44:45], -v[38:39]
	v_rcp_f64_e32 v[38:39], v[30:31]
	v_add_f64 v[42:43], v[30:31], -v[48:49]
	v_add_f64 v[28:29], v[28:29], -v[42:43]
	v_add_f64 v[46:47], v[40:41], v[44:45]
	v_fma_f64 v[42:43], -v[30:31], v[38:39], 1.0
	v_fmac_f64_e32 v[38:39], v[42:43], v[38:39]
	v_fma_f64 v[42:43], -v[30:31], v[38:39], 1.0
	v_fmac_f64_e32 v[38:39], v[42:43], v[38:39]
	v_add_f64 v[40:41], v[46:47], -v[40:41]
	v_mul_f64 v[42:43], v[46:47], v[38:39]
	v_add_f64 v[40:41], v[44:45], -v[40:41]
	v_mul_f64 v[44:45], v[30:31], v[42:43]
	v_fma_f64 v[30:31], v[42:43], v[30:31], -v[44:45]
	v_fmac_f64_e32 v[30:31], v[42:43], v[28:29]
	v_add_f64 v[28:29], v[44:45], v[30:31]
	v_add_f64 v[44:45], v[28:29], -v[44:45]
	v_add_f64 v[30:31], v[30:31], -v[44:45]
	;; [unrolled: 1-line block ×6, first 2 shown]
	v_add_f64 v[28:29], v[40:41], v[28:29]
	v_add_f64 v[28:29], v[44:45], v[28:29]
	v_mul_f64 v[28:29], v[38:39], v[28:29]
	v_add_f64 v[28:29], v[42:43], v[28:29]
	v_cmp_ngt_f64_e64 s[0:1], |v[26:27]|, s[34:35]
	v_and_b32_e32 v54, 0x7fffffff, v27
	v_cndmask_b32_e64 v29, v37, v29, s[0:1]
	v_cndmask_b32_e64 v28, 0, v28, s[0:1]
	v_cmp_lt_f64_e64 s[0:1], |v[26:27]|, s[20:21]
	v_cndmask_b32_e64 v26, v28, v26, s[0:1]
	v_cndmask_b32_e64 v28, v29, v54, s[0:1]
	v_bfi_b32 v27, s44, v28, v27
	v_mov_b32_e32 v29, s43
	v_add_co_u32_e64 v28, s[0:1], s42, v2
	v_addc_co_u32_e64 v29, s[0:1], v3, v29, s[0:1]
	global_store_dwordx2 v[28:29], v[26:27], off
	s_or_b64 exec, exec, s[2:3]
	s_and_saveexec_b64 s[0:1], vcc
	s_cbranch_execz .LBB160_3
.LBB160_19:                             ;   in Loop: Header=BB160_4 Depth=1
	s_waitcnt vmcnt(0)
	v_mul_f64 v[26:27], |v[24:25]|, s[22:23]
	v_rndne_f64_e32 v[26:27], v[26:27]
	v_fma_f64 v[28:29], v[26:27], s[24:25], |v[24:25]|
	v_add_f64 v[30:31], v[28:29], 0
	v_mul_f64 v[38:39], v[26:27], s[26:27]
	v_add_f64 v[40:41], v[30:31], v[38:39]
	v_add_f64 v[28:29], v[28:29], -v[30:31]
	v_add_f64 v[30:31], v[30:31], -v[40:41]
	v_add_f64 v[28:29], v[28:29], 0
	v_add_f64 v[30:31], v[30:31], v[38:39]
	;; [unrolled: 1-line block ×4, first 2 shown]
	v_add_f64 v[38:39], v[40:41], -v[30:31]
	v_add_f64 v[28:29], v[28:29], v[38:39]
	v_mul_f64 v[38:39], v[26:27], s[28:29]
	v_add_f64 v[40:41], v[30:31], v[38:39]
	v_add_f64 v[30:31], v[30:31], -v[40:41]
	v_add_f64 v[30:31], v[30:31], v[38:39]
	v_add_f64 v[28:29], v[28:29], v[30:31]
	;; [unrolled: 1-line block ×3, first 2 shown]
	v_add_f64 v[38:39], v[40:41], -v[30:31]
	v_add_f64 v[28:29], v[28:29], v[38:39]
	v_pk_mov_b32 v[38:39], v[6:7], v[6:7] op_sel:[0,1]
	v_fmac_f64_e32 v[38:39], s[30:31], v[30:31]
	v_pk_mov_b32 v[40:41], v[8:9], v[8:9] op_sel:[0,1]
	v_fmac_f64_e32 v[40:41], v[30:31], v[38:39]
	;; [unrolled: 2-line block ×9, first 2 shown]
	v_mul_f64 v[40:41], v[30:31], v[30:31]
	v_fma_f64 v[42:43], v[30:31], v[30:31], -v[40:41]
	v_add_f64 v[44:45], v[28:29], v[28:29]
	v_fmac_f64_e32 v[42:43], v[30:31], v[44:45]
	v_add_f64 v[44:45], v[40:41], v[42:43]
	v_add_f64 v[40:41], v[44:45], -v[40:41]
	v_add_f64 v[40:41], v[42:43], -v[40:41]
	v_mul_f64 v[42:43], v[44:45], v[38:39]
	v_fma_f64 v[44:45], v[44:45], v[38:39], -v[42:43]
	v_fmac_f64_e32 v[44:45], v[40:41], v[38:39]
	v_add_f64 v[38:39], v[42:43], v[44:45]
	v_add_f64 v[40:41], v[38:39], -v[42:43]
	v_add_f64 v[42:43], v[30:31], v[38:39]
	v_add_f64 v[40:41], v[44:45], -v[40:41]
	v_add_f64 v[30:31], v[42:43], -v[30:31]
	v_add_f64 v[30:31], v[38:39], -v[30:31]
	v_add_f64 v[28:29], v[28:29], v[40:41]
	v_add_f64 v[28:29], v[28:29], v[30:31]
	;; [unrolled: 1-line block ×3, first 2 shown]
	v_add_f64 v[38:39], v[30:31], -v[42:43]
	v_add_f64 v[28:29], v[28:29], -v[38:39]
	v_add_f64 v[38:39], v[30:31], 1.0
	v_add_f64 v[40:41], v[38:39], -1.0
	v_add_f64 v[30:31], v[30:31], -v[40:41]
	v_add_f64 v[28:29], v[28:29], v[30:31]
	v_add_f64 v[30:31], v[38:39], v[28:29]
	v_cvt_i32_f64_e32 v42, v[26:27]
	v_ldexp_f64 v[26:27], v[30:31], v42
	v_rcp_f64_e32 v[40:41], v[26:27]
	v_add_f64 v[30:31], v[30:31], -v[38:39]
	v_add_f64 v[28:29], v[28:29], -v[30:31]
	v_ldexp_f64 v[28:29], v[28:29], v42
	v_fma_f64 v[30:31], -v[26:27], v[40:41], 1.0
	v_fmac_f64_e32 v[40:41], v[30:31], v[40:41]
	v_fma_f64 v[30:31], -v[26:27], v[40:41], 1.0
	v_fmac_f64_e32 v[40:41], v[30:31], v[40:41]
	v_mul_f64 v[30:31], v[26:27], v[40:41]
	v_fma_f64 v[38:39], v[40:41], v[26:27], -v[30:31]
	v_fmac_f64_e32 v[38:39], v[40:41], v[28:29]
	v_add_f64 v[42:43], v[30:31], v[38:39]
	v_add_f64 v[44:45], -v[42:43], 1.0
	v_add_f64 v[30:31], v[42:43], -v[30:31]
	v_add_f64 v[46:47], -v[44:45], 1.0
	v_add_f64 v[42:43], v[46:47], -v[42:43]
	v_add_f64 v[30:31], v[30:31], -v[38:39]
	v_add_f64 v[30:31], v[30:31], v[42:43]
	v_add_f64 v[38:39], v[44:45], v[30:31]
	v_add_f64 v[42:43], v[44:45], -v[38:39]
	v_add_f64 v[30:31], v[30:31], v[42:43]
	v_mul_f64 v[42:43], v[40:41], v[38:39]
	v_mul_f64 v[44:45], v[26:27], v[42:43]
	v_fma_f64 v[46:47], v[42:43], v[26:27], -v[44:45]
	v_fmac_f64_e32 v[46:47], v[42:43], v[28:29]
	v_add_f64 v[48:49], v[44:45], v[46:47]
	v_add_f64 v[50:51], v[38:39], -v[48:49]
	v_add_f64 v[38:39], v[38:39], -v[50:51]
	;; [unrolled: 1-line block ×4, first 2 shown]
	v_add_f64 v[30:31], v[30:31], v[38:39]
	v_add_f64 v[38:39], v[44:45], -v[46:47]
	v_add_f64 v[30:31], v[38:39], v[30:31]
	v_add_f64 v[30:31], v[50:51], v[30:31]
	;; [unrolled: 1-line block ×3, first 2 shown]
	v_mul_f64 v[30:31], v[40:41], v[30:31]
	v_add_f64 v[40:41], v[38:39], -v[40:41]
	v_add_f64 v[40:41], v[42:43], -v[40:41]
	v_add_f64 v[30:31], v[40:41], v[30:31]
	v_add_f64 v[40:41], v[38:39], v[30:31]
	v_add_f64 v[38:39], v[40:41], -v[38:39]
	v_add_f64 v[30:31], v[30:31], -v[38:39]
	;; [unrolled: 1-line block ×4, first 2 shown]
	v_add_f64 v[46:47], v[26:27], v[40:41]
	v_add_f64 v[42:43], v[42:43], -v[40:41]
	v_add_f64 v[26:27], v[46:47], -v[26:27]
	v_add_f64 v[42:43], v[28:29], v[42:43]
	v_add_f64 v[26:27], v[40:41], -v[26:27]
	v_add_f64 v[28:29], v[28:29], v[30:31]
	v_add_f64 v[26:27], v[28:29], v[26:27]
	;; [unrolled: 1-line block ×3, first 2 shown]
	v_add_f64 v[42:43], v[42:43], -v[30:31]
	v_rcp_f64_e32 v[30:31], v[28:29]
	v_add_f64 v[40:41], v[28:29], -v[46:47]
	v_add_f64 v[26:27], v[26:27], -v[40:41]
	v_add_f64 v[44:45], v[38:39], v[42:43]
	v_fma_f64 v[40:41], -v[28:29], v[30:31], 1.0
	v_fmac_f64_e32 v[30:31], v[40:41], v[30:31]
	v_fma_f64 v[40:41], -v[28:29], v[30:31], 1.0
	v_fmac_f64_e32 v[30:31], v[40:41], v[30:31]
	v_add_f64 v[38:39], v[44:45], -v[38:39]
	v_mul_f64 v[40:41], v[44:45], v[30:31]
	v_add_f64 v[38:39], v[42:43], -v[38:39]
	v_mul_f64 v[42:43], v[28:29], v[40:41]
	v_fma_f64 v[28:29], v[40:41], v[28:29], -v[42:43]
	v_fmac_f64_e32 v[28:29], v[40:41], v[26:27]
	v_add_f64 v[26:27], v[42:43], v[28:29]
	v_add_f64 v[42:43], v[26:27], -v[42:43]
	v_add_f64 v[28:29], v[28:29], -v[42:43]
	;; [unrolled: 1-line block ×6, first 2 shown]
	v_add_f64 v[26:27], v[38:39], v[26:27]
	v_add_f64 v[26:27], v[42:43], v[26:27]
	v_mul_f64 v[26:27], v[30:31], v[26:27]
	v_add_f64 v[26:27], v[40:41], v[26:27]
	v_cmp_ngt_f64_e64 vcc, |v[24:25]|, s[34:35]
	v_and_b32_e32 v52, 0x7fffffff, v25
	v_cndmask_b32_e32 v27, v37, v27, vcc
	v_cndmask_b32_e32 v26, 0, v26, vcc
	v_cmp_lt_f64_e64 vcc, |v[24:25]|, s[20:21]
	v_cndmask_b32_e32 v24, v26, v24, vcc
	v_cndmask_b32_e32 v26, v27, v52, vcc
	v_bfi_b32 v25, s44, v26, v25
	v_mov_b32_e32 v27, s41
	v_add_co_u32_e32 v26, vcc, s40, v2
	v_addc_co_u32_e32 v27, vcc, v3, v27, vcc
	global_store_dwordx2 v[26:27], v[24:25], off
	s_branch .LBB160_3
.LBB160_20:
	s_cbranch_execz .LBB160_22
	s_branch .LBB160_25
.LBB160_21:
.LBB160_22:
	v_mov_b32_e32 v9, 0
	v_lshlrev_b32_e32 v8, 2, v0
	s_mov_b32 s0, 0
	v_cmp_gt_i64_e32 vcc, s[10:11], v[8:9]
	s_and_saveexec_b64 s[2:3], vcc
	s_cbranch_execz .LBB160_25
; %bb.23:
	s_load_dword s1, s[4:5], 0xd3c
	v_lshlrev_b32_e32 v1, 5, v0
	s_mov_b32 s16, 0xfca7ab0c
	s_mov_b32 s17, 0x3e928af3
	;; [unrolled: 1-line block ×3, first 2 shown]
	s_waitcnt lgkmcnt(0)
	s_and_b32 s1, s1, 0xffff
	s_lshl_b32 s33, s1, 2
	s_add_u32 s2, s12, s14
	s_addc_u32 s3, s13, s15
	v_add_lshl_u32 v8, v0, s1, 2
	v_mov_b32_e32 v0, s3
	v_add_co_u32_e32 v1, vcc, s2, v1
	v_addc_co_u32_e32 v0, vcc, 0, v0, vcc
	v_add_co_u32_e32 v10, vcc, 16, v1
	s_mov_b32 s6, 0xfefa3000
	s_mov_b32 s8, 0xf278e000
	;; [unrolled: 1-line block ×4, first 2 shown]
	v_pk_mov_b32 v[12:13], s[16:17], s[16:17] op_sel:[0,1]
	s_mov_b32 s16, 0x623fde64
	s_mov_b32 s18, 0x7c89e6b0
	;; [unrolled: 1-line block ×10, first 2 shown]
	v_addc_co_u32_e32 v11, vcc, 0, v0, vcc
	s_lshl_b32 s40, s1, 5
	s_mov_b64 s[2:3], 0
	s_brev_b32 s41, -2
	s_mov_b32 s5, 0x3ff71547
	s_mov_b32 s7, 0xbfe62e42
	;; [unrolled: 1-line block ×14, first 2 shown]
	v_mov_b32_e32 v14, 0x3ff00000
	s_mov_b32 s37, 0x3e400000
	s_mov_b64 s[38:39], 0xffff
	v_mov_b32_e32 v15, s0
	v_mov_b32_e32 v16, s0
.LBB160_24:                             ; =>This Inner Loop Header: Depth=1
	global_load_dwordx4 v[4:7], v[10:11], off offset:-16
	global_load_dwordx4 v[0:3], v[10:11], off
	v_cmp_lt_u64_e64 s[0:1], s[38:39], v[8:9]
	s_waitcnt vmcnt(1)
	v_mul_f64 v[18:19], |v[4:5]|, s[4:5]
	v_rndne_f64_e32 v[18:19], v[18:19]
	v_fma_f64 v[22:23], v[18:19], s[6:7], |v[4:5]|
	v_mul_f64 v[20:21], |v[6:7]|, s[4:5]
	v_mul_f64 v[24:25], v[18:19], s[8:9]
	v_add_f64 v[32:33], v[22:23], 0
	v_rndne_f64_e32 v[20:21], v[20:21]
	v_add_f64 v[36:37], v[32:33], -v[24:25]
	v_mul_f64 v[26:27], v[18:19], s[12:13]
	v_cvt_i32_f64_e32 v40, v[18:19]
	v_fma_f64 v[18:19], v[20:21], s[6:7], |v[6:7]|
	v_add_f64 v[22:23], v[22:23], -v[32:33]
	v_add_f64 v[32:33], v[32:33], -v[36:37]
	v_mul_f64 v[28:29], v[20:21], s[8:9]
	v_add_f64 v[34:35], v[18:19], 0
	v_add_f64 v[22:23], v[22:23], 0
	v_add_f64 v[24:25], v[32:33], -v[24:25]
	v_add_f64 v[38:39], v[34:35], -v[28:29]
	v_add_f64 v[22:23], v[22:23], v[24:25]
	v_add_f64 v[18:19], v[18:19], -v[34:35]
	v_add_f64 v[34:35], v[34:35], -v[38:39]
	v_add_f64 v[24:25], v[36:37], v[22:23]
	v_add_f64 v[18:19], v[18:19], 0
	v_add_f64 v[28:29], v[34:35], -v[28:29]
	v_add_f64 v[34:35], v[24:25], -v[26:27]
	v_add_f64 v[18:19], v[18:19], v[28:29]
	v_add_f64 v[32:33], v[36:37], -v[24:25]
	v_add_f64 v[24:25], v[24:25], -v[34:35]
	v_mul_f64 v[30:31], v[20:21], s[12:13]
	v_add_f64 v[28:29], v[38:39], v[18:19]
	v_add_f64 v[22:23], v[22:23], v[32:33]
	v_add_f64 v[24:25], v[24:25], -v[26:27]
	v_add_f64 v[36:37], v[38:39], -v[28:29]
	;; [unrolled: 1-line block ×3, first 2 shown]
	v_add_f64 v[22:23], v[22:23], v[24:25]
	v_add_f64 v[28:29], v[28:29], -v[38:39]
	v_add_f64 v[24:25], v[34:35], v[22:23]
	v_add_f64 v[18:19], v[18:19], v[36:37]
	v_add_f64 v[26:27], v[28:29], -v[30:31]
	v_add_f64 v[28:29], v[34:35], -v[24:25]
	v_fma_f64 v[30:31], s[14:15], v[24:25], v[12:13]
	v_add_f64 v[18:19], v[18:19], v[26:27]
	v_add_f64 v[22:23], v[22:23], v[28:29]
	v_fma_f64 v[28:29], v[24:25], v[30:31], s[16:17]
	v_add_f64 v[26:27], v[38:39], v[18:19]
	v_fma_f64 v[28:29], v[24:25], v[28:29], s[18:19]
	v_add_f64 v[34:35], v[38:39], -v[26:27]
	v_fma_f64 v[36:37], s[14:15], v[26:27], v[12:13]
	v_fma_f64 v[28:29], v[24:25], v[28:29], s[20:21]
	v_mul_f64 v[32:33], v[24:25], v[24:25]
	v_add_f64 v[18:19], v[18:19], v[34:35]
	v_fma_f64 v[34:35], v[26:27], v[36:37], s[16:17]
	v_fma_f64 v[28:29], v[24:25], v[28:29], s[22:23]
	v_fma_f64 v[30:31], v[24:25], v[24:25], -v[32:33]
	v_add_f64 v[36:37], v[22:23], v[22:23]
	v_fma_f64 v[34:35], v[26:27], v[34:35], s[18:19]
	v_fma_f64 v[28:29], v[24:25], v[28:29], s[24:25]
	v_fmac_f64_e32 v[30:31], v[24:25], v[36:37]
	v_fma_f64 v[34:35], v[26:27], v[34:35], s[20:21]
	v_fma_f64 v[28:29], v[24:25], v[28:29], s[26:27]
	v_add_f64 v[36:37], v[32:33], v[30:31]
	v_fma_f64 v[34:35], v[26:27], v[34:35], s[22:23]
	v_fma_f64 v[28:29], v[24:25], v[28:29], s[28:29]
	v_add_f64 v[32:33], v[36:37], -v[32:33]
	v_fma_f64 v[34:35], v[26:27], v[34:35], s[24:25]
	v_fma_f64 v[28:29], v[24:25], v[28:29], s[30:31]
	v_add_f64 v[30:31], v[30:31], -v[32:33]
	v_fma_f64 v[32:33], v[26:27], v[34:35], s[26:27]
	v_mul_f64 v[34:35], v[36:37], v[28:29]
	v_fma_f64 v[36:37], v[36:37], v[28:29], -v[34:35]
	v_fmac_f64_e32 v[36:37], v[30:31], v[28:29]
	v_add_f64 v[28:29], v[34:35], v[36:37]
	v_add_f64 v[30:31], v[28:29], -v[34:35]
	v_add_f64 v[34:35], v[24:25], v[28:29]
	v_add_f64 v[30:31], v[36:37], -v[30:31]
	v_add_f64 v[24:25], v[34:35], -v[24:25]
	;; [unrolled: 1-line block ×3, first 2 shown]
	v_add_f64 v[22:23], v[22:23], v[30:31]
	v_add_f64 v[22:23], v[22:23], v[24:25]
	v_add_f64 v[24:25], v[34:35], v[22:23]
	v_add_f64 v[28:29], v[24:25], -v[34:35]
	v_add_f64 v[30:31], v[24:25], 1.0
	v_add_f64 v[22:23], v[22:23], -v[28:29]
	v_add_f64 v[28:29], v[30:31], -1.0
	v_add_f64 v[24:25], v[24:25], -v[28:29]
	v_add_f64 v[22:23], v[22:23], v[24:25]
	v_add_f64 v[24:25], v[30:31], v[22:23]
	v_ldexp_f64 v[28:29], v[24:25], v40
	v_rcp_f64_e32 v[34:35], v[28:29]
	v_add_f64 v[24:25], v[24:25], -v[30:31]
	v_add_f64 v[22:23], v[22:23], -v[24:25]
	v_ldexp_f64 v[22:23], v[22:23], v40
	v_fma_f64 v[24:25], -v[28:29], v[34:35], 1.0
	v_fmac_f64_e32 v[34:35], v[24:25], v[34:35]
	v_fma_f64 v[24:25], -v[28:29], v[34:35], 1.0
	v_fmac_f64_e32 v[34:35], v[24:25], v[34:35]
	v_mul_f64 v[24:25], v[28:29], v[34:35]
	v_fma_f64 v[30:31], v[34:35], v[28:29], -v[24:25]
	v_fmac_f64_e32 v[30:31], v[34:35], v[22:23]
	v_add_f64 v[36:37], v[24:25], v[30:31]
	v_add_f64 v[38:39], -v[36:37], 1.0
	v_add_f64 v[24:25], v[36:37], -v[24:25]
	v_add_f64 v[40:41], -v[38:39], 1.0
	v_add_f64 v[24:25], v[24:25], -v[30:31]
	v_add_f64 v[30:31], v[40:41], -v[36:37]
	v_add_f64 v[24:25], v[24:25], v[30:31]
	v_add_f64 v[30:31], v[38:39], v[24:25]
	v_add_f64 v[36:37], v[38:39], -v[30:31]
	v_mul_f64 v[38:39], v[34:35], v[30:31]
	v_add_f64 v[24:25], v[24:25], v[36:37]
	v_mul_f64 v[36:37], v[28:29], v[38:39]
	v_add_f64 v[40:41], v[34:35], v[38:39]
	v_fma_f64 v[42:43], v[38:39], v[28:29], -v[36:37]
	v_add_f64 v[44:45], v[40:41], -v[34:35]
	v_fmac_f64_e32 v[42:43], v[38:39], v[22:23]
	v_add_f64 v[38:39], v[38:39], -v[44:45]
	v_add_f64 v[44:45], v[36:37], v[42:43]
	v_add_f64 v[46:47], v[30:31], -v[44:45]
	v_add_f64 v[30:31], v[30:31], -v[46:47]
	v_add_f64 v[36:37], v[44:45], -v[36:37]
	v_add_f64 v[30:31], v[30:31], -v[44:45]
	v_add_f64 v[36:37], v[36:37], -v[42:43]
	v_add_f64 v[24:25], v[24:25], v[30:31]
	v_add_f64 v[24:25], v[36:37], v[24:25]
	v_add_f64 v[24:25], v[46:47], v[24:25]
	v_mul_f64 v[24:25], v[34:35], v[24:25]
	v_add_f64 v[24:25], v[38:39], v[24:25]
	v_add_f64 v[30:31], v[40:41], v[24:25]
	v_add_f64 v[34:35], v[30:31], -v[40:41]
	v_add_f64 v[36:37], v[28:29], -v[30:31]
	v_add_f64 v[38:39], v[28:29], v[30:31]
	v_add_f64 v[24:25], v[24:25], -v[34:35]
	v_add_f64 v[34:35], v[28:29], -v[36:37]
	;; [unrolled: 1-line block ×5, first 2 shown]
	v_add_f64 v[30:31], v[22:23], v[24:25]
	v_add_f64 v[22:23], v[22:23], v[34:35]
	;; [unrolled: 1-line block ×3, first 2 shown]
	v_add_f64 v[22:23], v[22:23], -v[24:25]
	v_add_f64 v[24:25], v[38:39], v[28:29]
	v_add_f64 v[34:35], v[24:25], -v[38:39]
	v_rcp_f64_e32 v[38:39], v[24:25]
	v_add_f64 v[28:29], v[28:29], -v[34:35]
	v_add_f64 v[30:31], v[36:37], v[22:23]
	v_add_f64 v[36:37], v[30:31], -v[36:37]
	v_fma_f64 v[34:35], -v[24:25], v[38:39], 1.0
	v_fmac_f64_e32 v[38:39], v[34:35], v[38:39]
	v_fma_f64 v[34:35], -v[24:25], v[38:39], 1.0
	v_fmac_f64_e32 v[38:39], v[34:35], v[38:39]
	v_mul_f64 v[34:35], v[30:31], v[38:39]
	v_add_f64 v[22:23], v[22:23], -v[36:37]
	v_mul_f64 v[36:37], v[24:25], v[34:35]
	v_fma_f64 v[24:25], v[34:35], v[24:25], -v[36:37]
	v_fmac_f64_e32 v[24:25], v[34:35], v[28:29]
	v_add_f64 v[28:29], v[36:37], v[24:25]
	v_add_f64 v[40:41], v[30:31], -v[28:29]
	v_add_f64 v[36:37], v[28:29], -v[36:37]
	;; [unrolled: 1-line block ×6, first 2 shown]
	v_add_f64 v[22:23], v[22:23], v[24:25]
	v_add_f64 v[22:23], v[40:41], v[22:23]
	v_mul_f64 v[24:25], v[26:27], v[26:27]
	v_mul_f64 v[22:23], v[38:39], v[22:23]
	v_fma_f64 v[28:29], v[26:27], v[26:27], -v[24:25]
	v_add_f64 v[30:31], v[18:19], v[18:19]
	v_add_f64 v[22:23], v[34:35], v[22:23]
	v_cmp_ngt_f64_e64 vcc, |v[4:5]|, s[34:35]
	v_fmac_f64_e32 v[28:29], v[26:27], v[30:31]
	v_and_b32_e32 v17, 0x7fffffff, v5
	v_fma_f64 v[32:33], v[26:27], v[32:33], s[28:29]
	v_cndmask_b32_e32 v23, v14, v23, vcc
	v_cndmask_b32_e32 v22, 0, v22, vcc
	v_cmp_lt_f64_e64 vcc, |v[4:5]|, s[36:37]
	v_add_f64 v[30:31], v[24:25], v[28:29]
	v_cndmask_b32_e32 v4, v22, v4, vcc
	v_cndmask_b32_e32 v17, v23, v17, vcc
	v_fma_f64 v[22:23], v[26:27], v[32:33], s[30:31]
	v_add_f64 v[24:25], v[30:31], -v[24:25]
	v_add_f64 v[24:25], v[28:29], -v[24:25]
	v_mul_f64 v[28:29], v[30:31], v[22:23]
	v_fma_f64 v[30:31], v[30:31], v[22:23], -v[28:29]
	v_fmac_f64_e32 v[30:31], v[24:25], v[22:23]
	v_add_f64 v[22:23], v[28:29], v[30:31]
	v_add_f64 v[24:25], v[22:23], -v[28:29]
	v_add_f64 v[28:29], v[26:27], v[22:23]
	v_add_f64 v[24:25], v[30:31], -v[24:25]
	v_add_f64 v[26:27], v[28:29], -v[26:27]
	;; [unrolled: 1-line block ×3, first 2 shown]
	v_add_f64 v[18:19], v[18:19], v[24:25]
	v_add_f64 v[18:19], v[18:19], v[22:23]
	;; [unrolled: 1-line block ×3, first 2 shown]
	v_add_f64 v[24:25], v[22:23], -v[28:29]
	v_add_f64 v[18:19], v[18:19], -v[24:25]
	v_add_f64 v[24:25], v[22:23], 1.0
	v_add_f64 v[26:27], v[24:25], -1.0
	v_add_f64 v[22:23], v[22:23], -v[26:27]
	v_add_f64 v[18:19], v[18:19], v[22:23]
	v_bfi_b32 v5, s41, v17, v5
	v_add_f64 v[22:23], v[24:25], v[18:19]
	v_cvt_i32_f64_e32 v17, v[20:21]
	v_ldexp_f64 v[20:21], v[22:23], v17
	v_rcp_f64_e32 v[26:27], v[20:21]
	v_add_f64 v[22:23], v[22:23], -v[24:25]
	v_add_f64 v[18:19], v[18:19], -v[22:23]
	v_ldexp_f64 v[18:19], v[18:19], v17
	v_fma_f64 v[22:23], -v[20:21], v[26:27], 1.0
	v_fmac_f64_e32 v[26:27], v[22:23], v[26:27]
	v_fma_f64 v[22:23], -v[20:21], v[26:27], 1.0
	v_fmac_f64_e32 v[26:27], v[22:23], v[26:27]
	v_mul_f64 v[22:23], v[20:21], v[26:27]
	v_fma_f64 v[24:25], v[26:27], v[20:21], -v[22:23]
	v_fmac_f64_e32 v[24:25], v[26:27], v[18:19]
	v_add_f64 v[28:29], v[22:23], v[24:25]
	v_add_f64 v[30:31], -v[28:29], 1.0
	v_add_f64 v[22:23], v[28:29], -v[22:23]
	v_add_f64 v[32:33], -v[30:31], 1.0
	v_add_f64 v[28:29], v[32:33], -v[28:29]
	v_add_f64 v[22:23], v[22:23], -v[24:25]
	v_add_f64 v[22:23], v[22:23], v[28:29]
	v_add_f64 v[24:25], v[30:31], v[22:23]
	v_add_f64 v[28:29], v[30:31], -v[24:25]
	v_add_f64 v[22:23], v[22:23], v[28:29]
	v_mul_f64 v[28:29], v[26:27], v[24:25]
	v_mul_f64 v[30:31], v[20:21], v[28:29]
	v_fma_f64 v[32:33], v[28:29], v[20:21], -v[30:31]
	v_fmac_f64_e32 v[32:33], v[28:29], v[18:19]
	v_add_f64 v[34:35], v[30:31], v[32:33]
	v_add_f64 v[36:37], v[24:25], -v[34:35]
	v_add_f64 v[24:25], v[24:25], -v[36:37]
	v_add_f64 v[30:31], v[34:35], -v[30:31]
	v_add_f64 v[24:25], v[24:25], -v[34:35]
	v_add_f64 v[22:23], v[22:23], v[24:25]
	v_add_f64 v[24:25], v[30:31], -v[32:33]
	v_add_f64 v[22:23], v[24:25], v[22:23]
	v_add_f64 v[22:23], v[36:37], v[22:23]
	;; [unrolled: 1-line block ×3, first 2 shown]
	v_mul_f64 v[22:23], v[26:27], v[22:23]
	v_add_f64 v[26:27], v[24:25], -v[26:27]
	v_add_f64 v[26:27], v[28:29], -v[26:27]
	v_add_f64 v[22:23], v[26:27], v[22:23]
	v_add_f64 v[26:27], v[24:25], v[22:23]
	v_add_f64 v[24:25], v[26:27], -v[24:25]
	v_add_f64 v[22:23], v[22:23], -v[24:25]
	;; [unrolled: 1-line block ×4, first 2 shown]
	v_add_f64 v[32:33], v[20:21], v[26:27]
	v_add_f64 v[28:29], v[28:29], -v[26:27]
	v_add_f64 v[20:21], v[32:33], -v[20:21]
	v_add_f64 v[28:29], v[18:19], v[28:29]
	v_add_f64 v[20:21], v[26:27], -v[20:21]
	v_add_f64 v[18:19], v[18:19], v[22:23]
	v_add_f64 v[18:19], v[18:19], v[20:21]
	;; [unrolled: 1-line block ×3, first 2 shown]
	v_add_f64 v[28:29], v[28:29], -v[22:23]
	v_rcp_f64_e32 v[22:23], v[20:21]
	v_add_f64 v[26:27], v[20:21], -v[32:33]
	v_add_f64 v[18:19], v[18:19], -v[26:27]
	v_add_f64 v[30:31], v[24:25], v[28:29]
	v_fma_f64 v[26:27], -v[20:21], v[22:23], 1.0
	v_fmac_f64_e32 v[22:23], v[26:27], v[22:23]
	v_fma_f64 v[26:27], -v[20:21], v[22:23], 1.0
	v_fmac_f64_e32 v[22:23], v[26:27], v[22:23]
	v_add_f64 v[24:25], v[30:31], -v[24:25]
	v_mul_f64 v[26:27], v[30:31], v[22:23]
	v_add_f64 v[24:25], v[28:29], -v[24:25]
	v_mul_f64 v[28:29], v[20:21], v[26:27]
	v_fma_f64 v[20:21], v[26:27], v[20:21], -v[28:29]
	v_fmac_f64_e32 v[20:21], v[26:27], v[18:19]
	v_add_f64 v[18:19], v[28:29], v[20:21]
	v_add_f64 v[28:29], v[18:19], -v[28:29]
	v_add_f64 v[20:21], v[20:21], -v[28:29]
	;; [unrolled: 1-line block ×6, first 2 shown]
	v_add_f64 v[18:19], v[24:25], v[18:19]
	v_add_f64 v[18:19], v[28:29], v[18:19]
	v_mul_f64 v[18:19], v[22:23], v[18:19]
	v_add_f64 v[18:19], v[26:27], v[18:19]
	v_cmp_ngt_f64_e64 vcc, |v[6:7]|, s[34:35]
	v_cndmask_b32_e32 v17, v14, v19, vcc
	v_cndmask_b32_e32 v18, 0, v18, vcc
	v_cmp_lt_f64_e64 vcc, |v[6:7]|, s[36:37]
	v_cndmask_b32_e32 v6, v18, v6, vcc
	s_waitcnt vmcnt(0)
	v_mul_f64 v[18:19], |v[0:1]|, s[4:5]
	v_rndne_f64_e32 v[18:19], v[18:19]
	v_fma_f64 v[20:21], v[18:19], s[6:7], |v[0:1]|
	v_add_f64 v[22:23], v[20:21], 0
	v_mul_f64 v[24:25], v[18:19], s[8:9]
	v_add_f64 v[26:27], v[22:23], -v[24:25]
	v_add_f64 v[20:21], v[20:21], -v[22:23]
	;; [unrolled: 1-line block ×3, first 2 shown]
	v_add_f64 v[20:21], v[20:21], 0
	v_add_f64 v[22:23], v[22:23], -v[24:25]
	v_add_f64 v[20:21], v[20:21], v[22:23]
	v_add_f64 v[22:23], v[26:27], v[20:21]
	v_add_f64 v[24:25], v[26:27], -v[22:23]
	v_add_f64 v[20:21], v[20:21], v[24:25]
	v_mul_f64 v[24:25], v[18:19], s[12:13]
	v_add_f64 v[26:27], v[22:23], -v[24:25]
	v_add_f64 v[22:23], v[22:23], -v[26:27]
	;; [unrolled: 1-line block ×3, first 2 shown]
	v_add_f64 v[20:21], v[20:21], v[22:23]
	v_add_f64 v[22:23], v[26:27], v[20:21]
	v_add_f64 v[24:25], v[26:27], -v[22:23]
	v_add_f64 v[20:21], v[20:21], v[24:25]
	v_fma_f64 v[24:25], s[14:15], v[22:23], v[12:13]
	v_fma_f64 v[24:25], v[22:23], v[24:25], s[16:17]
	;; [unrolled: 1-line block ×5, first 2 shown]
	v_mul_f64 v[26:27], v[22:23], v[22:23]
	v_fma_f64 v[24:25], v[22:23], v[24:25], s[24:25]
	v_fma_f64 v[28:29], v[22:23], v[22:23], -v[26:27]
	v_add_f64 v[30:31], v[20:21], v[20:21]
	v_fma_f64 v[24:25], v[22:23], v[24:25], s[26:27]
	v_fmac_f64_e32 v[28:29], v[22:23], v[30:31]
	v_fma_f64 v[24:25], v[22:23], v[24:25], s[28:29]
	v_add_f64 v[30:31], v[26:27], v[28:29]
	v_fma_f64 v[24:25], v[22:23], v[24:25], s[30:31]
	v_add_f64 v[26:27], v[30:31], -v[26:27]
	v_add_f64 v[26:27], v[28:29], -v[26:27]
	v_mul_f64 v[28:29], v[30:31], v[24:25]
	v_fma_f64 v[30:31], v[30:31], v[24:25], -v[28:29]
	v_fmac_f64_e32 v[30:31], v[26:27], v[24:25]
	v_add_f64 v[24:25], v[28:29], v[30:31]
	v_add_f64 v[26:27], v[24:25], -v[28:29]
	v_add_f64 v[28:29], v[22:23], v[24:25]
	v_add_f64 v[26:27], v[30:31], -v[26:27]
	v_add_f64 v[22:23], v[28:29], -v[22:23]
	;; [unrolled: 1-line block ×3, first 2 shown]
	v_add_f64 v[20:21], v[20:21], v[26:27]
	v_add_f64 v[20:21], v[20:21], v[22:23]
	;; [unrolled: 1-line block ×3, first 2 shown]
	v_add_f64 v[24:25], v[22:23], -v[28:29]
	v_add_f64 v[20:21], v[20:21], -v[24:25]
	v_add_f64 v[24:25], v[22:23], 1.0
	v_add_f64 v[26:27], v[24:25], -1.0
	v_add_f64 v[22:23], v[22:23], -v[26:27]
	v_add_f64 v[20:21], v[20:21], v[22:23]
	v_add_f64 v[22:23], v[24:25], v[20:21]
	v_cvt_i32_f64_e32 v28, v[18:19]
	v_ldexp_f64 v[18:19], v[22:23], v28
	v_rcp_f64_e32 v[26:27], v[18:19]
	v_add_f64 v[22:23], v[22:23], -v[24:25]
	v_add_f64 v[20:21], v[20:21], -v[22:23]
	v_ldexp_f64 v[20:21], v[20:21], v28
	v_fma_f64 v[22:23], -v[18:19], v[26:27], 1.0
	v_fmac_f64_e32 v[26:27], v[22:23], v[26:27]
	v_fma_f64 v[22:23], -v[18:19], v[26:27], 1.0
	v_fmac_f64_e32 v[26:27], v[22:23], v[26:27]
	v_mul_f64 v[22:23], v[18:19], v[26:27]
	v_fma_f64 v[24:25], v[26:27], v[18:19], -v[22:23]
	v_fmac_f64_e32 v[24:25], v[26:27], v[20:21]
	v_add_f64 v[28:29], v[22:23], v[24:25]
	v_add_f64 v[30:31], -v[28:29], 1.0
	v_add_f64 v[22:23], v[28:29], -v[22:23]
	v_add_f64 v[32:33], -v[30:31], 1.0
	v_add_f64 v[28:29], v[32:33], -v[28:29]
	v_add_f64 v[22:23], v[22:23], -v[24:25]
	v_add_f64 v[22:23], v[22:23], v[28:29]
	v_add_f64 v[24:25], v[30:31], v[22:23]
	v_add_f64 v[28:29], v[30:31], -v[24:25]
	v_add_f64 v[22:23], v[22:23], v[28:29]
	v_mul_f64 v[28:29], v[26:27], v[24:25]
	v_mul_f64 v[30:31], v[18:19], v[28:29]
	v_fma_f64 v[32:33], v[28:29], v[18:19], -v[30:31]
	v_fmac_f64_e32 v[32:33], v[28:29], v[20:21]
	v_add_f64 v[34:35], v[30:31], v[32:33]
	v_add_f64 v[36:37], v[24:25], -v[34:35]
	v_add_f64 v[24:25], v[24:25], -v[36:37]
	v_add_f64 v[30:31], v[34:35], -v[30:31]
	v_add_f64 v[24:25], v[24:25], -v[34:35]
	v_add_f64 v[22:23], v[22:23], v[24:25]
	v_add_f64 v[24:25], v[30:31], -v[32:33]
	v_add_f64 v[22:23], v[24:25], v[22:23]
	v_add_f64 v[22:23], v[36:37], v[22:23]
	;; [unrolled: 1-line block ×3, first 2 shown]
	v_mul_f64 v[22:23], v[26:27], v[22:23]
	v_add_f64 v[26:27], v[24:25], -v[26:27]
	v_add_f64 v[26:27], v[28:29], -v[26:27]
	v_add_f64 v[22:23], v[26:27], v[22:23]
	v_add_f64 v[26:27], v[24:25], v[22:23]
	v_add_f64 v[24:25], v[26:27], -v[24:25]
	v_add_f64 v[22:23], v[22:23], -v[24:25]
	;; [unrolled: 1-line block ×4, first 2 shown]
	v_add_f64 v[32:33], v[18:19], v[26:27]
	v_add_f64 v[28:29], v[28:29], -v[26:27]
	v_add_f64 v[18:19], v[32:33], -v[18:19]
	v_add_f64 v[28:29], v[20:21], v[28:29]
	v_add_f64 v[18:19], v[26:27], -v[18:19]
	v_add_f64 v[20:21], v[20:21], v[22:23]
	v_add_f64 v[18:19], v[20:21], v[18:19]
	;; [unrolled: 1-line block ×3, first 2 shown]
	v_add_f64 v[28:29], v[28:29], -v[22:23]
	v_rcp_f64_e32 v[22:23], v[20:21]
	v_add_f64 v[26:27], v[20:21], -v[32:33]
	v_add_f64 v[18:19], v[18:19], -v[26:27]
	v_add_f64 v[30:31], v[24:25], v[28:29]
	v_fma_f64 v[26:27], -v[20:21], v[22:23], 1.0
	v_fmac_f64_e32 v[22:23], v[26:27], v[22:23]
	v_fma_f64 v[26:27], -v[20:21], v[22:23], 1.0
	v_fmac_f64_e32 v[22:23], v[26:27], v[22:23]
	v_add_f64 v[24:25], v[30:31], -v[24:25]
	v_mul_f64 v[26:27], v[30:31], v[22:23]
	v_add_f64 v[24:25], v[28:29], -v[24:25]
	v_mul_f64 v[28:29], v[20:21], v[26:27]
	v_fma_f64 v[20:21], v[26:27], v[20:21], -v[28:29]
	v_fmac_f64_e32 v[20:21], v[26:27], v[18:19]
	v_add_f64 v[18:19], v[28:29], v[20:21]
	v_add_f64 v[28:29], v[18:19], -v[28:29]
	v_add_f64 v[20:21], v[20:21], -v[28:29]
	;; [unrolled: 1-line block ×6, first 2 shown]
	v_add_f64 v[18:19], v[24:25], v[18:19]
	v_add_f64 v[18:19], v[28:29], v[18:19]
	v_and_b32_e32 v48, 0x7fffffff, v7
	v_mul_f64 v[18:19], v[22:23], v[18:19]
	v_cndmask_b32_e32 v17, v17, v48, vcc
	v_add_f64 v[18:19], v[26:27], v[18:19]
	v_cmp_ngt_f64_e64 vcc, |v[0:1]|, s[34:35]
	v_bfi_b32 v7, s41, v17, v7
	v_and_b32_e32 v17, 0x7fffffff, v1
	v_cndmask_b32_e32 v19, v14, v19, vcc
	v_cndmask_b32_e32 v18, 0, v18, vcc
	v_cmp_lt_f64_e64 vcc, |v[0:1]|, s[36:37]
	v_cndmask_b32_e32 v0, v18, v0, vcc
	v_cndmask_b32_e32 v17, v19, v17, vcc
	v_mul_f64 v[18:19], |v[2:3]|, s[4:5]
	v_rndne_f64_e32 v[18:19], v[18:19]
	v_fma_f64 v[20:21], v[18:19], s[6:7], |v[2:3]|
	v_add_f64 v[22:23], v[20:21], 0
	v_mul_f64 v[24:25], v[18:19], s[8:9]
	v_add_f64 v[26:27], v[22:23], -v[24:25]
	v_add_f64 v[20:21], v[20:21], -v[22:23]
	;; [unrolled: 1-line block ×3, first 2 shown]
	v_add_f64 v[20:21], v[20:21], 0
	v_add_f64 v[22:23], v[22:23], -v[24:25]
	v_add_f64 v[20:21], v[20:21], v[22:23]
	v_add_f64 v[22:23], v[26:27], v[20:21]
	v_add_f64 v[24:25], v[26:27], -v[22:23]
	v_add_f64 v[20:21], v[20:21], v[24:25]
	v_mul_f64 v[24:25], v[18:19], s[12:13]
	v_add_f64 v[26:27], v[22:23], -v[24:25]
	v_add_f64 v[22:23], v[22:23], -v[26:27]
	v_add_f64 v[22:23], v[22:23], -v[24:25]
	v_add_f64 v[20:21], v[20:21], v[22:23]
	v_add_f64 v[22:23], v[26:27], v[20:21]
	v_add_f64 v[24:25], v[26:27], -v[22:23]
	v_add_f64 v[20:21], v[20:21], v[24:25]
	v_fma_f64 v[24:25], s[14:15], v[22:23], v[12:13]
	v_fma_f64 v[24:25], v[22:23], v[24:25], s[16:17]
	v_fma_f64 v[24:25], v[22:23], v[24:25], s[18:19]
	v_fma_f64 v[24:25], v[22:23], v[24:25], s[20:21]
	v_fma_f64 v[24:25], v[22:23], v[24:25], s[22:23]
	v_mul_f64 v[26:27], v[22:23], v[22:23]
	v_fma_f64 v[24:25], v[22:23], v[24:25], s[24:25]
	v_fma_f64 v[28:29], v[22:23], v[22:23], -v[26:27]
	v_add_f64 v[30:31], v[20:21], v[20:21]
	v_fma_f64 v[24:25], v[22:23], v[24:25], s[26:27]
	v_fmac_f64_e32 v[28:29], v[22:23], v[30:31]
	v_fma_f64 v[24:25], v[22:23], v[24:25], s[28:29]
	v_add_f64 v[30:31], v[26:27], v[28:29]
	v_fma_f64 v[24:25], v[22:23], v[24:25], s[30:31]
	v_add_f64 v[26:27], v[30:31], -v[26:27]
	v_add_f64 v[26:27], v[28:29], -v[26:27]
	v_mul_f64 v[28:29], v[30:31], v[24:25]
	v_fma_f64 v[30:31], v[30:31], v[24:25], -v[28:29]
	v_fmac_f64_e32 v[30:31], v[26:27], v[24:25]
	v_add_f64 v[24:25], v[28:29], v[30:31]
	v_add_f64 v[26:27], v[24:25], -v[28:29]
	v_add_f64 v[28:29], v[22:23], v[24:25]
	v_add_f64 v[26:27], v[30:31], -v[26:27]
	v_add_f64 v[22:23], v[28:29], -v[22:23]
	;; [unrolled: 1-line block ×3, first 2 shown]
	v_add_f64 v[20:21], v[20:21], v[26:27]
	v_add_f64 v[20:21], v[20:21], v[22:23]
	;; [unrolled: 1-line block ×3, first 2 shown]
	v_add_f64 v[24:25], v[22:23], -v[28:29]
	v_add_f64 v[20:21], v[20:21], -v[24:25]
	v_add_f64 v[24:25], v[22:23], 1.0
	v_add_f64 v[26:27], v[24:25], -1.0
	v_add_f64 v[22:23], v[22:23], -v[26:27]
	v_add_f64 v[20:21], v[20:21], v[22:23]
	v_add_f64 v[22:23], v[24:25], v[20:21]
	v_cvt_i32_f64_e32 v28, v[18:19]
	v_ldexp_f64 v[18:19], v[22:23], v28
	v_rcp_f64_e32 v[26:27], v[18:19]
	v_add_f64 v[22:23], v[22:23], -v[24:25]
	v_add_f64 v[20:21], v[20:21], -v[22:23]
	v_ldexp_f64 v[20:21], v[20:21], v28
	v_fma_f64 v[22:23], -v[18:19], v[26:27], 1.0
	v_fmac_f64_e32 v[26:27], v[22:23], v[26:27]
	v_fma_f64 v[22:23], -v[18:19], v[26:27], 1.0
	v_fmac_f64_e32 v[26:27], v[22:23], v[26:27]
	v_mul_f64 v[22:23], v[18:19], v[26:27]
	v_fma_f64 v[24:25], v[26:27], v[18:19], -v[22:23]
	v_fmac_f64_e32 v[24:25], v[26:27], v[20:21]
	v_add_f64 v[28:29], v[22:23], v[24:25]
	v_add_f64 v[30:31], -v[28:29], 1.0
	v_add_f64 v[22:23], v[28:29], -v[22:23]
	v_add_f64 v[32:33], -v[30:31], 1.0
	v_add_f64 v[28:29], v[32:33], -v[28:29]
	v_add_f64 v[22:23], v[22:23], -v[24:25]
	v_add_f64 v[22:23], v[22:23], v[28:29]
	v_add_f64 v[24:25], v[30:31], v[22:23]
	v_add_f64 v[28:29], v[30:31], -v[24:25]
	v_add_f64 v[22:23], v[22:23], v[28:29]
	v_mul_f64 v[28:29], v[26:27], v[24:25]
	v_mul_f64 v[30:31], v[18:19], v[28:29]
	v_fma_f64 v[32:33], v[28:29], v[18:19], -v[30:31]
	v_fmac_f64_e32 v[32:33], v[28:29], v[20:21]
	v_add_f64 v[34:35], v[30:31], v[32:33]
	v_add_f64 v[36:37], v[24:25], -v[34:35]
	v_add_f64 v[24:25], v[24:25], -v[36:37]
	;; [unrolled: 1-line block ×4, first 2 shown]
	v_add_f64 v[22:23], v[22:23], v[24:25]
	v_add_f64 v[24:25], v[30:31], -v[32:33]
	v_add_f64 v[22:23], v[24:25], v[22:23]
	v_add_f64 v[22:23], v[36:37], v[22:23]
	;; [unrolled: 1-line block ×3, first 2 shown]
	v_mul_f64 v[22:23], v[26:27], v[22:23]
	v_add_f64 v[26:27], v[24:25], -v[26:27]
	v_add_f64 v[26:27], v[28:29], -v[26:27]
	v_add_f64 v[22:23], v[26:27], v[22:23]
	v_add_f64 v[26:27], v[24:25], v[22:23]
	v_add_f64 v[24:25], v[26:27], -v[24:25]
	v_add_f64 v[22:23], v[22:23], -v[24:25]
	;; [unrolled: 1-line block ×4, first 2 shown]
	v_add_f64 v[32:33], v[18:19], v[26:27]
	v_add_f64 v[28:29], v[28:29], -v[26:27]
	v_add_f64 v[18:19], v[32:33], -v[18:19]
	v_add_f64 v[28:29], v[20:21], v[28:29]
	v_add_f64 v[18:19], v[26:27], -v[18:19]
	v_add_f64 v[20:21], v[20:21], v[22:23]
	v_add_f64 v[18:19], v[20:21], v[18:19]
	;; [unrolled: 1-line block ×3, first 2 shown]
	v_add_f64 v[28:29], v[28:29], -v[22:23]
	v_rcp_f64_e32 v[22:23], v[20:21]
	v_add_f64 v[26:27], v[20:21], -v[32:33]
	v_add_f64 v[18:19], v[18:19], -v[26:27]
	v_add_f64 v[30:31], v[24:25], v[28:29]
	v_fma_f64 v[26:27], -v[20:21], v[22:23], 1.0
	v_fmac_f64_e32 v[22:23], v[26:27], v[22:23]
	v_fma_f64 v[26:27], -v[20:21], v[22:23], 1.0
	v_fmac_f64_e32 v[22:23], v[26:27], v[22:23]
	v_add_f64 v[24:25], v[30:31], -v[24:25]
	v_mul_f64 v[26:27], v[30:31], v[22:23]
	v_add_f64 v[24:25], v[28:29], -v[24:25]
	v_mul_f64 v[28:29], v[20:21], v[26:27]
	v_fma_f64 v[20:21], v[26:27], v[20:21], -v[28:29]
	v_fmac_f64_e32 v[20:21], v[26:27], v[18:19]
	v_add_f64 v[18:19], v[28:29], v[20:21]
	v_add_f64 v[28:29], v[18:19], -v[28:29]
	v_add_f64 v[20:21], v[20:21], -v[28:29]
	;; [unrolled: 1-line block ×6, first 2 shown]
	v_add_f64 v[18:19], v[24:25], v[18:19]
	v_add_f64 v[18:19], v[28:29], v[18:19]
	v_mul_f64 v[18:19], v[22:23], v[18:19]
	v_add_f64 v[18:19], v[26:27], v[18:19]
	v_cmp_ngt_f64_e64 vcc, |v[2:3]|, s[34:35]
	v_bfi_b32 v1, s41, v17, v1
	v_and_b32_e32 v17, 0x7fffffff, v3
	v_cndmask_b32_e32 v19, v14, v19, vcc
	v_cndmask_b32_e32 v18, 0, v18, vcc
	v_cmp_lt_f64_e64 vcc, |v[2:3]|, s[36:37]
	v_cndmask_b32_e32 v2, v18, v2, vcc
	v_cndmask_b32_e32 v17, v19, v17, vcc
	v_cmp_le_i64_e32 vcc, s[10:11], v[8:9]
	s_or_b64 s[0:1], vcc, s[0:1]
	v_add_co_u32_e32 v8, vcc, s33, v8
	v_addc_co_u32_e32 v9, vcc, v9, v15, vcc
	v_bfi_b32 v3, s41, v17, v3
	global_store_dwordx4 v[10:11], v[4:7], off offset:-16
	global_store_dwordx4 v[10:11], v[0:3], off
	s_and_b64 s[0:1], exec, s[0:1]
	v_add_co_u32_e32 v10, vcc, s40, v10
	s_or_b64 s[2:3], s[0:1], s[2:3]
	v_addc_co_u32_e32 v11, vcc, v11, v16, vcc
	s_andn2_b64 exec, exec, s[2:3]
	s_cbranch_execnz .LBB160_24
.LBB160_25:
	s_endpgm
	.section	.rodata,"a",@progbits
	.p2align	6, 0x0
	.amdhsa_kernel _ZN2at6native12_GLOBAL__N_125multi_tensor_apply_kernelINS1_18TensorListMetadataILi1EEENS1_14UnaryOpFunctorIdLi1ELi1ELi0EEEJNS0_4TanhIdEEEEEvT_T0_DpT1_
		.amdhsa_group_segment_fixed_size 0
		.amdhsa_private_segment_fixed_size 0
		.amdhsa_kernarg_size 3632
		.amdhsa_user_sgpr_count 6
		.amdhsa_user_sgpr_private_segment_buffer 1
		.amdhsa_user_sgpr_dispatch_ptr 0
		.amdhsa_user_sgpr_queue_ptr 0
		.amdhsa_user_sgpr_kernarg_segment_ptr 1
		.amdhsa_user_sgpr_dispatch_id 0
		.amdhsa_user_sgpr_flat_scratch_init 0
		.amdhsa_user_sgpr_kernarg_preload_length 0
		.amdhsa_user_sgpr_kernarg_preload_offset 0
		.amdhsa_user_sgpr_private_segment_size 0
		.amdhsa_uses_dynamic_stack 0
		.amdhsa_system_sgpr_private_segment_wavefront_offset 0
		.amdhsa_system_sgpr_workgroup_id_x 1
		.amdhsa_system_sgpr_workgroup_id_y 0
		.amdhsa_system_sgpr_workgroup_id_z 0
		.amdhsa_system_sgpr_workgroup_info 0
		.amdhsa_system_vgpr_workitem_id 0
		.amdhsa_next_free_vgpr 63
		.amdhsa_next_free_sgpr 45
		.amdhsa_accum_offset 64
		.amdhsa_reserve_vcc 1
		.amdhsa_reserve_flat_scratch 0
		.amdhsa_float_round_mode_32 0
		.amdhsa_float_round_mode_16_64 0
		.amdhsa_float_denorm_mode_32 3
		.amdhsa_float_denorm_mode_16_64 3
		.amdhsa_dx10_clamp 1
		.amdhsa_ieee_mode 1
		.amdhsa_fp16_overflow 0
		.amdhsa_tg_split 0
		.amdhsa_exception_fp_ieee_invalid_op 0
		.amdhsa_exception_fp_denorm_src 0
		.amdhsa_exception_fp_ieee_div_zero 0
		.amdhsa_exception_fp_ieee_overflow 0
		.amdhsa_exception_fp_ieee_underflow 0
		.amdhsa_exception_fp_ieee_inexact 0
		.amdhsa_exception_int_div_zero 0
	.end_amdhsa_kernel
	.section	.text._ZN2at6native12_GLOBAL__N_125multi_tensor_apply_kernelINS1_18TensorListMetadataILi1EEENS1_14UnaryOpFunctorIdLi1ELi1ELi0EEEJNS0_4TanhIdEEEEEvT_T0_DpT1_,"axG",@progbits,_ZN2at6native12_GLOBAL__N_125multi_tensor_apply_kernelINS1_18TensorListMetadataILi1EEENS1_14UnaryOpFunctorIdLi1ELi1ELi0EEEJNS0_4TanhIdEEEEEvT_T0_DpT1_,comdat
.Lfunc_end160:
	.size	_ZN2at6native12_GLOBAL__N_125multi_tensor_apply_kernelINS1_18TensorListMetadataILi1EEENS1_14UnaryOpFunctorIdLi1ELi1ELi0EEEJNS0_4TanhIdEEEEEvT_T0_DpT1_, .Lfunc_end160-_ZN2at6native12_GLOBAL__N_125multi_tensor_apply_kernelINS1_18TensorListMetadataILi1EEENS1_14UnaryOpFunctorIdLi1ELi1ELi0EEEJNS0_4TanhIdEEEEEvT_T0_DpT1_
                                        ; -- End function
	.section	.AMDGPU.csdata,"",@progbits
; Kernel info:
; codeLenInByte = 10452
; NumSgprs: 49
; NumVgprs: 63
; NumAgprs: 0
; TotalNumVgprs: 63
; ScratchSize: 0
; MemoryBound: 0
; FloatMode: 240
; IeeeMode: 1
; LDSByteSize: 0 bytes/workgroup (compile time only)
; SGPRBlocks: 6
; VGPRBlocks: 7
; NumSGPRsForWavesPerEU: 49
; NumVGPRsForWavesPerEU: 63
; AccumOffset: 64
; Occupancy: 8
; WaveLimiterHint : 0
; COMPUTE_PGM_RSRC2:SCRATCH_EN: 0
; COMPUTE_PGM_RSRC2:USER_SGPR: 6
; COMPUTE_PGM_RSRC2:TRAP_HANDLER: 0
; COMPUTE_PGM_RSRC2:TGID_X_EN: 1
; COMPUTE_PGM_RSRC2:TGID_Y_EN: 0
; COMPUTE_PGM_RSRC2:TGID_Z_EN: 0
; COMPUTE_PGM_RSRC2:TIDIG_COMP_CNT: 0
; COMPUTE_PGM_RSRC3_GFX90A:ACCUM_OFFSET: 15
; COMPUTE_PGM_RSRC3_GFX90A:TG_SPLIT: 0
	.section	.text._ZN2at6native12_GLOBAL__N_125multi_tensor_apply_kernelINS1_18TensorListMetadataILi1EEENS1_14UnaryOpFunctorIfLi1ELi1ELi0EEEJNS0_4TanhIfEEEEEvT_T0_DpT1_,"axG",@progbits,_ZN2at6native12_GLOBAL__N_125multi_tensor_apply_kernelINS1_18TensorListMetadataILi1EEENS1_14UnaryOpFunctorIfLi1ELi1ELi0EEEJNS0_4TanhIfEEEEEvT_T0_DpT1_,comdat
	.globl	_ZN2at6native12_GLOBAL__N_125multi_tensor_apply_kernelINS1_18TensorListMetadataILi1EEENS1_14UnaryOpFunctorIfLi1ELi1ELi0EEEJNS0_4TanhIfEEEEEvT_T0_DpT1_ ; -- Begin function _ZN2at6native12_GLOBAL__N_125multi_tensor_apply_kernelINS1_18TensorListMetadataILi1EEENS1_14UnaryOpFunctorIfLi1ELi1ELi0EEEJNS0_4TanhIfEEEEEvT_T0_DpT1_
	.p2align	8
	.type	_ZN2at6native12_GLOBAL__N_125multi_tensor_apply_kernelINS1_18TensorListMetadataILi1EEENS1_14UnaryOpFunctorIfLi1ELi1ELi0EEEJNS0_4TanhIfEEEEEvT_T0_DpT1_,@function
_ZN2at6native12_GLOBAL__N_125multi_tensor_apply_kernelINS1_18TensorListMetadataILi1EEENS1_14UnaryOpFunctorIfLi1ELi1ELi0EEEJNS0_4TanhIfEEEEEvT_T0_DpT1_: ; @_ZN2at6native12_GLOBAL__N_125multi_tensor_apply_kernelINS1_18TensorListMetadataILi1EEENS1_14UnaryOpFunctorIfLi1ELi1ELi0EEEJNS0_4TanhIfEEEEEvT_T0_DpT1_
; %bb.0:
	v_mov_b32_e32 v1, s6
	global_load_ubyte v1, v1, s[4:5] offset:1760
	s_add_u32 s0, s4, s6
	s_mul_hi_u32 s1, s6, 3
	s_mul_i32 s6, s6, 3
	s_addc_u32 s2, s5, 0
	s_add_u32 s0, s0, s6
	s_addc_u32 s1, s2, s1
	s_load_dword s0, s[0:1], 0x820
	s_mov_b32 s7, 0
	s_waitcnt vmcnt(0)
	v_readfirstlane_b32 s2, v1
	s_lshl_b32 s1, s2, 3
	s_load_dwordx2 s[2:3], s[4:5], s1 offset:0x370
	s_load_dwordx2 s[12:13], s[4:5], s1 offset:0x0
	s_waitcnt lgkmcnt(0)
	s_ashr_i32 s1, s0, 31
	s_lshl_b64 s[14:15], s[0:1], 18
	s_lshl_b64 s[0:1], s[0:1], 16
	s_and_b32 s6, s12, 15
	s_sub_u32 s10, s2, s0
	s_subb_u32 s11, s3, s1
	s_and_b32 s0, s2, 3
	s_mov_b32 s1, s7
	s_or_b64 s[0:1], s[6:7], s[0:1]
	s_cmp_eq_u64 s[0:1], 0
	s_cbranch_scc1 .LBB161_37
; %bb.1:
	v_cmp_lt_i64_e64 s[0:1], s[10:11], 1
	s_and_b64 vcc, exec, s[0:1]
	s_cbranch_vccnz .LBB161_36
; %bb.2:
	s_load_dword s0, s[4:5], 0xd3c
	v_mov_b32_e32 v2, 0x10000
	v_mov_b32_e32 v3, 0
	v_cmp_lt_u64_e32 vcc, s[10:11], v[2:3]
	v_lshlrev_b32_e32 v1, 2, v0
	s_waitcnt lgkmcnt(0)
	s_and_b32 s2, s0, 0xffff
	s_and_b64 s[0:1], vcc, exec
	s_cselect_b32 s17, s11, 0
	s_cselect_b32 s16, s10, 0x10000
	s_lshl_b32 s3, s2, 1
	s_lshl_b32 s23, s2, 2
	s_add_u32 s6, s12, s14
	s_addc_u32 s7, s13, s15
	v_mov_b32_e32 v3, s7
	v_add_co_u32_e32 v2, vcc, s6, v1
	s_mul_i32 s0, s2, 3
	v_addc_co_u32_e32 v3, vcc, 0, v3, vcc
	v_add_co_u32_e32 v1, vcc, s0, v0
	v_addc_co_u32_e64 v6, s[0:1], 0, 0, vcc
	v_add_co_u32_e32 v7, vcc, s3, v0
	v_addc_co_u32_e64 v8, s[0:1], 0, 0, vcc
	v_add_co_u32_e32 v9, vcc, s2, v0
	v_lshlrev_b32_e32 v4, 2, v9
	s_mov_b32 s22, 0
	v_addc_co_u32_e64 v10, s[0:1], 0, 0, vcc
	v_mov_b32_e32 v5, s7
	v_add_co_u32_e32 v4, vcc, s6, v4
	s_lshl_b32 s24, s2, 4
	s_mul_i32 s25, s2, 12
	s_mov_b32 s26, s22
	s_lshl_b32 s27, s2, 3
	s_mov_b32 s28, s22
	v_addc_co_u32_e32 v5, vcc, 0, v5, vcc
	s_mov_b64 s[18:19], 0
	s_mov_b32 s29, 0x3f200000
	s_mov_b32 s30, 0x3fb8aa3b
	;; [unrolled: 1-line block ×4, first 2 shown]
	v_mov_b32_e32 v11, 0xbd5c1c4e
	v_mov_b32_e32 v12, 0x3e088382
	;; [unrolled: 1-line block ×3, first 2 shown]
	s_brev_b32 s34, -2
	v_mov_b32_e32 v14, 0x7f800000
	s_branch .LBB161_4
.LBB161_3:                              ;   in Loop: Header=BB161_4 Depth=1
	s_or_b64 exec, exec, s[0:1]
	s_add_u32 s18, s18, s23
	s_addc_u32 s19, s19, 0
	v_pk_mov_b32 v[16:17], s[10:11], s[10:11] op_sel:[0,1]
	v_cmp_ge_i64_e32 vcc, s[18:19], v[16:17]
	v_mov_b32_e32 v16, 0xffff
	v_mov_b32_e32 v17, 0
	v_cmp_gt_u64_e64 s[0:1], s[18:19], v[16:17]
	s_or_b64 s[0:1], vcc, s[0:1]
	v_mov_b32_e32 v15, s22
	v_add_co_u32_e32 v2, vcc, s24, v2
	v_addc_co_u32_e32 v3, vcc, v3, v15, vcc
	v_add_co_u32_e32 v4, vcc, s24, v4
	v_addc_co_u32_e32 v5, vcc, v5, v15, vcc
	s_and_b64 vcc, exec, s[0:1]
	s_cbranch_vccnz .LBB161_36
.LBB161_4:                              ; =>This Inner Loop Header: Depth=1
	v_mov_b32_e32 v15, s19
	v_add_co_u32_e32 v16, vcc, s18, v0
	v_addc_co_u32_e32 v17, vcc, 0, v15, vcc
	v_cmp_gt_u64_e32 vcc, s[16:17], v[16:17]
	v_mov_b32_e32 v15, 0
	s_and_saveexec_b64 s[0:1], vcc
	s_cbranch_execz .LBB161_6
; %bb.5:                                ;   in Loop: Header=BB161_4 Depth=1
	global_load_dword v15, v[2:3], off
.LBB161_6:                              ;   in Loop: Header=BB161_4 Depth=1
	s_or_b64 exec, exec, s[0:1]
	v_mov_b32_e32 v17, s19
	v_add_co_u32_e64 v16, s[0:1], s18, v9
	v_addc_co_u32_e64 v17, s[0:1], v10, v17, s[0:1]
	v_cmp_gt_u64_e64 s[0:1], s[16:17], v[16:17]
	v_mov_b32_e32 v17, 0
	s_and_saveexec_b64 s[2:3], s[0:1]
	s_cbranch_execz .LBB161_8
; %bb.7:                                ;   in Loop: Header=BB161_4 Depth=1
	global_load_dword v17, v[4:5], off
.LBB161_8:                              ;   in Loop: Header=BB161_4 Depth=1
	s_or_b64 exec, exec, s[2:3]
	v_mov_b32_e32 v16, s19
	v_add_co_u32_e64 v18, s[2:3], s18, v7
	v_addc_co_u32_e64 v19, s[2:3], v8, v16, s[2:3]
	v_cmp_gt_u64_e64 s[2:3], s[16:17], v[18:19]
	v_mov_b32_e32 v16, 0
	v_mov_b32_e32 v18, 0
	s_and_saveexec_b64 s[8:9], s[2:3]
	s_cbranch_execz .LBB161_10
; %bb.9:                                ;   in Loop: Header=BB161_4 Depth=1
	v_mov_b32_e32 v19, s28
	v_add_co_u32_e64 v18, s[6:7], s27, v2
	v_addc_co_u32_e64 v19, s[6:7], v3, v19, s[6:7]
	global_load_dword v18, v[18:19], off
.LBB161_10:                             ;   in Loop: Header=BB161_4 Depth=1
	s_or_b64 exec, exec, s[8:9]
	v_mov_b32_e32 v19, s19
	v_add_co_u32_e64 v20, s[6:7], s18, v1
	v_addc_co_u32_e64 v21, s[6:7], v6, v19, s[6:7]
	v_cmp_gt_u64_e64 s[6:7], s[16:17], v[20:21]
	s_and_saveexec_b64 s[20:21], s[6:7]
	s_cbranch_execz .LBB161_12
; %bb.11:                               ;   in Loop: Header=BB161_4 Depth=1
	v_mov_b32_e32 v16, s26
	v_add_co_u32_e64 v20, s[8:9], s25, v2
	v_addc_co_u32_e64 v21, s[8:9], v3, v16, s[8:9]
	global_load_dword v16, v[20:21], off
.LBB161_12:                             ;   in Loop: Header=BB161_4 Depth=1
	s_or_b64 exec, exec, s[20:21]
	s_waitcnt vmcnt(0)
	v_cmp_nlt_f32_e64 s[8:9], |v15|, s29
                                        ; implicit-def: $vgpr19
	s_and_saveexec_b64 s[20:21], s[8:9]
	s_xor_b64 s[20:21], exec, s[20:21]
	s_cbranch_execz .LBB161_14
; %bb.13:                               ;   in Loop: Header=BB161_4 Depth=1
	v_add_f32_e64 v19, |v15|, |v15|
	v_mul_f32_e32 v20, 0x3fb8aa3b, v19
	v_rndne_f32_e32 v21, v20
	v_sub_f32_e32 v22, v20, v21
	v_fma_f32 v20, v19, s30, -v20
	v_fmac_f32_e32 v20, 0x32a5705f, v19
	v_add_f32_e32 v20, v22, v20
	v_cvt_i32_f32_e32 v21, v21
	v_exp_f32_e32 v20, v20
	v_cmp_ngt_f32_e64 s[8:9], s31, v19
	v_ldexp_f32 v20, v20, v21
	v_cndmask_b32_e64 v20, 0, v20, s[8:9]
	v_cmp_nlt_f32_e64 s[8:9], s33, v19
	v_cndmask_b32_e64 v19, v14, v20, s[8:9]
	v_add_f32_e32 v19, 1.0, v19
	v_rcp_f32_e32 v19, v19
	v_fma_f32 v19, v19, -2.0, 1.0
.LBB161_14:                             ;   in Loop: Header=BB161_4 Depth=1
	s_andn2_saveexec_b64 s[8:9], s[20:21]
; %bb.15:                               ;   in Loop: Header=BB161_4 Depth=1
	v_mul_f32_e32 v19, v15, v15
	v_mov_b32_e32 v20, 0x3ca908c9
	v_fmac_f32_e32 v20, 0xbbbac73d, v19
	v_fma_f32 v20, v19, v20, v11
	v_fma_f32 v20, v19, v20, v12
	;; [unrolled: 1-line block ×3, first 2 shown]
	v_mul_f32_e64 v20, |v15|, v20
	v_fma_f32 v19, v19, v20, |v15|
; %bb.16:                               ;   in Loop: Header=BB161_4 Depth=1
	s_or_b64 exec, exec, s[8:9]
	v_cmp_nlt_f32_e64 s[8:9], |v17|, s29
                                        ; implicit-def: $vgpr20
	s_and_saveexec_b64 s[20:21], s[8:9]
	s_xor_b64 s[20:21], exec, s[20:21]
	s_cbranch_execz .LBB161_18
; %bb.17:                               ;   in Loop: Header=BB161_4 Depth=1
	v_add_f32_e64 v20, |v17|, |v17|
	v_mul_f32_e32 v21, 0x3fb8aa3b, v20
	v_rndne_f32_e32 v22, v21
	v_sub_f32_e32 v23, v21, v22
	v_fma_f32 v21, v20, s30, -v21
	v_fmac_f32_e32 v21, 0x32a5705f, v20
	v_add_f32_e32 v21, v23, v21
	v_cvt_i32_f32_e32 v22, v22
	v_exp_f32_e32 v21, v21
	v_cmp_ngt_f32_e64 s[8:9], s31, v20
	v_ldexp_f32 v21, v21, v22
	v_cndmask_b32_e64 v21, 0, v21, s[8:9]
	v_cmp_nlt_f32_e64 s[8:9], s33, v20
	v_cndmask_b32_e64 v20, v14, v21, s[8:9]
	v_add_f32_e32 v20, 1.0, v20
	v_rcp_f32_e32 v20, v20
	v_fma_f32 v20, v20, -2.0, 1.0
.LBB161_18:                             ;   in Loop: Header=BB161_4 Depth=1
	s_andn2_saveexec_b64 s[8:9], s[20:21]
; %bb.19:                               ;   in Loop: Header=BB161_4 Depth=1
	v_mul_f32_e32 v20, v17, v17
	v_mov_b32_e32 v21, 0x3ca908c9
	v_fmac_f32_e32 v21, 0xbbbac73d, v20
	v_fma_f32 v21, v20, v21, v11
	v_fma_f32 v21, v20, v21, v12
	;; [unrolled: 1-line block ×3, first 2 shown]
	v_mul_f32_e64 v21, |v17|, v21
	v_fma_f32 v20, v20, v21, |v17|
; %bb.20:                               ;   in Loop: Header=BB161_4 Depth=1
	s_or_b64 exec, exec, s[8:9]
	v_cmp_nlt_f32_e64 s[8:9], |v18|, s29
                                        ; implicit-def: $vgpr21
	s_and_saveexec_b64 s[20:21], s[8:9]
	s_xor_b64 s[20:21], exec, s[20:21]
	s_cbranch_execz .LBB161_22
; %bb.21:                               ;   in Loop: Header=BB161_4 Depth=1
	v_add_f32_e64 v21, |v18|, |v18|
	v_mul_f32_e32 v22, 0x3fb8aa3b, v21
	v_rndne_f32_e32 v23, v22
	v_sub_f32_e32 v24, v22, v23
	v_fma_f32 v22, v21, s30, -v22
	v_fmac_f32_e32 v22, 0x32a5705f, v21
	v_add_f32_e32 v22, v24, v22
	v_cvt_i32_f32_e32 v23, v23
	v_exp_f32_e32 v22, v22
	v_cmp_ngt_f32_e64 s[8:9], s31, v21
	v_ldexp_f32 v22, v22, v23
	v_cndmask_b32_e64 v22, 0, v22, s[8:9]
	v_cmp_nlt_f32_e64 s[8:9], s33, v21
	v_cndmask_b32_e64 v21, v14, v22, s[8:9]
	v_add_f32_e32 v21, 1.0, v21
	v_rcp_f32_e32 v21, v21
	v_fma_f32 v21, v21, -2.0, 1.0
.LBB161_22:                             ;   in Loop: Header=BB161_4 Depth=1
	s_andn2_saveexec_b64 s[8:9], s[20:21]
; %bb.23:                               ;   in Loop: Header=BB161_4 Depth=1
	v_mul_f32_e32 v21, v18, v18
	v_mov_b32_e32 v22, 0x3ca908c9
	v_fmac_f32_e32 v22, 0xbbbac73d, v21
	v_fma_f32 v22, v21, v22, v11
	v_fma_f32 v22, v21, v22, v12
	;; [unrolled: 1-line block ×3, first 2 shown]
	v_mul_f32_e64 v22, |v18|, v22
	v_fma_f32 v21, v21, v22, |v18|
; %bb.24:                               ;   in Loop: Header=BB161_4 Depth=1
	s_or_b64 exec, exec, s[8:9]
	v_cmp_nlt_f32_e64 s[8:9], |v16|, s29
                                        ; implicit-def: $vgpr22
	s_and_saveexec_b64 s[20:21], s[8:9]
	s_xor_b64 s[20:21], exec, s[20:21]
	s_cbranch_execnz .LBB161_30
; %bb.25:                               ;   in Loop: Header=BB161_4 Depth=1
	s_andn2_saveexec_b64 s[8:9], s[20:21]
	s_cbranch_execnz .LBB161_31
.LBB161_26:                             ;   in Loop: Header=BB161_4 Depth=1
	s_or_b64 exec, exec, s[8:9]
	s_and_saveexec_b64 s[8:9], vcc
	s_xor_b64 s[8:9], exec, s[8:9]
	s_cbranch_execnz .LBB161_32
.LBB161_27:                             ;   in Loop: Header=BB161_4 Depth=1
	s_or_b64 exec, exec, s[8:9]
	s_and_saveexec_b64 s[8:9], s[0:1]
	s_cbranch_execnz .LBB161_33
.LBB161_28:                             ;   in Loop: Header=BB161_4 Depth=1
	s_or_b64 exec, exec, s[8:9]
	s_and_saveexec_b64 s[0:1], s[2:3]
	s_cbranch_execnz .LBB161_34
.LBB161_29:                             ;   in Loop: Header=BB161_4 Depth=1
	s_or_b64 exec, exec, s[0:1]
	s_and_saveexec_b64 s[0:1], s[6:7]
	s_cbranch_execz .LBB161_3
	s_branch .LBB161_35
.LBB161_30:                             ;   in Loop: Header=BB161_4 Depth=1
	v_add_f32_e64 v22, |v16|, |v16|
	v_mul_f32_e32 v23, 0x3fb8aa3b, v22
	v_rndne_f32_e32 v24, v23
	v_sub_f32_e32 v25, v23, v24
	v_fma_f32 v23, v22, s30, -v23
	v_fmac_f32_e32 v23, 0x32a5705f, v22
	v_add_f32_e32 v23, v25, v23
	v_cvt_i32_f32_e32 v24, v24
	v_exp_f32_e32 v23, v23
	v_cmp_ngt_f32_e64 s[8:9], s31, v22
	v_ldexp_f32 v23, v23, v24
	v_cndmask_b32_e64 v23, 0, v23, s[8:9]
	v_cmp_nlt_f32_e64 s[8:9], s33, v22
	v_cndmask_b32_e64 v22, v14, v23, s[8:9]
	v_add_f32_e32 v22, 1.0, v22
	v_rcp_f32_e32 v22, v22
	v_fma_f32 v22, v22, -2.0, 1.0
	s_andn2_saveexec_b64 s[8:9], s[20:21]
	s_cbranch_execz .LBB161_26
.LBB161_31:                             ;   in Loop: Header=BB161_4 Depth=1
	v_mul_f32_e32 v22, v16, v16
	v_mov_b32_e32 v23, 0x3ca908c9
	v_fmac_f32_e32 v23, 0xbbbac73d, v22
	v_fma_f32 v23, v22, v23, v11
	v_fma_f32 v23, v22, v23, v12
	;; [unrolled: 1-line block ×3, first 2 shown]
	v_mul_f32_e64 v23, |v16|, v23
	v_fma_f32 v22, v22, v23, |v16|
	s_or_b64 exec, exec, s[8:9]
	s_and_saveexec_b64 s[8:9], vcc
	s_xor_b64 s[8:9], exec, s[8:9]
	s_cbranch_execz .LBB161_27
.LBB161_32:                             ;   in Loop: Header=BB161_4 Depth=1
	v_bfi_b32 v15, s34, v19, v15
	global_store_dword v[2:3], v15, off
	s_or_b64 exec, exec, s[8:9]
	s_and_saveexec_b64 s[8:9], s[0:1]
	s_cbranch_execz .LBB161_28
.LBB161_33:                             ;   in Loop: Header=BB161_4 Depth=1
	v_bfi_b32 v15, s34, v20, v17
	global_store_dword v[4:5], v15, off
	s_or_b64 exec, exec, s[8:9]
	s_and_saveexec_b64 s[0:1], s[2:3]
	s_cbranch_execz .LBB161_29
.LBB161_34:                             ;   in Loop: Header=BB161_4 Depth=1
	v_bfi_b32 v15, s34, v21, v18
	v_mov_b32_e32 v17, s28
	v_add_co_u32_e32 v18, vcc, s27, v2
	v_addc_co_u32_e32 v19, vcc, v3, v17, vcc
	global_store_dword v[18:19], v15, off
	s_or_b64 exec, exec, s[0:1]
	s_and_saveexec_b64 s[0:1], s[6:7]
	s_cbranch_execz .LBB161_3
.LBB161_35:                             ;   in Loop: Header=BB161_4 Depth=1
	v_bfi_b32 v15, s34, v22, v16
	v_mov_b32_e32 v17, s26
	v_add_co_u32_e32 v16, vcc, s25, v2
	v_addc_co_u32_e32 v17, vcc, v3, v17, vcc
	global_store_dword v[16:17], v15, off
	s_branch .LBB161_3
.LBB161_36:
	s_cbranch_execz .LBB161_38
	s_branch .LBB161_57
.LBB161_37:
.LBB161_38:
	v_mov_b32_e32 v5, 0
	v_lshlrev_b32_e32 v4, 2, v0
	s_mov_b32 s0, 0
	v_cmp_gt_i64_e32 vcc, s[10:11], v[4:5]
	s_and_saveexec_b64 s[2:3], vcc
	s_cbranch_execz .LBB161_57
; %bb.39:
	s_load_dword s1, s[4:5], 0xd3c
	v_lshlrev_b32_e32 v1, 4, v0
	s_mov_b32 s8, 0x3f200000
	s_mov_b32 s9, 0x3fb8aa3b
	v_mov_b32_e32 v8, 0xbd5c1c4e
	s_waitcnt lgkmcnt(0)
	s_and_b32 s1, s1, 0xffff
	s_lshl_b32 s6, s1, 2
	s_add_u32 s2, s12, s14
	s_addc_u32 s3, s13, s15
	v_add_lshl_u32 v4, v0, s1, 2
	v_mov_b32_e32 v0, s3
	v_add_co_u32_e32 v1, vcc, s2, v1
	v_addc_co_u32_e32 v0, vcc, 0, v0, vcc
	v_add_co_u32_e32 v6, vcc, 8, v1
	v_addc_co_u32_e32 v7, vcc, 0, v0, vcc
	s_lshl_b32 s7, s1, 4
	s_mov_b64 s[2:3], 0
	s_mov_b32 s12, 0xc2ce8ed0
	s_mov_b32 s13, 0x42b17218
	v_mov_b32_e32 v9, 0x3e088382
	v_mov_b32_e32 v10, 0xbeaaaa99
	s_brev_b32 s14, -2
	s_mov_b64 s[4:5], 0xffff
	v_mov_b32_e32 v11, 0x7f800000
	v_mov_b32_e32 v12, s0
	v_mov_b32_e32 v13, s0
	s_branch .LBB161_41
.LBB161_40:                             ;   in Loop: Header=BB161_41 Depth=1
	s_or_b64 exec, exec, s[0:1]
	v_cmp_le_i64_e32 vcc, s[10:11], v[4:5]
	v_cmp_lt_u64_e64 s[0:1], s[4:5], v[4:5]
	s_or_b64 s[0:1], vcc, s[0:1]
	v_add_co_u32_e32 v4, vcc, s6, v4
	v_bfi_b32 v2, s14, v16, v2
	v_bfi_b32 v1, s14, v15, v1
	;; [unrolled: 1-line block ×4, first 2 shown]
	v_addc_co_u32_e32 v5, vcc, v5, v12, vcc
	global_store_dwordx4 v[6:7], v[0:3], off offset:-8
	s_and_b64 s[0:1], exec, s[0:1]
	v_add_co_u32_e32 v6, vcc, s7, v6
	s_or_b64 s[2:3], s[0:1], s[2:3]
	v_addc_co_u32_e32 v7, vcc, v7, v13, vcc
	s_andn2_b64 exec, exec, s[2:3]
	s_cbranch_execz .LBB161_57
.LBB161_41:                             ; =>This Inner Loop Header: Depth=1
	global_load_dwordx4 v[0:3], v[6:7], off offset:-8
                                        ; implicit-def: $vgpr14
	s_waitcnt vmcnt(0)
	v_cmp_nlt_f32_e64 s[0:1], |v0|, s8
	s_and_saveexec_b64 s[16:17], s[0:1]
	s_xor_b64 s[0:1], exec, s[16:17]
	s_cbranch_execz .LBB161_43
; %bb.42:                               ;   in Loop: Header=BB161_41 Depth=1
	v_add_f32_e64 v14, |v0|, |v0|
	v_mul_f32_e32 v15, 0x3fb8aa3b, v14
	v_rndne_f32_e32 v16, v15
	v_sub_f32_e32 v17, v15, v16
	v_fma_f32 v15, v14, s9, -v15
	v_fmac_f32_e32 v15, 0x32a5705f, v14
	v_add_f32_e32 v15, v17, v15
	v_cvt_i32_f32_e32 v16, v16
	v_exp_f32_e32 v15, v15
	v_cmp_ngt_f32_e32 vcc, s12, v14
	v_ldexp_f32 v15, v15, v16
	v_cndmask_b32_e32 v15, 0, v15, vcc
	v_cmp_nlt_f32_e32 vcc, s13, v14
	v_cndmask_b32_e32 v14, v11, v15, vcc
	v_add_f32_e32 v14, 1.0, v14
	v_rcp_f32_e32 v14, v14
	v_fma_f32 v14, v14, -2.0, 1.0
.LBB161_43:                             ;   in Loop: Header=BB161_41 Depth=1
	s_andn2_saveexec_b64 s[0:1], s[0:1]
; %bb.44:                               ;   in Loop: Header=BB161_41 Depth=1
	v_mul_f32_e32 v14, v0, v0
	v_mov_b32_e32 v15, 0x3ca908c9
	v_fmac_f32_e32 v15, 0xbbbac73d, v14
	v_fma_f32 v15, v14, v15, v8
	v_fma_f32 v15, v14, v15, v9
	;; [unrolled: 1-line block ×3, first 2 shown]
	v_mul_f32_e64 v15, |v0|, v15
	v_fma_f32 v14, v14, v15, |v0|
; %bb.45:                               ;   in Loop: Header=BB161_41 Depth=1
	s_or_b64 exec, exec, s[0:1]
	v_cmp_nlt_f32_e64 s[0:1], |v1|, s8
                                        ; implicit-def: $vgpr15
	s_and_saveexec_b64 s[16:17], s[0:1]
	s_xor_b64 s[0:1], exec, s[16:17]
	s_cbranch_execz .LBB161_47
; %bb.46:                               ;   in Loop: Header=BB161_41 Depth=1
	v_add_f32_e64 v15, |v1|, |v1|
	v_mul_f32_e32 v16, 0x3fb8aa3b, v15
	v_rndne_f32_e32 v17, v16
	v_sub_f32_e32 v18, v16, v17
	v_fma_f32 v16, v15, s9, -v16
	v_fmac_f32_e32 v16, 0x32a5705f, v15
	v_add_f32_e32 v16, v18, v16
	v_cvt_i32_f32_e32 v17, v17
	v_exp_f32_e32 v16, v16
	v_cmp_ngt_f32_e32 vcc, s12, v15
	v_ldexp_f32 v16, v16, v17
	v_cndmask_b32_e32 v16, 0, v16, vcc
	v_cmp_nlt_f32_e32 vcc, s13, v15
	v_cndmask_b32_e32 v15, v11, v16, vcc
	v_add_f32_e32 v15, 1.0, v15
	v_rcp_f32_e32 v15, v15
	v_fma_f32 v15, v15, -2.0, 1.0
.LBB161_47:                             ;   in Loop: Header=BB161_41 Depth=1
	s_andn2_saveexec_b64 s[0:1], s[0:1]
; %bb.48:                               ;   in Loop: Header=BB161_41 Depth=1
	v_mul_f32_e32 v15, v1, v1
	v_mov_b32_e32 v16, 0x3ca908c9
	v_fmac_f32_e32 v16, 0xbbbac73d, v15
	v_fma_f32 v16, v15, v16, v8
	v_fma_f32 v16, v15, v16, v9
	;; [unrolled: 1-line block ×3, first 2 shown]
	v_mul_f32_e64 v16, |v1|, v16
	v_fma_f32 v15, v15, v16, |v1|
; %bb.49:                               ;   in Loop: Header=BB161_41 Depth=1
	s_or_b64 exec, exec, s[0:1]
	v_cmp_nlt_f32_e64 s[0:1], |v2|, s8
                                        ; implicit-def: $vgpr16
	s_and_saveexec_b64 s[16:17], s[0:1]
	s_xor_b64 s[0:1], exec, s[16:17]
	s_cbranch_execz .LBB161_51
; %bb.50:                               ;   in Loop: Header=BB161_41 Depth=1
	v_add_f32_e64 v16, |v2|, |v2|
	v_mul_f32_e32 v17, 0x3fb8aa3b, v16
	v_rndne_f32_e32 v18, v17
	v_sub_f32_e32 v19, v17, v18
	v_fma_f32 v17, v16, s9, -v17
	v_fmac_f32_e32 v17, 0x32a5705f, v16
	v_add_f32_e32 v17, v19, v17
	v_cvt_i32_f32_e32 v18, v18
	v_exp_f32_e32 v17, v17
	v_cmp_ngt_f32_e32 vcc, s12, v16
	v_ldexp_f32 v17, v17, v18
	v_cndmask_b32_e32 v17, 0, v17, vcc
	v_cmp_nlt_f32_e32 vcc, s13, v16
	v_cndmask_b32_e32 v16, v11, v17, vcc
	v_add_f32_e32 v16, 1.0, v16
	v_rcp_f32_e32 v16, v16
	v_fma_f32 v16, v16, -2.0, 1.0
.LBB161_51:                             ;   in Loop: Header=BB161_41 Depth=1
	s_andn2_saveexec_b64 s[0:1], s[0:1]
; %bb.52:                               ;   in Loop: Header=BB161_41 Depth=1
	v_mul_f32_e32 v16, v2, v2
	v_mov_b32_e32 v17, 0x3ca908c9
	v_fmac_f32_e32 v17, 0xbbbac73d, v16
	v_fma_f32 v17, v16, v17, v8
	v_fma_f32 v17, v16, v17, v9
	;; [unrolled: 1-line block ×3, first 2 shown]
	v_mul_f32_e64 v17, |v2|, v17
	v_fma_f32 v16, v16, v17, |v2|
; %bb.53:                               ;   in Loop: Header=BB161_41 Depth=1
	s_or_b64 exec, exec, s[0:1]
	v_cmp_nlt_f32_e64 s[0:1], |v3|, s8
                                        ; implicit-def: $vgpr17
	s_and_saveexec_b64 s[16:17], s[0:1]
	s_xor_b64 s[0:1], exec, s[16:17]
	s_cbranch_execz .LBB161_55
; %bb.54:                               ;   in Loop: Header=BB161_41 Depth=1
	v_add_f32_e64 v17, |v3|, |v3|
	v_mul_f32_e32 v18, 0x3fb8aa3b, v17
	v_rndne_f32_e32 v19, v18
	v_sub_f32_e32 v20, v18, v19
	v_fma_f32 v18, v17, s9, -v18
	v_fmac_f32_e32 v18, 0x32a5705f, v17
	v_add_f32_e32 v18, v20, v18
	v_cvt_i32_f32_e32 v19, v19
	v_exp_f32_e32 v18, v18
	v_cmp_ngt_f32_e32 vcc, s12, v17
	v_ldexp_f32 v18, v18, v19
	v_cndmask_b32_e32 v18, 0, v18, vcc
	v_cmp_nlt_f32_e32 vcc, s13, v17
	v_cndmask_b32_e32 v17, v11, v18, vcc
	v_add_f32_e32 v17, 1.0, v17
	v_rcp_f32_e32 v17, v17
	v_fma_f32 v17, v17, -2.0, 1.0
.LBB161_55:                             ;   in Loop: Header=BB161_41 Depth=1
	s_andn2_saveexec_b64 s[0:1], s[0:1]
	s_cbranch_execz .LBB161_40
; %bb.56:                               ;   in Loop: Header=BB161_41 Depth=1
	v_mul_f32_e32 v17, v3, v3
	v_mov_b32_e32 v18, 0x3ca908c9
	v_fmac_f32_e32 v18, 0xbbbac73d, v17
	v_fma_f32 v18, v17, v18, v8
	v_fma_f32 v18, v17, v18, v9
	;; [unrolled: 1-line block ×3, first 2 shown]
	v_mul_f32_e64 v18, |v3|, v18
	v_fma_f32 v17, v17, v18, |v3|
	s_branch .LBB161_40
.LBB161_57:
	s_endpgm
	.section	.rodata,"a",@progbits
	.p2align	6, 0x0
	.amdhsa_kernel _ZN2at6native12_GLOBAL__N_125multi_tensor_apply_kernelINS1_18TensorListMetadataILi1EEENS1_14UnaryOpFunctorIfLi1ELi1ELi0EEEJNS0_4TanhIfEEEEEvT_T0_DpT1_
		.amdhsa_group_segment_fixed_size 0
		.amdhsa_private_segment_fixed_size 0
		.amdhsa_kernarg_size 3632
		.amdhsa_user_sgpr_count 6
		.amdhsa_user_sgpr_private_segment_buffer 1
		.amdhsa_user_sgpr_dispatch_ptr 0
		.amdhsa_user_sgpr_queue_ptr 0
		.amdhsa_user_sgpr_kernarg_segment_ptr 1
		.amdhsa_user_sgpr_dispatch_id 0
		.amdhsa_user_sgpr_flat_scratch_init 0
		.amdhsa_user_sgpr_kernarg_preload_length 0
		.amdhsa_user_sgpr_kernarg_preload_offset 0
		.amdhsa_user_sgpr_private_segment_size 0
		.amdhsa_uses_dynamic_stack 0
		.amdhsa_system_sgpr_private_segment_wavefront_offset 0
		.amdhsa_system_sgpr_workgroup_id_x 1
		.amdhsa_system_sgpr_workgroup_id_y 0
		.amdhsa_system_sgpr_workgroup_id_z 0
		.amdhsa_system_sgpr_workgroup_info 0
		.amdhsa_system_vgpr_workitem_id 0
		.amdhsa_next_free_vgpr 26
		.amdhsa_next_free_sgpr 35
		.amdhsa_accum_offset 28
		.amdhsa_reserve_vcc 1
		.amdhsa_reserve_flat_scratch 0
		.amdhsa_float_round_mode_32 0
		.amdhsa_float_round_mode_16_64 0
		.amdhsa_float_denorm_mode_32 3
		.amdhsa_float_denorm_mode_16_64 3
		.amdhsa_dx10_clamp 1
		.amdhsa_ieee_mode 1
		.amdhsa_fp16_overflow 0
		.amdhsa_tg_split 0
		.amdhsa_exception_fp_ieee_invalid_op 0
		.amdhsa_exception_fp_denorm_src 0
		.amdhsa_exception_fp_ieee_div_zero 0
		.amdhsa_exception_fp_ieee_overflow 0
		.amdhsa_exception_fp_ieee_underflow 0
		.amdhsa_exception_fp_ieee_inexact 0
		.amdhsa_exception_int_div_zero 0
	.end_amdhsa_kernel
	.section	.text._ZN2at6native12_GLOBAL__N_125multi_tensor_apply_kernelINS1_18TensorListMetadataILi1EEENS1_14UnaryOpFunctorIfLi1ELi1ELi0EEEJNS0_4TanhIfEEEEEvT_T0_DpT1_,"axG",@progbits,_ZN2at6native12_GLOBAL__N_125multi_tensor_apply_kernelINS1_18TensorListMetadataILi1EEENS1_14UnaryOpFunctorIfLi1ELi1ELi0EEEJNS0_4TanhIfEEEEEvT_T0_DpT1_,comdat
.Lfunc_end161:
	.size	_ZN2at6native12_GLOBAL__N_125multi_tensor_apply_kernelINS1_18TensorListMetadataILi1EEENS1_14UnaryOpFunctorIfLi1ELi1ELi0EEEJNS0_4TanhIfEEEEEvT_T0_DpT1_, .Lfunc_end161-_ZN2at6native12_GLOBAL__N_125multi_tensor_apply_kernelINS1_18TensorListMetadataILi1EEENS1_14UnaryOpFunctorIfLi1ELi1ELi0EEEJNS0_4TanhIfEEEEEvT_T0_DpT1_
                                        ; -- End function
	.section	.AMDGPU.csdata,"",@progbits
; Kernel info:
; codeLenInByte = 2712
; NumSgprs: 39
; NumVgprs: 26
; NumAgprs: 0
; TotalNumVgprs: 26
; ScratchSize: 0
; MemoryBound: 0
; FloatMode: 240
; IeeeMode: 1
; LDSByteSize: 0 bytes/workgroup (compile time only)
; SGPRBlocks: 4
; VGPRBlocks: 3
; NumSGPRsForWavesPerEU: 39
; NumVGPRsForWavesPerEU: 26
; AccumOffset: 28
; Occupancy: 8
; WaveLimiterHint : 0
; COMPUTE_PGM_RSRC2:SCRATCH_EN: 0
; COMPUTE_PGM_RSRC2:USER_SGPR: 6
; COMPUTE_PGM_RSRC2:TRAP_HANDLER: 0
; COMPUTE_PGM_RSRC2:TGID_X_EN: 1
; COMPUTE_PGM_RSRC2:TGID_Y_EN: 0
; COMPUTE_PGM_RSRC2:TGID_Z_EN: 0
; COMPUTE_PGM_RSRC2:TIDIG_COMP_CNT: 0
; COMPUTE_PGM_RSRC3_GFX90A:ACCUM_OFFSET: 6
; COMPUTE_PGM_RSRC3_GFX90A:TG_SPLIT: 0
	.section	.text._ZN2at6native12_GLOBAL__N_125multi_tensor_apply_kernelINS1_18TensorListMetadataILi1EEENS1_14UnaryOpFunctorIN3c107complexIdEELi1ELi1ELi0EEEJNS0_4TanhIS8_EEEEEvT_T0_DpT1_,"axG",@progbits,_ZN2at6native12_GLOBAL__N_125multi_tensor_apply_kernelINS1_18TensorListMetadataILi1EEENS1_14UnaryOpFunctorIN3c107complexIdEELi1ELi1ELi0EEEJNS0_4TanhIS8_EEEEEvT_T0_DpT1_,comdat
	.globl	_ZN2at6native12_GLOBAL__N_125multi_tensor_apply_kernelINS1_18TensorListMetadataILi1EEENS1_14UnaryOpFunctorIN3c107complexIdEELi1ELi1ELi0EEEJNS0_4TanhIS8_EEEEEvT_T0_DpT1_ ; -- Begin function _ZN2at6native12_GLOBAL__N_125multi_tensor_apply_kernelINS1_18TensorListMetadataILi1EEENS1_14UnaryOpFunctorIN3c107complexIdEELi1ELi1ELi0EEEJNS0_4TanhIS8_EEEEEvT_T0_DpT1_
	.p2align	8
	.type	_ZN2at6native12_GLOBAL__N_125multi_tensor_apply_kernelINS1_18TensorListMetadataILi1EEENS1_14UnaryOpFunctorIN3c107complexIdEELi1ELi1ELi0EEEJNS0_4TanhIS8_EEEEEvT_T0_DpT1_,@function
_ZN2at6native12_GLOBAL__N_125multi_tensor_apply_kernelINS1_18TensorListMetadataILi1EEENS1_14UnaryOpFunctorIN3c107complexIdEELi1ELi1ELi0EEEJNS0_4TanhIS8_EEEEEvT_T0_DpT1_: ; @_ZN2at6native12_GLOBAL__N_125multi_tensor_apply_kernelINS1_18TensorListMetadataILi1EEENS1_14UnaryOpFunctorIN3c107complexIdEELi1ELi1ELi0EEEJNS0_4TanhIS8_EEEEEvT_T0_DpT1_
; %bb.0:
	v_mov_b32_e32 v1, s6
	global_load_ubyte v1, v1, s[4:5] offset:1760
	s_add_u32 s0, s4, s6
	s_mul_hi_u32 s1, s6, 3
	s_mul_i32 s6, s6, 3
	s_addc_u32 s2, s5, 0
	s_add_u32 s0, s0, s6
	s_addc_u32 s1, s2, s1
	s_load_dword s0, s[0:1], 0x820
                                        ; implicit-def: $vgpr112 : SGPR spill to VGPR lane
	s_mov_b32 s7, 0
	s_waitcnt vmcnt(0)
	v_readfirstlane_b32 s1, v1
	s_lshl_b32 s1, s1, 3
	s_load_dwordx2 s[8:9], s[4:5], s1 offset:0x0
	s_load_dwordx2 s[2:3], s[4:5], s1 offset:0x370
	s_waitcnt lgkmcnt(0)
	s_ashr_i32 s1, s0, 31
	s_lshl_b64 s[10:11], s[0:1], 20
	s_add_u32 s33, s8, s10
	v_writelane_b32 v112, s8, 0
	v_writelane_b32 v112, s9, 1
	;; [unrolled: 1-line block ×3, first 2 shown]
	s_addc_u32 s70, s9, s11
	s_lshl_b64 s[0:1], s[0:1], 16
	s_and_b32 s6, s33, 63
	s_sub_u32 s12, s2, s0
	s_subb_u32 s13, s3, s1
	s_and_b32 s0, s2, 3
	s_mov_b32 s1, s7
	s_or_b64 s[0:1], s[6:7], s[0:1]
	s_cmp_eq_u64 s[0:1], 0
	v_writelane_b32 v112, s11, 3
	s_cbranch_scc1 .LBB162_173
; %bb.1:
	v_cmp_lt_i64_e64 s[0:1], s[12:13], 1
	s_and_b64 vcc, exec, s[0:1]
	s_cbranch_vccnz .LBB162_172
; %bb.2:
	s_load_dword s0, s[4:5], 0xd3c
	v_mov_b32_e32 v2, 0x10000
	v_mov_b32_e32 v3, 0
	v_mov_b32_e32 v18, 0
	v_cmp_lt_u64_e32 vcc, s[12:13], v[2:3]
	s_waitcnt lgkmcnt(0)
	s_and_b32 s2, s0, 0xffff
	s_and_b64 s[0:1], vcc, exec
	s_mul_i32 s6, s2, 3
	v_lshlrev_b32_e32 v20, 4, v0
	v_mov_b32_e32 v21, v18
	v_add_co_u32_e32 v25, vcc, s2, v0
	v_addc_co_u32_e64 v27, s[0:1], 0, 0, vcc
	v_mad_u64_u32 v[22:23], s[0:1], s2, 48, v[20:21]
	v_add_co_u32_e32 v21, vcc, s6, v0
	v_addc_co_u32_e64 v88, s[0:1], 0, 0, vcc
	s_cselect_b32 s19, s13, 0
	s_cselect_b32 s18, s12, 0x10000
	s_lshl_b32 s0, s2, 5
	s_lshl_b32 s3, s2, 1
	v_add_co_u32_e32 v2, vcc, s0, v20
	v_addc_co_u32_e64 v1, s[0:1], 0, 0, vcc
	v_add_co_u32_e32 v89, vcc, s3, v0
	s_mov_b32 s22, 0
	s_mov_b32 s24, 0
	;; [unrolled: 1-line block ×22, first 2 shown]
	s_lshl_b32 s71, s2, 2
	s_lshl_b32 s72, s2, 6
	v_or_b32_e32 v22, 8, v22
	v_lshlrev_b32_e32 v24, 4, v25
	v_or_b32_e32 v26, 8, v2
	v_addc_co_u32_e64 v90, s[0:1], 0, 0, vcc
	s_mov_b64 s[20:21], 0
	s_brev_b32 s73, -2
	s_mov_b32 s94, 0x7ff00000
	s_movk_i32 s95, 0x1f8
	s_mov_b32 s23, 0x41d00000
	s_mov_b32 s25, 0x7b000000
	s_movk_i32 s17, 0xff80
	s_mov_b32 s27, 0x7ff00000
	s_mov_b32 s29, 0x3ff921fb
	;; [unrolled: 1-line block ×17, first 2 shown]
	v_mov_b32_e32 v91, 0x260
	s_mov_b32 s75, 0x3e21eeb6
	s_mov_b32 s77, 0xbda907db
	;; [unrolled: 1-line block ×5, first 2 shown]
	v_mov_b32_e32 v92, 0x40100000
	v_mov_b32_e32 v93, 0x3ff00000
	;; [unrolled: 1-line block ×22, first 2 shown]
	s_mov_b32 s85, 0xbe5ae600
	v_mov_b32_e32 v64, 0x11122322
	s_mov_b32 s87, 0x3de5e0b2
	v_mov_b32_e32 v66, 0x555502a1
	;; [unrolled: 2-line block ×6, first 2 shown]
	v_mov_b32_e32 v31, 0x3f17746f
	v_mov_b32_e32 v33, 0xbefbb44d
	;; [unrolled: 1-line block ×21, first 2 shown]
	s_branch .LBB162_4
.LBB162_3:                              ;   in Loop: Header=BB162_4 Depth=1
	s_or_b64 exec, exec, s[0:1]
	s_add_u32 s20, s20, s71
	s_addc_u32 s21, s21, 0
	v_pk_mov_b32 v[2:3], s[12:13], s[12:13] op_sel:[0,1]
	v_cmp_ge_i64_e32 vcc, s[20:21], v[2:3]
	v_mov_b32_e32 v2, 0xffff
	v_mov_b32_e32 v3, 0
	v_cmp_gt_u64_e64 s[0:1], s[20:21], v[2:3]
	s_or_b64 s[0:1], vcc, s[0:1]
	s_add_u32 s33, s33, s72
	s_addc_u32 s70, s70, 0
	s_and_b64 vcc, exec, s[0:1]
	s_cbranch_vccnz .LBB162_172
.LBB162_4:                              ; =>This Inner Loop Header: Depth=1
	v_mov_b32_e32 v3, s21
	v_add_co_u32_e32 v2, vcc, s20, v0
	v_addc_co_u32_e32 v3, vcc, 0, v3, vcc
	v_pk_mov_b32 v[4:5], 0, 0
	v_cmp_gt_u64_e64 s[0:1], s[18:19], v[2:3]
	v_pk_mov_b32 v[8:9], v[4:5], v[4:5] op_sel:[0,1]
	v_pk_mov_b32 v[6:7], v[4:5], v[4:5] op_sel:[0,1]
	s_and_saveexec_b64 s[2:3], s[0:1]
	s_cbranch_execz .LBB162_6
; %bb.5:                                ;   in Loop: Header=BB162_4 Depth=1
	v_mov_b32_e32 v3, s70
	v_add_co_u32_e32 v2, vcc, s33, v20
	v_addc_co_u32_e32 v3, vcc, 0, v3, vcc
	global_load_dwordx4 v[6:9], v[2:3], off
.LBB162_6:                              ;   in Loop: Header=BB162_4 Depth=1
	s_or_b64 exec, exec, s[2:3]
	v_mov_b32_e32 v3, s21
	v_add_co_u32_e32 v2, vcc, s20, v25
	v_addc_co_u32_e32 v3, vcc, v27, v3, vcc
	v_cmp_gt_u64_e64 s[2:3], s[18:19], v[2:3]
	v_pk_mov_b32 v[2:3], v[4:5], v[4:5] op_sel:[0,1]
	s_and_saveexec_b64 s[6:7], s[2:3]
	s_cbranch_execz .LBB162_8
; %bb.7:                                ;   in Loop: Header=BB162_4 Depth=1
	v_mov_b32_e32 v3, s70
	v_add_co_u32_e32 v2, vcc, s33, v24
	v_addc_co_u32_e32 v3, vcc, 0, v3, vcc
	global_load_dwordx4 v[2:5], v[2:3], off
.LBB162_8:                              ;   in Loop: Header=BB162_4 Depth=1
	s_or_b64 exec, exec, s[6:7]
	v_mov_b32_e32 v11, s21
	v_add_co_u32_e32 v10, vcc, s20, v89
	v_addc_co_u32_e32 v11, vcc, v90, v11, vcc
	v_pk_mov_b32 v[12:13], 0, 0
	v_cmp_gt_u64_e64 s[6:7], s[18:19], v[10:11]
	v_pk_mov_b32 v[16:17], v[12:13], v[12:13] op_sel:[0,1]
	v_pk_mov_b32 v[14:15], v[12:13], v[12:13] op_sel:[0,1]
	s_and_saveexec_b64 s[8:9], s[6:7]
	s_cbranch_execz .LBB162_10
; %bb.9:                                ;   in Loop: Header=BB162_4 Depth=1
	v_mov_b32_e32 v11, s70
	v_add_co_u32_e32 v10, vcc, s33, v26
	v_addc_co_u32_e32 v11, vcc, v11, v1, vcc
	global_load_dwordx4 v[14:17], v[10:11], off offset:-8
.LBB162_10:                             ;   in Loop: Header=BB162_4 Depth=1
	s_or_b64 exec, exec, s[8:9]
	v_mov_b32_e32 v11, s21
	v_add_co_u32_e32 v10, vcc, s20, v21
	v_addc_co_u32_e32 v11, vcc, v88, v11, vcc
	v_cmp_gt_u64_e64 s[8:9], s[18:19], v[10:11]
	v_pk_mov_b32 v[10:11], v[12:13], v[12:13] op_sel:[0,1]
	s_and_saveexec_b64 s[10:11], s[8:9]
	s_cbranch_execz .LBB162_12
; %bb.11:                               ;   in Loop: Header=BB162_4 Depth=1
	v_mov_b32_e32 v11, s70
	v_add_co_u32_e32 v10, vcc, s33, v22
	v_addc_co_u32_e32 v11, vcc, v11, v23, vcc
	global_load_dwordx4 v[10:13], v[10:11], off offset:-8
.LBB162_12:                             ;   in Loop: Header=BB162_4 Depth=1
	s_or_b64 exec, exec, s[10:11]
	s_waitcnt vmcnt(0)
	v_and_b32_e32 v76, 0x7fffffff, v7
	v_cmp_gt_u32_e32 vcc, s94, v76
	s_and_saveexec_b64 s[10:11], vcc
	s_xor_b64 s[14:15], exec, s[10:11]
	s_cbranch_execz .LBB162_34
; %bb.13:                               ;   in Loop: Header=BB162_4 Depth=1
	v_cmp_class_f64_e64 s[10:11], v[8:9], s95
	s_and_saveexec_b64 s[44:45], s[10:11]
	s_xor_b64 s[44:45], exec, s[44:45]
	s_cbranch_execz .LBB162_31
; %bb.14:                               ;   in Loop: Header=BB162_4 Depth=1
	s_mov_b32 s10, 0x40360000
	v_cmp_gt_u32_e32 vcc, s10, v76
	s_and_saveexec_b64 s[10:11], vcc
	s_xor_b64 s[58:59], exec, s[10:11]
	s_cbranch_execz .LBB162_20
; %bb.15:                               ;   in Loop: Header=BB162_4 Depth=1
	v_cmp_nlt_f64_e64 s[10:11], |v[8:9]|, s[22:23]
                                        ; implicit-def: $vgpr77
                                        ; implicit-def: $vgpr72_vgpr73
                                        ; implicit-def: $vgpr74_vgpr75
	s_and_saveexec_b64 s[60:61], s[10:11]
	s_xor_b64 s[60:61], exec, s[60:61]
	s_cbranch_execz .LBB162_17
; %bb.16:                               ;   in Loop: Header=BB162_4 Depth=1
	v_and_b32_e32 v19, 0x7fffffff, v9
	v_ldexp_f64 v[78:79], |v[8:9]|, s17
	v_cmp_ge_f64_e64 vcc, |v[8:9]|, s[24:25]
	v_trig_preop_f64 v[72:73], |v[8:9]|, 0
	v_cndmask_b32_e32 v79, v19, v79, vcc
	v_cndmask_b32_e32 v78, v8, v78, vcc
	v_trig_preop_f64 v[74:75], |v[8:9]|, 1
	v_mul_f64 v[82:83], v[72:73], v[78:79]
	v_mul_f64 v[80:81], v[74:75], v[78:79]
	v_fma_f64 v[72:73], v[72:73], v[78:79], -v[82:83]
	v_add_f64 v[84:85], v[80:81], v[72:73]
	v_add_f64 v[86:87], v[82:83], v[84:85]
	v_ldexp_f64 v[98:99], v[86:87], -2
	v_fract_f64_e32 v[100:101], v[98:99]
	v_cmp_neq_f64_e64 vcc, |v[98:99]|, s[26:27]
	v_cndmask_b32_e32 v99, 0, v101, vcc
	v_cndmask_b32_e32 v98, 0, v100, vcc
	v_add_f64 v[100:101], v[84:85], -v[80:81]
	v_add_f64 v[72:73], v[72:73], -v[100:101]
	;; [unrolled: 1-line block ×4, first 2 shown]
	v_fma_f64 v[74:75], v[74:75], v[78:79], -v[80:81]
	v_trig_preop_f64 v[80:81], |v[8:9]|, 2
	v_add_f64 v[72:73], v[72:73], v[100:101]
	v_mul_f64 v[100:101], v[80:81], v[78:79]
	v_add_f64 v[102:103], v[100:101], v[74:75]
	v_add_f64 v[104:105], v[102:103], v[72:73]
	v_add_f64 v[82:83], v[86:87], -v[82:83]
	v_add_f64 v[86:87], v[104:105], -v[102:103]
	;; [unrolled: 1-line block ×5, first 2 shown]
	v_add_f64 v[72:73], v[72:73], v[86:87]
	v_add_f64 v[86:87], v[102:103], -v[100:101]
	v_add_f64 v[74:75], v[74:75], -v[86:87]
	;; [unrolled: 1-line block ×4, first 2 shown]
	v_add_f64 v[74:75], v[74:75], v[86:87]
	v_add_f64 v[82:83], v[84:85], -v[82:83]
	v_add_f64 v[72:73], v[74:75], v[72:73]
	v_fma_f64 v[74:75], v[80:81], v[78:79], -v[100:101]
	v_add_f64 v[84:85], v[82:83], v[104:105]
	v_add_f64 v[72:73], v[74:75], v[72:73]
	v_ldexp_f64 v[74:75], v[98:99], 2
	v_add_f64 v[78:79], v[84:85], v[74:75]
	v_cmp_gt_f64_e32 vcc, 0, v[78:79]
	v_cndmask_b32_e32 v19, 0, v92, vcc
	v_add_f64 v[74:75], v[74:75], v[18:19]
	v_add_f64 v[78:79], v[84:85], v[74:75]
	v_cvt_i32_f64_e32 v19, v[78:79]
	v_cvt_f64_i32_e32 v[78:79], v19
	v_add_f64 v[74:75], v[74:75], -v[78:79]
	v_add_f64 v[82:83], v[84:85], -v[82:83]
	v_add_f64 v[78:79], v[84:85], v[74:75]
	v_add_f64 v[82:83], v[104:105], -v[82:83]
	v_add_f64 v[74:75], v[78:79], -v[74:75]
	v_cmp_le_f64_e32 vcc, 0.5, v[78:79]
	v_add_f64 v[72:73], v[82:83], v[72:73]
	v_add_f64 v[74:75], v[84:85], -v[74:75]
	v_addc_co_u32_e64 v77, s[10:11], 0, v19, vcc
	v_cndmask_b32_e32 v19, 0, v93, vcc
	v_add_f64 v[72:73], v[72:73], v[74:75]
	v_add_f64 v[74:75], v[78:79], -v[18:19]
	v_add_f64 v[78:79], v[74:75], v[72:73]
	v_add_f64 v[74:75], v[78:79], -v[74:75]
	s_mov_b32 s28, s30
	v_add_f64 v[72:73], v[72:73], -v[74:75]
	v_mul_f64 v[74:75], v[78:79], s[28:29]
	v_fma_f64 v[80:81], v[78:79], s[28:29], -v[74:75]
	s_mov_b32 s37, s35
	v_fmac_f64_e32 v[80:81], s[36:37], v[78:79]
	v_fmac_f64_e32 v[80:81], s[28:29], v[72:73]
	v_add_f64 v[72:73], v[74:75], v[80:81]
	v_add_f64 v[74:75], v[72:73], -v[74:75]
	v_add_f64 v[74:75], v[80:81], -v[74:75]
.LBB162_17:                             ;   in Loop: Header=BB162_4 Depth=1
	s_andn2_saveexec_b64 s[10:11], s[60:61]
	s_cbranch_execz .LBB162_19
; %bb.18:                               ;   in Loop: Header=BB162_4 Depth=1
	v_mul_f64 v[72:73], |v[8:9]|, s[38:39]
	v_rndne_f64_e32 v[78:79], v[72:73]
	v_fma_f64 v[72:73], v[78:79], s[30:31], |v[8:9]|
	v_mul_f64 v[80:81], v[78:79], s[40:41]
	v_add_f64 v[84:85], v[72:73], v[80:81]
	v_fma_f64 v[74:75], s[40:41], v[78:79], v[72:73]
	s_mov_b32 s34, s40
	v_add_f64 v[72:73], v[72:73], -v[84:85]
	v_fma_f64 v[82:83], s[34:35], v[78:79], v[80:81]
	v_add_f64 v[72:73], v[72:73], v[80:81]
	v_add_f64 v[80:81], v[84:85], -v[74:75]
	v_add_f64 v[72:73], v[80:81], v[72:73]
	v_add_f64 v[80:81], v[72:73], -v[82:83]
	v_fmac_f64_e32 v[80:81], s[42:43], v[78:79]
	v_add_f64 v[72:73], v[74:75], v[80:81]
	v_add_f64 v[74:75], v[72:73], -v[74:75]
	v_add_f64 v[74:75], v[80:81], -v[74:75]
	v_cvt_i32_f64_e32 v77, v[78:79]
.LBB162_19:                             ;   in Loop: Header=BB162_4 Depth=1
	s_or_b64 exec, exec, s[10:11]
	v_mul_f64 v[78:79], v[72:73], v[72:73]
	v_fma_f64 v[80:81], v[72:73], v[72:73], -v[78:79]
	v_add_f64 v[82:83], v[74:75], v[74:75]
	v_fmac_f64_e32 v[80:81], v[72:73], v[82:83]
	s_mov_b32 s10, 0xc751c08c
	v_add_f64 v[78:79], v[78:79], v[80:81]
	v_pk_mov_b32 v[80:81], v[28:29], v[28:29] op_sel:[0,1]
	s_mov_b32 s11, 0x3ef5e089
	v_fmac_f64_e32 v[80:81], s[10:11], v[78:79]
	v_pk_mov_b32 v[82:83], v[30:31], v[30:31] op_sel:[0,1]
	v_fmac_f64_e32 v[82:83], v[78:79], v[80:81]
	v_pk_mov_b32 v[80:81], v[32:33], v[32:33] op_sel:[0,1]
	;; [unrolled: 2-line block ×12, first 2 shown]
	v_fmac_f64_e32 v[80:81], v[78:79], v[82:83]
	v_mul_f64 v[78:79], v[78:79], v[80:81]
	v_mul_f64 v[80:81], v[72:73], v[78:79]
	v_add_f64 v[82:83], v[72:73], v[80:81]
	v_fma_f64 v[78:79], v[72:73], v[78:79], -v[80:81]
	v_add_f64 v[72:73], v[82:83], -v[72:73]
	v_add_f64 v[72:73], v[80:81], -v[72:73]
	v_add_f64 v[74:75], v[74:75], v[78:79]
	v_add_f64 v[72:73], v[74:75], v[72:73]
	;; [unrolled: 1-line block ×3, first 2 shown]
	v_rcp_f64_e32 v[78:79], v[74:75]
	v_add_f64 v[80:81], v[74:75], -v[82:83]
	v_add_f64 v[72:73], v[72:73], -v[80:81]
	v_and_b32_e32 v8, 1, v77
	v_fma_f64 v[80:81], -v[74:75], v[78:79], 1.0
	v_fmac_f64_e32 v[78:79], v[80:81], v[78:79]
	v_fma_f64 v[80:81], -v[74:75], v[78:79], 1.0
	v_fmac_f64_e32 v[78:79], v[80:81], v[78:79]
	v_mul_f64 v[80:81], v[74:75], v[78:79]
	v_fma_f64 v[82:83], v[78:79], v[74:75], -v[80:81]
	v_fmac_f64_e32 v[82:83], v[78:79], v[72:73]
	v_add_f64 v[72:73], v[80:81], v[82:83]
	v_add_f64 v[84:85], -v[72:73], 1.0
	v_add_f64 v[80:81], v[72:73], -v[80:81]
	v_add_f64 v[86:87], -v[84:85], 1.0
	v_add_f64 v[72:73], v[86:87], -v[72:73]
	v_add_f64 v[80:81], v[80:81], -v[82:83]
	v_add_f64 v[72:73], v[80:81], v[72:73]
	v_add_f64 v[72:73], v[84:85], v[72:73]
	v_mul_f64 v[72:73], v[78:79], v[72:73]
	v_add_f64 v[72:73], v[78:79], v[72:73]
	v_cmp_eq_u32_e32 vcc, 0, v8
	v_xor_b32_e32 v19, 0x80000000, v73
	v_cndmask_b32_e32 v8, v72, v74, vcc
	v_add_f64 v[72:73], |v[6:7]|, s[46:47]
	v_cndmask_b32_e32 v19, v19, v75, vcc
	v_add_f64 v[74:75], v[72:73], -|v[6:7]|
	v_add_f64 v[78:79], v[74:75], -v[72:73]
	s_mov_b32 s48, s46
	v_add_f64 v[78:79], |v[6:7]|, v[78:79]
	v_add_f64 v[74:75], v[74:75], s[48:49]
	v_add_f64 v[74:75], v[78:79], -v[74:75]
	v_add_f64 v[74:75], v[74:75], s[50:51]
	v_add_f64 v[78:79], v[72:73], v[74:75]
	v_add_f64 v[72:73], v[72:73], -v[78:79]
	s_mov_b32 s52, s54
	v_add_f64 v[72:73], v[74:75], v[72:73]
	v_mul_f64 v[74:75], v[78:79], s[52:53]
	v_rndne_f64_e32 v[74:75], v[74:75]
	s_mov_b32 s57, s47
	v_fmac_f64_e32 v[78:79], s[56:57], v[74:75]
	v_add_f64 v[80:81], v[72:73], v[78:79]
	s_mov_b32 s10, 0xf278e000
	v_add_f64 v[78:79], v[78:79], -v[80:81]
	s_mov_b32 s11, 0xbd53de6a
	v_add_f64 v[72:73], v[72:73], v[78:79]
	v_mul_f64 v[78:79], v[74:75], s[10:11]
	v_add_f64 v[82:83], v[80:81], v[78:79]
	v_add_f64 v[80:81], v[80:81], -v[82:83]
	v_add_f64 v[78:79], v[80:81], v[78:79]
	v_add_f64 v[72:73], v[72:73], v[78:79]
	;; [unrolled: 1-line block ×3, first 2 shown]
	s_mov_b32 s10, 0xf97b57a0
	v_add_f64 v[80:81], v[82:83], -v[78:79]
	s_mov_b32 s11, 0xbac9cc01
	v_add_f64 v[72:73], v[72:73], v[80:81]
	v_mul_f64 v[80:81], v[74:75], s[10:11]
	v_add_f64 v[82:83], v[78:79], v[80:81]
	v_add_f64 v[78:79], v[78:79], -v[82:83]
	v_add_f64 v[78:79], v[78:79], v[80:81]
	v_add_f64 v[72:73], v[72:73], v[78:79]
	;; [unrolled: 1-line block ×3, first 2 shown]
	v_add_f64 v[80:81], v[82:83], -v[78:79]
	v_add_f64 v[72:73], v[72:73], v[80:81]
	v_pk_mov_b32 v[80:81], v[54:55], v[54:55] op_sel:[0,1]
	v_fmac_f64_e32 v[80:81], s[62:63], v[78:79]
	v_pk_mov_b32 v[82:83], v[56:57], v[56:57] op_sel:[0,1]
	v_fmac_f64_e32 v[82:83], v[78:79], v[80:81]
	;; [unrolled: 2-line block ×9, first 2 shown]
	v_mul_f64 v[82:83], v[78:79], v[78:79]
	v_fma_f64 v[84:85], v[78:79], v[78:79], -v[82:83]
	v_add_f64 v[86:87], v[72:73], v[72:73]
	v_fmac_f64_e32 v[84:85], v[78:79], v[86:87]
	v_add_f64 v[86:87], v[82:83], v[84:85]
	v_add_f64 v[82:83], v[86:87], -v[82:83]
	v_add_f64 v[82:83], v[84:85], -v[82:83]
	v_mul_f64 v[84:85], v[86:87], v[80:81]
	v_fma_f64 v[86:87], v[86:87], v[80:81], -v[84:85]
	v_fmac_f64_e32 v[86:87], v[82:83], v[80:81]
	v_add_f64 v[80:81], v[84:85], v[86:87]
	v_add_f64 v[82:83], v[80:81], -v[84:85]
	v_add_f64 v[84:85], v[78:79], v[80:81]
	v_add_f64 v[82:83], v[86:87], -v[82:83]
	v_add_f64 v[78:79], v[84:85], -v[78:79]
	;; [unrolled: 1-line block ×3, first 2 shown]
	v_add_f64 v[72:73], v[72:73], v[82:83]
	v_add_f64 v[72:73], v[72:73], v[78:79]
	;; [unrolled: 1-line block ×3, first 2 shown]
	v_add_f64 v[80:81], v[78:79], -v[84:85]
	v_add_f64 v[72:73], v[72:73], -v[80:81]
	v_add_f64 v[80:81], v[78:79], 1.0
	v_add_f64 v[82:83], v[80:81], -1.0
	v_add_f64 v[78:79], v[78:79], -v[82:83]
	v_add_f64 v[72:73], v[72:73], v[78:79]
	v_add_f64 v[78:79], v[80:81], v[72:73]
	v_cvt_i32_f64_e32 v77, v[74:75]
	v_ldexp_f64 v[74:75], v[78:79], v77
	v_rcp_f64_e32 v[82:83], v[74:75]
	v_add_f64 v[78:79], v[78:79], -v[80:81]
	v_add_f64 v[72:73], v[72:73], -v[78:79]
	v_ldexp_f64 v[72:73], v[72:73], v77
	v_fma_f64 v[78:79], -v[74:75], v[82:83], 1.0
	v_fmac_f64_e32 v[82:83], v[78:79], v[82:83]
	v_fma_f64 v[78:79], -v[74:75], v[82:83], 1.0
	v_fmac_f64_e32 v[82:83], v[78:79], v[82:83]
	v_mul_f64 v[78:79], v[74:75], v[82:83]
	v_fma_f64 v[80:81], v[82:83], v[74:75], -v[78:79]
	v_fmac_f64_e32 v[80:81], v[82:83], v[72:73]
	v_add_f64 v[84:85], v[78:79], v[80:81]
	v_add_f64 v[86:87], -v[84:85], 1.0
	v_add_f64 v[78:79], v[84:85], -v[78:79]
	v_add_f64 v[98:99], -v[86:87], 1.0
	v_add_f64 v[84:85], v[98:99], -v[84:85]
	v_add_f64 v[78:79], v[78:79], -v[80:81]
	v_add_f64 v[78:79], v[78:79], v[84:85]
	v_add_f64 v[80:81], v[86:87], v[78:79]
	v_add_f64 v[84:85], v[86:87], -v[80:81]
	v_add_f64 v[78:79], v[78:79], v[84:85]
	v_mul_f64 v[84:85], v[82:83], v[80:81]
	v_mul_f64 v[86:87], v[74:75], v[84:85]
	v_fma_f64 v[98:99], v[84:85], v[74:75], -v[86:87]
	v_fmac_f64_e32 v[98:99], v[84:85], v[72:73]
	v_add_f64 v[100:101], v[86:87], v[98:99]
	v_add_f64 v[102:103], v[80:81], -v[100:101]
	v_add_f64 v[80:81], v[80:81], -v[102:103]
	v_add_f64 v[86:87], v[100:101], -v[86:87]
	v_add_f64 v[80:81], v[80:81], -v[100:101]
	v_add_f64 v[78:79], v[78:79], v[80:81]
	v_add_f64 v[80:81], v[86:87], -v[98:99]
	v_add_f64 v[78:79], v[80:81], v[78:79]
	v_add_f64 v[78:79], v[102:103], v[78:79]
	;; [unrolled: 1-line block ×3, first 2 shown]
	v_mul_f64 v[78:79], v[82:83], v[78:79]
	v_add_f64 v[82:83], v[80:81], -v[82:83]
	v_add_f64 v[82:83], v[84:85], -v[82:83]
	v_add_f64 v[78:79], v[82:83], v[78:79]
	v_add_f64 v[82:83], v[80:81], v[78:79]
	v_add_f64 v[80:81], v[82:83], -v[80:81]
	v_add_f64 v[78:79], v[78:79], -v[80:81]
	v_ldexp_f64 v[80:81], v[82:83], -2
	v_add_f64 v[82:83], v[74:75], -v[80:81]
	v_add_f64 v[74:75], v[74:75], -v[82:83]
	;; [unrolled: 1-line block ×3, first 2 shown]
	s_mov_b32 s10, 0x8fb9f87e
	v_ldexp_f64 v[78:79], v[78:79], -2
	v_add_f64 v[72:73], v[72:73], v[74:75]
	s_mov_b32 s11, 0x408633ce
	v_add_f64 v[72:73], v[72:73], -v[78:79]
	v_cmp_nge_f64_e64 vcc, |v[6:7]|, s[10:11]
	s_mov_b32 s10, 0
	v_add_f64 v[72:73], v[82:83], v[72:73]
	s_mov_b32 s11, 0x3e400000
	v_cndmask_b32_e32 v73, v94, v73, vcc
	v_cndmask_b32_e32 v72, 0, v72, vcc
	v_cmp_lt_f64_e64 vcc, |v[6:7]|, s[10:11]
	v_cndmask_b32_e32 v6, v72, v6, vcc
	v_cndmask_b32_e32 v72, v73, v76, vcc
	v_bfi_b32 v7, s73, v72, v7
	s_mov_b32 s10, 0
	v_fma_f64 v[72:73], v[6:7], v[6:7], 1.0
	s_brev_b32 s11, 8
	v_cmp_gt_f64_e32 vcc, s[10:11], v[72:73]
	v_cndmask_b32_e64 v74, 0, 1, vcc
	v_lshlrev_b32_e32 v74, 8, v74
	v_ldexp_f64 v[72:73], v[72:73], v74
	v_rsq_f64_e32 v[74:75], v[72:73]
	v_and_b32_e32 v9, 0x80000000, v9
	v_xor_b32_e32 v9, v19, v9
	v_cndmask_b32_e32 v19, 0, v95, vcc
	v_mul_f64 v[78:79], v[72:73], v[74:75]
	v_mul_f64 v[74:75], v[74:75], 0.5
	v_fma_f64 v[80:81], -v[74:75], v[78:79], 0.5
	v_fmac_f64_e32 v[78:79], v[78:79], v[80:81]
	v_fma_f64 v[82:83], -v[78:79], v[78:79], v[72:73]
	v_fmac_f64_e32 v[74:75], v[74:75], v[80:81]
	v_fmac_f64_e32 v[78:79], v[82:83], v[74:75]
	v_fma_f64 v[80:81], -v[78:79], v[78:79], v[72:73]
	v_fmac_f64_e32 v[78:79], v[80:81], v[74:75]
	v_ldexp_f64 v[74:75], v[78:79], v19
	v_cmp_class_f64_e32 vcc, v[72:73], v91
	v_fma_f64 v[76:77], v[8:9], v[8:9], 1.0
	v_cndmask_b32_e32 v73, v75, v73, vcc
	v_cndmask_b32_e32 v72, v74, v72, vcc
	v_mul_f64 v[74:75], v[6:7], v[76:77]
	v_mul_f64 v[72:73], v[72:73], v[76:77]
	v_fma_f64 v[74:75], v[6:7], v[74:75], 1.0
	v_mul_f64 v[6:7], v[6:7], v[72:73]
	v_div_scale_f64 v[72:73], s[10:11], v[74:75], v[74:75], v[6:7]
	v_rcp_f64_e32 v[76:77], v[72:73]
	v_fma_f64 v[78:79], -v[72:73], v[76:77], 1.0
	v_fmac_f64_e32 v[76:77], v[76:77], v[78:79]
	v_fma_f64 v[78:79], -v[72:73], v[76:77], 1.0
	v_fmac_f64_e32 v[76:77], v[76:77], v[78:79]
	v_div_scale_f64 v[78:79], vcc, v[6:7], v[74:75], v[6:7]
	v_mul_f64 v[80:81], v[78:79], v[76:77]
	v_fma_f64 v[72:73], -v[72:73], v[80:81], v[78:79]
	v_div_scale_f64 v[78:79], s[10:11], v[74:75], v[74:75], v[8:9]
	v_rcp_f64_e32 v[82:83], v[78:79]
	v_div_fmas_f64 v[72:73], v[72:73], v[76:77], v[80:81]
	v_div_fixup_f64 v[6:7], v[72:73], v[74:75], v[6:7]
	v_fma_f64 v[72:73], -v[78:79], v[82:83], 1.0
	v_fmac_f64_e32 v[82:83], v[82:83], v[72:73]
	v_fma_f64 v[72:73], -v[78:79], v[82:83], 1.0
	v_fmac_f64_e32 v[82:83], v[82:83], v[72:73]
	v_div_scale_f64 v[72:73], vcc, v[8:9], v[74:75], v[8:9]
	v_mul_f64 v[76:77], v[72:73], v[82:83]
	v_fma_f64 v[72:73], -v[78:79], v[76:77], v[72:73]
	s_nop 1
	v_div_fmas_f64 v[72:73], v[72:73], v[82:83], v[76:77]
	v_div_fixup_f64 v[8:9], v[72:73], v[74:75], v[8:9]
.LBB162_20:                             ;   in Loop: Header=BB162_4 Depth=1
	s_andn2_saveexec_b64 s[58:59], s[58:59]
	s_cbranch_execz .LBB162_23
; %bb.21:                               ;   in Loop: Header=BB162_4 Depth=1
	v_cmp_nlt_f64_e64 s[60:61], |v[8:9]|, s[22:23]
                                        ; implicit-def: $vgpr80
                                        ; implicit-def: $vgpr72_vgpr73
                                        ; implicit-def: $vgpr74_vgpr75
	s_and_saveexec_b64 s[10:11], s[60:61]
	s_xor_b64 s[68:69], exec, s[10:11]
	s_cbranch_execz .LBB162_24
; %bb.22:                               ;   in Loop: Header=BB162_4 Depth=1
	v_and_b32_e32 v19, 0x7fffffff, v9
	v_ldexp_f64 v[76:77], |v[8:9]|, s17
	v_cmp_ge_f64_e64 vcc, |v[8:9]|, s[24:25]
	v_trig_preop_f64 v[72:73], |v[8:9]|, 0
	v_cndmask_b32_e32 v77, v19, v77, vcc
	v_cndmask_b32_e32 v76, v8, v76, vcc
	v_trig_preop_f64 v[74:75], |v[8:9]|, 1
	v_mul_f64 v[80:81], v[72:73], v[76:77]
	v_mul_f64 v[78:79], v[74:75], v[76:77]
	v_fma_f64 v[72:73], v[72:73], v[76:77], -v[80:81]
	v_add_f64 v[82:83], v[78:79], v[72:73]
	v_add_f64 v[84:85], v[80:81], v[82:83]
	v_ldexp_f64 v[86:87], v[84:85], -2
	v_fract_f64_e32 v[98:99], v[86:87]
	v_cmp_neq_f64_e64 vcc, |v[86:87]|, s[26:27]
	v_cndmask_b32_e32 v87, 0, v99, vcc
	v_cndmask_b32_e32 v86, 0, v98, vcc
	v_add_f64 v[98:99], v[82:83], -v[78:79]
	v_add_f64 v[72:73], v[72:73], -v[98:99]
	;; [unrolled: 1-line block ×4, first 2 shown]
	v_fma_f64 v[74:75], v[74:75], v[76:77], -v[78:79]
	v_trig_preop_f64 v[78:79], |v[8:9]|, 2
	v_add_f64 v[72:73], v[72:73], v[98:99]
	v_mul_f64 v[98:99], v[78:79], v[76:77]
	v_add_f64 v[100:101], v[98:99], v[74:75]
	v_add_f64 v[102:103], v[100:101], v[72:73]
	v_add_f64 v[80:81], v[84:85], -v[80:81]
	v_add_f64 v[84:85], v[102:103], -v[100:101]
	;; [unrolled: 1-line block ×5, first 2 shown]
	v_add_f64 v[72:73], v[72:73], v[84:85]
	v_add_f64 v[84:85], v[100:101], -v[98:99]
	v_add_f64 v[74:75], v[74:75], -v[84:85]
	;; [unrolled: 1-line block ×4, first 2 shown]
	v_add_f64 v[74:75], v[74:75], v[84:85]
	v_add_f64 v[80:81], v[82:83], -v[80:81]
	v_add_f64 v[72:73], v[74:75], v[72:73]
	v_fma_f64 v[74:75], v[78:79], v[76:77], -v[98:99]
	v_add_f64 v[82:83], v[80:81], v[102:103]
	v_add_f64 v[72:73], v[74:75], v[72:73]
	v_ldexp_f64 v[74:75], v[86:87], 2
	v_add_f64 v[76:77], v[82:83], v[74:75]
	v_cmp_gt_f64_e32 vcc, 0, v[76:77]
	v_cndmask_b32_e32 v19, 0, v92, vcc
	v_add_f64 v[74:75], v[74:75], v[18:19]
	v_add_f64 v[76:77], v[82:83], v[74:75]
	v_cvt_i32_f64_e32 v19, v[76:77]
	v_cvt_f64_i32_e32 v[76:77], v19
	v_add_f64 v[74:75], v[74:75], -v[76:77]
	v_add_f64 v[80:81], v[82:83], -v[80:81]
	v_add_f64 v[76:77], v[82:83], v[74:75]
	v_add_f64 v[80:81], v[102:103], -v[80:81]
	v_add_f64 v[74:75], v[76:77], -v[74:75]
	v_cmp_le_f64_e32 vcc, 0.5, v[76:77]
	v_add_f64 v[72:73], v[80:81], v[72:73]
	v_add_f64 v[74:75], v[82:83], -v[74:75]
	v_addc_co_u32_e64 v80, s[10:11], 0, v19, vcc
	v_cndmask_b32_e32 v19, 0, v93, vcc
	v_add_f64 v[72:73], v[72:73], v[74:75]
	v_add_f64 v[74:75], v[76:77], -v[18:19]
	v_add_f64 v[76:77], v[74:75], v[72:73]
	v_add_f64 v[74:75], v[76:77], -v[74:75]
	s_mov_b32 s28, s30
	v_add_f64 v[72:73], v[72:73], -v[74:75]
	v_mul_f64 v[74:75], v[76:77], s[28:29]
	v_fma_f64 v[78:79], v[76:77], s[28:29], -v[74:75]
	s_mov_b32 s37, s35
	v_fmac_f64_e32 v[78:79], s[36:37], v[76:77]
	v_fmac_f64_e32 v[78:79], s[28:29], v[72:73]
	v_add_f64 v[72:73], v[74:75], v[78:79]
	v_add_f64 v[74:75], v[72:73], -v[74:75]
	v_add_f64 v[74:75], v[78:79], -v[74:75]
	s_andn2_saveexec_b64 s[10:11], s[68:69]
	s_cbranch_execz .LBB162_26
	s_branch .LBB162_25
.LBB162_23:                             ;   in Loop: Header=BB162_4 Depth=1
	s_or_b64 exec, exec, s[58:59]
	s_andn2_saveexec_b64 s[10:11], s[44:45]
	s_cbranch_execnz .LBB162_32
	s_branch .LBB162_33
.LBB162_24:                             ;   in Loop: Header=BB162_4 Depth=1
	s_andn2_saveexec_b64 s[10:11], s[68:69]
	s_cbranch_execz .LBB162_26
.LBB162_25:                             ;   in Loop: Header=BB162_4 Depth=1
	v_mul_f64 v[72:73], |v[8:9]|, s[38:39]
	v_rndne_f64_e32 v[76:77], v[72:73]
	v_fma_f64 v[72:73], v[76:77], s[30:31], |v[8:9]|
	v_mul_f64 v[78:79], v[76:77], s[40:41]
	v_add_f64 v[82:83], v[72:73], v[78:79]
	v_fma_f64 v[74:75], s[40:41], v[76:77], v[72:73]
	s_mov_b32 s34, s40
	v_add_f64 v[72:73], v[72:73], -v[82:83]
	v_fma_f64 v[80:81], s[34:35], v[76:77], v[78:79]
	v_add_f64 v[72:73], v[72:73], v[78:79]
	v_add_f64 v[78:79], v[82:83], -v[74:75]
	v_add_f64 v[72:73], v[78:79], v[72:73]
	v_add_f64 v[78:79], v[72:73], -v[80:81]
	v_fmac_f64_e32 v[78:79], s[42:43], v[76:77]
	v_add_f64 v[72:73], v[74:75], v[78:79]
	v_add_f64 v[74:75], v[72:73], -v[74:75]
	v_add_f64 v[74:75], v[78:79], -v[74:75]
	v_cvt_i32_f64_e32 v80, v[76:77]
.LBB162_26:                             ;   in Loop: Header=BB162_4 Depth=1
	s_or_b64 exec, exec, s[10:11]
                                        ; implicit-def: $vgpr81
                                        ; implicit-def: $vgpr76_vgpr77
                                        ; implicit-def: $vgpr78_vgpr79
	s_and_saveexec_b64 s[10:11], s[60:61]
	s_xor_b64 s[60:61], exec, s[10:11]
	s_cbranch_execz .LBB162_28
; %bb.27:                               ;   in Loop: Header=BB162_4 Depth=1
	v_and_b32_e32 v19, 0x7fffffff, v9
	v_ldexp_f64 v[82:83], |v[8:9]|, s17
	v_cmp_ge_f64_e64 vcc, |v[8:9]|, s[24:25]
	v_trig_preop_f64 v[76:77], |v[8:9]|, 0
	v_cndmask_b32_e32 v83, v19, v83, vcc
	v_cndmask_b32_e32 v82, v8, v82, vcc
	v_trig_preop_f64 v[78:79], |v[8:9]|, 1
	v_mul_f64 v[86:87], v[76:77], v[82:83]
	v_mul_f64 v[84:85], v[78:79], v[82:83]
	v_fma_f64 v[76:77], v[76:77], v[82:83], -v[86:87]
	v_add_f64 v[98:99], v[84:85], v[76:77]
	v_add_f64 v[100:101], v[86:87], v[98:99]
	v_ldexp_f64 v[102:103], v[100:101], -2
	v_fract_f64_e32 v[104:105], v[102:103]
	v_cmp_neq_f64_e64 vcc, |v[102:103]|, s[26:27]
	v_cndmask_b32_e32 v103, 0, v105, vcc
	v_cndmask_b32_e32 v102, 0, v104, vcc
	v_add_f64 v[104:105], v[98:99], -v[84:85]
	v_add_f64 v[76:77], v[76:77], -v[104:105]
	;; [unrolled: 1-line block ×4, first 2 shown]
	v_fma_f64 v[78:79], v[78:79], v[82:83], -v[84:85]
	v_trig_preop_f64 v[84:85], |v[8:9]|, 2
	v_add_f64 v[76:77], v[76:77], v[104:105]
	v_mul_f64 v[104:105], v[84:85], v[82:83]
	v_add_f64 v[106:107], v[104:105], v[78:79]
	v_add_f64 v[108:109], v[106:107], v[76:77]
	v_add_f64 v[86:87], v[100:101], -v[86:87]
	v_add_f64 v[100:101], v[108:109], -v[106:107]
	v_add_f64 v[76:77], v[76:77], -v[100:101]
	v_add_f64 v[100:101], v[108:109], -v[100:101]
	v_add_f64 v[100:101], v[106:107], -v[100:101]
	v_add_f64 v[76:77], v[76:77], v[100:101]
	v_add_f64 v[100:101], v[106:107], -v[104:105]
	v_add_f64 v[78:79], v[78:79], -v[100:101]
	;; [unrolled: 1-line block ×4, first 2 shown]
	v_add_f64 v[78:79], v[78:79], v[100:101]
	v_add_f64 v[86:87], v[98:99], -v[86:87]
	v_add_f64 v[76:77], v[78:79], v[76:77]
	v_fma_f64 v[78:79], v[84:85], v[82:83], -v[104:105]
	v_add_f64 v[98:99], v[86:87], v[108:109]
	v_add_f64 v[76:77], v[78:79], v[76:77]
	v_ldexp_f64 v[78:79], v[102:103], 2
	v_add_f64 v[82:83], v[98:99], v[78:79]
	v_cmp_gt_f64_e32 vcc, 0, v[82:83]
	v_cndmask_b32_e32 v19, 0, v92, vcc
	v_add_f64 v[78:79], v[78:79], v[18:19]
	v_add_f64 v[82:83], v[98:99], v[78:79]
	v_cvt_i32_f64_e32 v19, v[82:83]
	v_cvt_f64_i32_e32 v[82:83], v19
	v_add_f64 v[78:79], v[78:79], -v[82:83]
	v_add_f64 v[86:87], v[98:99], -v[86:87]
	v_add_f64 v[82:83], v[98:99], v[78:79]
	v_add_f64 v[86:87], v[108:109], -v[86:87]
	v_add_f64 v[78:79], v[82:83], -v[78:79]
	v_cmp_le_f64_e32 vcc, 0.5, v[82:83]
	v_add_f64 v[76:77], v[86:87], v[76:77]
	v_add_f64 v[78:79], v[98:99], -v[78:79]
	v_addc_co_u32_e64 v81, s[10:11], 0, v19, vcc
	v_cndmask_b32_e32 v19, 0, v93, vcc
	v_add_f64 v[76:77], v[76:77], v[78:79]
	v_add_f64 v[78:79], v[82:83], -v[18:19]
	v_add_f64 v[82:83], v[78:79], v[76:77]
	v_add_f64 v[78:79], v[82:83], -v[78:79]
	s_mov_b32 s28, s30
	v_add_f64 v[76:77], v[76:77], -v[78:79]
	v_mul_f64 v[78:79], v[82:83], s[28:29]
	v_fma_f64 v[84:85], v[82:83], s[28:29], -v[78:79]
	s_mov_b32 s37, s35
	v_fmac_f64_e32 v[84:85], s[36:37], v[82:83]
	v_fmac_f64_e32 v[84:85], s[28:29], v[76:77]
	v_add_f64 v[76:77], v[78:79], v[84:85]
	v_add_f64 v[78:79], v[76:77], -v[78:79]
	v_add_f64 v[78:79], v[84:85], -v[78:79]
	s_andn2_saveexec_b64 s[10:11], s[60:61]
	s_cbranch_execnz .LBB162_29
	s_branch .LBB162_30
.LBB162_28:                             ;   in Loop: Header=BB162_4 Depth=1
	s_andn2_saveexec_b64 s[10:11], s[60:61]
	s_cbranch_execz .LBB162_30
.LBB162_29:                             ;   in Loop: Header=BB162_4 Depth=1
	v_mul_f64 v[76:77], |v[8:9]|, s[38:39]
	v_rndne_f64_e32 v[82:83], v[76:77]
	v_fma_f64 v[76:77], v[82:83], s[30:31], |v[8:9]|
	v_mul_f64 v[84:85], v[82:83], s[40:41]
	v_add_f64 v[98:99], v[76:77], v[84:85]
	v_fma_f64 v[78:79], s[40:41], v[82:83], v[76:77]
	s_mov_b32 s34, s40
	v_add_f64 v[76:77], v[76:77], -v[98:99]
	v_fma_f64 v[86:87], s[34:35], v[82:83], v[84:85]
	v_add_f64 v[76:77], v[76:77], v[84:85]
	v_add_f64 v[84:85], v[98:99], -v[78:79]
	v_add_f64 v[76:77], v[84:85], v[76:77]
	v_add_f64 v[84:85], v[76:77], -v[86:87]
	v_fmac_f64_e32 v[84:85], s[42:43], v[82:83]
	v_add_f64 v[76:77], v[78:79], v[84:85]
	v_add_f64 v[78:79], v[76:77], -v[78:79]
	v_add_f64 v[78:79], v[84:85], -v[78:79]
	v_cvt_i32_f64_e32 v81, v[82:83]
.LBB162_30:                             ;   in Loop: Header=BB162_4 Depth=1
	s_or_b64 exec, exec, s[10:11]
	v_mul_f64 v[82:83], v[72:73], v[72:73]
	v_pk_mov_b32 v[100:101], s[74:75], s[74:75] op_sel:[0,1]
	v_mul_f64 v[84:85], v[82:83], 0.5
	v_fma_f64 v[102:103], s[76:77], v[82:83], v[100:101]
	v_add_f64 v[86:87], -v[84:85], 1.0
	v_fma_f64 v[102:103], v[82:83], v[102:103], s[78:79]
	v_add_f64 v[98:99], -v[86:87], 1.0
	v_fma_f64 v[102:103], v[82:83], v[102:103], s[80:81]
	v_add_f64 v[84:85], v[98:99], -v[84:85]
	v_fma_f64 v[102:103], v[82:83], v[102:103], s[82:83]
	v_mul_f64 v[98:99], v[82:83], v[82:83]
	v_fma_f64 v[102:103], v[82:83], v[102:103], s[66:67]
	v_fma_f64 v[84:85], v[72:73], -v[74:75], v[84:85]
	v_fmac_f64_e32 v[84:85], v[98:99], v[102:103]
	v_add_f64 v[84:85], v[86:87], v[84:85]
	v_pk_mov_b32 v[86:87], s[84:85], s[84:85] op_sel:[0,1]
	v_fma_f64 v[98:99], s[86:87], v[82:83], v[86:87]
	v_fma_f64 v[98:99], v[82:83], v[98:99], s[88:89]
	;; [unrolled: 1-line block ×4, first 2 shown]
	v_mul_f64 v[102:103], v[72:73], -v[82:83]
	v_mul_f64 v[104:105], v[74:75], 0.5
	v_fmac_f64_e32 v[104:105], v[102:103], v[98:99]
	v_fma_f64 v[74:75], v[82:83], v[104:105], -v[74:75]
	s_mov_b32 s92, s66
	v_fmac_f64_e32 v[74:75], s[92:93], v[102:103]
	v_and_b32_e32 v8, 1, v80
	v_add_f64 v[72:73], v[72:73], -v[74:75]
	v_cmp_eq_u32_e32 vcc, 0, v8
	v_cndmask_b32_e32 v8, v84, v72, vcc
	v_lshlrev_b32_e32 v72, 30, v80
	v_cndmask_b32_e32 v19, v85, v73, vcc
	v_xor_b32_e32 v9, v72, v9
	v_mul_f64 v[72:73], |v[6:7]|, s[54:55]
	v_rndne_f64_e32 v[72:73], v[72:73]
	v_fma_f64 v[74:75], v[72:73], s[46:47], -|v[6:7]|
	v_fmac_f64_e32 v[74:75], s[50:51], v[72:73]
	v_pk_mov_b32 v[82:83], v[54:55], v[54:55] op_sel:[0,1]
	v_fmac_f64_e32 v[82:83], s[62:63], v[74:75]
	v_pk_mov_b32 v[84:85], v[56:57], v[56:57] op_sel:[0,1]
	;; [unrolled: 2-line block ×9, first 2 shown]
	v_fmac_f64_e32 v[82:83], v[74:75], v[84:85]
	v_and_b32_e32 v9, 0x80000000, v9
	v_fma_f64 v[82:83], v[74:75], v[82:83], 1.0
	s_mov_b32 s10, 0
	v_xor_b32_e32 v9, v19, v9
	v_fma_f64 v[74:75], v[74:75], v[82:83], 1.0
	v_cvt_i32_f64_e32 v19, v[72:73]
	s_mov_b32 s11, 0x4090cc00
	v_ldexp_f64 v[72:73], v[74:75], v19
	v_cmp_ngt_f64_e64 vcc, |v[6:7]|, s[10:11]
	v_bfi_b32 v19, s73, v93, v7
	v_mul_f64 v[6:7], v[76:77], v[76:77]
	v_mul_f64 v[74:75], v[6:7], 0.5
	v_fmac_f64_e32 v[100:101], s[76:77], v[6:7]
	v_add_f64 v[82:83], -v[74:75], 1.0
	v_fma_f64 v[98:99], v[6:7], v[100:101], s[78:79]
	v_add_f64 v[84:85], -v[82:83], 1.0
	v_fma_f64 v[98:99], v[6:7], v[98:99], s[80:81]
	v_add_f64 v[74:75], v[84:85], -v[74:75]
	v_fma_f64 v[98:99], v[6:7], v[98:99], s[82:83]
	v_mul_f64 v[84:85], v[6:7], v[6:7]
	v_fma_f64 v[98:99], v[6:7], v[98:99], s[66:67]
	v_fma_f64 v[74:75], v[76:77], -v[78:79], v[74:75]
	v_fmac_f64_e32 v[74:75], v[84:85], v[98:99]
	v_fmac_f64_e32 v[86:87], s[86:87], v[6:7]
	v_add_f64 v[74:75], v[82:83], v[74:75]
	v_fma_f64 v[82:83], v[6:7], v[86:87], s[88:89]
	v_fma_f64 v[82:83], v[6:7], v[82:83], s[90:91]
	;; [unrolled: 1-line block ×3, first 2 shown]
	v_mul_f64 v[84:85], v[76:77], -v[6:7]
	v_mul_f64 v[86:87], v[78:79], 0.5
	v_fmac_f64_e32 v[86:87], v[84:85], v[82:83]
	v_fma_f64 v[6:7], v[6:7], v[86:87], -v[78:79]
	v_fmac_f64_e32 v[6:7], s[92:93], v[84:85]
	v_add_f64 v[6:7], v[76:77], -v[6:7]
	v_and_b32_e32 v76, 1, v81
	v_cndmask_b32_e32 v73, 0, v73, vcc
	v_cndmask_b32_e32 v72, 0, v72, vcc
	v_cmp_eq_u32_e32 vcc, 0, v76
	v_xor_b32_e32 v7, 0x80000000, v7
	v_cndmask_b32_e32 v6, v6, v74, vcc
	v_lshlrev_b32_e32 v74, 30, v81
	v_cndmask_b32_e32 v7, v7, v75, vcc
	v_and_b32_e32 v74, 0x80000000, v74
	v_mul_f64 v[8:9], v[8:9], 4.0
	v_xor_b32_e32 v7, v7, v74
	v_mul_f64 v[6:7], v[8:9], v[6:7]
	v_mul_f64 v[6:7], v[72:73], v[6:7]
	;; [unrolled: 1-line block ×3, first 2 shown]
	v_pk_mov_b32 v[6:7], v[18:19], v[18:19] op_sel:[0,1]
	s_or_b64 exec, exec, s[58:59]
.LBB162_31:                             ;   in Loop: Header=BB162_4 Depth=1
	s_andn2_saveexec_b64 s[10:11], s[44:45]
.LBB162_32:                             ;   in Loop: Header=BB162_4 Depth=1
	v_add_f64 v[8:9], v[8:9], -v[8:9]
	v_pk_mov_b32 v[6:7], v[8:9], v[8:9] op_sel:[0,1]
.LBB162_33:                             ;   in Loop: Header=BB162_4 Depth=1
	s_or_b64 exec, exec, s[10:11]
.LBB162_34:                             ;   in Loop: Header=BB162_4 Depth=1
	s_andn2_saveexec_b64 s[14:15], s[14:15]
	s_cbranch_execz .LBB162_50
; %bb.35:                               ;   in Loop: Header=BB162_4 Depth=1
	v_and_or_b32 v19, v7, s16, v6
	v_cmp_ne_u32_e32 vcc, 0, v19
	s_and_saveexec_b64 s[10:11], vcc
	s_xor_b64 s[10:11], exec, s[10:11]
; %bb.36:                               ;   in Loop: Header=BB162_4 Depth=1
	v_mul_f64 v[72:73], v[8:9], v[6:7]
	v_cmp_eq_f64_e32 vcc, 0, v[8:9]
	v_cndmask_b32_e32 v9, v73, v9, vcc
	v_cndmask_b32_e32 v8, v72, v8, vcc
; %bb.37:                               ;   in Loop: Header=BB162_4 Depth=1
	s_andn2_saveexec_b64 s[44:45], s[10:11]
	s_cbranch_execz .LBB162_49
; %bb.38:                               ;   in Loop: Header=BB162_4 Depth=1
	v_cmp_neq_f64_e64 s[10:11], |v[8:9]|, s[26:27]
	s_and_saveexec_b64 s[58:59], s[10:11]
	s_cbranch_execz .LBB162_48
; %bb.39:                               ;   in Loop: Header=BB162_4 Depth=1
	v_cmp_nlt_f64_e64 s[60:61], |v[8:9]|, s[22:23]
	v_trig_preop_f64 v[80:81], |v[8:9]|, 0
	v_trig_preop_f64 v[78:79], |v[8:9]|, 1
	v_ldexp_f64 v[82:83], |v[8:9]|, s17
	v_trig_preop_f64 v[76:77], |v[8:9]|, 2
	v_and_b32_e32 v98, 0x7fffffff, v9
                                        ; implicit-def: $vgpr97
                                        ; implicit-def: $vgpr72_vgpr73
                                        ; implicit-def: $vgpr74_vgpr75
	s_and_saveexec_b64 s[10:11], s[60:61]
	s_xor_b64 s[68:69], exec, s[10:11]
	s_cbranch_execz .LBB162_41
; %bb.40:                               ;   in Loop: Header=BB162_4 Depth=1
	v_cmp_ge_f64_e64 vcc, |v[8:9]|, s[24:25]
	v_cndmask_b32_e32 v73, v98, v83, vcc
	v_cndmask_b32_e32 v72, v8, v82, vcc
	v_mul_f64 v[84:85], v[80:81], v[72:73]
	v_mul_f64 v[74:75], v[78:79], v[72:73]
	v_fma_f64 v[86:87], v[80:81], v[72:73], -v[84:85]
	v_add_f64 v[100:101], v[74:75], v[86:87]
	v_add_f64 v[102:103], v[84:85], v[100:101]
	v_ldexp_f64 v[104:105], v[102:103], -2
	v_fract_f64_e32 v[106:107], v[104:105]
	v_cmp_neq_f64_e64 vcc, |v[104:105]|, s[26:27]
	v_cndmask_b32_e32 v105, 0, v107, vcc
	v_cndmask_b32_e32 v104, 0, v106, vcc
	v_add_f64 v[106:107], v[100:101], -v[74:75]
	v_add_f64 v[86:87], v[86:87], -v[106:107]
	;; [unrolled: 1-line block ×4, first 2 shown]
	v_add_f64 v[86:87], v[86:87], v[106:107]
	v_fma_f64 v[74:75], v[78:79], v[72:73], -v[74:75]
	v_mul_f64 v[106:107], v[76:77], v[72:73]
	v_add_f64 v[108:109], v[106:107], v[74:75]
	v_add_f64 v[110:111], v[108:109], v[86:87]
	v_add_f64 v[84:85], v[102:103], -v[84:85]
	v_add_f64 v[102:103], v[110:111], -v[108:109]
	;; [unrolled: 1-line block ×5, first 2 shown]
	v_add_f64 v[86:87], v[86:87], v[102:103]
	v_add_f64 v[102:103], v[108:109], -v[106:107]
	v_add_f64 v[74:75], v[74:75], -v[102:103]
	;; [unrolled: 1-line block ×5, first 2 shown]
	v_add_f64 v[100:101], v[84:85], v[110:111]
	v_add_f64 v[74:75], v[74:75], v[102:103]
	v_add_f64 v[84:85], v[100:101], -v[84:85]
	v_add_f64 v[74:75], v[74:75], v[86:87]
	v_fma_f64 v[72:73], v[76:77], v[72:73], -v[106:107]
	v_add_f64 v[84:85], v[110:111], -v[84:85]
	v_add_f64 v[72:73], v[72:73], v[74:75]
	v_ldexp_f64 v[74:75], v[104:105], 2
	v_add_f64 v[72:73], v[84:85], v[72:73]
	v_add_f64 v[84:85], v[100:101], v[74:75]
	v_cmp_gt_f64_e32 vcc, 0, v[84:85]
	v_cndmask_b32_e32 v19, 0, v92, vcc
	v_add_f64 v[74:75], v[74:75], v[18:19]
	v_add_f64 v[84:85], v[100:101], v[74:75]
	v_cvt_i32_f64_e32 v19, v[84:85]
	v_cvt_f64_i32_e32 v[84:85], v19
	v_add_f64 v[74:75], v[74:75], -v[84:85]
	v_add_f64 v[84:85], v[100:101], v[74:75]
	v_add_f64 v[74:75], v[84:85], -v[74:75]
	v_cmp_le_f64_e32 vcc, 0.5, v[84:85]
	v_add_f64 v[74:75], v[100:101], -v[74:75]
	v_addc_co_u32_e64 v97, s[10:11], 0, v19, vcc
	v_cndmask_b32_e32 v19, 0, v93, vcc
	v_add_f64 v[72:73], v[72:73], v[74:75]
	v_add_f64 v[74:75], v[84:85], -v[18:19]
	v_add_f64 v[84:85], v[74:75], v[72:73]
	v_add_f64 v[74:75], v[84:85], -v[74:75]
	s_mov_b32 s28, s30
	v_add_f64 v[72:73], v[72:73], -v[74:75]
	v_mul_f64 v[74:75], v[84:85], s[28:29]
	v_fma_f64 v[86:87], v[84:85], s[28:29], -v[74:75]
	s_mov_b32 s37, s35
	v_fmac_f64_e32 v[86:87], s[36:37], v[84:85]
	v_fmac_f64_e32 v[86:87], s[28:29], v[72:73]
	v_add_f64 v[72:73], v[74:75], v[86:87]
	v_add_f64 v[74:75], v[72:73], -v[74:75]
	v_add_f64 v[74:75], v[86:87], -v[74:75]
	s_andn2_saveexec_b64 s[10:11], s[68:69]
	s_cbranch_execz .LBB162_43
	s_branch .LBB162_42
.LBB162_41:                             ;   in Loop: Header=BB162_4 Depth=1
	s_andn2_saveexec_b64 s[10:11], s[68:69]
	s_cbranch_execz .LBB162_43
.LBB162_42:                             ;   in Loop: Header=BB162_4 Depth=1
	v_mul_f64 v[72:73], |v[8:9]|, s[38:39]
	v_rndne_f64_e32 v[84:85], v[72:73]
	v_fma_f64 v[72:73], v[84:85], s[30:31], |v[8:9]|
	v_mul_f64 v[86:87], v[84:85], s[40:41]
	v_add_f64 v[102:103], v[72:73], v[86:87]
	v_fma_f64 v[74:75], s[40:41], v[84:85], v[72:73]
	s_mov_b32 s34, s40
	v_add_f64 v[72:73], v[72:73], -v[102:103]
	v_fma_f64 v[100:101], s[34:35], v[84:85], v[86:87]
	v_add_f64 v[72:73], v[72:73], v[86:87]
	v_add_f64 v[86:87], v[102:103], -v[74:75]
	v_add_f64 v[72:73], v[86:87], v[72:73]
	v_add_f64 v[86:87], v[72:73], -v[100:101]
	v_fmac_f64_e32 v[86:87], s[42:43], v[84:85]
	v_add_f64 v[72:73], v[74:75], v[86:87]
	v_add_f64 v[74:75], v[72:73], -v[74:75]
	v_add_f64 v[74:75], v[86:87], -v[74:75]
	v_cvt_i32_f64_e32 v97, v[84:85]
.LBB162_43:                             ;   in Loop: Header=BB162_4 Depth=1
	s_or_b64 exec, exec, s[10:11]
                                        ; implicit-def: $vgpr99
                                        ; implicit-def: $vgpr84_vgpr85
                                        ; implicit-def: $vgpr86_vgpr87
	s_and_saveexec_b64 s[10:11], s[60:61]
	s_xor_b64 s[60:61], exec, s[10:11]
	s_cbranch_execz .LBB162_45
; %bb.44:                               ;   in Loop: Header=BB162_4 Depth=1
	v_cmp_ge_f64_e64 vcc, |v[8:9]|, s[24:25]
	v_cndmask_b32_e32 v83, v98, v83, vcc
	v_cndmask_b32_e32 v82, v8, v82, vcc
	v_mul_f64 v[86:87], v[80:81], v[82:83]
	v_mul_f64 v[84:85], v[78:79], v[82:83]
	v_fma_f64 v[80:81], v[80:81], v[82:83], -v[86:87]
	v_add_f64 v[98:99], v[84:85], v[80:81]
	v_add_f64 v[100:101], v[86:87], v[98:99]
	v_ldexp_f64 v[102:103], v[100:101], -2
	v_fract_f64_e32 v[104:105], v[102:103]
	v_cmp_neq_f64_e64 vcc, |v[102:103]|, s[26:27]
	v_cndmask_b32_e32 v103, 0, v105, vcc
	v_cndmask_b32_e32 v102, 0, v104, vcc
	v_add_f64 v[104:105], v[98:99], -v[84:85]
	v_add_f64 v[80:81], v[80:81], -v[104:105]
	;; [unrolled: 1-line block ×4, first 2 shown]
	v_fma_f64 v[78:79], v[78:79], v[82:83], -v[84:85]
	v_mul_f64 v[84:85], v[76:77], v[82:83]
	v_add_f64 v[80:81], v[80:81], v[104:105]
	v_add_f64 v[104:105], v[84:85], v[78:79]
	;; [unrolled: 1-line block ×3, first 2 shown]
	v_add_f64 v[86:87], v[100:101], -v[86:87]
	v_add_f64 v[100:101], v[106:107], -v[104:105]
	;; [unrolled: 1-line block ×5, first 2 shown]
	v_add_f64 v[80:81], v[80:81], v[100:101]
	v_add_f64 v[100:101], v[104:105], -v[84:85]
	v_add_f64 v[78:79], v[78:79], -v[100:101]
	;; [unrolled: 1-line block ×4, first 2 shown]
	v_add_f64 v[78:79], v[78:79], v[100:101]
	v_add_f64 v[86:87], v[98:99], -v[86:87]
	v_add_f64 v[78:79], v[78:79], v[80:81]
	v_fma_f64 v[76:77], v[76:77], v[82:83], -v[84:85]
	v_add_f64 v[98:99], v[86:87], v[106:107]
	v_add_f64 v[76:77], v[76:77], v[78:79]
	v_ldexp_f64 v[78:79], v[102:103], 2
	v_add_f64 v[80:81], v[98:99], v[78:79]
	v_cmp_gt_f64_e32 vcc, 0, v[80:81]
	v_cndmask_b32_e32 v19, 0, v92, vcc
	v_add_f64 v[78:79], v[78:79], v[18:19]
	v_add_f64 v[80:81], v[98:99], v[78:79]
	v_cvt_i32_f64_e32 v19, v[80:81]
	v_cvt_f64_i32_e32 v[80:81], v19
	v_add_f64 v[78:79], v[78:79], -v[80:81]
	v_add_f64 v[86:87], v[98:99], -v[86:87]
	v_add_f64 v[80:81], v[98:99], v[78:79]
	v_add_f64 v[86:87], v[106:107], -v[86:87]
	v_add_f64 v[78:79], v[80:81], -v[78:79]
	v_cmp_le_f64_e32 vcc, 0.5, v[80:81]
	v_add_f64 v[76:77], v[86:87], v[76:77]
	v_add_f64 v[78:79], v[98:99], -v[78:79]
	v_addc_co_u32_e64 v99, s[10:11], 0, v19, vcc
	v_cndmask_b32_e32 v19, 0, v93, vcc
	v_add_f64 v[76:77], v[76:77], v[78:79]
	v_add_f64 v[78:79], v[80:81], -v[18:19]
	v_add_f64 v[80:81], v[78:79], v[76:77]
	v_add_f64 v[78:79], v[80:81], -v[78:79]
	s_mov_b32 s28, s30
	v_add_f64 v[76:77], v[76:77], -v[78:79]
	v_mul_f64 v[78:79], v[80:81], s[28:29]
	v_fma_f64 v[82:83], v[80:81], s[28:29], -v[78:79]
	s_mov_b32 s37, s35
	v_fmac_f64_e32 v[82:83], s[36:37], v[80:81]
	v_fmac_f64_e32 v[82:83], s[28:29], v[76:77]
	v_add_f64 v[84:85], v[78:79], v[82:83]
	v_add_f64 v[76:77], v[84:85], -v[78:79]
	v_add_f64 v[86:87], v[82:83], -v[76:77]
	s_andn2_saveexec_b64 s[10:11], s[60:61]
	s_cbranch_execnz .LBB162_46
	s_branch .LBB162_47
.LBB162_45:                             ;   in Loop: Header=BB162_4 Depth=1
	s_andn2_saveexec_b64 s[10:11], s[60:61]
	s_cbranch_execz .LBB162_47
.LBB162_46:                             ;   in Loop: Header=BB162_4 Depth=1
	v_mul_f64 v[76:77], |v[8:9]|, s[38:39]
	v_rndne_f64_e32 v[76:77], v[76:77]
	v_fma_f64 v[78:79], v[76:77], s[30:31], |v[8:9]|
	v_mul_f64 v[82:83], v[76:77], s[40:41]
	v_add_f64 v[86:87], v[78:79], v[82:83]
	v_fma_f64 v[80:81], s[40:41], v[76:77], v[78:79]
	s_mov_b32 s34, s40
	v_add_f64 v[78:79], v[78:79], -v[86:87]
	v_fma_f64 v[84:85], s[34:35], v[76:77], v[82:83]
	v_add_f64 v[78:79], v[78:79], v[82:83]
	v_add_f64 v[82:83], v[86:87], -v[80:81]
	v_add_f64 v[78:79], v[82:83], v[78:79]
	v_add_f64 v[78:79], v[78:79], -v[84:85]
	v_fmac_f64_e32 v[78:79], s[42:43], v[76:77]
	v_add_f64 v[84:85], v[80:81], v[78:79]
	v_add_f64 v[80:81], v[84:85], -v[80:81]
	v_add_f64 v[86:87], v[78:79], -v[80:81]
	v_cvt_i32_f64_e32 v99, v[76:77]
.LBB162_47:                             ;   in Loop: Header=BB162_4 Depth=1
	s_or_b64 exec, exec, s[10:11]
	v_mul_f64 v[76:77], v[72:73], v[72:73]
	v_pk_mov_b32 v[100:101], s[74:75], s[74:75] op_sel:[0,1]
	v_mul_f64 v[78:79], v[76:77], 0.5
	v_fma_f64 v[102:103], s[76:77], v[76:77], v[100:101]
	v_add_f64 v[80:81], -v[78:79], 1.0
	v_fma_f64 v[102:103], v[76:77], v[102:103], s[78:79]
	v_add_f64 v[82:83], -v[80:81], 1.0
	v_fma_f64 v[102:103], v[76:77], v[102:103], s[80:81]
	v_add_f64 v[78:79], v[82:83], -v[78:79]
	v_fma_f64 v[102:103], v[76:77], v[102:103], s[82:83]
	v_mul_f64 v[82:83], v[76:77], v[76:77]
	v_fma_f64 v[102:103], v[76:77], v[102:103], s[66:67]
	v_fma_f64 v[78:79], v[72:73], -v[74:75], v[78:79]
	v_fmac_f64_e32 v[78:79], v[82:83], v[102:103]
	v_add_f64 v[78:79], v[80:81], v[78:79]
	v_pk_mov_b32 v[80:81], s[84:85], s[84:85] op_sel:[0,1]
	v_fma_f64 v[82:83], s[86:87], v[76:77], v[80:81]
	v_fma_f64 v[82:83], v[76:77], v[82:83], s[88:89]
	;; [unrolled: 1-line block ×4, first 2 shown]
	v_mul_f64 v[102:103], v[72:73], -v[76:77]
	v_mul_f64 v[104:105], v[74:75], 0.5
	v_fmac_f64_e32 v[104:105], v[102:103], v[82:83]
	v_fma_f64 v[74:75], v[76:77], v[104:105], -v[74:75]
	s_mov_b32 s92, s66
	v_fmac_f64_e32 v[74:75], s[92:93], v[102:103]
	v_and_b32_e32 v19, 1, v97
	v_add_f64 v[72:73], v[72:73], -v[74:75]
	v_cmp_eq_u32_e32 vcc, 0, v19
	v_cndmask_b32_e32 v19, v78, v72, vcc
	v_cndmask_b32_e32 v72, v79, v73, vcc
	v_lshlrev_b32_e32 v73, 30, v97
	v_xor_b32_e32 v73, v73, v9
	v_and_b32_e32 v73, 0x80000000, v73
	v_xor_b32_e32 v72, v72, v73
	v_cmp_class_f64_e64 vcc, v[8:9], s95
	v_cndmask_b32_e32 v9, v96, v72, vcc
	v_mul_f64 v[72:73], v[84:85], v[84:85]
	v_mul_f64 v[74:75], v[72:73], 0.5
	v_fmac_f64_e32 v[100:101], s[76:77], v[72:73]
	v_add_f64 v[76:77], -v[74:75], 1.0
	v_fma_f64 v[82:83], v[72:73], v[100:101], s[78:79]
	v_add_f64 v[78:79], -v[76:77], 1.0
	v_fma_f64 v[82:83], v[72:73], v[82:83], s[80:81]
	v_add_f64 v[74:75], v[78:79], -v[74:75]
	v_fma_f64 v[82:83], v[72:73], v[82:83], s[82:83]
	v_mul_f64 v[78:79], v[72:73], v[72:73]
	v_fma_f64 v[82:83], v[72:73], v[82:83], s[66:67]
	v_fma_f64 v[74:75], v[84:85], -v[86:87], v[74:75]
	v_fmac_f64_e32 v[74:75], v[78:79], v[82:83]
	v_fmac_f64_e32 v[80:81], s[86:87], v[72:73]
	v_add_f64 v[74:75], v[76:77], v[74:75]
	v_fma_f64 v[76:77], v[72:73], v[80:81], s[88:89]
	v_fma_f64 v[76:77], v[72:73], v[76:77], s[90:91]
	;; [unrolled: 1-line block ×3, first 2 shown]
	v_mul_f64 v[78:79], v[84:85], -v[72:73]
	v_mul_f64 v[80:81], v[86:87], 0.5
	v_fmac_f64_e32 v[80:81], v[78:79], v[76:77]
	v_fma_f64 v[72:73], v[72:73], v[80:81], -v[86:87]
	v_fmac_f64_e32 v[72:73], s[92:93], v[78:79]
	v_add_f64 v[72:73], v[84:85], -v[72:73]
	v_cndmask_b32_e32 v8, 0, v19, vcc
	v_xor_b32_e32 v19, 0x80000000, v73
	v_and_b32_e32 v73, 1, v99
	v_cmp_eq_u32_e64 s[10:11], 0, v73
	v_lshlrev_b32_e32 v73, 30, v99
	v_cndmask_b32_e64 v19, v19, v75, s[10:11]
	v_and_b32_e32 v73, 0x80000000, v73
	v_cndmask_b32_e64 v72, v72, v74, s[10:11]
	v_xor_b32_e32 v19, v19, v73
	v_cndmask_b32_e32 v72, 0, v72, vcc
	v_cndmask_b32_e32 v73, v96, v19, vcc
	v_mul_f64 v[8:9], v[8:9], v[72:73]
.LBB162_48:                             ;   in Loop: Header=BB162_4 Depth=1
	s_or_b64 exec, exec, s[58:59]
	v_add_co_u32_e32 v6, vcc, 0, v6
	v_bfi_b32 v19, s73, 0, v9
	v_addc_co_u32_e32 v7, vcc, -2.0, v7, vcc
	v_pk_mov_b32 v[8:9], v[18:19], v[18:19] op_sel:[0,1]
.LBB162_49:                             ;   in Loop: Header=BB162_4 Depth=1
	s_or_b64 exec, exec, s[44:45]
.LBB162_50:                             ;   in Loop: Header=BB162_4 Depth=1
	s_or_b64 exec, exec, s[14:15]
	v_and_b32_e32 v76, 0x7fffffff, v3
	v_cmp_gt_u32_e32 vcc, s94, v76
	s_and_saveexec_b64 s[10:11], vcc
	s_xor_b64 s[14:15], exec, s[10:11]
	s_cbranch_execz .LBB162_72
; %bb.51:                               ;   in Loop: Header=BB162_4 Depth=1
	v_cmp_class_f64_e64 s[10:11], v[4:5], s95
	s_and_saveexec_b64 s[44:45], s[10:11]
	s_xor_b64 s[44:45], exec, s[44:45]
	s_cbranch_execz .LBB162_69
; %bb.52:                               ;   in Loop: Header=BB162_4 Depth=1
	s_mov_b32 s10, 0x40360000
	v_cmp_gt_u32_e32 vcc, s10, v76
	s_and_saveexec_b64 s[10:11], vcc
	s_xor_b64 s[58:59], exec, s[10:11]
	s_cbranch_execz .LBB162_58
; %bb.53:                               ;   in Loop: Header=BB162_4 Depth=1
	v_cmp_nlt_f64_e64 s[10:11], |v[4:5]|, s[22:23]
                                        ; implicit-def: $vgpr77
                                        ; implicit-def: $vgpr72_vgpr73
                                        ; implicit-def: $vgpr74_vgpr75
	s_and_saveexec_b64 s[60:61], s[10:11]
	s_xor_b64 s[60:61], exec, s[60:61]
	s_cbranch_execz .LBB162_55
; %bb.54:                               ;   in Loop: Header=BB162_4 Depth=1
	v_and_b32_e32 v19, 0x7fffffff, v5
	v_ldexp_f64 v[78:79], |v[4:5]|, s17
	v_cmp_ge_f64_e64 vcc, |v[4:5]|, s[24:25]
	v_trig_preop_f64 v[72:73], |v[4:5]|, 0
	v_cndmask_b32_e32 v79, v19, v79, vcc
	v_cndmask_b32_e32 v78, v4, v78, vcc
	v_trig_preop_f64 v[74:75], |v[4:5]|, 1
	v_mul_f64 v[82:83], v[72:73], v[78:79]
	v_mul_f64 v[80:81], v[74:75], v[78:79]
	v_fma_f64 v[72:73], v[72:73], v[78:79], -v[82:83]
	v_add_f64 v[84:85], v[80:81], v[72:73]
	v_add_f64 v[86:87], v[82:83], v[84:85]
	v_ldexp_f64 v[98:99], v[86:87], -2
	v_fract_f64_e32 v[100:101], v[98:99]
	v_cmp_neq_f64_e64 vcc, |v[98:99]|, s[26:27]
	v_cndmask_b32_e32 v99, 0, v101, vcc
	v_cndmask_b32_e32 v98, 0, v100, vcc
	v_add_f64 v[100:101], v[84:85], -v[80:81]
	v_add_f64 v[72:73], v[72:73], -v[100:101]
	;; [unrolled: 1-line block ×4, first 2 shown]
	v_fma_f64 v[74:75], v[74:75], v[78:79], -v[80:81]
	v_trig_preop_f64 v[80:81], |v[4:5]|, 2
	v_add_f64 v[72:73], v[72:73], v[100:101]
	v_mul_f64 v[100:101], v[80:81], v[78:79]
	v_add_f64 v[102:103], v[100:101], v[74:75]
	v_add_f64 v[104:105], v[102:103], v[72:73]
	v_add_f64 v[82:83], v[86:87], -v[82:83]
	v_add_f64 v[86:87], v[104:105], -v[102:103]
	;; [unrolled: 1-line block ×5, first 2 shown]
	v_add_f64 v[72:73], v[72:73], v[86:87]
	v_add_f64 v[86:87], v[102:103], -v[100:101]
	v_add_f64 v[74:75], v[74:75], -v[86:87]
	v_add_f64 v[86:87], v[102:103], -v[86:87]
	v_add_f64 v[86:87], v[100:101], -v[86:87]
	v_add_f64 v[74:75], v[74:75], v[86:87]
	v_add_f64 v[82:83], v[84:85], -v[82:83]
	v_add_f64 v[72:73], v[74:75], v[72:73]
	v_fma_f64 v[74:75], v[80:81], v[78:79], -v[100:101]
	v_add_f64 v[84:85], v[82:83], v[104:105]
	v_add_f64 v[72:73], v[74:75], v[72:73]
	v_ldexp_f64 v[74:75], v[98:99], 2
	v_add_f64 v[78:79], v[84:85], v[74:75]
	v_cmp_gt_f64_e32 vcc, 0, v[78:79]
	v_cndmask_b32_e32 v19, 0, v92, vcc
	v_add_f64 v[74:75], v[74:75], v[18:19]
	v_add_f64 v[78:79], v[84:85], v[74:75]
	v_cvt_i32_f64_e32 v19, v[78:79]
	v_cvt_f64_i32_e32 v[78:79], v19
	v_add_f64 v[74:75], v[74:75], -v[78:79]
	v_add_f64 v[82:83], v[84:85], -v[82:83]
	v_add_f64 v[78:79], v[84:85], v[74:75]
	v_add_f64 v[82:83], v[104:105], -v[82:83]
	v_add_f64 v[74:75], v[78:79], -v[74:75]
	v_cmp_le_f64_e32 vcc, 0.5, v[78:79]
	v_add_f64 v[72:73], v[82:83], v[72:73]
	v_add_f64 v[74:75], v[84:85], -v[74:75]
	v_addc_co_u32_e64 v77, s[10:11], 0, v19, vcc
	v_cndmask_b32_e32 v19, 0, v93, vcc
	v_add_f64 v[72:73], v[72:73], v[74:75]
	v_add_f64 v[74:75], v[78:79], -v[18:19]
	v_add_f64 v[78:79], v[74:75], v[72:73]
	v_add_f64 v[74:75], v[78:79], -v[74:75]
	s_mov_b32 s28, s30
	v_add_f64 v[72:73], v[72:73], -v[74:75]
	v_mul_f64 v[74:75], v[78:79], s[28:29]
	v_fma_f64 v[80:81], v[78:79], s[28:29], -v[74:75]
	s_mov_b32 s37, s35
	v_fmac_f64_e32 v[80:81], s[36:37], v[78:79]
	v_fmac_f64_e32 v[80:81], s[28:29], v[72:73]
	v_add_f64 v[72:73], v[74:75], v[80:81]
	v_add_f64 v[74:75], v[72:73], -v[74:75]
	v_add_f64 v[74:75], v[80:81], -v[74:75]
.LBB162_55:                             ;   in Loop: Header=BB162_4 Depth=1
	s_andn2_saveexec_b64 s[10:11], s[60:61]
	s_cbranch_execz .LBB162_57
; %bb.56:                               ;   in Loop: Header=BB162_4 Depth=1
	v_mul_f64 v[72:73], |v[4:5]|, s[38:39]
	v_rndne_f64_e32 v[78:79], v[72:73]
	v_fma_f64 v[72:73], v[78:79], s[30:31], |v[4:5]|
	v_mul_f64 v[80:81], v[78:79], s[40:41]
	v_add_f64 v[84:85], v[72:73], v[80:81]
	v_fma_f64 v[74:75], s[40:41], v[78:79], v[72:73]
	s_mov_b32 s34, s40
	v_add_f64 v[72:73], v[72:73], -v[84:85]
	v_fma_f64 v[82:83], s[34:35], v[78:79], v[80:81]
	v_add_f64 v[72:73], v[72:73], v[80:81]
	v_add_f64 v[80:81], v[84:85], -v[74:75]
	v_add_f64 v[72:73], v[80:81], v[72:73]
	v_add_f64 v[80:81], v[72:73], -v[82:83]
	v_fmac_f64_e32 v[80:81], s[42:43], v[78:79]
	v_add_f64 v[72:73], v[74:75], v[80:81]
	v_add_f64 v[74:75], v[72:73], -v[74:75]
	v_add_f64 v[74:75], v[80:81], -v[74:75]
	v_cvt_i32_f64_e32 v77, v[78:79]
.LBB162_57:                             ;   in Loop: Header=BB162_4 Depth=1
	s_or_b64 exec, exec, s[10:11]
	v_mul_f64 v[78:79], v[72:73], v[72:73]
	v_fma_f64 v[80:81], v[72:73], v[72:73], -v[78:79]
	v_add_f64 v[82:83], v[74:75], v[74:75]
	v_fmac_f64_e32 v[80:81], v[72:73], v[82:83]
	s_mov_b32 s10, 0xc751c08c
	v_add_f64 v[78:79], v[78:79], v[80:81]
	v_pk_mov_b32 v[80:81], v[28:29], v[28:29] op_sel:[0,1]
	s_mov_b32 s11, 0x3ef5e089
	v_fmac_f64_e32 v[80:81], s[10:11], v[78:79]
	v_pk_mov_b32 v[82:83], v[30:31], v[30:31] op_sel:[0,1]
	v_fmac_f64_e32 v[82:83], v[78:79], v[80:81]
	v_pk_mov_b32 v[80:81], v[32:33], v[32:33] op_sel:[0,1]
	;; [unrolled: 2-line block ×12, first 2 shown]
	v_fmac_f64_e32 v[80:81], v[78:79], v[82:83]
	v_mul_f64 v[78:79], v[78:79], v[80:81]
	v_mul_f64 v[80:81], v[72:73], v[78:79]
	v_add_f64 v[82:83], v[72:73], v[80:81]
	v_fma_f64 v[78:79], v[72:73], v[78:79], -v[80:81]
	v_add_f64 v[72:73], v[82:83], -v[72:73]
	v_add_f64 v[72:73], v[80:81], -v[72:73]
	v_add_f64 v[74:75], v[74:75], v[78:79]
	v_add_f64 v[72:73], v[74:75], v[72:73]
	;; [unrolled: 1-line block ×3, first 2 shown]
	v_rcp_f64_e32 v[78:79], v[74:75]
	v_add_f64 v[80:81], v[74:75], -v[82:83]
	v_add_f64 v[72:73], v[72:73], -v[80:81]
	v_and_b32_e32 v4, 1, v77
	v_fma_f64 v[80:81], -v[74:75], v[78:79], 1.0
	v_fmac_f64_e32 v[78:79], v[80:81], v[78:79]
	v_fma_f64 v[80:81], -v[74:75], v[78:79], 1.0
	v_fmac_f64_e32 v[78:79], v[80:81], v[78:79]
	v_mul_f64 v[80:81], v[74:75], v[78:79]
	v_fma_f64 v[82:83], v[78:79], v[74:75], -v[80:81]
	v_fmac_f64_e32 v[82:83], v[78:79], v[72:73]
	v_add_f64 v[72:73], v[80:81], v[82:83]
	v_add_f64 v[84:85], -v[72:73], 1.0
	v_add_f64 v[80:81], v[72:73], -v[80:81]
	v_add_f64 v[86:87], -v[84:85], 1.0
	v_add_f64 v[72:73], v[86:87], -v[72:73]
	v_add_f64 v[80:81], v[80:81], -v[82:83]
	v_add_f64 v[72:73], v[80:81], v[72:73]
	v_add_f64 v[72:73], v[84:85], v[72:73]
	v_mul_f64 v[72:73], v[78:79], v[72:73]
	v_add_f64 v[72:73], v[78:79], v[72:73]
	v_cmp_eq_u32_e32 vcc, 0, v4
	v_xor_b32_e32 v19, 0x80000000, v73
	v_cndmask_b32_e32 v4, v72, v74, vcc
	v_add_f64 v[72:73], |v[2:3]|, s[46:47]
	v_cndmask_b32_e32 v19, v19, v75, vcc
	v_add_f64 v[74:75], v[72:73], -|v[2:3]|
	v_add_f64 v[78:79], v[74:75], -v[72:73]
	s_mov_b32 s48, s46
	v_add_f64 v[78:79], |v[2:3]|, v[78:79]
	v_add_f64 v[74:75], v[74:75], s[48:49]
	v_add_f64 v[74:75], v[78:79], -v[74:75]
	v_add_f64 v[74:75], v[74:75], s[50:51]
	v_add_f64 v[78:79], v[72:73], v[74:75]
	v_add_f64 v[72:73], v[72:73], -v[78:79]
	s_mov_b32 s52, s54
	v_add_f64 v[72:73], v[74:75], v[72:73]
	v_mul_f64 v[74:75], v[78:79], s[52:53]
	v_rndne_f64_e32 v[74:75], v[74:75]
	s_mov_b32 s57, s47
	v_fmac_f64_e32 v[78:79], s[56:57], v[74:75]
	v_add_f64 v[80:81], v[72:73], v[78:79]
	s_mov_b32 s10, 0xf278e000
	v_add_f64 v[78:79], v[78:79], -v[80:81]
	s_mov_b32 s11, 0xbd53de6a
	v_add_f64 v[72:73], v[72:73], v[78:79]
	v_mul_f64 v[78:79], v[74:75], s[10:11]
	v_add_f64 v[82:83], v[80:81], v[78:79]
	v_add_f64 v[80:81], v[80:81], -v[82:83]
	v_add_f64 v[78:79], v[80:81], v[78:79]
	v_add_f64 v[72:73], v[72:73], v[78:79]
	v_add_f64 v[78:79], v[82:83], v[72:73]
	s_mov_b32 s10, 0xf97b57a0
	v_add_f64 v[80:81], v[82:83], -v[78:79]
	s_mov_b32 s11, 0xbac9cc01
	v_add_f64 v[72:73], v[72:73], v[80:81]
	v_mul_f64 v[80:81], v[74:75], s[10:11]
	v_add_f64 v[82:83], v[78:79], v[80:81]
	v_add_f64 v[78:79], v[78:79], -v[82:83]
	v_add_f64 v[78:79], v[78:79], v[80:81]
	v_add_f64 v[72:73], v[72:73], v[78:79]
	;; [unrolled: 1-line block ×3, first 2 shown]
	v_add_f64 v[80:81], v[82:83], -v[78:79]
	v_add_f64 v[72:73], v[72:73], v[80:81]
	v_pk_mov_b32 v[80:81], v[54:55], v[54:55] op_sel:[0,1]
	v_fmac_f64_e32 v[80:81], s[62:63], v[78:79]
	v_pk_mov_b32 v[82:83], v[56:57], v[56:57] op_sel:[0,1]
	v_fmac_f64_e32 v[82:83], v[78:79], v[80:81]
	;; [unrolled: 2-line block ×9, first 2 shown]
	v_mul_f64 v[82:83], v[78:79], v[78:79]
	v_fma_f64 v[84:85], v[78:79], v[78:79], -v[82:83]
	v_add_f64 v[86:87], v[72:73], v[72:73]
	v_fmac_f64_e32 v[84:85], v[78:79], v[86:87]
	v_add_f64 v[86:87], v[82:83], v[84:85]
	v_add_f64 v[82:83], v[86:87], -v[82:83]
	v_add_f64 v[82:83], v[84:85], -v[82:83]
	v_mul_f64 v[84:85], v[86:87], v[80:81]
	v_fma_f64 v[86:87], v[86:87], v[80:81], -v[84:85]
	v_fmac_f64_e32 v[86:87], v[82:83], v[80:81]
	v_add_f64 v[80:81], v[84:85], v[86:87]
	v_add_f64 v[82:83], v[80:81], -v[84:85]
	v_add_f64 v[84:85], v[78:79], v[80:81]
	v_add_f64 v[82:83], v[86:87], -v[82:83]
	v_add_f64 v[78:79], v[84:85], -v[78:79]
	;; [unrolled: 1-line block ×3, first 2 shown]
	v_add_f64 v[72:73], v[72:73], v[82:83]
	v_add_f64 v[72:73], v[72:73], v[78:79]
	;; [unrolled: 1-line block ×3, first 2 shown]
	v_add_f64 v[80:81], v[78:79], -v[84:85]
	v_add_f64 v[72:73], v[72:73], -v[80:81]
	v_add_f64 v[80:81], v[78:79], 1.0
	v_add_f64 v[82:83], v[80:81], -1.0
	v_add_f64 v[78:79], v[78:79], -v[82:83]
	v_add_f64 v[72:73], v[72:73], v[78:79]
	v_add_f64 v[78:79], v[80:81], v[72:73]
	v_cvt_i32_f64_e32 v77, v[74:75]
	v_ldexp_f64 v[74:75], v[78:79], v77
	v_rcp_f64_e32 v[82:83], v[74:75]
	v_add_f64 v[78:79], v[78:79], -v[80:81]
	v_add_f64 v[72:73], v[72:73], -v[78:79]
	v_ldexp_f64 v[72:73], v[72:73], v77
	v_fma_f64 v[78:79], -v[74:75], v[82:83], 1.0
	v_fmac_f64_e32 v[82:83], v[78:79], v[82:83]
	v_fma_f64 v[78:79], -v[74:75], v[82:83], 1.0
	v_fmac_f64_e32 v[82:83], v[78:79], v[82:83]
	v_mul_f64 v[78:79], v[74:75], v[82:83]
	v_fma_f64 v[80:81], v[82:83], v[74:75], -v[78:79]
	v_fmac_f64_e32 v[80:81], v[82:83], v[72:73]
	v_add_f64 v[84:85], v[78:79], v[80:81]
	v_add_f64 v[86:87], -v[84:85], 1.0
	v_add_f64 v[78:79], v[84:85], -v[78:79]
	v_add_f64 v[98:99], -v[86:87], 1.0
	v_add_f64 v[84:85], v[98:99], -v[84:85]
	v_add_f64 v[78:79], v[78:79], -v[80:81]
	v_add_f64 v[78:79], v[78:79], v[84:85]
	v_add_f64 v[80:81], v[86:87], v[78:79]
	v_add_f64 v[84:85], v[86:87], -v[80:81]
	v_add_f64 v[78:79], v[78:79], v[84:85]
	v_mul_f64 v[84:85], v[82:83], v[80:81]
	v_mul_f64 v[86:87], v[74:75], v[84:85]
	v_fma_f64 v[98:99], v[84:85], v[74:75], -v[86:87]
	v_fmac_f64_e32 v[98:99], v[84:85], v[72:73]
	v_add_f64 v[100:101], v[86:87], v[98:99]
	v_add_f64 v[102:103], v[80:81], -v[100:101]
	v_add_f64 v[80:81], v[80:81], -v[102:103]
	;; [unrolled: 1-line block ×4, first 2 shown]
	v_add_f64 v[78:79], v[78:79], v[80:81]
	v_add_f64 v[80:81], v[86:87], -v[98:99]
	v_add_f64 v[78:79], v[80:81], v[78:79]
	v_add_f64 v[78:79], v[102:103], v[78:79]
	;; [unrolled: 1-line block ×3, first 2 shown]
	v_mul_f64 v[78:79], v[82:83], v[78:79]
	v_add_f64 v[82:83], v[80:81], -v[82:83]
	v_add_f64 v[82:83], v[84:85], -v[82:83]
	v_add_f64 v[78:79], v[82:83], v[78:79]
	v_add_f64 v[82:83], v[80:81], v[78:79]
	v_add_f64 v[80:81], v[82:83], -v[80:81]
	v_add_f64 v[78:79], v[78:79], -v[80:81]
	v_ldexp_f64 v[80:81], v[82:83], -2
	v_add_f64 v[82:83], v[74:75], -v[80:81]
	v_add_f64 v[74:75], v[74:75], -v[82:83]
	v_add_f64 v[74:75], v[74:75], -v[80:81]
	s_mov_b32 s10, 0x8fb9f87e
	v_ldexp_f64 v[78:79], v[78:79], -2
	v_add_f64 v[72:73], v[72:73], v[74:75]
	s_mov_b32 s11, 0x408633ce
	v_add_f64 v[72:73], v[72:73], -v[78:79]
	v_cmp_nge_f64_e64 vcc, |v[2:3]|, s[10:11]
	s_mov_b32 s10, 0
	v_add_f64 v[72:73], v[82:83], v[72:73]
	s_mov_b32 s11, 0x3e400000
	v_cndmask_b32_e32 v73, v94, v73, vcc
	v_cndmask_b32_e32 v72, 0, v72, vcc
	v_cmp_lt_f64_e64 vcc, |v[2:3]|, s[10:11]
	v_cndmask_b32_e32 v2, v72, v2, vcc
	v_cndmask_b32_e32 v72, v73, v76, vcc
	v_bfi_b32 v3, s73, v72, v3
	s_mov_b32 s10, 0
	v_fma_f64 v[72:73], v[2:3], v[2:3], 1.0
	s_brev_b32 s11, 8
	v_cmp_gt_f64_e32 vcc, s[10:11], v[72:73]
	v_cndmask_b32_e64 v74, 0, 1, vcc
	v_lshlrev_b32_e32 v74, 8, v74
	v_ldexp_f64 v[72:73], v[72:73], v74
	v_rsq_f64_e32 v[74:75], v[72:73]
	v_and_b32_e32 v5, 0x80000000, v5
	v_xor_b32_e32 v5, v19, v5
	v_cndmask_b32_e32 v19, 0, v95, vcc
	v_mul_f64 v[78:79], v[72:73], v[74:75]
	v_mul_f64 v[74:75], v[74:75], 0.5
	v_fma_f64 v[80:81], -v[74:75], v[78:79], 0.5
	v_fmac_f64_e32 v[78:79], v[78:79], v[80:81]
	v_fma_f64 v[82:83], -v[78:79], v[78:79], v[72:73]
	v_fmac_f64_e32 v[74:75], v[74:75], v[80:81]
	v_fmac_f64_e32 v[78:79], v[82:83], v[74:75]
	v_fma_f64 v[80:81], -v[78:79], v[78:79], v[72:73]
	v_fmac_f64_e32 v[78:79], v[80:81], v[74:75]
	v_ldexp_f64 v[74:75], v[78:79], v19
	v_cmp_class_f64_e32 vcc, v[72:73], v91
	v_fma_f64 v[76:77], v[4:5], v[4:5], 1.0
	v_cndmask_b32_e32 v73, v75, v73, vcc
	v_cndmask_b32_e32 v72, v74, v72, vcc
	v_mul_f64 v[74:75], v[2:3], v[76:77]
	v_mul_f64 v[72:73], v[72:73], v[76:77]
	v_fma_f64 v[74:75], v[2:3], v[74:75], 1.0
	v_mul_f64 v[2:3], v[2:3], v[72:73]
	v_div_scale_f64 v[72:73], s[10:11], v[74:75], v[74:75], v[2:3]
	v_rcp_f64_e32 v[76:77], v[72:73]
	v_fma_f64 v[78:79], -v[72:73], v[76:77], 1.0
	v_fmac_f64_e32 v[76:77], v[76:77], v[78:79]
	v_fma_f64 v[78:79], -v[72:73], v[76:77], 1.0
	v_fmac_f64_e32 v[76:77], v[76:77], v[78:79]
	v_div_scale_f64 v[78:79], vcc, v[2:3], v[74:75], v[2:3]
	v_mul_f64 v[80:81], v[78:79], v[76:77]
	v_fma_f64 v[72:73], -v[72:73], v[80:81], v[78:79]
	v_div_scale_f64 v[78:79], s[10:11], v[74:75], v[74:75], v[4:5]
	v_rcp_f64_e32 v[82:83], v[78:79]
	v_div_fmas_f64 v[72:73], v[72:73], v[76:77], v[80:81]
	v_div_fixup_f64 v[2:3], v[72:73], v[74:75], v[2:3]
	v_fma_f64 v[72:73], -v[78:79], v[82:83], 1.0
	v_fmac_f64_e32 v[82:83], v[82:83], v[72:73]
	v_fma_f64 v[72:73], -v[78:79], v[82:83], 1.0
	v_fmac_f64_e32 v[82:83], v[82:83], v[72:73]
	v_div_scale_f64 v[72:73], vcc, v[4:5], v[74:75], v[4:5]
	v_mul_f64 v[76:77], v[72:73], v[82:83]
	v_fma_f64 v[72:73], -v[78:79], v[76:77], v[72:73]
	s_nop 1
	v_div_fmas_f64 v[72:73], v[72:73], v[82:83], v[76:77]
	v_div_fixup_f64 v[4:5], v[72:73], v[74:75], v[4:5]
.LBB162_58:                             ;   in Loop: Header=BB162_4 Depth=1
	s_andn2_saveexec_b64 s[58:59], s[58:59]
	s_cbranch_execz .LBB162_68
; %bb.59:                               ;   in Loop: Header=BB162_4 Depth=1
	v_cmp_nlt_f64_e64 s[60:61], |v[4:5]|, s[22:23]
                                        ; implicit-def: $vgpr80
                                        ; implicit-def: $vgpr72_vgpr73
                                        ; implicit-def: $vgpr74_vgpr75
	s_and_saveexec_b64 s[10:11], s[60:61]
	s_xor_b64 s[68:69], exec, s[10:11]
	s_cbranch_execz .LBB162_61
; %bb.60:                               ;   in Loop: Header=BB162_4 Depth=1
	v_and_b32_e32 v19, 0x7fffffff, v5
	v_ldexp_f64 v[76:77], |v[4:5]|, s17
	v_cmp_ge_f64_e64 vcc, |v[4:5]|, s[24:25]
	v_trig_preop_f64 v[72:73], |v[4:5]|, 0
	v_cndmask_b32_e32 v77, v19, v77, vcc
	v_cndmask_b32_e32 v76, v4, v76, vcc
	v_trig_preop_f64 v[74:75], |v[4:5]|, 1
	v_mul_f64 v[80:81], v[72:73], v[76:77]
	v_mul_f64 v[78:79], v[74:75], v[76:77]
	v_fma_f64 v[72:73], v[72:73], v[76:77], -v[80:81]
	v_add_f64 v[82:83], v[78:79], v[72:73]
	v_add_f64 v[84:85], v[80:81], v[82:83]
	v_ldexp_f64 v[86:87], v[84:85], -2
	v_fract_f64_e32 v[98:99], v[86:87]
	v_cmp_neq_f64_e64 vcc, |v[86:87]|, s[26:27]
	v_cndmask_b32_e32 v87, 0, v99, vcc
	v_cndmask_b32_e32 v86, 0, v98, vcc
	v_add_f64 v[98:99], v[82:83], -v[78:79]
	v_add_f64 v[72:73], v[72:73], -v[98:99]
	;; [unrolled: 1-line block ×4, first 2 shown]
	v_fma_f64 v[74:75], v[74:75], v[76:77], -v[78:79]
	v_trig_preop_f64 v[78:79], |v[4:5]|, 2
	v_add_f64 v[72:73], v[72:73], v[98:99]
	v_mul_f64 v[98:99], v[78:79], v[76:77]
	v_add_f64 v[100:101], v[98:99], v[74:75]
	v_add_f64 v[102:103], v[100:101], v[72:73]
	v_add_f64 v[80:81], v[84:85], -v[80:81]
	v_add_f64 v[84:85], v[102:103], -v[100:101]
	;; [unrolled: 1-line block ×5, first 2 shown]
	v_add_f64 v[72:73], v[72:73], v[84:85]
	v_add_f64 v[84:85], v[100:101], -v[98:99]
	v_add_f64 v[74:75], v[74:75], -v[84:85]
	;; [unrolled: 1-line block ×4, first 2 shown]
	v_add_f64 v[74:75], v[74:75], v[84:85]
	v_add_f64 v[80:81], v[82:83], -v[80:81]
	v_add_f64 v[72:73], v[74:75], v[72:73]
	v_fma_f64 v[74:75], v[78:79], v[76:77], -v[98:99]
	v_add_f64 v[82:83], v[80:81], v[102:103]
	v_add_f64 v[72:73], v[74:75], v[72:73]
	v_ldexp_f64 v[74:75], v[86:87], 2
	v_add_f64 v[76:77], v[82:83], v[74:75]
	v_cmp_gt_f64_e32 vcc, 0, v[76:77]
	v_cndmask_b32_e32 v19, 0, v92, vcc
	v_add_f64 v[74:75], v[74:75], v[18:19]
	v_add_f64 v[76:77], v[82:83], v[74:75]
	v_cvt_i32_f64_e32 v19, v[76:77]
	v_cvt_f64_i32_e32 v[76:77], v19
	v_add_f64 v[74:75], v[74:75], -v[76:77]
	v_add_f64 v[80:81], v[82:83], -v[80:81]
	v_add_f64 v[76:77], v[82:83], v[74:75]
	v_add_f64 v[80:81], v[102:103], -v[80:81]
	v_add_f64 v[74:75], v[76:77], -v[74:75]
	v_cmp_le_f64_e32 vcc, 0.5, v[76:77]
	v_add_f64 v[72:73], v[80:81], v[72:73]
	v_add_f64 v[74:75], v[82:83], -v[74:75]
	v_addc_co_u32_e64 v80, s[10:11], 0, v19, vcc
	v_cndmask_b32_e32 v19, 0, v93, vcc
	v_add_f64 v[72:73], v[72:73], v[74:75]
	v_add_f64 v[74:75], v[76:77], -v[18:19]
	v_add_f64 v[76:77], v[74:75], v[72:73]
	v_add_f64 v[74:75], v[76:77], -v[74:75]
	s_mov_b32 s28, s30
	v_add_f64 v[72:73], v[72:73], -v[74:75]
	v_mul_f64 v[74:75], v[76:77], s[28:29]
	v_fma_f64 v[78:79], v[76:77], s[28:29], -v[74:75]
	s_mov_b32 s37, s35
	v_fmac_f64_e32 v[78:79], s[36:37], v[76:77]
	v_fmac_f64_e32 v[78:79], s[28:29], v[72:73]
	v_add_f64 v[72:73], v[74:75], v[78:79]
	v_add_f64 v[74:75], v[72:73], -v[74:75]
	v_add_f64 v[74:75], v[78:79], -v[74:75]
	s_andn2_saveexec_b64 s[10:11], s[68:69]
	s_cbranch_execz .LBB162_63
	s_branch .LBB162_62
.LBB162_61:                             ;   in Loop: Header=BB162_4 Depth=1
	s_andn2_saveexec_b64 s[10:11], s[68:69]
	s_cbranch_execz .LBB162_63
.LBB162_62:                             ;   in Loop: Header=BB162_4 Depth=1
	v_mul_f64 v[72:73], |v[4:5]|, s[38:39]
	v_rndne_f64_e32 v[76:77], v[72:73]
	v_fma_f64 v[72:73], v[76:77], s[30:31], |v[4:5]|
	v_mul_f64 v[78:79], v[76:77], s[40:41]
	v_add_f64 v[82:83], v[72:73], v[78:79]
	v_fma_f64 v[74:75], s[40:41], v[76:77], v[72:73]
	s_mov_b32 s34, s40
	v_add_f64 v[72:73], v[72:73], -v[82:83]
	v_fma_f64 v[80:81], s[34:35], v[76:77], v[78:79]
	v_add_f64 v[72:73], v[72:73], v[78:79]
	v_add_f64 v[78:79], v[82:83], -v[74:75]
	v_add_f64 v[72:73], v[78:79], v[72:73]
	v_add_f64 v[78:79], v[72:73], -v[80:81]
	v_fmac_f64_e32 v[78:79], s[42:43], v[76:77]
	v_add_f64 v[72:73], v[74:75], v[78:79]
	v_add_f64 v[74:75], v[72:73], -v[74:75]
	v_add_f64 v[74:75], v[78:79], -v[74:75]
	v_cvt_i32_f64_e32 v80, v[76:77]
.LBB162_63:                             ;   in Loop: Header=BB162_4 Depth=1
	s_or_b64 exec, exec, s[10:11]
                                        ; implicit-def: $vgpr81
                                        ; implicit-def: $vgpr76_vgpr77
                                        ; implicit-def: $vgpr78_vgpr79
	s_and_saveexec_b64 s[10:11], s[60:61]
	s_xor_b64 s[60:61], exec, s[10:11]
	s_cbranch_execz .LBB162_65
; %bb.64:                               ;   in Loop: Header=BB162_4 Depth=1
	v_and_b32_e32 v19, 0x7fffffff, v5
	v_ldexp_f64 v[82:83], |v[4:5]|, s17
	v_cmp_ge_f64_e64 vcc, |v[4:5]|, s[24:25]
	v_trig_preop_f64 v[76:77], |v[4:5]|, 0
	v_cndmask_b32_e32 v83, v19, v83, vcc
	v_cndmask_b32_e32 v82, v4, v82, vcc
	v_trig_preop_f64 v[78:79], |v[4:5]|, 1
	v_mul_f64 v[86:87], v[76:77], v[82:83]
	v_mul_f64 v[84:85], v[78:79], v[82:83]
	v_fma_f64 v[76:77], v[76:77], v[82:83], -v[86:87]
	v_add_f64 v[98:99], v[84:85], v[76:77]
	v_add_f64 v[100:101], v[86:87], v[98:99]
	v_ldexp_f64 v[102:103], v[100:101], -2
	v_fract_f64_e32 v[104:105], v[102:103]
	v_cmp_neq_f64_e64 vcc, |v[102:103]|, s[26:27]
	v_cndmask_b32_e32 v103, 0, v105, vcc
	v_cndmask_b32_e32 v102, 0, v104, vcc
	v_add_f64 v[104:105], v[98:99], -v[84:85]
	v_add_f64 v[76:77], v[76:77], -v[104:105]
	;; [unrolled: 1-line block ×4, first 2 shown]
	v_fma_f64 v[78:79], v[78:79], v[82:83], -v[84:85]
	v_trig_preop_f64 v[84:85], |v[4:5]|, 2
	v_add_f64 v[76:77], v[76:77], v[104:105]
	v_mul_f64 v[104:105], v[84:85], v[82:83]
	v_add_f64 v[106:107], v[104:105], v[78:79]
	v_add_f64 v[108:109], v[106:107], v[76:77]
	v_add_f64 v[86:87], v[100:101], -v[86:87]
	v_add_f64 v[100:101], v[108:109], -v[106:107]
	v_add_f64 v[76:77], v[76:77], -v[100:101]
	v_add_f64 v[100:101], v[108:109], -v[100:101]
	v_add_f64 v[100:101], v[106:107], -v[100:101]
	v_add_f64 v[76:77], v[76:77], v[100:101]
	v_add_f64 v[100:101], v[106:107], -v[104:105]
	v_add_f64 v[78:79], v[78:79], -v[100:101]
	;; [unrolled: 1-line block ×4, first 2 shown]
	v_add_f64 v[78:79], v[78:79], v[100:101]
	v_add_f64 v[86:87], v[98:99], -v[86:87]
	v_add_f64 v[76:77], v[78:79], v[76:77]
	v_fma_f64 v[78:79], v[84:85], v[82:83], -v[104:105]
	v_add_f64 v[98:99], v[86:87], v[108:109]
	v_add_f64 v[76:77], v[78:79], v[76:77]
	v_ldexp_f64 v[78:79], v[102:103], 2
	v_add_f64 v[82:83], v[98:99], v[78:79]
	v_cmp_gt_f64_e32 vcc, 0, v[82:83]
	v_cndmask_b32_e32 v19, 0, v92, vcc
	v_add_f64 v[78:79], v[78:79], v[18:19]
	v_add_f64 v[82:83], v[98:99], v[78:79]
	v_cvt_i32_f64_e32 v19, v[82:83]
	v_cvt_f64_i32_e32 v[82:83], v19
	v_add_f64 v[78:79], v[78:79], -v[82:83]
	v_add_f64 v[86:87], v[98:99], -v[86:87]
	v_add_f64 v[82:83], v[98:99], v[78:79]
	v_add_f64 v[86:87], v[108:109], -v[86:87]
	v_add_f64 v[78:79], v[82:83], -v[78:79]
	v_cmp_le_f64_e32 vcc, 0.5, v[82:83]
	v_add_f64 v[76:77], v[86:87], v[76:77]
	v_add_f64 v[78:79], v[98:99], -v[78:79]
	v_addc_co_u32_e64 v81, s[10:11], 0, v19, vcc
	v_cndmask_b32_e32 v19, 0, v93, vcc
	v_add_f64 v[76:77], v[76:77], v[78:79]
	v_add_f64 v[78:79], v[82:83], -v[18:19]
	v_add_f64 v[82:83], v[78:79], v[76:77]
	v_add_f64 v[78:79], v[82:83], -v[78:79]
	s_mov_b32 s28, s30
	v_add_f64 v[76:77], v[76:77], -v[78:79]
	v_mul_f64 v[78:79], v[82:83], s[28:29]
	v_fma_f64 v[84:85], v[82:83], s[28:29], -v[78:79]
	s_mov_b32 s37, s35
	v_fmac_f64_e32 v[84:85], s[36:37], v[82:83]
	v_fmac_f64_e32 v[84:85], s[28:29], v[76:77]
	v_add_f64 v[76:77], v[78:79], v[84:85]
	v_add_f64 v[78:79], v[76:77], -v[78:79]
	v_add_f64 v[78:79], v[84:85], -v[78:79]
	s_andn2_saveexec_b64 s[10:11], s[60:61]
	s_cbranch_execnz .LBB162_66
	s_branch .LBB162_67
.LBB162_65:                             ;   in Loop: Header=BB162_4 Depth=1
	s_andn2_saveexec_b64 s[10:11], s[60:61]
	s_cbranch_execz .LBB162_67
.LBB162_66:                             ;   in Loop: Header=BB162_4 Depth=1
	v_mul_f64 v[76:77], |v[4:5]|, s[38:39]
	v_rndne_f64_e32 v[82:83], v[76:77]
	v_fma_f64 v[76:77], v[82:83], s[30:31], |v[4:5]|
	v_mul_f64 v[84:85], v[82:83], s[40:41]
	v_add_f64 v[98:99], v[76:77], v[84:85]
	v_fma_f64 v[78:79], s[40:41], v[82:83], v[76:77]
	s_mov_b32 s34, s40
	v_add_f64 v[76:77], v[76:77], -v[98:99]
	v_fma_f64 v[86:87], s[34:35], v[82:83], v[84:85]
	v_add_f64 v[76:77], v[76:77], v[84:85]
	v_add_f64 v[84:85], v[98:99], -v[78:79]
	v_add_f64 v[76:77], v[84:85], v[76:77]
	v_add_f64 v[84:85], v[76:77], -v[86:87]
	v_fmac_f64_e32 v[84:85], s[42:43], v[82:83]
	v_add_f64 v[76:77], v[78:79], v[84:85]
	v_add_f64 v[78:79], v[76:77], -v[78:79]
	v_add_f64 v[78:79], v[84:85], -v[78:79]
	v_cvt_i32_f64_e32 v81, v[82:83]
.LBB162_67:                             ;   in Loop: Header=BB162_4 Depth=1
	s_or_b64 exec, exec, s[10:11]
	v_mul_f64 v[82:83], v[72:73], v[72:73]
	v_pk_mov_b32 v[100:101], s[74:75], s[74:75] op_sel:[0,1]
	v_mul_f64 v[84:85], v[82:83], 0.5
	v_fma_f64 v[102:103], s[76:77], v[82:83], v[100:101]
	v_add_f64 v[86:87], -v[84:85], 1.0
	v_fma_f64 v[102:103], v[82:83], v[102:103], s[78:79]
	v_add_f64 v[98:99], -v[86:87], 1.0
	v_fma_f64 v[102:103], v[82:83], v[102:103], s[80:81]
	v_add_f64 v[84:85], v[98:99], -v[84:85]
	v_fma_f64 v[102:103], v[82:83], v[102:103], s[82:83]
	v_mul_f64 v[98:99], v[82:83], v[82:83]
	v_fma_f64 v[102:103], v[82:83], v[102:103], s[66:67]
	v_fma_f64 v[84:85], v[72:73], -v[74:75], v[84:85]
	v_fmac_f64_e32 v[84:85], v[98:99], v[102:103]
	v_add_f64 v[84:85], v[86:87], v[84:85]
	v_pk_mov_b32 v[86:87], s[84:85], s[84:85] op_sel:[0,1]
	v_fma_f64 v[98:99], s[86:87], v[82:83], v[86:87]
	v_fma_f64 v[98:99], v[82:83], v[98:99], s[88:89]
	;; [unrolled: 1-line block ×4, first 2 shown]
	v_mul_f64 v[102:103], v[72:73], -v[82:83]
	v_mul_f64 v[104:105], v[74:75], 0.5
	v_fmac_f64_e32 v[104:105], v[102:103], v[98:99]
	v_fma_f64 v[74:75], v[82:83], v[104:105], -v[74:75]
	s_mov_b32 s92, s66
	v_fmac_f64_e32 v[74:75], s[92:93], v[102:103]
	v_and_b32_e32 v4, 1, v80
	v_add_f64 v[72:73], v[72:73], -v[74:75]
	v_cmp_eq_u32_e32 vcc, 0, v4
	v_cndmask_b32_e32 v4, v84, v72, vcc
	v_lshlrev_b32_e32 v72, 30, v80
	v_cndmask_b32_e32 v19, v85, v73, vcc
	v_xor_b32_e32 v5, v72, v5
	v_mul_f64 v[72:73], |v[2:3]|, s[54:55]
	v_rndne_f64_e32 v[72:73], v[72:73]
	v_fma_f64 v[74:75], v[72:73], s[46:47], -|v[2:3]|
	v_fmac_f64_e32 v[74:75], s[50:51], v[72:73]
	v_pk_mov_b32 v[82:83], v[54:55], v[54:55] op_sel:[0,1]
	v_fmac_f64_e32 v[82:83], s[62:63], v[74:75]
	v_pk_mov_b32 v[84:85], v[56:57], v[56:57] op_sel:[0,1]
	;; [unrolled: 2-line block ×9, first 2 shown]
	v_fmac_f64_e32 v[82:83], v[74:75], v[84:85]
	v_and_b32_e32 v5, 0x80000000, v5
	v_fma_f64 v[82:83], v[74:75], v[82:83], 1.0
	s_mov_b32 s10, 0
	v_xor_b32_e32 v5, v19, v5
	v_fma_f64 v[74:75], v[74:75], v[82:83], 1.0
	v_cvt_i32_f64_e32 v19, v[72:73]
	s_mov_b32 s11, 0x4090cc00
	v_ldexp_f64 v[72:73], v[74:75], v19
	v_cmp_ngt_f64_e64 vcc, |v[2:3]|, s[10:11]
	v_bfi_b32 v19, s73, v93, v3
	v_mul_f64 v[2:3], v[76:77], v[76:77]
	v_mul_f64 v[74:75], v[2:3], 0.5
	v_fmac_f64_e32 v[100:101], s[76:77], v[2:3]
	v_add_f64 v[82:83], -v[74:75], 1.0
	v_fma_f64 v[98:99], v[2:3], v[100:101], s[78:79]
	v_add_f64 v[84:85], -v[82:83], 1.0
	v_fma_f64 v[98:99], v[2:3], v[98:99], s[80:81]
	v_add_f64 v[74:75], v[84:85], -v[74:75]
	v_fma_f64 v[98:99], v[2:3], v[98:99], s[82:83]
	v_mul_f64 v[84:85], v[2:3], v[2:3]
	v_fma_f64 v[98:99], v[2:3], v[98:99], s[66:67]
	v_fma_f64 v[74:75], v[76:77], -v[78:79], v[74:75]
	v_fmac_f64_e32 v[74:75], v[84:85], v[98:99]
	v_fmac_f64_e32 v[86:87], s[86:87], v[2:3]
	v_add_f64 v[74:75], v[82:83], v[74:75]
	v_fma_f64 v[82:83], v[2:3], v[86:87], s[88:89]
	v_fma_f64 v[82:83], v[2:3], v[82:83], s[90:91]
	;; [unrolled: 1-line block ×3, first 2 shown]
	v_mul_f64 v[84:85], v[76:77], -v[2:3]
	v_mul_f64 v[86:87], v[78:79], 0.5
	v_fmac_f64_e32 v[86:87], v[84:85], v[82:83]
	v_fma_f64 v[2:3], v[2:3], v[86:87], -v[78:79]
	v_fmac_f64_e32 v[2:3], s[92:93], v[84:85]
	v_add_f64 v[2:3], v[76:77], -v[2:3]
	v_and_b32_e32 v76, 1, v81
	v_cndmask_b32_e32 v73, 0, v73, vcc
	v_cndmask_b32_e32 v72, 0, v72, vcc
	v_cmp_eq_u32_e32 vcc, 0, v76
	v_xor_b32_e32 v3, 0x80000000, v3
	v_cndmask_b32_e32 v2, v2, v74, vcc
	v_lshlrev_b32_e32 v74, 30, v81
	v_cndmask_b32_e32 v3, v3, v75, vcc
	v_and_b32_e32 v74, 0x80000000, v74
	v_mul_f64 v[4:5], v[4:5], 4.0
	v_xor_b32_e32 v3, v3, v74
	v_mul_f64 v[2:3], v[4:5], v[2:3]
	v_mul_f64 v[2:3], v[72:73], v[2:3]
	v_mul_f64 v[4:5], v[72:73], v[2:3]
	v_pk_mov_b32 v[2:3], v[18:19], v[18:19] op_sel:[0,1]
.LBB162_68:                             ;   in Loop: Header=BB162_4 Depth=1
	s_or_b64 exec, exec, s[58:59]
.LBB162_69:                             ;   in Loop: Header=BB162_4 Depth=1
	s_andn2_saveexec_b64 s[10:11], s[44:45]
; %bb.70:                               ;   in Loop: Header=BB162_4 Depth=1
	v_add_f64 v[4:5], v[4:5], -v[4:5]
	v_pk_mov_b32 v[2:3], v[4:5], v[4:5] op_sel:[0,1]
; %bb.71:                               ;   in Loop: Header=BB162_4 Depth=1
	s_or_b64 exec, exec, s[10:11]
.LBB162_72:                             ;   in Loop: Header=BB162_4 Depth=1
	s_andn2_saveexec_b64 s[14:15], s[14:15]
	s_cbranch_execz .LBB162_88
; %bb.73:                               ;   in Loop: Header=BB162_4 Depth=1
	v_and_or_b32 v19, v3, s16, v2
	v_cmp_ne_u32_e32 vcc, 0, v19
	s_and_saveexec_b64 s[10:11], vcc
	s_xor_b64 s[10:11], exec, s[10:11]
; %bb.74:                               ;   in Loop: Header=BB162_4 Depth=1
	v_mul_f64 v[72:73], v[4:5], v[2:3]
	v_cmp_eq_f64_e32 vcc, 0, v[4:5]
	v_cndmask_b32_e32 v5, v73, v5, vcc
	v_cndmask_b32_e32 v4, v72, v4, vcc
; %bb.75:                               ;   in Loop: Header=BB162_4 Depth=1
	s_andn2_saveexec_b64 s[44:45], s[10:11]
	s_cbranch_execz .LBB162_87
; %bb.76:                               ;   in Loop: Header=BB162_4 Depth=1
	v_cmp_neq_f64_e64 s[10:11], |v[4:5]|, s[26:27]
	s_and_saveexec_b64 s[58:59], s[10:11]
	s_cbranch_execz .LBB162_86
; %bb.77:                               ;   in Loop: Header=BB162_4 Depth=1
	v_cmp_nlt_f64_e64 s[60:61], |v[4:5]|, s[22:23]
	v_trig_preop_f64 v[80:81], |v[4:5]|, 0
	v_trig_preop_f64 v[78:79], |v[4:5]|, 1
	v_ldexp_f64 v[82:83], |v[4:5]|, s17
	v_trig_preop_f64 v[76:77], |v[4:5]|, 2
	v_and_b32_e32 v98, 0x7fffffff, v5
                                        ; implicit-def: $vgpr97
                                        ; implicit-def: $vgpr72_vgpr73
                                        ; implicit-def: $vgpr74_vgpr75
	s_and_saveexec_b64 s[10:11], s[60:61]
	s_xor_b64 s[68:69], exec, s[10:11]
	s_cbranch_execz .LBB162_79
; %bb.78:                               ;   in Loop: Header=BB162_4 Depth=1
	v_cmp_ge_f64_e64 vcc, |v[4:5]|, s[24:25]
	v_cndmask_b32_e32 v73, v98, v83, vcc
	v_cndmask_b32_e32 v72, v4, v82, vcc
	v_mul_f64 v[84:85], v[80:81], v[72:73]
	v_mul_f64 v[74:75], v[78:79], v[72:73]
	v_fma_f64 v[86:87], v[80:81], v[72:73], -v[84:85]
	v_add_f64 v[100:101], v[74:75], v[86:87]
	v_add_f64 v[102:103], v[84:85], v[100:101]
	v_ldexp_f64 v[104:105], v[102:103], -2
	v_fract_f64_e32 v[106:107], v[104:105]
	v_cmp_neq_f64_e64 vcc, |v[104:105]|, s[26:27]
	v_cndmask_b32_e32 v105, 0, v107, vcc
	v_cndmask_b32_e32 v104, 0, v106, vcc
	v_add_f64 v[106:107], v[100:101], -v[74:75]
	v_add_f64 v[86:87], v[86:87], -v[106:107]
	;; [unrolled: 1-line block ×4, first 2 shown]
	v_add_f64 v[86:87], v[86:87], v[106:107]
	v_fma_f64 v[74:75], v[78:79], v[72:73], -v[74:75]
	v_mul_f64 v[106:107], v[76:77], v[72:73]
	v_add_f64 v[108:109], v[106:107], v[74:75]
	v_add_f64 v[110:111], v[108:109], v[86:87]
	v_add_f64 v[84:85], v[102:103], -v[84:85]
	v_add_f64 v[102:103], v[110:111], -v[108:109]
	;; [unrolled: 1-line block ×5, first 2 shown]
	v_add_f64 v[86:87], v[86:87], v[102:103]
	v_add_f64 v[102:103], v[108:109], -v[106:107]
	v_add_f64 v[74:75], v[74:75], -v[102:103]
	;; [unrolled: 1-line block ×5, first 2 shown]
	v_add_f64 v[100:101], v[84:85], v[110:111]
	v_add_f64 v[74:75], v[74:75], v[102:103]
	v_add_f64 v[84:85], v[100:101], -v[84:85]
	v_add_f64 v[74:75], v[74:75], v[86:87]
	v_fma_f64 v[72:73], v[76:77], v[72:73], -v[106:107]
	v_add_f64 v[84:85], v[110:111], -v[84:85]
	v_add_f64 v[72:73], v[72:73], v[74:75]
	v_ldexp_f64 v[74:75], v[104:105], 2
	v_add_f64 v[72:73], v[84:85], v[72:73]
	v_add_f64 v[84:85], v[100:101], v[74:75]
	v_cmp_gt_f64_e32 vcc, 0, v[84:85]
	v_cndmask_b32_e32 v19, 0, v92, vcc
	v_add_f64 v[74:75], v[74:75], v[18:19]
	v_add_f64 v[84:85], v[100:101], v[74:75]
	v_cvt_i32_f64_e32 v19, v[84:85]
	v_cvt_f64_i32_e32 v[84:85], v19
	v_add_f64 v[74:75], v[74:75], -v[84:85]
	v_add_f64 v[84:85], v[100:101], v[74:75]
	v_add_f64 v[74:75], v[84:85], -v[74:75]
	v_cmp_le_f64_e32 vcc, 0.5, v[84:85]
	v_add_f64 v[74:75], v[100:101], -v[74:75]
	v_addc_co_u32_e64 v97, s[10:11], 0, v19, vcc
	v_cndmask_b32_e32 v19, 0, v93, vcc
	v_add_f64 v[72:73], v[72:73], v[74:75]
	v_add_f64 v[74:75], v[84:85], -v[18:19]
	v_add_f64 v[84:85], v[74:75], v[72:73]
	v_add_f64 v[74:75], v[84:85], -v[74:75]
	s_mov_b32 s28, s30
	v_add_f64 v[72:73], v[72:73], -v[74:75]
	v_mul_f64 v[74:75], v[84:85], s[28:29]
	v_fma_f64 v[86:87], v[84:85], s[28:29], -v[74:75]
	s_mov_b32 s37, s35
	v_fmac_f64_e32 v[86:87], s[36:37], v[84:85]
	v_fmac_f64_e32 v[86:87], s[28:29], v[72:73]
	v_add_f64 v[72:73], v[74:75], v[86:87]
	v_add_f64 v[74:75], v[72:73], -v[74:75]
	v_add_f64 v[74:75], v[86:87], -v[74:75]
	s_andn2_saveexec_b64 s[10:11], s[68:69]
	s_cbranch_execz .LBB162_81
	s_branch .LBB162_80
.LBB162_79:                             ;   in Loop: Header=BB162_4 Depth=1
	s_andn2_saveexec_b64 s[10:11], s[68:69]
	s_cbranch_execz .LBB162_81
.LBB162_80:                             ;   in Loop: Header=BB162_4 Depth=1
	v_mul_f64 v[72:73], |v[4:5]|, s[38:39]
	v_rndne_f64_e32 v[84:85], v[72:73]
	v_fma_f64 v[72:73], v[84:85], s[30:31], |v[4:5]|
	v_mul_f64 v[86:87], v[84:85], s[40:41]
	v_add_f64 v[102:103], v[72:73], v[86:87]
	v_fma_f64 v[74:75], s[40:41], v[84:85], v[72:73]
	s_mov_b32 s34, s40
	v_add_f64 v[72:73], v[72:73], -v[102:103]
	v_fma_f64 v[100:101], s[34:35], v[84:85], v[86:87]
	v_add_f64 v[72:73], v[72:73], v[86:87]
	v_add_f64 v[86:87], v[102:103], -v[74:75]
	v_add_f64 v[72:73], v[86:87], v[72:73]
	v_add_f64 v[86:87], v[72:73], -v[100:101]
	v_fmac_f64_e32 v[86:87], s[42:43], v[84:85]
	v_add_f64 v[72:73], v[74:75], v[86:87]
	v_add_f64 v[74:75], v[72:73], -v[74:75]
	v_add_f64 v[74:75], v[86:87], -v[74:75]
	v_cvt_i32_f64_e32 v97, v[84:85]
.LBB162_81:                             ;   in Loop: Header=BB162_4 Depth=1
	s_or_b64 exec, exec, s[10:11]
                                        ; implicit-def: $vgpr99
                                        ; implicit-def: $vgpr84_vgpr85
                                        ; implicit-def: $vgpr86_vgpr87
	s_and_saveexec_b64 s[10:11], s[60:61]
	s_xor_b64 s[60:61], exec, s[10:11]
	s_cbranch_execz .LBB162_83
; %bb.82:                               ;   in Loop: Header=BB162_4 Depth=1
	v_cmp_ge_f64_e64 vcc, |v[4:5]|, s[24:25]
	v_cndmask_b32_e32 v83, v98, v83, vcc
	v_cndmask_b32_e32 v82, v4, v82, vcc
	v_mul_f64 v[86:87], v[80:81], v[82:83]
	v_mul_f64 v[84:85], v[78:79], v[82:83]
	v_fma_f64 v[80:81], v[80:81], v[82:83], -v[86:87]
	v_add_f64 v[98:99], v[84:85], v[80:81]
	v_add_f64 v[100:101], v[86:87], v[98:99]
	v_ldexp_f64 v[102:103], v[100:101], -2
	v_fract_f64_e32 v[104:105], v[102:103]
	v_cmp_neq_f64_e64 vcc, |v[102:103]|, s[26:27]
	v_cndmask_b32_e32 v103, 0, v105, vcc
	v_cndmask_b32_e32 v102, 0, v104, vcc
	v_add_f64 v[104:105], v[98:99], -v[84:85]
	v_add_f64 v[80:81], v[80:81], -v[104:105]
	;; [unrolled: 1-line block ×4, first 2 shown]
	v_fma_f64 v[78:79], v[78:79], v[82:83], -v[84:85]
	v_mul_f64 v[84:85], v[76:77], v[82:83]
	v_add_f64 v[80:81], v[80:81], v[104:105]
	v_add_f64 v[104:105], v[84:85], v[78:79]
	;; [unrolled: 1-line block ×3, first 2 shown]
	v_add_f64 v[86:87], v[100:101], -v[86:87]
	v_add_f64 v[100:101], v[106:107], -v[104:105]
	;; [unrolled: 1-line block ×5, first 2 shown]
	v_add_f64 v[80:81], v[80:81], v[100:101]
	v_add_f64 v[100:101], v[104:105], -v[84:85]
	v_add_f64 v[78:79], v[78:79], -v[100:101]
	;; [unrolled: 1-line block ×4, first 2 shown]
	v_add_f64 v[78:79], v[78:79], v[100:101]
	v_add_f64 v[86:87], v[98:99], -v[86:87]
	v_add_f64 v[78:79], v[78:79], v[80:81]
	v_fma_f64 v[76:77], v[76:77], v[82:83], -v[84:85]
	v_add_f64 v[98:99], v[86:87], v[106:107]
	v_add_f64 v[76:77], v[76:77], v[78:79]
	v_ldexp_f64 v[78:79], v[102:103], 2
	v_add_f64 v[80:81], v[98:99], v[78:79]
	v_cmp_gt_f64_e32 vcc, 0, v[80:81]
	v_cndmask_b32_e32 v19, 0, v92, vcc
	v_add_f64 v[78:79], v[78:79], v[18:19]
	v_add_f64 v[80:81], v[98:99], v[78:79]
	v_cvt_i32_f64_e32 v19, v[80:81]
	v_cvt_f64_i32_e32 v[80:81], v19
	v_add_f64 v[78:79], v[78:79], -v[80:81]
	v_add_f64 v[86:87], v[98:99], -v[86:87]
	v_add_f64 v[80:81], v[98:99], v[78:79]
	v_add_f64 v[86:87], v[106:107], -v[86:87]
	v_add_f64 v[78:79], v[80:81], -v[78:79]
	v_cmp_le_f64_e32 vcc, 0.5, v[80:81]
	v_add_f64 v[76:77], v[86:87], v[76:77]
	v_add_f64 v[78:79], v[98:99], -v[78:79]
	v_addc_co_u32_e64 v99, s[10:11], 0, v19, vcc
	v_cndmask_b32_e32 v19, 0, v93, vcc
	v_add_f64 v[76:77], v[76:77], v[78:79]
	v_add_f64 v[78:79], v[80:81], -v[18:19]
	v_add_f64 v[80:81], v[78:79], v[76:77]
	v_add_f64 v[78:79], v[80:81], -v[78:79]
	s_mov_b32 s28, s30
	v_add_f64 v[76:77], v[76:77], -v[78:79]
	v_mul_f64 v[78:79], v[80:81], s[28:29]
	v_fma_f64 v[82:83], v[80:81], s[28:29], -v[78:79]
	s_mov_b32 s37, s35
	v_fmac_f64_e32 v[82:83], s[36:37], v[80:81]
	v_fmac_f64_e32 v[82:83], s[28:29], v[76:77]
	v_add_f64 v[84:85], v[78:79], v[82:83]
	v_add_f64 v[76:77], v[84:85], -v[78:79]
	v_add_f64 v[86:87], v[82:83], -v[76:77]
	s_andn2_saveexec_b64 s[10:11], s[60:61]
	s_cbranch_execnz .LBB162_84
	s_branch .LBB162_85
.LBB162_83:                             ;   in Loop: Header=BB162_4 Depth=1
	s_andn2_saveexec_b64 s[10:11], s[60:61]
	s_cbranch_execz .LBB162_85
.LBB162_84:                             ;   in Loop: Header=BB162_4 Depth=1
	v_mul_f64 v[76:77], |v[4:5]|, s[38:39]
	v_rndne_f64_e32 v[76:77], v[76:77]
	v_fma_f64 v[78:79], v[76:77], s[30:31], |v[4:5]|
	v_mul_f64 v[82:83], v[76:77], s[40:41]
	v_add_f64 v[86:87], v[78:79], v[82:83]
	v_fma_f64 v[80:81], s[40:41], v[76:77], v[78:79]
	s_mov_b32 s34, s40
	v_add_f64 v[78:79], v[78:79], -v[86:87]
	v_fma_f64 v[84:85], s[34:35], v[76:77], v[82:83]
	v_add_f64 v[78:79], v[78:79], v[82:83]
	v_add_f64 v[82:83], v[86:87], -v[80:81]
	v_add_f64 v[78:79], v[82:83], v[78:79]
	v_add_f64 v[78:79], v[78:79], -v[84:85]
	v_fmac_f64_e32 v[78:79], s[42:43], v[76:77]
	v_add_f64 v[84:85], v[80:81], v[78:79]
	v_add_f64 v[80:81], v[84:85], -v[80:81]
	v_add_f64 v[86:87], v[78:79], -v[80:81]
	v_cvt_i32_f64_e32 v99, v[76:77]
.LBB162_85:                             ;   in Loop: Header=BB162_4 Depth=1
	s_or_b64 exec, exec, s[10:11]
	v_mul_f64 v[76:77], v[72:73], v[72:73]
	v_pk_mov_b32 v[100:101], s[74:75], s[74:75] op_sel:[0,1]
	v_mul_f64 v[78:79], v[76:77], 0.5
	v_fma_f64 v[102:103], s[76:77], v[76:77], v[100:101]
	v_add_f64 v[80:81], -v[78:79], 1.0
	v_fma_f64 v[102:103], v[76:77], v[102:103], s[78:79]
	v_add_f64 v[82:83], -v[80:81], 1.0
	v_fma_f64 v[102:103], v[76:77], v[102:103], s[80:81]
	v_add_f64 v[78:79], v[82:83], -v[78:79]
	v_fma_f64 v[102:103], v[76:77], v[102:103], s[82:83]
	v_mul_f64 v[82:83], v[76:77], v[76:77]
	v_fma_f64 v[102:103], v[76:77], v[102:103], s[66:67]
	v_fma_f64 v[78:79], v[72:73], -v[74:75], v[78:79]
	v_fmac_f64_e32 v[78:79], v[82:83], v[102:103]
	v_add_f64 v[78:79], v[80:81], v[78:79]
	v_pk_mov_b32 v[80:81], s[84:85], s[84:85] op_sel:[0,1]
	v_fma_f64 v[82:83], s[86:87], v[76:77], v[80:81]
	v_fma_f64 v[82:83], v[76:77], v[82:83], s[88:89]
	;; [unrolled: 1-line block ×4, first 2 shown]
	v_mul_f64 v[102:103], v[72:73], -v[76:77]
	v_mul_f64 v[104:105], v[74:75], 0.5
	v_fmac_f64_e32 v[104:105], v[102:103], v[82:83]
	v_fma_f64 v[74:75], v[76:77], v[104:105], -v[74:75]
	s_mov_b32 s92, s66
	v_fmac_f64_e32 v[74:75], s[92:93], v[102:103]
	v_and_b32_e32 v19, 1, v97
	v_add_f64 v[72:73], v[72:73], -v[74:75]
	v_cmp_eq_u32_e32 vcc, 0, v19
	v_cndmask_b32_e32 v19, v78, v72, vcc
	v_cndmask_b32_e32 v72, v79, v73, vcc
	v_lshlrev_b32_e32 v73, 30, v97
	v_xor_b32_e32 v73, v73, v5
	v_and_b32_e32 v73, 0x80000000, v73
	v_xor_b32_e32 v72, v72, v73
	v_cmp_class_f64_e64 vcc, v[4:5], s95
	v_cndmask_b32_e32 v5, v96, v72, vcc
	v_mul_f64 v[72:73], v[84:85], v[84:85]
	v_mul_f64 v[74:75], v[72:73], 0.5
	v_fmac_f64_e32 v[100:101], s[76:77], v[72:73]
	v_add_f64 v[76:77], -v[74:75], 1.0
	v_fma_f64 v[82:83], v[72:73], v[100:101], s[78:79]
	v_add_f64 v[78:79], -v[76:77], 1.0
	v_fma_f64 v[82:83], v[72:73], v[82:83], s[80:81]
	v_add_f64 v[74:75], v[78:79], -v[74:75]
	v_fma_f64 v[82:83], v[72:73], v[82:83], s[82:83]
	v_mul_f64 v[78:79], v[72:73], v[72:73]
	v_fma_f64 v[82:83], v[72:73], v[82:83], s[66:67]
	v_fma_f64 v[74:75], v[84:85], -v[86:87], v[74:75]
	v_fmac_f64_e32 v[74:75], v[78:79], v[82:83]
	v_fmac_f64_e32 v[80:81], s[86:87], v[72:73]
	v_add_f64 v[74:75], v[76:77], v[74:75]
	v_fma_f64 v[76:77], v[72:73], v[80:81], s[88:89]
	v_fma_f64 v[76:77], v[72:73], v[76:77], s[90:91]
	;; [unrolled: 1-line block ×3, first 2 shown]
	v_mul_f64 v[78:79], v[84:85], -v[72:73]
	v_mul_f64 v[80:81], v[86:87], 0.5
	v_fmac_f64_e32 v[80:81], v[78:79], v[76:77]
	v_fma_f64 v[72:73], v[72:73], v[80:81], -v[86:87]
	v_fmac_f64_e32 v[72:73], s[92:93], v[78:79]
	v_add_f64 v[72:73], v[84:85], -v[72:73]
	v_cndmask_b32_e32 v4, 0, v19, vcc
	v_xor_b32_e32 v19, 0x80000000, v73
	v_and_b32_e32 v73, 1, v99
	v_cmp_eq_u32_e64 s[10:11], 0, v73
	v_lshlrev_b32_e32 v73, 30, v99
	v_cndmask_b32_e64 v19, v19, v75, s[10:11]
	v_and_b32_e32 v73, 0x80000000, v73
	v_cndmask_b32_e64 v72, v72, v74, s[10:11]
	v_xor_b32_e32 v19, v19, v73
	v_cndmask_b32_e32 v72, 0, v72, vcc
	v_cndmask_b32_e32 v73, v96, v19, vcc
	v_mul_f64 v[4:5], v[4:5], v[72:73]
.LBB162_86:                             ;   in Loop: Header=BB162_4 Depth=1
	s_or_b64 exec, exec, s[58:59]
	v_add_co_u32_e32 v2, vcc, 0, v2
	v_bfi_b32 v19, s73, 0, v5
	v_addc_co_u32_e32 v3, vcc, -2.0, v3, vcc
	v_pk_mov_b32 v[4:5], v[18:19], v[18:19] op_sel:[0,1]
.LBB162_87:                             ;   in Loop: Header=BB162_4 Depth=1
	s_or_b64 exec, exec, s[44:45]
.LBB162_88:                             ;   in Loop: Header=BB162_4 Depth=1
	s_or_b64 exec, exec, s[14:15]
	v_and_b32_e32 v76, 0x7fffffff, v15
	v_cmp_gt_u32_e32 vcc, s94, v76
	s_and_saveexec_b64 s[10:11], vcc
	s_xor_b64 s[14:15], exec, s[10:11]
	s_cbranch_execz .LBB162_110
; %bb.89:                               ;   in Loop: Header=BB162_4 Depth=1
	v_cmp_class_f64_e64 s[10:11], v[16:17], s95
	s_and_saveexec_b64 s[44:45], s[10:11]
	s_xor_b64 s[44:45], exec, s[44:45]
	s_cbranch_execz .LBB162_107
; %bb.90:                               ;   in Loop: Header=BB162_4 Depth=1
	s_mov_b32 s10, 0x40360000
	v_cmp_gt_u32_e32 vcc, s10, v76
	s_and_saveexec_b64 s[10:11], vcc
	s_xor_b64 s[58:59], exec, s[10:11]
	s_cbranch_execz .LBB162_96
; %bb.91:                               ;   in Loop: Header=BB162_4 Depth=1
	v_cmp_nlt_f64_e64 s[10:11], |v[16:17]|, s[22:23]
                                        ; implicit-def: $vgpr77
                                        ; implicit-def: $vgpr72_vgpr73
                                        ; implicit-def: $vgpr74_vgpr75
	s_and_saveexec_b64 s[60:61], s[10:11]
	s_xor_b64 s[60:61], exec, s[60:61]
	s_cbranch_execz .LBB162_93
; %bb.92:                               ;   in Loop: Header=BB162_4 Depth=1
	v_and_b32_e32 v19, 0x7fffffff, v17
	v_ldexp_f64 v[78:79], |v[16:17]|, s17
	v_cmp_ge_f64_e64 vcc, |v[16:17]|, s[24:25]
	v_trig_preop_f64 v[72:73], |v[16:17]|, 0
	v_cndmask_b32_e32 v79, v19, v79, vcc
	v_cndmask_b32_e32 v78, v16, v78, vcc
	v_trig_preop_f64 v[74:75], |v[16:17]|, 1
	v_mul_f64 v[82:83], v[72:73], v[78:79]
	v_mul_f64 v[80:81], v[74:75], v[78:79]
	v_fma_f64 v[72:73], v[72:73], v[78:79], -v[82:83]
	v_add_f64 v[84:85], v[80:81], v[72:73]
	v_add_f64 v[86:87], v[82:83], v[84:85]
	v_ldexp_f64 v[98:99], v[86:87], -2
	v_fract_f64_e32 v[100:101], v[98:99]
	v_cmp_neq_f64_e64 vcc, |v[98:99]|, s[26:27]
	v_cndmask_b32_e32 v99, 0, v101, vcc
	v_cndmask_b32_e32 v98, 0, v100, vcc
	v_add_f64 v[100:101], v[84:85], -v[80:81]
	v_add_f64 v[72:73], v[72:73], -v[100:101]
	;; [unrolled: 1-line block ×4, first 2 shown]
	v_fma_f64 v[74:75], v[74:75], v[78:79], -v[80:81]
	v_trig_preop_f64 v[80:81], |v[16:17]|, 2
	v_add_f64 v[72:73], v[72:73], v[100:101]
	v_mul_f64 v[100:101], v[80:81], v[78:79]
	v_add_f64 v[102:103], v[100:101], v[74:75]
	v_add_f64 v[104:105], v[102:103], v[72:73]
	v_add_f64 v[82:83], v[86:87], -v[82:83]
	v_add_f64 v[86:87], v[104:105], -v[102:103]
	;; [unrolled: 1-line block ×5, first 2 shown]
	v_add_f64 v[72:73], v[72:73], v[86:87]
	v_add_f64 v[86:87], v[102:103], -v[100:101]
	v_add_f64 v[74:75], v[74:75], -v[86:87]
	;; [unrolled: 1-line block ×4, first 2 shown]
	v_add_f64 v[74:75], v[74:75], v[86:87]
	v_add_f64 v[82:83], v[84:85], -v[82:83]
	v_add_f64 v[72:73], v[74:75], v[72:73]
	v_fma_f64 v[74:75], v[80:81], v[78:79], -v[100:101]
	v_add_f64 v[84:85], v[82:83], v[104:105]
	v_add_f64 v[72:73], v[74:75], v[72:73]
	v_ldexp_f64 v[74:75], v[98:99], 2
	v_add_f64 v[78:79], v[84:85], v[74:75]
	v_cmp_gt_f64_e32 vcc, 0, v[78:79]
	v_cndmask_b32_e32 v19, 0, v92, vcc
	v_add_f64 v[74:75], v[74:75], v[18:19]
	v_add_f64 v[78:79], v[84:85], v[74:75]
	v_cvt_i32_f64_e32 v19, v[78:79]
	v_cvt_f64_i32_e32 v[78:79], v19
	v_add_f64 v[74:75], v[74:75], -v[78:79]
	v_add_f64 v[82:83], v[84:85], -v[82:83]
	v_add_f64 v[78:79], v[84:85], v[74:75]
	v_add_f64 v[82:83], v[104:105], -v[82:83]
	v_add_f64 v[74:75], v[78:79], -v[74:75]
	v_cmp_le_f64_e32 vcc, 0.5, v[78:79]
	v_add_f64 v[72:73], v[82:83], v[72:73]
	v_add_f64 v[74:75], v[84:85], -v[74:75]
	v_addc_co_u32_e64 v77, s[10:11], 0, v19, vcc
	v_cndmask_b32_e32 v19, 0, v93, vcc
	v_add_f64 v[72:73], v[72:73], v[74:75]
	v_add_f64 v[74:75], v[78:79], -v[18:19]
	v_add_f64 v[78:79], v[74:75], v[72:73]
	v_add_f64 v[74:75], v[78:79], -v[74:75]
	s_mov_b32 s28, s30
	v_add_f64 v[72:73], v[72:73], -v[74:75]
	v_mul_f64 v[74:75], v[78:79], s[28:29]
	v_fma_f64 v[80:81], v[78:79], s[28:29], -v[74:75]
	s_mov_b32 s37, s35
	v_fmac_f64_e32 v[80:81], s[36:37], v[78:79]
	v_fmac_f64_e32 v[80:81], s[28:29], v[72:73]
	v_add_f64 v[72:73], v[74:75], v[80:81]
	v_add_f64 v[74:75], v[72:73], -v[74:75]
	v_add_f64 v[74:75], v[80:81], -v[74:75]
.LBB162_93:                             ;   in Loop: Header=BB162_4 Depth=1
	s_andn2_saveexec_b64 s[10:11], s[60:61]
	s_cbranch_execz .LBB162_95
; %bb.94:                               ;   in Loop: Header=BB162_4 Depth=1
	v_mul_f64 v[72:73], |v[16:17]|, s[38:39]
	v_rndne_f64_e32 v[78:79], v[72:73]
	v_fma_f64 v[72:73], v[78:79], s[30:31], |v[16:17]|
	v_mul_f64 v[80:81], v[78:79], s[40:41]
	v_add_f64 v[84:85], v[72:73], v[80:81]
	v_fma_f64 v[74:75], s[40:41], v[78:79], v[72:73]
	s_mov_b32 s34, s40
	v_add_f64 v[72:73], v[72:73], -v[84:85]
	v_fma_f64 v[82:83], s[34:35], v[78:79], v[80:81]
	v_add_f64 v[72:73], v[72:73], v[80:81]
	v_add_f64 v[80:81], v[84:85], -v[74:75]
	v_add_f64 v[72:73], v[80:81], v[72:73]
	v_add_f64 v[80:81], v[72:73], -v[82:83]
	v_fmac_f64_e32 v[80:81], s[42:43], v[78:79]
	v_add_f64 v[72:73], v[74:75], v[80:81]
	v_add_f64 v[74:75], v[72:73], -v[74:75]
	v_add_f64 v[74:75], v[80:81], -v[74:75]
	v_cvt_i32_f64_e32 v77, v[78:79]
.LBB162_95:                             ;   in Loop: Header=BB162_4 Depth=1
	s_or_b64 exec, exec, s[10:11]
	v_mul_f64 v[78:79], v[72:73], v[72:73]
	v_fma_f64 v[80:81], v[72:73], v[72:73], -v[78:79]
	v_add_f64 v[82:83], v[74:75], v[74:75]
	v_fmac_f64_e32 v[80:81], v[72:73], v[82:83]
	s_mov_b32 s10, 0xc751c08c
	v_add_f64 v[78:79], v[78:79], v[80:81]
	v_pk_mov_b32 v[80:81], v[28:29], v[28:29] op_sel:[0,1]
	s_mov_b32 s11, 0x3ef5e089
	v_fmac_f64_e32 v[80:81], s[10:11], v[78:79]
	v_pk_mov_b32 v[82:83], v[30:31], v[30:31] op_sel:[0,1]
	v_fmac_f64_e32 v[82:83], v[78:79], v[80:81]
	v_pk_mov_b32 v[80:81], v[32:33], v[32:33] op_sel:[0,1]
	;; [unrolled: 2-line block ×12, first 2 shown]
	v_fmac_f64_e32 v[80:81], v[78:79], v[82:83]
	v_mul_f64 v[78:79], v[78:79], v[80:81]
	v_mul_f64 v[80:81], v[72:73], v[78:79]
	v_add_f64 v[82:83], v[72:73], v[80:81]
	v_fma_f64 v[78:79], v[72:73], v[78:79], -v[80:81]
	v_add_f64 v[72:73], v[82:83], -v[72:73]
	v_add_f64 v[72:73], v[80:81], -v[72:73]
	v_add_f64 v[74:75], v[74:75], v[78:79]
	v_add_f64 v[72:73], v[74:75], v[72:73]
	;; [unrolled: 1-line block ×3, first 2 shown]
	v_rcp_f64_e32 v[78:79], v[74:75]
	v_add_f64 v[80:81], v[74:75], -v[82:83]
	v_add_f64 v[72:73], v[72:73], -v[80:81]
	v_and_b32_e32 v16, 1, v77
	v_fma_f64 v[80:81], -v[74:75], v[78:79], 1.0
	v_fmac_f64_e32 v[78:79], v[80:81], v[78:79]
	v_fma_f64 v[80:81], -v[74:75], v[78:79], 1.0
	v_fmac_f64_e32 v[78:79], v[80:81], v[78:79]
	v_mul_f64 v[80:81], v[74:75], v[78:79]
	v_fma_f64 v[82:83], v[78:79], v[74:75], -v[80:81]
	v_fmac_f64_e32 v[82:83], v[78:79], v[72:73]
	v_add_f64 v[72:73], v[80:81], v[82:83]
	v_add_f64 v[84:85], -v[72:73], 1.0
	v_add_f64 v[80:81], v[72:73], -v[80:81]
	v_add_f64 v[86:87], -v[84:85], 1.0
	v_add_f64 v[72:73], v[86:87], -v[72:73]
	v_add_f64 v[80:81], v[80:81], -v[82:83]
	v_add_f64 v[72:73], v[80:81], v[72:73]
	v_add_f64 v[72:73], v[84:85], v[72:73]
	v_mul_f64 v[72:73], v[78:79], v[72:73]
	v_add_f64 v[72:73], v[78:79], v[72:73]
	v_cmp_eq_u32_e32 vcc, 0, v16
	v_xor_b32_e32 v19, 0x80000000, v73
	v_cndmask_b32_e32 v16, v72, v74, vcc
	v_add_f64 v[72:73], |v[14:15]|, s[46:47]
	v_cndmask_b32_e32 v19, v19, v75, vcc
	v_add_f64 v[74:75], v[72:73], -|v[14:15]|
	v_add_f64 v[78:79], v[74:75], -v[72:73]
	s_mov_b32 s48, s46
	v_add_f64 v[78:79], |v[14:15]|, v[78:79]
	v_add_f64 v[74:75], v[74:75], s[48:49]
	v_add_f64 v[74:75], v[78:79], -v[74:75]
	v_add_f64 v[74:75], v[74:75], s[50:51]
	v_add_f64 v[78:79], v[72:73], v[74:75]
	v_add_f64 v[72:73], v[72:73], -v[78:79]
	s_mov_b32 s52, s54
	v_add_f64 v[72:73], v[74:75], v[72:73]
	v_mul_f64 v[74:75], v[78:79], s[52:53]
	v_rndne_f64_e32 v[74:75], v[74:75]
	s_mov_b32 s57, s47
	v_fmac_f64_e32 v[78:79], s[56:57], v[74:75]
	v_add_f64 v[80:81], v[72:73], v[78:79]
	s_mov_b32 s10, 0xf278e000
	v_add_f64 v[78:79], v[78:79], -v[80:81]
	s_mov_b32 s11, 0xbd53de6a
	v_add_f64 v[72:73], v[72:73], v[78:79]
	v_mul_f64 v[78:79], v[74:75], s[10:11]
	v_add_f64 v[82:83], v[80:81], v[78:79]
	v_add_f64 v[80:81], v[80:81], -v[82:83]
	v_add_f64 v[78:79], v[80:81], v[78:79]
	v_add_f64 v[72:73], v[72:73], v[78:79]
	;; [unrolled: 1-line block ×3, first 2 shown]
	s_mov_b32 s10, 0xf97b57a0
	v_add_f64 v[80:81], v[82:83], -v[78:79]
	s_mov_b32 s11, 0xbac9cc01
	v_add_f64 v[72:73], v[72:73], v[80:81]
	v_mul_f64 v[80:81], v[74:75], s[10:11]
	v_add_f64 v[82:83], v[78:79], v[80:81]
	v_add_f64 v[78:79], v[78:79], -v[82:83]
	v_add_f64 v[78:79], v[78:79], v[80:81]
	v_add_f64 v[72:73], v[72:73], v[78:79]
	;; [unrolled: 1-line block ×3, first 2 shown]
	v_add_f64 v[80:81], v[82:83], -v[78:79]
	v_add_f64 v[72:73], v[72:73], v[80:81]
	v_pk_mov_b32 v[80:81], v[54:55], v[54:55] op_sel:[0,1]
	v_fmac_f64_e32 v[80:81], s[62:63], v[78:79]
	v_pk_mov_b32 v[82:83], v[56:57], v[56:57] op_sel:[0,1]
	v_fmac_f64_e32 v[82:83], v[78:79], v[80:81]
	;; [unrolled: 2-line block ×9, first 2 shown]
	v_mul_f64 v[82:83], v[78:79], v[78:79]
	v_fma_f64 v[84:85], v[78:79], v[78:79], -v[82:83]
	v_add_f64 v[86:87], v[72:73], v[72:73]
	v_fmac_f64_e32 v[84:85], v[78:79], v[86:87]
	v_add_f64 v[86:87], v[82:83], v[84:85]
	v_add_f64 v[82:83], v[86:87], -v[82:83]
	v_add_f64 v[82:83], v[84:85], -v[82:83]
	v_mul_f64 v[84:85], v[86:87], v[80:81]
	v_fma_f64 v[86:87], v[86:87], v[80:81], -v[84:85]
	v_fmac_f64_e32 v[86:87], v[82:83], v[80:81]
	v_add_f64 v[80:81], v[84:85], v[86:87]
	v_add_f64 v[82:83], v[80:81], -v[84:85]
	v_add_f64 v[84:85], v[78:79], v[80:81]
	v_add_f64 v[82:83], v[86:87], -v[82:83]
	v_add_f64 v[78:79], v[84:85], -v[78:79]
	;; [unrolled: 1-line block ×3, first 2 shown]
	v_add_f64 v[72:73], v[72:73], v[82:83]
	v_add_f64 v[72:73], v[72:73], v[78:79]
	;; [unrolled: 1-line block ×3, first 2 shown]
	v_add_f64 v[80:81], v[78:79], -v[84:85]
	v_add_f64 v[72:73], v[72:73], -v[80:81]
	v_add_f64 v[80:81], v[78:79], 1.0
	v_add_f64 v[82:83], v[80:81], -1.0
	v_add_f64 v[78:79], v[78:79], -v[82:83]
	v_add_f64 v[72:73], v[72:73], v[78:79]
	v_add_f64 v[78:79], v[80:81], v[72:73]
	v_cvt_i32_f64_e32 v77, v[74:75]
	v_ldexp_f64 v[74:75], v[78:79], v77
	v_rcp_f64_e32 v[82:83], v[74:75]
	v_add_f64 v[78:79], v[78:79], -v[80:81]
	v_add_f64 v[72:73], v[72:73], -v[78:79]
	v_ldexp_f64 v[72:73], v[72:73], v77
	v_fma_f64 v[78:79], -v[74:75], v[82:83], 1.0
	v_fmac_f64_e32 v[82:83], v[78:79], v[82:83]
	v_fma_f64 v[78:79], -v[74:75], v[82:83], 1.0
	v_fmac_f64_e32 v[82:83], v[78:79], v[82:83]
	v_mul_f64 v[78:79], v[74:75], v[82:83]
	v_fma_f64 v[80:81], v[82:83], v[74:75], -v[78:79]
	v_fmac_f64_e32 v[80:81], v[82:83], v[72:73]
	v_add_f64 v[84:85], v[78:79], v[80:81]
	v_add_f64 v[86:87], -v[84:85], 1.0
	v_add_f64 v[78:79], v[84:85], -v[78:79]
	v_add_f64 v[98:99], -v[86:87], 1.0
	v_add_f64 v[84:85], v[98:99], -v[84:85]
	v_add_f64 v[78:79], v[78:79], -v[80:81]
	v_add_f64 v[78:79], v[78:79], v[84:85]
	v_add_f64 v[80:81], v[86:87], v[78:79]
	v_add_f64 v[84:85], v[86:87], -v[80:81]
	v_add_f64 v[78:79], v[78:79], v[84:85]
	v_mul_f64 v[84:85], v[82:83], v[80:81]
	v_mul_f64 v[86:87], v[74:75], v[84:85]
	v_fma_f64 v[98:99], v[84:85], v[74:75], -v[86:87]
	v_fmac_f64_e32 v[98:99], v[84:85], v[72:73]
	v_add_f64 v[100:101], v[86:87], v[98:99]
	v_add_f64 v[102:103], v[80:81], -v[100:101]
	v_add_f64 v[80:81], v[80:81], -v[102:103]
	;; [unrolled: 1-line block ×4, first 2 shown]
	v_add_f64 v[78:79], v[78:79], v[80:81]
	v_add_f64 v[80:81], v[86:87], -v[98:99]
	v_add_f64 v[78:79], v[80:81], v[78:79]
	v_add_f64 v[78:79], v[102:103], v[78:79]
	;; [unrolled: 1-line block ×3, first 2 shown]
	v_mul_f64 v[78:79], v[82:83], v[78:79]
	v_add_f64 v[82:83], v[80:81], -v[82:83]
	v_add_f64 v[82:83], v[84:85], -v[82:83]
	v_add_f64 v[78:79], v[82:83], v[78:79]
	v_add_f64 v[82:83], v[80:81], v[78:79]
	v_add_f64 v[80:81], v[82:83], -v[80:81]
	v_add_f64 v[78:79], v[78:79], -v[80:81]
	v_ldexp_f64 v[80:81], v[82:83], -2
	v_add_f64 v[82:83], v[74:75], -v[80:81]
	v_add_f64 v[74:75], v[74:75], -v[82:83]
	;; [unrolled: 1-line block ×3, first 2 shown]
	s_mov_b32 s10, 0x8fb9f87e
	v_ldexp_f64 v[78:79], v[78:79], -2
	v_add_f64 v[72:73], v[72:73], v[74:75]
	s_mov_b32 s11, 0x408633ce
	v_add_f64 v[72:73], v[72:73], -v[78:79]
	v_cmp_nge_f64_e64 vcc, |v[14:15]|, s[10:11]
	s_mov_b32 s10, 0
	v_add_f64 v[72:73], v[82:83], v[72:73]
	s_mov_b32 s11, 0x3e400000
	v_cndmask_b32_e32 v73, v94, v73, vcc
	v_cndmask_b32_e32 v72, 0, v72, vcc
	v_cmp_lt_f64_e64 vcc, |v[14:15]|, s[10:11]
	v_cndmask_b32_e32 v14, v72, v14, vcc
	v_cndmask_b32_e32 v72, v73, v76, vcc
	v_bfi_b32 v15, s73, v72, v15
	s_mov_b32 s10, 0
	v_fma_f64 v[72:73], v[14:15], v[14:15], 1.0
	s_brev_b32 s11, 8
	v_cmp_gt_f64_e32 vcc, s[10:11], v[72:73]
	v_cndmask_b32_e64 v74, 0, 1, vcc
	v_lshlrev_b32_e32 v74, 8, v74
	v_ldexp_f64 v[72:73], v[72:73], v74
	v_rsq_f64_e32 v[74:75], v[72:73]
	v_and_b32_e32 v17, 0x80000000, v17
	v_xor_b32_e32 v17, v19, v17
	v_cndmask_b32_e32 v19, 0, v95, vcc
	v_mul_f64 v[78:79], v[72:73], v[74:75]
	v_mul_f64 v[74:75], v[74:75], 0.5
	v_fma_f64 v[80:81], -v[74:75], v[78:79], 0.5
	v_fmac_f64_e32 v[78:79], v[78:79], v[80:81]
	v_fma_f64 v[82:83], -v[78:79], v[78:79], v[72:73]
	v_fmac_f64_e32 v[74:75], v[74:75], v[80:81]
	v_fmac_f64_e32 v[78:79], v[82:83], v[74:75]
	v_fma_f64 v[80:81], -v[78:79], v[78:79], v[72:73]
	v_fmac_f64_e32 v[78:79], v[80:81], v[74:75]
	v_ldexp_f64 v[74:75], v[78:79], v19
	v_cmp_class_f64_e32 vcc, v[72:73], v91
	v_fma_f64 v[76:77], v[16:17], v[16:17], 1.0
	v_cndmask_b32_e32 v73, v75, v73, vcc
	v_cndmask_b32_e32 v72, v74, v72, vcc
	v_mul_f64 v[74:75], v[14:15], v[76:77]
	v_mul_f64 v[72:73], v[72:73], v[76:77]
	v_fma_f64 v[74:75], v[14:15], v[74:75], 1.0
	v_mul_f64 v[14:15], v[14:15], v[72:73]
	v_div_scale_f64 v[72:73], s[10:11], v[74:75], v[74:75], v[14:15]
	v_rcp_f64_e32 v[76:77], v[72:73]
	v_fma_f64 v[78:79], -v[72:73], v[76:77], 1.0
	v_fmac_f64_e32 v[76:77], v[76:77], v[78:79]
	v_fma_f64 v[78:79], -v[72:73], v[76:77], 1.0
	v_fmac_f64_e32 v[76:77], v[76:77], v[78:79]
	v_div_scale_f64 v[78:79], vcc, v[14:15], v[74:75], v[14:15]
	v_mul_f64 v[80:81], v[78:79], v[76:77]
	v_fma_f64 v[72:73], -v[72:73], v[80:81], v[78:79]
	v_div_scale_f64 v[78:79], s[10:11], v[74:75], v[74:75], v[16:17]
	v_rcp_f64_e32 v[82:83], v[78:79]
	v_div_fmas_f64 v[72:73], v[72:73], v[76:77], v[80:81]
	v_div_fixup_f64 v[14:15], v[72:73], v[74:75], v[14:15]
	v_fma_f64 v[72:73], -v[78:79], v[82:83], 1.0
	v_fmac_f64_e32 v[82:83], v[82:83], v[72:73]
	v_fma_f64 v[72:73], -v[78:79], v[82:83], 1.0
	v_fmac_f64_e32 v[82:83], v[82:83], v[72:73]
	v_div_scale_f64 v[72:73], vcc, v[16:17], v[74:75], v[16:17]
	v_mul_f64 v[76:77], v[72:73], v[82:83]
	v_fma_f64 v[72:73], -v[78:79], v[76:77], v[72:73]
	s_nop 1
	v_div_fmas_f64 v[72:73], v[72:73], v[82:83], v[76:77]
	v_div_fixup_f64 v[16:17], v[72:73], v[74:75], v[16:17]
.LBB162_96:                             ;   in Loop: Header=BB162_4 Depth=1
	s_andn2_saveexec_b64 s[58:59], s[58:59]
	s_cbranch_execz .LBB162_106
; %bb.97:                               ;   in Loop: Header=BB162_4 Depth=1
	v_cmp_nlt_f64_e64 s[60:61], |v[16:17]|, s[22:23]
                                        ; implicit-def: $vgpr80
                                        ; implicit-def: $vgpr72_vgpr73
                                        ; implicit-def: $vgpr74_vgpr75
	s_and_saveexec_b64 s[10:11], s[60:61]
	s_xor_b64 s[68:69], exec, s[10:11]
	s_cbranch_execz .LBB162_99
; %bb.98:                               ;   in Loop: Header=BB162_4 Depth=1
	v_and_b32_e32 v19, 0x7fffffff, v17
	v_ldexp_f64 v[76:77], |v[16:17]|, s17
	v_cmp_ge_f64_e64 vcc, |v[16:17]|, s[24:25]
	v_trig_preop_f64 v[72:73], |v[16:17]|, 0
	v_cndmask_b32_e32 v77, v19, v77, vcc
	v_cndmask_b32_e32 v76, v16, v76, vcc
	v_trig_preop_f64 v[74:75], |v[16:17]|, 1
	v_mul_f64 v[80:81], v[72:73], v[76:77]
	v_mul_f64 v[78:79], v[74:75], v[76:77]
	v_fma_f64 v[72:73], v[72:73], v[76:77], -v[80:81]
	v_add_f64 v[82:83], v[78:79], v[72:73]
	v_add_f64 v[84:85], v[80:81], v[82:83]
	v_ldexp_f64 v[86:87], v[84:85], -2
	v_fract_f64_e32 v[98:99], v[86:87]
	v_cmp_neq_f64_e64 vcc, |v[86:87]|, s[26:27]
	v_cndmask_b32_e32 v87, 0, v99, vcc
	v_cndmask_b32_e32 v86, 0, v98, vcc
	v_add_f64 v[98:99], v[82:83], -v[78:79]
	v_add_f64 v[72:73], v[72:73], -v[98:99]
	;; [unrolled: 1-line block ×4, first 2 shown]
	v_fma_f64 v[74:75], v[74:75], v[76:77], -v[78:79]
	v_trig_preop_f64 v[78:79], |v[16:17]|, 2
	v_add_f64 v[72:73], v[72:73], v[98:99]
	v_mul_f64 v[98:99], v[78:79], v[76:77]
	v_add_f64 v[100:101], v[98:99], v[74:75]
	v_add_f64 v[102:103], v[100:101], v[72:73]
	v_add_f64 v[80:81], v[84:85], -v[80:81]
	v_add_f64 v[84:85], v[102:103], -v[100:101]
	;; [unrolled: 1-line block ×5, first 2 shown]
	v_add_f64 v[72:73], v[72:73], v[84:85]
	v_add_f64 v[84:85], v[100:101], -v[98:99]
	v_add_f64 v[74:75], v[74:75], -v[84:85]
	;; [unrolled: 1-line block ×4, first 2 shown]
	v_add_f64 v[74:75], v[74:75], v[84:85]
	v_add_f64 v[80:81], v[82:83], -v[80:81]
	v_add_f64 v[72:73], v[74:75], v[72:73]
	v_fma_f64 v[74:75], v[78:79], v[76:77], -v[98:99]
	v_add_f64 v[82:83], v[80:81], v[102:103]
	v_add_f64 v[72:73], v[74:75], v[72:73]
	v_ldexp_f64 v[74:75], v[86:87], 2
	v_add_f64 v[76:77], v[82:83], v[74:75]
	v_cmp_gt_f64_e32 vcc, 0, v[76:77]
	v_cndmask_b32_e32 v19, 0, v92, vcc
	v_add_f64 v[74:75], v[74:75], v[18:19]
	v_add_f64 v[76:77], v[82:83], v[74:75]
	v_cvt_i32_f64_e32 v19, v[76:77]
	v_cvt_f64_i32_e32 v[76:77], v19
	v_add_f64 v[74:75], v[74:75], -v[76:77]
	v_add_f64 v[80:81], v[82:83], -v[80:81]
	v_add_f64 v[76:77], v[82:83], v[74:75]
	v_add_f64 v[80:81], v[102:103], -v[80:81]
	v_add_f64 v[74:75], v[76:77], -v[74:75]
	v_cmp_le_f64_e32 vcc, 0.5, v[76:77]
	v_add_f64 v[72:73], v[80:81], v[72:73]
	v_add_f64 v[74:75], v[82:83], -v[74:75]
	v_addc_co_u32_e64 v80, s[10:11], 0, v19, vcc
	v_cndmask_b32_e32 v19, 0, v93, vcc
	v_add_f64 v[72:73], v[72:73], v[74:75]
	v_add_f64 v[74:75], v[76:77], -v[18:19]
	v_add_f64 v[76:77], v[74:75], v[72:73]
	v_add_f64 v[74:75], v[76:77], -v[74:75]
	s_mov_b32 s28, s30
	v_add_f64 v[72:73], v[72:73], -v[74:75]
	v_mul_f64 v[74:75], v[76:77], s[28:29]
	v_fma_f64 v[78:79], v[76:77], s[28:29], -v[74:75]
	s_mov_b32 s37, s35
	v_fmac_f64_e32 v[78:79], s[36:37], v[76:77]
	v_fmac_f64_e32 v[78:79], s[28:29], v[72:73]
	v_add_f64 v[72:73], v[74:75], v[78:79]
	v_add_f64 v[74:75], v[72:73], -v[74:75]
	v_add_f64 v[74:75], v[78:79], -v[74:75]
	s_andn2_saveexec_b64 s[10:11], s[68:69]
	s_cbranch_execz .LBB162_101
	s_branch .LBB162_100
.LBB162_99:                             ;   in Loop: Header=BB162_4 Depth=1
	s_andn2_saveexec_b64 s[10:11], s[68:69]
	s_cbranch_execz .LBB162_101
.LBB162_100:                            ;   in Loop: Header=BB162_4 Depth=1
	v_mul_f64 v[72:73], |v[16:17]|, s[38:39]
	v_rndne_f64_e32 v[76:77], v[72:73]
	v_fma_f64 v[72:73], v[76:77], s[30:31], |v[16:17]|
	v_mul_f64 v[78:79], v[76:77], s[40:41]
	v_add_f64 v[82:83], v[72:73], v[78:79]
	v_fma_f64 v[74:75], s[40:41], v[76:77], v[72:73]
	s_mov_b32 s34, s40
	v_add_f64 v[72:73], v[72:73], -v[82:83]
	v_fma_f64 v[80:81], s[34:35], v[76:77], v[78:79]
	v_add_f64 v[72:73], v[72:73], v[78:79]
	v_add_f64 v[78:79], v[82:83], -v[74:75]
	v_add_f64 v[72:73], v[78:79], v[72:73]
	v_add_f64 v[78:79], v[72:73], -v[80:81]
	v_fmac_f64_e32 v[78:79], s[42:43], v[76:77]
	v_add_f64 v[72:73], v[74:75], v[78:79]
	v_add_f64 v[74:75], v[72:73], -v[74:75]
	v_add_f64 v[74:75], v[78:79], -v[74:75]
	v_cvt_i32_f64_e32 v80, v[76:77]
.LBB162_101:                            ;   in Loop: Header=BB162_4 Depth=1
	s_or_b64 exec, exec, s[10:11]
                                        ; implicit-def: $vgpr81
                                        ; implicit-def: $vgpr76_vgpr77
                                        ; implicit-def: $vgpr78_vgpr79
	s_and_saveexec_b64 s[10:11], s[60:61]
	s_xor_b64 s[60:61], exec, s[10:11]
	s_cbranch_execz .LBB162_103
; %bb.102:                              ;   in Loop: Header=BB162_4 Depth=1
	v_and_b32_e32 v19, 0x7fffffff, v17
	v_ldexp_f64 v[82:83], |v[16:17]|, s17
	v_cmp_ge_f64_e64 vcc, |v[16:17]|, s[24:25]
	v_trig_preop_f64 v[76:77], |v[16:17]|, 0
	v_cndmask_b32_e32 v83, v19, v83, vcc
	v_cndmask_b32_e32 v82, v16, v82, vcc
	v_trig_preop_f64 v[78:79], |v[16:17]|, 1
	v_mul_f64 v[86:87], v[76:77], v[82:83]
	v_mul_f64 v[84:85], v[78:79], v[82:83]
	v_fma_f64 v[76:77], v[76:77], v[82:83], -v[86:87]
	v_add_f64 v[98:99], v[84:85], v[76:77]
	v_add_f64 v[100:101], v[86:87], v[98:99]
	v_ldexp_f64 v[102:103], v[100:101], -2
	v_fract_f64_e32 v[104:105], v[102:103]
	v_cmp_neq_f64_e64 vcc, |v[102:103]|, s[26:27]
	v_cndmask_b32_e32 v103, 0, v105, vcc
	v_cndmask_b32_e32 v102, 0, v104, vcc
	v_add_f64 v[104:105], v[98:99], -v[84:85]
	v_add_f64 v[76:77], v[76:77], -v[104:105]
	;; [unrolled: 1-line block ×4, first 2 shown]
	v_fma_f64 v[78:79], v[78:79], v[82:83], -v[84:85]
	v_trig_preop_f64 v[84:85], |v[16:17]|, 2
	v_add_f64 v[76:77], v[76:77], v[104:105]
	v_mul_f64 v[104:105], v[84:85], v[82:83]
	v_add_f64 v[106:107], v[104:105], v[78:79]
	v_add_f64 v[108:109], v[106:107], v[76:77]
	v_add_f64 v[86:87], v[100:101], -v[86:87]
	v_add_f64 v[100:101], v[108:109], -v[106:107]
	;; [unrolled: 1-line block ×5, first 2 shown]
	v_add_f64 v[76:77], v[76:77], v[100:101]
	v_add_f64 v[100:101], v[106:107], -v[104:105]
	v_add_f64 v[78:79], v[78:79], -v[100:101]
	;; [unrolled: 1-line block ×4, first 2 shown]
	v_add_f64 v[78:79], v[78:79], v[100:101]
	v_add_f64 v[86:87], v[98:99], -v[86:87]
	v_add_f64 v[76:77], v[78:79], v[76:77]
	v_fma_f64 v[78:79], v[84:85], v[82:83], -v[104:105]
	v_add_f64 v[98:99], v[86:87], v[108:109]
	v_add_f64 v[76:77], v[78:79], v[76:77]
	v_ldexp_f64 v[78:79], v[102:103], 2
	v_add_f64 v[82:83], v[98:99], v[78:79]
	v_cmp_gt_f64_e32 vcc, 0, v[82:83]
	v_cndmask_b32_e32 v19, 0, v92, vcc
	v_add_f64 v[78:79], v[78:79], v[18:19]
	v_add_f64 v[82:83], v[98:99], v[78:79]
	v_cvt_i32_f64_e32 v19, v[82:83]
	v_cvt_f64_i32_e32 v[82:83], v19
	v_add_f64 v[78:79], v[78:79], -v[82:83]
	v_add_f64 v[86:87], v[98:99], -v[86:87]
	v_add_f64 v[82:83], v[98:99], v[78:79]
	v_add_f64 v[86:87], v[108:109], -v[86:87]
	v_add_f64 v[78:79], v[82:83], -v[78:79]
	v_cmp_le_f64_e32 vcc, 0.5, v[82:83]
	v_add_f64 v[76:77], v[86:87], v[76:77]
	v_add_f64 v[78:79], v[98:99], -v[78:79]
	v_addc_co_u32_e64 v81, s[10:11], 0, v19, vcc
	v_cndmask_b32_e32 v19, 0, v93, vcc
	v_add_f64 v[76:77], v[76:77], v[78:79]
	v_add_f64 v[78:79], v[82:83], -v[18:19]
	v_add_f64 v[82:83], v[78:79], v[76:77]
	v_add_f64 v[78:79], v[82:83], -v[78:79]
	s_mov_b32 s28, s30
	v_add_f64 v[76:77], v[76:77], -v[78:79]
	v_mul_f64 v[78:79], v[82:83], s[28:29]
	v_fma_f64 v[84:85], v[82:83], s[28:29], -v[78:79]
	s_mov_b32 s37, s35
	v_fmac_f64_e32 v[84:85], s[36:37], v[82:83]
	v_fmac_f64_e32 v[84:85], s[28:29], v[76:77]
	v_add_f64 v[76:77], v[78:79], v[84:85]
	v_add_f64 v[78:79], v[76:77], -v[78:79]
	v_add_f64 v[78:79], v[84:85], -v[78:79]
	s_andn2_saveexec_b64 s[10:11], s[60:61]
	s_cbranch_execnz .LBB162_104
	s_branch .LBB162_105
.LBB162_103:                            ;   in Loop: Header=BB162_4 Depth=1
	s_andn2_saveexec_b64 s[10:11], s[60:61]
	s_cbranch_execz .LBB162_105
.LBB162_104:                            ;   in Loop: Header=BB162_4 Depth=1
	v_mul_f64 v[76:77], |v[16:17]|, s[38:39]
	v_rndne_f64_e32 v[82:83], v[76:77]
	v_fma_f64 v[76:77], v[82:83], s[30:31], |v[16:17]|
	v_mul_f64 v[84:85], v[82:83], s[40:41]
	v_add_f64 v[98:99], v[76:77], v[84:85]
	v_fma_f64 v[78:79], s[40:41], v[82:83], v[76:77]
	s_mov_b32 s34, s40
	v_add_f64 v[76:77], v[76:77], -v[98:99]
	v_fma_f64 v[86:87], s[34:35], v[82:83], v[84:85]
	v_add_f64 v[76:77], v[76:77], v[84:85]
	v_add_f64 v[84:85], v[98:99], -v[78:79]
	v_add_f64 v[76:77], v[84:85], v[76:77]
	v_add_f64 v[84:85], v[76:77], -v[86:87]
	v_fmac_f64_e32 v[84:85], s[42:43], v[82:83]
	v_add_f64 v[76:77], v[78:79], v[84:85]
	v_add_f64 v[78:79], v[76:77], -v[78:79]
	v_add_f64 v[78:79], v[84:85], -v[78:79]
	v_cvt_i32_f64_e32 v81, v[82:83]
.LBB162_105:                            ;   in Loop: Header=BB162_4 Depth=1
	s_or_b64 exec, exec, s[10:11]
	v_mul_f64 v[82:83], v[72:73], v[72:73]
	v_pk_mov_b32 v[100:101], s[74:75], s[74:75] op_sel:[0,1]
	v_mul_f64 v[84:85], v[82:83], 0.5
	v_fma_f64 v[102:103], s[76:77], v[82:83], v[100:101]
	v_add_f64 v[86:87], -v[84:85], 1.0
	v_fma_f64 v[102:103], v[82:83], v[102:103], s[78:79]
	v_add_f64 v[98:99], -v[86:87], 1.0
	v_fma_f64 v[102:103], v[82:83], v[102:103], s[80:81]
	v_add_f64 v[84:85], v[98:99], -v[84:85]
	v_fma_f64 v[102:103], v[82:83], v[102:103], s[82:83]
	v_mul_f64 v[98:99], v[82:83], v[82:83]
	v_fma_f64 v[102:103], v[82:83], v[102:103], s[66:67]
	v_fma_f64 v[84:85], v[72:73], -v[74:75], v[84:85]
	v_fmac_f64_e32 v[84:85], v[98:99], v[102:103]
	v_add_f64 v[84:85], v[86:87], v[84:85]
	v_pk_mov_b32 v[86:87], s[84:85], s[84:85] op_sel:[0,1]
	v_fma_f64 v[98:99], s[86:87], v[82:83], v[86:87]
	v_fma_f64 v[98:99], v[82:83], v[98:99], s[88:89]
	;; [unrolled: 1-line block ×4, first 2 shown]
	v_mul_f64 v[102:103], v[72:73], -v[82:83]
	v_mul_f64 v[104:105], v[74:75], 0.5
	v_fmac_f64_e32 v[104:105], v[102:103], v[98:99]
	v_fma_f64 v[74:75], v[82:83], v[104:105], -v[74:75]
	s_mov_b32 s92, s66
	v_fmac_f64_e32 v[74:75], s[92:93], v[102:103]
	v_and_b32_e32 v16, 1, v80
	v_add_f64 v[72:73], v[72:73], -v[74:75]
	v_cmp_eq_u32_e32 vcc, 0, v16
	v_cndmask_b32_e32 v16, v84, v72, vcc
	v_lshlrev_b32_e32 v72, 30, v80
	v_cndmask_b32_e32 v19, v85, v73, vcc
	v_xor_b32_e32 v17, v72, v17
	v_mul_f64 v[72:73], |v[14:15]|, s[54:55]
	v_rndne_f64_e32 v[72:73], v[72:73]
	v_fma_f64 v[74:75], v[72:73], s[46:47], -|v[14:15]|
	v_fmac_f64_e32 v[74:75], s[50:51], v[72:73]
	v_pk_mov_b32 v[82:83], v[54:55], v[54:55] op_sel:[0,1]
	v_fmac_f64_e32 v[82:83], s[62:63], v[74:75]
	v_pk_mov_b32 v[84:85], v[56:57], v[56:57] op_sel:[0,1]
	;; [unrolled: 2-line block ×9, first 2 shown]
	v_fmac_f64_e32 v[82:83], v[74:75], v[84:85]
	v_and_b32_e32 v17, 0x80000000, v17
	v_fma_f64 v[82:83], v[74:75], v[82:83], 1.0
	s_mov_b32 s10, 0
	v_xor_b32_e32 v17, v19, v17
	v_fma_f64 v[74:75], v[74:75], v[82:83], 1.0
	v_cvt_i32_f64_e32 v19, v[72:73]
	s_mov_b32 s11, 0x4090cc00
	v_ldexp_f64 v[72:73], v[74:75], v19
	v_cmp_ngt_f64_e64 vcc, |v[14:15]|, s[10:11]
	v_bfi_b32 v19, s73, v93, v15
	v_mul_f64 v[14:15], v[76:77], v[76:77]
	v_mul_f64 v[74:75], v[14:15], 0.5
	v_fmac_f64_e32 v[100:101], s[76:77], v[14:15]
	v_add_f64 v[82:83], -v[74:75], 1.0
	v_fma_f64 v[98:99], v[14:15], v[100:101], s[78:79]
	v_add_f64 v[84:85], -v[82:83], 1.0
	v_fma_f64 v[98:99], v[14:15], v[98:99], s[80:81]
	v_add_f64 v[74:75], v[84:85], -v[74:75]
	v_fma_f64 v[98:99], v[14:15], v[98:99], s[82:83]
	v_mul_f64 v[84:85], v[14:15], v[14:15]
	v_fma_f64 v[98:99], v[14:15], v[98:99], s[66:67]
	v_fma_f64 v[74:75], v[76:77], -v[78:79], v[74:75]
	v_fmac_f64_e32 v[74:75], v[84:85], v[98:99]
	v_fmac_f64_e32 v[86:87], s[86:87], v[14:15]
	v_add_f64 v[74:75], v[82:83], v[74:75]
	v_fma_f64 v[82:83], v[14:15], v[86:87], s[88:89]
	v_fma_f64 v[82:83], v[14:15], v[82:83], s[90:91]
	;; [unrolled: 1-line block ×3, first 2 shown]
	v_mul_f64 v[84:85], v[76:77], -v[14:15]
	v_mul_f64 v[86:87], v[78:79], 0.5
	v_fmac_f64_e32 v[86:87], v[84:85], v[82:83]
	v_fma_f64 v[14:15], v[14:15], v[86:87], -v[78:79]
	v_fmac_f64_e32 v[14:15], s[92:93], v[84:85]
	v_add_f64 v[14:15], v[76:77], -v[14:15]
	v_and_b32_e32 v76, 1, v81
	v_cndmask_b32_e32 v73, 0, v73, vcc
	v_cndmask_b32_e32 v72, 0, v72, vcc
	v_cmp_eq_u32_e32 vcc, 0, v76
	v_xor_b32_e32 v15, 0x80000000, v15
	v_cndmask_b32_e32 v14, v14, v74, vcc
	v_lshlrev_b32_e32 v74, 30, v81
	v_cndmask_b32_e32 v15, v15, v75, vcc
	v_and_b32_e32 v74, 0x80000000, v74
	v_mul_f64 v[16:17], v[16:17], 4.0
	v_xor_b32_e32 v15, v15, v74
	v_mul_f64 v[14:15], v[16:17], v[14:15]
	v_mul_f64 v[14:15], v[72:73], v[14:15]
	;; [unrolled: 1-line block ×3, first 2 shown]
	v_pk_mov_b32 v[14:15], v[18:19], v[18:19] op_sel:[0,1]
.LBB162_106:                            ;   in Loop: Header=BB162_4 Depth=1
	s_or_b64 exec, exec, s[58:59]
.LBB162_107:                            ;   in Loop: Header=BB162_4 Depth=1
	s_andn2_saveexec_b64 s[10:11], s[44:45]
; %bb.108:                              ;   in Loop: Header=BB162_4 Depth=1
	v_add_f64 v[16:17], v[16:17], -v[16:17]
	v_pk_mov_b32 v[14:15], v[16:17], v[16:17] op_sel:[0,1]
; %bb.109:                              ;   in Loop: Header=BB162_4 Depth=1
	s_or_b64 exec, exec, s[10:11]
.LBB162_110:                            ;   in Loop: Header=BB162_4 Depth=1
	s_andn2_saveexec_b64 s[14:15], s[14:15]
	s_cbranch_execz .LBB162_126
; %bb.111:                              ;   in Loop: Header=BB162_4 Depth=1
	v_and_or_b32 v19, v15, s16, v14
	v_cmp_ne_u32_e32 vcc, 0, v19
	s_and_saveexec_b64 s[10:11], vcc
	s_xor_b64 s[10:11], exec, s[10:11]
; %bb.112:                              ;   in Loop: Header=BB162_4 Depth=1
	v_mul_f64 v[72:73], v[16:17], v[14:15]
	v_cmp_eq_f64_e32 vcc, 0, v[16:17]
	v_cndmask_b32_e32 v17, v73, v17, vcc
	v_cndmask_b32_e32 v16, v72, v16, vcc
; %bb.113:                              ;   in Loop: Header=BB162_4 Depth=1
	s_andn2_saveexec_b64 s[44:45], s[10:11]
	s_cbranch_execz .LBB162_125
; %bb.114:                              ;   in Loop: Header=BB162_4 Depth=1
	v_cmp_neq_f64_e64 s[10:11], |v[16:17]|, s[26:27]
	s_and_saveexec_b64 s[58:59], s[10:11]
	s_cbranch_execz .LBB162_124
; %bb.115:                              ;   in Loop: Header=BB162_4 Depth=1
	v_cmp_nlt_f64_e64 s[60:61], |v[16:17]|, s[22:23]
	v_trig_preop_f64 v[80:81], |v[16:17]|, 0
	v_trig_preop_f64 v[78:79], |v[16:17]|, 1
	v_ldexp_f64 v[82:83], |v[16:17]|, s17
	v_trig_preop_f64 v[76:77], |v[16:17]|, 2
	v_and_b32_e32 v98, 0x7fffffff, v17
                                        ; implicit-def: $vgpr97
                                        ; implicit-def: $vgpr72_vgpr73
                                        ; implicit-def: $vgpr74_vgpr75
	s_and_saveexec_b64 s[10:11], s[60:61]
	s_xor_b64 s[68:69], exec, s[10:11]
	s_cbranch_execz .LBB162_117
; %bb.116:                              ;   in Loop: Header=BB162_4 Depth=1
	v_cmp_ge_f64_e64 vcc, |v[16:17]|, s[24:25]
	v_cndmask_b32_e32 v73, v98, v83, vcc
	v_cndmask_b32_e32 v72, v16, v82, vcc
	v_mul_f64 v[84:85], v[80:81], v[72:73]
	v_mul_f64 v[74:75], v[78:79], v[72:73]
	v_fma_f64 v[86:87], v[80:81], v[72:73], -v[84:85]
	v_add_f64 v[100:101], v[74:75], v[86:87]
	v_add_f64 v[102:103], v[84:85], v[100:101]
	v_ldexp_f64 v[104:105], v[102:103], -2
	v_fract_f64_e32 v[106:107], v[104:105]
	v_cmp_neq_f64_e64 vcc, |v[104:105]|, s[26:27]
	v_cndmask_b32_e32 v105, 0, v107, vcc
	v_cndmask_b32_e32 v104, 0, v106, vcc
	v_add_f64 v[106:107], v[100:101], -v[74:75]
	v_add_f64 v[86:87], v[86:87], -v[106:107]
	;; [unrolled: 1-line block ×4, first 2 shown]
	v_add_f64 v[86:87], v[86:87], v[106:107]
	v_fma_f64 v[74:75], v[78:79], v[72:73], -v[74:75]
	v_mul_f64 v[106:107], v[76:77], v[72:73]
	v_add_f64 v[108:109], v[106:107], v[74:75]
	v_add_f64 v[110:111], v[108:109], v[86:87]
	v_add_f64 v[84:85], v[102:103], -v[84:85]
	v_add_f64 v[102:103], v[110:111], -v[108:109]
	v_add_f64 v[86:87], v[86:87], -v[102:103]
	v_add_f64 v[102:103], v[110:111], -v[102:103]
	v_add_f64 v[102:103], v[108:109], -v[102:103]
	v_add_f64 v[86:87], v[86:87], v[102:103]
	v_add_f64 v[102:103], v[108:109], -v[106:107]
	v_add_f64 v[74:75], v[74:75], -v[102:103]
	;; [unrolled: 1-line block ×5, first 2 shown]
	v_add_f64 v[100:101], v[84:85], v[110:111]
	v_add_f64 v[74:75], v[74:75], v[102:103]
	v_add_f64 v[84:85], v[100:101], -v[84:85]
	v_add_f64 v[74:75], v[74:75], v[86:87]
	v_fma_f64 v[72:73], v[76:77], v[72:73], -v[106:107]
	v_add_f64 v[84:85], v[110:111], -v[84:85]
	v_add_f64 v[72:73], v[72:73], v[74:75]
	v_ldexp_f64 v[74:75], v[104:105], 2
	v_add_f64 v[72:73], v[84:85], v[72:73]
	v_add_f64 v[84:85], v[100:101], v[74:75]
	v_cmp_gt_f64_e32 vcc, 0, v[84:85]
	v_cndmask_b32_e32 v19, 0, v92, vcc
	v_add_f64 v[74:75], v[74:75], v[18:19]
	v_add_f64 v[84:85], v[100:101], v[74:75]
	v_cvt_i32_f64_e32 v19, v[84:85]
	v_cvt_f64_i32_e32 v[84:85], v19
	v_add_f64 v[74:75], v[74:75], -v[84:85]
	v_add_f64 v[84:85], v[100:101], v[74:75]
	v_add_f64 v[74:75], v[84:85], -v[74:75]
	v_cmp_le_f64_e32 vcc, 0.5, v[84:85]
	v_add_f64 v[74:75], v[100:101], -v[74:75]
	v_addc_co_u32_e64 v97, s[10:11], 0, v19, vcc
	v_cndmask_b32_e32 v19, 0, v93, vcc
	v_add_f64 v[72:73], v[72:73], v[74:75]
	v_add_f64 v[74:75], v[84:85], -v[18:19]
	v_add_f64 v[84:85], v[74:75], v[72:73]
	v_add_f64 v[74:75], v[84:85], -v[74:75]
	s_mov_b32 s28, s30
	v_add_f64 v[72:73], v[72:73], -v[74:75]
	v_mul_f64 v[74:75], v[84:85], s[28:29]
	v_fma_f64 v[86:87], v[84:85], s[28:29], -v[74:75]
	s_mov_b32 s37, s35
	v_fmac_f64_e32 v[86:87], s[36:37], v[84:85]
	v_fmac_f64_e32 v[86:87], s[28:29], v[72:73]
	v_add_f64 v[72:73], v[74:75], v[86:87]
	v_add_f64 v[74:75], v[72:73], -v[74:75]
	v_add_f64 v[74:75], v[86:87], -v[74:75]
	s_andn2_saveexec_b64 s[10:11], s[68:69]
	s_cbranch_execz .LBB162_119
	s_branch .LBB162_118
.LBB162_117:                            ;   in Loop: Header=BB162_4 Depth=1
	s_andn2_saveexec_b64 s[10:11], s[68:69]
	s_cbranch_execz .LBB162_119
.LBB162_118:                            ;   in Loop: Header=BB162_4 Depth=1
	v_mul_f64 v[72:73], |v[16:17]|, s[38:39]
	v_rndne_f64_e32 v[84:85], v[72:73]
	v_fma_f64 v[72:73], v[84:85], s[30:31], |v[16:17]|
	v_mul_f64 v[86:87], v[84:85], s[40:41]
	v_add_f64 v[102:103], v[72:73], v[86:87]
	v_fma_f64 v[74:75], s[40:41], v[84:85], v[72:73]
	s_mov_b32 s34, s40
	v_add_f64 v[72:73], v[72:73], -v[102:103]
	v_fma_f64 v[100:101], s[34:35], v[84:85], v[86:87]
	v_add_f64 v[72:73], v[72:73], v[86:87]
	v_add_f64 v[86:87], v[102:103], -v[74:75]
	v_add_f64 v[72:73], v[86:87], v[72:73]
	v_add_f64 v[86:87], v[72:73], -v[100:101]
	v_fmac_f64_e32 v[86:87], s[42:43], v[84:85]
	v_add_f64 v[72:73], v[74:75], v[86:87]
	v_add_f64 v[74:75], v[72:73], -v[74:75]
	v_add_f64 v[74:75], v[86:87], -v[74:75]
	v_cvt_i32_f64_e32 v97, v[84:85]
.LBB162_119:                            ;   in Loop: Header=BB162_4 Depth=1
	s_or_b64 exec, exec, s[10:11]
                                        ; implicit-def: $vgpr99
                                        ; implicit-def: $vgpr84_vgpr85
                                        ; implicit-def: $vgpr86_vgpr87
	s_and_saveexec_b64 s[10:11], s[60:61]
	s_xor_b64 s[60:61], exec, s[10:11]
	s_cbranch_execz .LBB162_121
; %bb.120:                              ;   in Loop: Header=BB162_4 Depth=1
	v_cmp_ge_f64_e64 vcc, |v[16:17]|, s[24:25]
	v_cndmask_b32_e32 v83, v98, v83, vcc
	v_cndmask_b32_e32 v82, v16, v82, vcc
	v_mul_f64 v[86:87], v[80:81], v[82:83]
	v_mul_f64 v[84:85], v[78:79], v[82:83]
	v_fma_f64 v[80:81], v[80:81], v[82:83], -v[86:87]
	v_add_f64 v[98:99], v[84:85], v[80:81]
	v_add_f64 v[100:101], v[86:87], v[98:99]
	v_ldexp_f64 v[102:103], v[100:101], -2
	v_fract_f64_e32 v[104:105], v[102:103]
	v_cmp_neq_f64_e64 vcc, |v[102:103]|, s[26:27]
	v_cndmask_b32_e32 v103, 0, v105, vcc
	v_cndmask_b32_e32 v102, 0, v104, vcc
	v_add_f64 v[104:105], v[98:99], -v[84:85]
	v_add_f64 v[80:81], v[80:81], -v[104:105]
	;; [unrolled: 1-line block ×4, first 2 shown]
	v_fma_f64 v[78:79], v[78:79], v[82:83], -v[84:85]
	v_mul_f64 v[84:85], v[76:77], v[82:83]
	v_add_f64 v[80:81], v[80:81], v[104:105]
	v_add_f64 v[104:105], v[84:85], v[78:79]
	;; [unrolled: 1-line block ×3, first 2 shown]
	v_add_f64 v[86:87], v[100:101], -v[86:87]
	v_add_f64 v[100:101], v[106:107], -v[104:105]
	;; [unrolled: 1-line block ×5, first 2 shown]
	v_add_f64 v[80:81], v[80:81], v[100:101]
	v_add_f64 v[100:101], v[104:105], -v[84:85]
	v_add_f64 v[78:79], v[78:79], -v[100:101]
	;; [unrolled: 1-line block ×4, first 2 shown]
	v_add_f64 v[78:79], v[78:79], v[100:101]
	v_add_f64 v[86:87], v[98:99], -v[86:87]
	v_add_f64 v[78:79], v[78:79], v[80:81]
	v_fma_f64 v[76:77], v[76:77], v[82:83], -v[84:85]
	v_add_f64 v[98:99], v[86:87], v[106:107]
	v_add_f64 v[76:77], v[76:77], v[78:79]
	v_ldexp_f64 v[78:79], v[102:103], 2
	v_add_f64 v[80:81], v[98:99], v[78:79]
	v_cmp_gt_f64_e32 vcc, 0, v[80:81]
	v_cndmask_b32_e32 v19, 0, v92, vcc
	v_add_f64 v[78:79], v[78:79], v[18:19]
	v_add_f64 v[80:81], v[98:99], v[78:79]
	v_cvt_i32_f64_e32 v19, v[80:81]
	v_cvt_f64_i32_e32 v[80:81], v19
	v_add_f64 v[78:79], v[78:79], -v[80:81]
	v_add_f64 v[86:87], v[98:99], -v[86:87]
	v_add_f64 v[80:81], v[98:99], v[78:79]
	v_add_f64 v[86:87], v[106:107], -v[86:87]
	v_add_f64 v[78:79], v[80:81], -v[78:79]
	v_cmp_le_f64_e32 vcc, 0.5, v[80:81]
	v_add_f64 v[76:77], v[86:87], v[76:77]
	v_add_f64 v[78:79], v[98:99], -v[78:79]
	v_addc_co_u32_e64 v99, s[10:11], 0, v19, vcc
	v_cndmask_b32_e32 v19, 0, v93, vcc
	v_add_f64 v[76:77], v[76:77], v[78:79]
	v_add_f64 v[78:79], v[80:81], -v[18:19]
	v_add_f64 v[80:81], v[78:79], v[76:77]
	v_add_f64 v[78:79], v[80:81], -v[78:79]
	s_mov_b32 s28, s30
	v_add_f64 v[76:77], v[76:77], -v[78:79]
	v_mul_f64 v[78:79], v[80:81], s[28:29]
	v_fma_f64 v[82:83], v[80:81], s[28:29], -v[78:79]
	s_mov_b32 s37, s35
	v_fmac_f64_e32 v[82:83], s[36:37], v[80:81]
	v_fmac_f64_e32 v[82:83], s[28:29], v[76:77]
	v_add_f64 v[84:85], v[78:79], v[82:83]
	v_add_f64 v[76:77], v[84:85], -v[78:79]
	v_add_f64 v[86:87], v[82:83], -v[76:77]
	s_andn2_saveexec_b64 s[10:11], s[60:61]
	s_cbranch_execnz .LBB162_122
	s_branch .LBB162_123
.LBB162_121:                            ;   in Loop: Header=BB162_4 Depth=1
	s_andn2_saveexec_b64 s[10:11], s[60:61]
	s_cbranch_execz .LBB162_123
.LBB162_122:                            ;   in Loop: Header=BB162_4 Depth=1
	v_mul_f64 v[76:77], |v[16:17]|, s[38:39]
	v_rndne_f64_e32 v[76:77], v[76:77]
	v_fma_f64 v[78:79], v[76:77], s[30:31], |v[16:17]|
	v_mul_f64 v[82:83], v[76:77], s[40:41]
	v_add_f64 v[86:87], v[78:79], v[82:83]
	v_fma_f64 v[80:81], s[40:41], v[76:77], v[78:79]
	s_mov_b32 s34, s40
	v_add_f64 v[78:79], v[78:79], -v[86:87]
	v_fma_f64 v[84:85], s[34:35], v[76:77], v[82:83]
	v_add_f64 v[78:79], v[78:79], v[82:83]
	v_add_f64 v[82:83], v[86:87], -v[80:81]
	v_add_f64 v[78:79], v[82:83], v[78:79]
	v_add_f64 v[78:79], v[78:79], -v[84:85]
	v_fmac_f64_e32 v[78:79], s[42:43], v[76:77]
	v_add_f64 v[84:85], v[80:81], v[78:79]
	v_add_f64 v[80:81], v[84:85], -v[80:81]
	v_add_f64 v[86:87], v[78:79], -v[80:81]
	v_cvt_i32_f64_e32 v99, v[76:77]
.LBB162_123:                            ;   in Loop: Header=BB162_4 Depth=1
	s_or_b64 exec, exec, s[10:11]
	v_mul_f64 v[76:77], v[72:73], v[72:73]
	v_pk_mov_b32 v[100:101], s[74:75], s[74:75] op_sel:[0,1]
	v_mul_f64 v[78:79], v[76:77], 0.5
	v_fma_f64 v[102:103], s[76:77], v[76:77], v[100:101]
	v_add_f64 v[80:81], -v[78:79], 1.0
	v_fma_f64 v[102:103], v[76:77], v[102:103], s[78:79]
	v_add_f64 v[82:83], -v[80:81], 1.0
	v_fma_f64 v[102:103], v[76:77], v[102:103], s[80:81]
	v_add_f64 v[78:79], v[82:83], -v[78:79]
	v_fma_f64 v[102:103], v[76:77], v[102:103], s[82:83]
	v_mul_f64 v[82:83], v[76:77], v[76:77]
	v_fma_f64 v[102:103], v[76:77], v[102:103], s[66:67]
	v_fma_f64 v[78:79], v[72:73], -v[74:75], v[78:79]
	v_fmac_f64_e32 v[78:79], v[82:83], v[102:103]
	v_add_f64 v[78:79], v[80:81], v[78:79]
	v_pk_mov_b32 v[80:81], s[84:85], s[84:85] op_sel:[0,1]
	v_fma_f64 v[82:83], s[86:87], v[76:77], v[80:81]
	v_fma_f64 v[82:83], v[76:77], v[82:83], s[88:89]
	;; [unrolled: 1-line block ×4, first 2 shown]
	v_mul_f64 v[102:103], v[72:73], -v[76:77]
	v_mul_f64 v[104:105], v[74:75], 0.5
	v_fmac_f64_e32 v[104:105], v[102:103], v[82:83]
	v_fma_f64 v[74:75], v[76:77], v[104:105], -v[74:75]
	s_mov_b32 s92, s66
	v_fmac_f64_e32 v[74:75], s[92:93], v[102:103]
	v_and_b32_e32 v19, 1, v97
	v_add_f64 v[72:73], v[72:73], -v[74:75]
	v_cmp_eq_u32_e32 vcc, 0, v19
	v_cndmask_b32_e32 v19, v78, v72, vcc
	v_cndmask_b32_e32 v72, v79, v73, vcc
	v_lshlrev_b32_e32 v73, 30, v97
	v_xor_b32_e32 v73, v73, v17
	v_and_b32_e32 v73, 0x80000000, v73
	v_xor_b32_e32 v72, v72, v73
	v_cmp_class_f64_e64 vcc, v[16:17], s95
	v_cndmask_b32_e32 v17, v96, v72, vcc
	v_mul_f64 v[72:73], v[84:85], v[84:85]
	v_mul_f64 v[74:75], v[72:73], 0.5
	v_fmac_f64_e32 v[100:101], s[76:77], v[72:73]
	v_add_f64 v[76:77], -v[74:75], 1.0
	v_fma_f64 v[82:83], v[72:73], v[100:101], s[78:79]
	v_add_f64 v[78:79], -v[76:77], 1.0
	v_fma_f64 v[82:83], v[72:73], v[82:83], s[80:81]
	v_add_f64 v[74:75], v[78:79], -v[74:75]
	v_fma_f64 v[82:83], v[72:73], v[82:83], s[82:83]
	v_mul_f64 v[78:79], v[72:73], v[72:73]
	v_fma_f64 v[82:83], v[72:73], v[82:83], s[66:67]
	v_fma_f64 v[74:75], v[84:85], -v[86:87], v[74:75]
	v_fmac_f64_e32 v[74:75], v[78:79], v[82:83]
	v_fmac_f64_e32 v[80:81], s[86:87], v[72:73]
	v_add_f64 v[74:75], v[76:77], v[74:75]
	v_fma_f64 v[76:77], v[72:73], v[80:81], s[88:89]
	v_fma_f64 v[76:77], v[72:73], v[76:77], s[90:91]
	;; [unrolled: 1-line block ×3, first 2 shown]
	v_mul_f64 v[78:79], v[84:85], -v[72:73]
	v_mul_f64 v[80:81], v[86:87], 0.5
	v_fmac_f64_e32 v[80:81], v[78:79], v[76:77]
	v_fma_f64 v[72:73], v[72:73], v[80:81], -v[86:87]
	v_fmac_f64_e32 v[72:73], s[92:93], v[78:79]
	v_add_f64 v[72:73], v[84:85], -v[72:73]
	v_cndmask_b32_e32 v16, 0, v19, vcc
	v_xor_b32_e32 v19, 0x80000000, v73
	v_and_b32_e32 v73, 1, v99
	v_cmp_eq_u32_e64 s[10:11], 0, v73
	v_lshlrev_b32_e32 v73, 30, v99
	v_cndmask_b32_e64 v19, v19, v75, s[10:11]
	v_and_b32_e32 v73, 0x80000000, v73
	v_cndmask_b32_e64 v72, v72, v74, s[10:11]
	v_xor_b32_e32 v19, v19, v73
	v_cndmask_b32_e32 v72, 0, v72, vcc
	v_cndmask_b32_e32 v73, v96, v19, vcc
	v_mul_f64 v[16:17], v[16:17], v[72:73]
.LBB162_124:                            ;   in Loop: Header=BB162_4 Depth=1
	s_or_b64 exec, exec, s[58:59]
	v_add_co_u32_e32 v14, vcc, 0, v14
	v_bfi_b32 v19, s73, 0, v17
	v_addc_co_u32_e32 v15, vcc, -2.0, v15, vcc
	v_pk_mov_b32 v[16:17], v[18:19], v[18:19] op_sel:[0,1]
.LBB162_125:                            ;   in Loop: Header=BB162_4 Depth=1
	s_or_b64 exec, exec, s[44:45]
.LBB162_126:                            ;   in Loop: Header=BB162_4 Depth=1
	s_or_b64 exec, exec, s[14:15]
	v_and_b32_e32 v76, 0x7fffffff, v11
	v_cmp_gt_u32_e32 vcc, s94, v76
	s_and_saveexec_b64 s[10:11], vcc
	s_xor_b64 s[14:15], exec, s[10:11]
	s_cbranch_execz .LBB162_137
; %bb.127:                              ;   in Loop: Header=BB162_4 Depth=1
	v_cmp_class_f64_e64 s[10:11], v[12:13], s95
	s_and_saveexec_b64 s[44:45], s[10:11]
	s_xor_b64 s[44:45], exec, s[44:45]
	s_cbranch_execz .LBB162_156
; %bb.128:                              ;   in Loop: Header=BB162_4 Depth=1
	s_mov_b32 s10, 0x40360000
	v_cmp_gt_u32_e32 vcc, s10, v76
	s_and_saveexec_b64 s[10:11], vcc
	s_xor_b64 s[58:59], exec, s[10:11]
	s_cbranch_execz .LBB162_134
; %bb.129:                              ;   in Loop: Header=BB162_4 Depth=1
	v_cmp_nlt_f64_e64 s[10:11], |v[12:13]|, s[22:23]
                                        ; implicit-def: $vgpr77
                                        ; implicit-def: $vgpr72_vgpr73
                                        ; implicit-def: $vgpr74_vgpr75
	s_and_saveexec_b64 s[60:61], s[10:11]
	s_xor_b64 s[60:61], exec, s[60:61]
	s_cbranch_execz .LBB162_131
; %bb.130:                              ;   in Loop: Header=BB162_4 Depth=1
	v_and_b32_e32 v19, 0x7fffffff, v13
	v_ldexp_f64 v[78:79], |v[12:13]|, s17
	v_cmp_ge_f64_e64 vcc, |v[12:13]|, s[24:25]
	v_trig_preop_f64 v[72:73], |v[12:13]|, 0
	v_cndmask_b32_e32 v79, v19, v79, vcc
	v_cndmask_b32_e32 v78, v12, v78, vcc
	v_trig_preop_f64 v[74:75], |v[12:13]|, 1
	v_mul_f64 v[82:83], v[72:73], v[78:79]
	v_mul_f64 v[80:81], v[74:75], v[78:79]
	v_fma_f64 v[72:73], v[72:73], v[78:79], -v[82:83]
	v_add_f64 v[84:85], v[80:81], v[72:73]
	v_add_f64 v[86:87], v[82:83], v[84:85]
	v_ldexp_f64 v[98:99], v[86:87], -2
	v_fract_f64_e32 v[100:101], v[98:99]
	v_cmp_neq_f64_e64 vcc, |v[98:99]|, s[26:27]
	v_cndmask_b32_e32 v99, 0, v101, vcc
	v_cndmask_b32_e32 v98, 0, v100, vcc
	v_add_f64 v[100:101], v[84:85], -v[80:81]
	v_add_f64 v[72:73], v[72:73], -v[100:101]
	;; [unrolled: 1-line block ×4, first 2 shown]
	v_fma_f64 v[74:75], v[74:75], v[78:79], -v[80:81]
	v_trig_preop_f64 v[80:81], |v[12:13]|, 2
	v_add_f64 v[72:73], v[72:73], v[100:101]
	v_mul_f64 v[100:101], v[80:81], v[78:79]
	v_add_f64 v[102:103], v[100:101], v[74:75]
	v_add_f64 v[104:105], v[102:103], v[72:73]
	v_add_f64 v[82:83], v[86:87], -v[82:83]
	v_add_f64 v[86:87], v[104:105], -v[102:103]
	;; [unrolled: 1-line block ×5, first 2 shown]
	v_add_f64 v[72:73], v[72:73], v[86:87]
	v_add_f64 v[86:87], v[102:103], -v[100:101]
	v_add_f64 v[74:75], v[74:75], -v[86:87]
	;; [unrolled: 1-line block ×4, first 2 shown]
	v_add_f64 v[74:75], v[74:75], v[86:87]
	v_add_f64 v[82:83], v[84:85], -v[82:83]
	v_add_f64 v[72:73], v[74:75], v[72:73]
	v_fma_f64 v[74:75], v[80:81], v[78:79], -v[100:101]
	v_add_f64 v[84:85], v[82:83], v[104:105]
	v_add_f64 v[72:73], v[74:75], v[72:73]
	v_ldexp_f64 v[74:75], v[98:99], 2
	v_add_f64 v[78:79], v[84:85], v[74:75]
	v_cmp_gt_f64_e32 vcc, 0, v[78:79]
	v_cndmask_b32_e32 v19, 0, v92, vcc
	v_add_f64 v[74:75], v[74:75], v[18:19]
	v_add_f64 v[78:79], v[84:85], v[74:75]
	v_cvt_i32_f64_e32 v19, v[78:79]
	v_cvt_f64_i32_e32 v[78:79], v19
	v_add_f64 v[74:75], v[74:75], -v[78:79]
	v_add_f64 v[82:83], v[84:85], -v[82:83]
	v_add_f64 v[78:79], v[84:85], v[74:75]
	v_add_f64 v[82:83], v[104:105], -v[82:83]
	v_add_f64 v[74:75], v[78:79], -v[74:75]
	v_cmp_le_f64_e32 vcc, 0.5, v[78:79]
	v_add_f64 v[72:73], v[82:83], v[72:73]
	v_add_f64 v[74:75], v[84:85], -v[74:75]
	v_addc_co_u32_e64 v77, s[10:11], 0, v19, vcc
	v_cndmask_b32_e32 v19, 0, v93, vcc
	v_add_f64 v[72:73], v[72:73], v[74:75]
	v_add_f64 v[74:75], v[78:79], -v[18:19]
	v_add_f64 v[78:79], v[74:75], v[72:73]
	v_add_f64 v[74:75], v[78:79], -v[74:75]
	s_mov_b32 s28, s30
	v_add_f64 v[72:73], v[72:73], -v[74:75]
	v_mul_f64 v[74:75], v[78:79], s[28:29]
	v_fma_f64 v[80:81], v[78:79], s[28:29], -v[74:75]
	s_mov_b32 s37, s35
	v_fmac_f64_e32 v[80:81], s[36:37], v[78:79]
	v_fmac_f64_e32 v[80:81], s[28:29], v[72:73]
	v_add_f64 v[72:73], v[74:75], v[80:81]
	v_add_f64 v[74:75], v[72:73], -v[74:75]
	v_add_f64 v[74:75], v[80:81], -v[74:75]
.LBB162_131:                            ;   in Loop: Header=BB162_4 Depth=1
	s_andn2_saveexec_b64 s[10:11], s[60:61]
	s_cbranch_execz .LBB162_133
; %bb.132:                              ;   in Loop: Header=BB162_4 Depth=1
	v_mul_f64 v[72:73], |v[12:13]|, s[38:39]
	v_rndne_f64_e32 v[78:79], v[72:73]
	v_fma_f64 v[72:73], v[78:79], s[30:31], |v[12:13]|
	v_mul_f64 v[80:81], v[78:79], s[40:41]
	v_add_f64 v[84:85], v[72:73], v[80:81]
	v_fma_f64 v[74:75], s[40:41], v[78:79], v[72:73]
	s_mov_b32 s34, s40
	v_add_f64 v[72:73], v[72:73], -v[84:85]
	v_fma_f64 v[82:83], s[34:35], v[78:79], v[80:81]
	v_add_f64 v[72:73], v[72:73], v[80:81]
	v_add_f64 v[80:81], v[84:85], -v[74:75]
	v_add_f64 v[72:73], v[80:81], v[72:73]
	v_add_f64 v[80:81], v[72:73], -v[82:83]
	v_fmac_f64_e32 v[80:81], s[42:43], v[78:79]
	v_add_f64 v[72:73], v[74:75], v[80:81]
	v_add_f64 v[74:75], v[72:73], -v[74:75]
	v_add_f64 v[74:75], v[80:81], -v[74:75]
	v_cvt_i32_f64_e32 v77, v[78:79]
.LBB162_133:                            ;   in Loop: Header=BB162_4 Depth=1
	s_or_b64 exec, exec, s[10:11]
	v_mul_f64 v[78:79], v[72:73], v[72:73]
	v_fma_f64 v[80:81], v[72:73], v[72:73], -v[78:79]
	v_add_f64 v[82:83], v[74:75], v[74:75]
	v_fmac_f64_e32 v[80:81], v[72:73], v[82:83]
	s_mov_b32 s10, 0xc751c08c
	v_add_f64 v[78:79], v[78:79], v[80:81]
	v_pk_mov_b32 v[80:81], v[28:29], v[28:29] op_sel:[0,1]
	s_mov_b32 s11, 0x3ef5e089
	v_fmac_f64_e32 v[80:81], s[10:11], v[78:79]
	v_pk_mov_b32 v[82:83], v[30:31], v[30:31] op_sel:[0,1]
	v_fmac_f64_e32 v[82:83], v[78:79], v[80:81]
	v_pk_mov_b32 v[80:81], v[32:33], v[32:33] op_sel:[0,1]
	;; [unrolled: 2-line block ×12, first 2 shown]
	v_fmac_f64_e32 v[80:81], v[78:79], v[82:83]
	v_mul_f64 v[78:79], v[78:79], v[80:81]
	v_mul_f64 v[80:81], v[72:73], v[78:79]
	v_add_f64 v[82:83], v[72:73], v[80:81]
	v_fma_f64 v[78:79], v[72:73], v[78:79], -v[80:81]
	v_add_f64 v[72:73], v[82:83], -v[72:73]
	v_add_f64 v[72:73], v[80:81], -v[72:73]
	v_add_f64 v[74:75], v[74:75], v[78:79]
	v_add_f64 v[72:73], v[74:75], v[72:73]
	;; [unrolled: 1-line block ×3, first 2 shown]
	v_rcp_f64_e32 v[78:79], v[74:75]
	v_add_f64 v[80:81], v[74:75], -v[82:83]
	v_add_f64 v[72:73], v[72:73], -v[80:81]
	v_and_b32_e32 v12, 1, v77
	v_fma_f64 v[80:81], -v[74:75], v[78:79], 1.0
	v_fmac_f64_e32 v[78:79], v[80:81], v[78:79]
	v_fma_f64 v[80:81], -v[74:75], v[78:79], 1.0
	v_fmac_f64_e32 v[78:79], v[80:81], v[78:79]
	v_mul_f64 v[80:81], v[74:75], v[78:79]
	v_fma_f64 v[82:83], v[78:79], v[74:75], -v[80:81]
	v_fmac_f64_e32 v[82:83], v[78:79], v[72:73]
	v_add_f64 v[72:73], v[80:81], v[82:83]
	v_add_f64 v[84:85], -v[72:73], 1.0
	v_add_f64 v[80:81], v[72:73], -v[80:81]
	v_add_f64 v[86:87], -v[84:85], 1.0
	v_add_f64 v[72:73], v[86:87], -v[72:73]
	v_add_f64 v[80:81], v[80:81], -v[82:83]
	v_add_f64 v[72:73], v[80:81], v[72:73]
	v_add_f64 v[72:73], v[84:85], v[72:73]
	v_mul_f64 v[72:73], v[78:79], v[72:73]
	v_add_f64 v[72:73], v[78:79], v[72:73]
	v_cmp_eq_u32_e32 vcc, 0, v12
	v_xor_b32_e32 v19, 0x80000000, v73
	v_cndmask_b32_e32 v12, v72, v74, vcc
	v_add_f64 v[72:73], |v[10:11]|, s[46:47]
	v_cndmask_b32_e32 v19, v19, v75, vcc
	v_add_f64 v[74:75], v[72:73], -|v[10:11]|
	v_add_f64 v[78:79], v[74:75], -v[72:73]
	s_mov_b32 s48, s46
	v_add_f64 v[78:79], |v[10:11]|, v[78:79]
	v_add_f64 v[74:75], v[74:75], s[48:49]
	v_add_f64 v[74:75], v[78:79], -v[74:75]
	v_add_f64 v[74:75], v[74:75], s[50:51]
	v_add_f64 v[78:79], v[72:73], v[74:75]
	v_add_f64 v[72:73], v[72:73], -v[78:79]
	s_mov_b32 s52, s54
	v_add_f64 v[72:73], v[74:75], v[72:73]
	v_mul_f64 v[74:75], v[78:79], s[52:53]
	v_rndne_f64_e32 v[74:75], v[74:75]
	s_mov_b32 s57, s47
	v_fmac_f64_e32 v[78:79], s[56:57], v[74:75]
	v_add_f64 v[80:81], v[72:73], v[78:79]
	s_mov_b32 s10, 0xf278e000
	v_add_f64 v[78:79], v[78:79], -v[80:81]
	s_mov_b32 s11, 0xbd53de6a
	v_add_f64 v[72:73], v[72:73], v[78:79]
	v_mul_f64 v[78:79], v[74:75], s[10:11]
	v_add_f64 v[82:83], v[80:81], v[78:79]
	v_add_f64 v[80:81], v[80:81], -v[82:83]
	v_add_f64 v[78:79], v[80:81], v[78:79]
	v_add_f64 v[72:73], v[72:73], v[78:79]
	v_add_f64 v[78:79], v[82:83], v[72:73]
	s_mov_b32 s10, 0xf97b57a0
	v_add_f64 v[80:81], v[82:83], -v[78:79]
	s_mov_b32 s11, 0xbac9cc01
	v_add_f64 v[72:73], v[72:73], v[80:81]
	v_mul_f64 v[80:81], v[74:75], s[10:11]
	v_add_f64 v[82:83], v[78:79], v[80:81]
	v_add_f64 v[78:79], v[78:79], -v[82:83]
	v_add_f64 v[78:79], v[78:79], v[80:81]
	v_add_f64 v[72:73], v[72:73], v[78:79]
	;; [unrolled: 1-line block ×3, first 2 shown]
	v_add_f64 v[80:81], v[82:83], -v[78:79]
	v_add_f64 v[72:73], v[72:73], v[80:81]
	v_pk_mov_b32 v[80:81], v[54:55], v[54:55] op_sel:[0,1]
	v_fmac_f64_e32 v[80:81], s[62:63], v[78:79]
	v_pk_mov_b32 v[82:83], v[56:57], v[56:57] op_sel:[0,1]
	v_fmac_f64_e32 v[82:83], v[78:79], v[80:81]
	;; [unrolled: 2-line block ×9, first 2 shown]
	v_mul_f64 v[82:83], v[78:79], v[78:79]
	v_fma_f64 v[84:85], v[78:79], v[78:79], -v[82:83]
	v_add_f64 v[86:87], v[72:73], v[72:73]
	v_fmac_f64_e32 v[84:85], v[78:79], v[86:87]
	v_add_f64 v[86:87], v[82:83], v[84:85]
	v_add_f64 v[82:83], v[86:87], -v[82:83]
	v_add_f64 v[82:83], v[84:85], -v[82:83]
	v_mul_f64 v[84:85], v[86:87], v[80:81]
	v_fma_f64 v[86:87], v[86:87], v[80:81], -v[84:85]
	v_fmac_f64_e32 v[86:87], v[82:83], v[80:81]
	v_add_f64 v[80:81], v[84:85], v[86:87]
	v_add_f64 v[82:83], v[80:81], -v[84:85]
	v_add_f64 v[84:85], v[78:79], v[80:81]
	v_add_f64 v[82:83], v[86:87], -v[82:83]
	v_add_f64 v[78:79], v[84:85], -v[78:79]
	;; [unrolled: 1-line block ×3, first 2 shown]
	v_add_f64 v[72:73], v[72:73], v[82:83]
	v_add_f64 v[72:73], v[72:73], v[78:79]
	;; [unrolled: 1-line block ×3, first 2 shown]
	v_add_f64 v[80:81], v[78:79], -v[84:85]
	v_add_f64 v[72:73], v[72:73], -v[80:81]
	v_add_f64 v[80:81], v[78:79], 1.0
	v_add_f64 v[82:83], v[80:81], -1.0
	v_add_f64 v[78:79], v[78:79], -v[82:83]
	v_add_f64 v[72:73], v[72:73], v[78:79]
	v_add_f64 v[78:79], v[80:81], v[72:73]
	v_cvt_i32_f64_e32 v77, v[74:75]
	v_ldexp_f64 v[74:75], v[78:79], v77
	v_rcp_f64_e32 v[82:83], v[74:75]
	v_add_f64 v[78:79], v[78:79], -v[80:81]
	v_add_f64 v[72:73], v[72:73], -v[78:79]
	v_ldexp_f64 v[72:73], v[72:73], v77
	v_fma_f64 v[78:79], -v[74:75], v[82:83], 1.0
	v_fmac_f64_e32 v[82:83], v[78:79], v[82:83]
	v_fma_f64 v[78:79], -v[74:75], v[82:83], 1.0
	v_fmac_f64_e32 v[82:83], v[78:79], v[82:83]
	v_mul_f64 v[78:79], v[74:75], v[82:83]
	v_fma_f64 v[80:81], v[82:83], v[74:75], -v[78:79]
	v_fmac_f64_e32 v[80:81], v[82:83], v[72:73]
	v_add_f64 v[84:85], v[78:79], v[80:81]
	v_add_f64 v[86:87], -v[84:85], 1.0
	v_add_f64 v[78:79], v[84:85], -v[78:79]
	v_add_f64 v[98:99], -v[86:87], 1.0
	v_add_f64 v[84:85], v[98:99], -v[84:85]
	v_add_f64 v[78:79], v[78:79], -v[80:81]
	v_add_f64 v[78:79], v[78:79], v[84:85]
	v_add_f64 v[80:81], v[86:87], v[78:79]
	v_add_f64 v[84:85], v[86:87], -v[80:81]
	v_add_f64 v[78:79], v[78:79], v[84:85]
	v_mul_f64 v[84:85], v[82:83], v[80:81]
	v_mul_f64 v[86:87], v[74:75], v[84:85]
	v_fma_f64 v[98:99], v[84:85], v[74:75], -v[86:87]
	v_fmac_f64_e32 v[98:99], v[84:85], v[72:73]
	v_add_f64 v[100:101], v[86:87], v[98:99]
	v_add_f64 v[102:103], v[80:81], -v[100:101]
	v_add_f64 v[80:81], v[80:81], -v[102:103]
	;; [unrolled: 1-line block ×4, first 2 shown]
	v_add_f64 v[78:79], v[78:79], v[80:81]
	v_add_f64 v[80:81], v[86:87], -v[98:99]
	v_add_f64 v[78:79], v[80:81], v[78:79]
	v_add_f64 v[78:79], v[102:103], v[78:79]
	;; [unrolled: 1-line block ×3, first 2 shown]
	v_mul_f64 v[78:79], v[82:83], v[78:79]
	v_add_f64 v[82:83], v[80:81], -v[82:83]
	v_add_f64 v[82:83], v[84:85], -v[82:83]
	v_add_f64 v[78:79], v[82:83], v[78:79]
	v_add_f64 v[82:83], v[80:81], v[78:79]
	v_add_f64 v[80:81], v[82:83], -v[80:81]
	v_add_f64 v[78:79], v[78:79], -v[80:81]
	v_ldexp_f64 v[80:81], v[82:83], -2
	v_add_f64 v[82:83], v[74:75], -v[80:81]
	v_add_f64 v[74:75], v[74:75], -v[82:83]
	v_add_f64 v[74:75], v[74:75], -v[80:81]
	s_mov_b32 s10, 0x8fb9f87e
	v_ldexp_f64 v[78:79], v[78:79], -2
	v_add_f64 v[72:73], v[72:73], v[74:75]
	s_mov_b32 s11, 0x408633ce
	v_add_f64 v[72:73], v[72:73], -v[78:79]
	v_cmp_nge_f64_e64 vcc, |v[10:11]|, s[10:11]
	s_mov_b32 s10, 0
	v_add_f64 v[72:73], v[82:83], v[72:73]
	s_mov_b32 s11, 0x3e400000
	v_cndmask_b32_e32 v73, v94, v73, vcc
	v_cndmask_b32_e32 v72, 0, v72, vcc
	v_cmp_lt_f64_e64 vcc, |v[10:11]|, s[10:11]
	v_cndmask_b32_e32 v10, v72, v10, vcc
	v_cndmask_b32_e32 v72, v73, v76, vcc
	v_bfi_b32 v11, s73, v72, v11
	s_mov_b32 s10, 0
	v_fma_f64 v[72:73], v[10:11], v[10:11], 1.0
	s_brev_b32 s11, 8
	v_cmp_gt_f64_e32 vcc, s[10:11], v[72:73]
	v_cndmask_b32_e64 v74, 0, 1, vcc
	v_lshlrev_b32_e32 v74, 8, v74
	v_ldexp_f64 v[72:73], v[72:73], v74
	v_rsq_f64_e32 v[74:75], v[72:73]
	v_and_b32_e32 v13, 0x80000000, v13
	v_xor_b32_e32 v13, v19, v13
	v_cndmask_b32_e32 v19, 0, v95, vcc
	v_mul_f64 v[78:79], v[72:73], v[74:75]
	v_mul_f64 v[74:75], v[74:75], 0.5
	v_fma_f64 v[80:81], -v[74:75], v[78:79], 0.5
	v_fmac_f64_e32 v[78:79], v[78:79], v[80:81]
	v_fma_f64 v[82:83], -v[78:79], v[78:79], v[72:73]
	v_fmac_f64_e32 v[74:75], v[74:75], v[80:81]
	v_fmac_f64_e32 v[78:79], v[82:83], v[74:75]
	v_fma_f64 v[80:81], -v[78:79], v[78:79], v[72:73]
	v_fmac_f64_e32 v[78:79], v[80:81], v[74:75]
	v_ldexp_f64 v[74:75], v[78:79], v19
	v_cmp_class_f64_e32 vcc, v[72:73], v91
	v_fma_f64 v[76:77], v[12:13], v[12:13], 1.0
	v_cndmask_b32_e32 v73, v75, v73, vcc
	v_cndmask_b32_e32 v72, v74, v72, vcc
	v_mul_f64 v[74:75], v[10:11], v[76:77]
	v_mul_f64 v[72:73], v[72:73], v[76:77]
	v_fma_f64 v[74:75], v[10:11], v[74:75], 1.0
	v_mul_f64 v[10:11], v[10:11], v[72:73]
	v_div_scale_f64 v[72:73], s[10:11], v[74:75], v[74:75], v[10:11]
	v_rcp_f64_e32 v[76:77], v[72:73]
	v_fma_f64 v[78:79], -v[72:73], v[76:77], 1.0
	v_fmac_f64_e32 v[76:77], v[76:77], v[78:79]
	v_fma_f64 v[78:79], -v[72:73], v[76:77], 1.0
	v_fmac_f64_e32 v[76:77], v[76:77], v[78:79]
	v_div_scale_f64 v[78:79], vcc, v[10:11], v[74:75], v[10:11]
	v_mul_f64 v[80:81], v[78:79], v[76:77]
	v_fma_f64 v[72:73], -v[72:73], v[80:81], v[78:79]
	v_div_scale_f64 v[78:79], s[10:11], v[74:75], v[74:75], v[12:13]
	v_rcp_f64_e32 v[82:83], v[78:79]
	v_div_fmas_f64 v[72:73], v[72:73], v[76:77], v[80:81]
	v_div_fixup_f64 v[10:11], v[72:73], v[74:75], v[10:11]
	v_fma_f64 v[72:73], -v[78:79], v[82:83], 1.0
	v_fmac_f64_e32 v[82:83], v[82:83], v[72:73]
	v_fma_f64 v[72:73], -v[78:79], v[82:83], 1.0
	v_fmac_f64_e32 v[82:83], v[82:83], v[72:73]
	v_div_scale_f64 v[72:73], vcc, v[12:13], v[74:75], v[12:13]
	v_mul_f64 v[76:77], v[72:73], v[82:83]
	v_fma_f64 v[72:73], -v[78:79], v[76:77], v[72:73]
	s_nop 1
	v_div_fmas_f64 v[72:73], v[72:73], v[82:83], v[76:77]
	v_div_fixup_f64 v[12:13], v[72:73], v[74:75], v[12:13]
.LBB162_134:                            ;   in Loop: Header=BB162_4 Depth=1
	s_andn2_saveexec_b64 s[58:59], s[58:59]
	s_cbranch_execz .LBB162_155
; %bb.135:                              ;   in Loop: Header=BB162_4 Depth=1
	v_cmp_nlt_f64_e64 s[60:61], |v[12:13]|, s[22:23]
                                        ; implicit-def: $vgpr80
                                        ; implicit-def: $vgpr72_vgpr73
                                        ; implicit-def: $vgpr74_vgpr75
	s_and_saveexec_b64 s[10:11], s[60:61]
	s_xor_b64 s[68:69], exec, s[10:11]
	s_cbranch_execz .LBB162_144
; %bb.136:                              ;   in Loop: Header=BB162_4 Depth=1
	v_and_b32_e32 v19, 0x7fffffff, v13
	v_ldexp_f64 v[76:77], |v[12:13]|, s17
	v_cmp_ge_f64_e64 vcc, |v[12:13]|, s[24:25]
	v_trig_preop_f64 v[72:73], |v[12:13]|, 0
	v_cndmask_b32_e32 v77, v19, v77, vcc
	v_cndmask_b32_e32 v76, v12, v76, vcc
	v_trig_preop_f64 v[74:75], |v[12:13]|, 1
	v_mul_f64 v[80:81], v[72:73], v[76:77]
	v_mul_f64 v[78:79], v[74:75], v[76:77]
	v_fma_f64 v[72:73], v[72:73], v[76:77], -v[80:81]
	v_add_f64 v[82:83], v[78:79], v[72:73]
	v_add_f64 v[84:85], v[80:81], v[82:83]
	v_ldexp_f64 v[86:87], v[84:85], -2
	v_fract_f64_e32 v[98:99], v[86:87]
	v_cmp_neq_f64_e64 vcc, |v[86:87]|, s[26:27]
	v_cndmask_b32_e32 v87, 0, v99, vcc
	v_cndmask_b32_e32 v86, 0, v98, vcc
	v_add_f64 v[98:99], v[82:83], -v[78:79]
	v_add_f64 v[72:73], v[72:73], -v[98:99]
	;; [unrolled: 1-line block ×4, first 2 shown]
	v_fma_f64 v[74:75], v[74:75], v[76:77], -v[78:79]
	v_trig_preop_f64 v[78:79], |v[12:13]|, 2
	v_add_f64 v[72:73], v[72:73], v[98:99]
	v_mul_f64 v[98:99], v[78:79], v[76:77]
	v_add_f64 v[100:101], v[98:99], v[74:75]
	v_add_f64 v[102:103], v[100:101], v[72:73]
	v_add_f64 v[80:81], v[84:85], -v[80:81]
	v_add_f64 v[84:85], v[102:103], -v[100:101]
	v_add_f64 v[72:73], v[72:73], -v[84:85]
	v_add_f64 v[84:85], v[102:103], -v[84:85]
	v_add_f64 v[84:85], v[100:101], -v[84:85]
	v_add_f64 v[72:73], v[72:73], v[84:85]
	v_add_f64 v[84:85], v[100:101], -v[98:99]
	v_add_f64 v[74:75], v[74:75], -v[84:85]
	;; [unrolled: 1-line block ×4, first 2 shown]
	v_add_f64 v[74:75], v[74:75], v[84:85]
	v_add_f64 v[80:81], v[82:83], -v[80:81]
	v_add_f64 v[72:73], v[74:75], v[72:73]
	v_fma_f64 v[74:75], v[78:79], v[76:77], -v[98:99]
	v_add_f64 v[82:83], v[80:81], v[102:103]
	v_add_f64 v[72:73], v[74:75], v[72:73]
	v_ldexp_f64 v[74:75], v[86:87], 2
	v_add_f64 v[76:77], v[82:83], v[74:75]
	v_cmp_gt_f64_e32 vcc, 0, v[76:77]
	v_cndmask_b32_e32 v19, 0, v92, vcc
	v_add_f64 v[74:75], v[74:75], v[18:19]
	v_add_f64 v[76:77], v[82:83], v[74:75]
	v_cvt_i32_f64_e32 v19, v[76:77]
	v_cvt_f64_i32_e32 v[76:77], v19
	v_add_f64 v[74:75], v[74:75], -v[76:77]
	v_add_f64 v[80:81], v[82:83], -v[80:81]
	v_add_f64 v[76:77], v[82:83], v[74:75]
	v_add_f64 v[80:81], v[102:103], -v[80:81]
	v_add_f64 v[74:75], v[76:77], -v[74:75]
	v_cmp_le_f64_e32 vcc, 0.5, v[76:77]
	v_add_f64 v[72:73], v[80:81], v[72:73]
	v_add_f64 v[74:75], v[82:83], -v[74:75]
	v_addc_co_u32_e64 v80, s[10:11], 0, v19, vcc
	v_cndmask_b32_e32 v19, 0, v93, vcc
	v_add_f64 v[72:73], v[72:73], v[74:75]
	v_add_f64 v[74:75], v[76:77], -v[18:19]
	v_add_f64 v[76:77], v[74:75], v[72:73]
	v_add_f64 v[74:75], v[76:77], -v[74:75]
	s_mov_b32 s28, s30
	v_add_f64 v[72:73], v[72:73], -v[74:75]
	v_mul_f64 v[74:75], v[76:77], s[28:29]
	v_fma_f64 v[78:79], v[76:77], s[28:29], -v[74:75]
	s_mov_b32 s37, s35
	v_fmac_f64_e32 v[78:79], s[36:37], v[76:77]
	v_fmac_f64_e32 v[78:79], s[28:29], v[72:73]
	v_add_f64 v[72:73], v[74:75], v[78:79]
	v_add_f64 v[74:75], v[72:73], -v[74:75]
	v_add_f64 v[74:75], v[78:79], -v[74:75]
	s_andn2_saveexec_b64 s[10:11], s[68:69]
	s_cbranch_execz .LBB162_146
	s_branch .LBB162_145
.LBB162_137:                            ;   in Loop: Header=BB162_4 Depth=1
	s_andn2_saveexec_b64 s[14:15], s[14:15]
	s_cbranch_execz .LBB162_159
.LBB162_138:                            ;   in Loop: Header=BB162_4 Depth=1
	v_and_or_b32 v19, v11, s16, v10
	v_cmp_ne_u32_e32 vcc, 0, v19
	s_and_saveexec_b64 s[10:11], vcc
	s_xor_b64 s[10:11], exec, s[10:11]
; %bb.139:                              ;   in Loop: Header=BB162_4 Depth=1
	v_mul_f64 v[72:73], v[12:13], v[10:11]
	v_cmp_eq_f64_e32 vcc, 0, v[12:13]
	v_cndmask_b32_e32 v13, v73, v13, vcc
	v_cndmask_b32_e32 v12, v72, v12, vcc
; %bb.140:                              ;   in Loop: Header=BB162_4 Depth=1
	s_andn2_saveexec_b64 s[44:45], s[10:11]
	s_cbranch_execz .LBB162_167
; %bb.141:                              ;   in Loop: Header=BB162_4 Depth=1
	v_cmp_neq_f64_e64 s[10:11], |v[12:13]|, s[26:27]
	s_and_saveexec_b64 s[58:59], s[10:11]
	s_cbranch_execz .LBB162_166
; %bb.142:                              ;   in Loop: Header=BB162_4 Depth=1
	v_cmp_nlt_f64_e64 s[60:61], |v[12:13]|, s[22:23]
	v_trig_preop_f64 v[80:81], |v[12:13]|, 0
	v_trig_preop_f64 v[78:79], |v[12:13]|, 1
	v_ldexp_f64 v[82:83], |v[12:13]|, s17
	v_trig_preop_f64 v[76:77], |v[12:13]|, 2
	v_and_b32_e32 v98, 0x7fffffff, v13
                                        ; implicit-def: $vgpr97
                                        ; implicit-def: $vgpr72_vgpr73
                                        ; implicit-def: $vgpr74_vgpr75
	s_and_saveexec_b64 s[10:11], s[60:61]
	s_xor_b64 s[68:69], exec, s[10:11]
	s_cbranch_execz .LBB162_148
; %bb.143:                              ;   in Loop: Header=BB162_4 Depth=1
	v_cmp_ge_f64_e64 vcc, |v[12:13]|, s[24:25]
	v_cndmask_b32_e32 v73, v98, v83, vcc
	v_cndmask_b32_e32 v72, v12, v82, vcc
	v_mul_f64 v[84:85], v[80:81], v[72:73]
	v_mul_f64 v[74:75], v[78:79], v[72:73]
	v_fma_f64 v[86:87], v[80:81], v[72:73], -v[84:85]
	v_add_f64 v[100:101], v[74:75], v[86:87]
	v_add_f64 v[102:103], v[84:85], v[100:101]
	v_ldexp_f64 v[104:105], v[102:103], -2
	v_fract_f64_e32 v[106:107], v[104:105]
	v_cmp_neq_f64_e64 vcc, |v[104:105]|, s[26:27]
	v_cndmask_b32_e32 v105, 0, v107, vcc
	v_cndmask_b32_e32 v104, 0, v106, vcc
	v_add_f64 v[106:107], v[100:101], -v[74:75]
	v_add_f64 v[86:87], v[86:87], -v[106:107]
	;; [unrolled: 1-line block ×4, first 2 shown]
	v_add_f64 v[86:87], v[86:87], v[106:107]
	v_fma_f64 v[74:75], v[78:79], v[72:73], -v[74:75]
	v_mul_f64 v[106:107], v[76:77], v[72:73]
	v_add_f64 v[108:109], v[106:107], v[74:75]
	v_add_f64 v[110:111], v[108:109], v[86:87]
	v_add_f64 v[84:85], v[102:103], -v[84:85]
	v_add_f64 v[102:103], v[110:111], -v[108:109]
	v_add_f64 v[86:87], v[86:87], -v[102:103]
	v_add_f64 v[102:103], v[110:111], -v[102:103]
	v_add_f64 v[102:103], v[108:109], -v[102:103]
	v_add_f64 v[86:87], v[86:87], v[102:103]
	v_add_f64 v[102:103], v[108:109], -v[106:107]
	v_add_f64 v[74:75], v[74:75], -v[102:103]
	;; [unrolled: 1-line block ×5, first 2 shown]
	v_add_f64 v[100:101], v[84:85], v[110:111]
	v_add_f64 v[74:75], v[74:75], v[102:103]
	v_add_f64 v[84:85], v[100:101], -v[84:85]
	v_add_f64 v[74:75], v[74:75], v[86:87]
	v_fma_f64 v[72:73], v[76:77], v[72:73], -v[106:107]
	v_add_f64 v[84:85], v[110:111], -v[84:85]
	v_add_f64 v[72:73], v[72:73], v[74:75]
	v_ldexp_f64 v[74:75], v[104:105], 2
	v_add_f64 v[72:73], v[84:85], v[72:73]
	v_add_f64 v[84:85], v[100:101], v[74:75]
	v_cmp_gt_f64_e32 vcc, 0, v[84:85]
	v_cndmask_b32_e32 v19, 0, v92, vcc
	v_add_f64 v[74:75], v[74:75], v[18:19]
	v_add_f64 v[84:85], v[100:101], v[74:75]
	v_cvt_i32_f64_e32 v19, v[84:85]
	v_cvt_f64_i32_e32 v[84:85], v19
	v_add_f64 v[74:75], v[74:75], -v[84:85]
	v_add_f64 v[84:85], v[100:101], v[74:75]
	v_add_f64 v[74:75], v[84:85], -v[74:75]
	v_cmp_le_f64_e32 vcc, 0.5, v[84:85]
	v_add_f64 v[74:75], v[100:101], -v[74:75]
	v_addc_co_u32_e64 v97, s[10:11], 0, v19, vcc
	v_cndmask_b32_e32 v19, 0, v93, vcc
	v_add_f64 v[72:73], v[72:73], v[74:75]
	v_add_f64 v[74:75], v[84:85], -v[18:19]
	v_add_f64 v[84:85], v[74:75], v[72:73]
	v_add_f64 v[74:75], v[84:85], -v[74:75]
	s_mov_b32 s28, s30
	v_add_f64 v[72:73], v[72:73], -v[74:75]
	v_mul_f64 v[74:75], v[84:85], s[28:29]
	v_fma_f64 v[86:87], v[84:85], s[28:29], -v[74:75]
	s_mov_b32 s37, s35
	v_fmac_f64_e32 v[86:87], s[36:37], v[84:85]
	v_fmac_f64_e32 v[86:87], s[28:29], v[72:73]
	v_add_f64 v[72:73], v[74:75], v[86:87]
	v_add_f64 v[74:75], v[72:73], -v[74:75]
	v_add_f64 v[74:75], v[86:87], -v[74:75]
	s_andn2_saveexec_b64 s[10:11], s[68:69]
	s_cbranch_execz .LBB162_150
	s_branch .LBB162_149
.LBB162_144:                            ;   in Loop: Header=BB162_4 Depth=1
	s_andn2_saveexec_b64 s[10:11], s[68:69]
	s_cbranch_execz .LBB162_146
.LBB162_145:                            ;   in Loop: Header=BB162_4 Depth=1
	v_mul_f64 v[72:73], |v[12:13]|, s[38:39]
	v_rndne_f64_e32 v[76:77], v[72:73]
	v_fma_f64 v[72:73], v[76:77], s[30:31], |v[12:13]|
	v_mul_f64 v[78:79], v[76:77], s[40:41]
	v_add_f64 v[82:83], v[72:73], v[78:79]
	v_fma_f64 v[74:75], s[40:41], v[76:77], v[72:73]
	s_mov_b32 s34, s40
	v_add_f64 v[72:73], v[72:73], -v[82:83]
	v_fma_f64 v[80:81], s[34:35], v[76:77], v[78:79]
	v_add_f64 v[72:73], v[72:73], v[78:79]
	v_add_f64 v[78:79], v[82:83], -v[74:75]
	v_add_f64 v[72:73], v[78:79], v[72:73]
	v_add_f64 v[78:79], v[72:73], -v[80:81]
	v_fmac_f64_e32 v[78:79], s[42:43], v[76:77]
	v_add_f64 v[72:73], v[74:75], v[78:79]
	v_add_f64 v[74:75], v[72:73], -v[74:75]
	v_add_f64 v[74:75], v[78:79], -v[74:75]
	v_cvt_i32_f64_e32 v80, v[76:77]
.LBB162_146:                            ;   in Loop: Header=BB162_4 Depth=1
	s_or_b64 exec, exec, s[10:11]
                                        ; implicit-def: $vgpr81
                                        ; implicit-def: $vgpr76_vgpr77
                                        ; implicit-def: $vgpr78_vgpr79
	s_and_saveexec_b64 s[10:11], s[60:61]
	s_xor_b64 s[60:61], exec, s[10:11]
	s_cbranch_execz .LBB162_152
; %bb.147:                              ;   in Loop: Header=BB162_4 Depth=1
	v_and_b32_e32 v19, 0x7fffffff, v13
	v_ldexp_f64 v[82:83], |v[12:13]|, s17
	v_cmp_ge_f64_e64 vcc, |v[12:13]|, s[24:25]
	v_trig_preop_f64 v[76:77], |v[12:13]|, 0
	v_cndmask_b32_e32 v83, v19, v83, vcc
	v_cndmask_b32_e32 v82, v12, v82, vcc
	v_trig_preop_f64 v[78:79], |v[12:13]|, 1
	v_mul_f64 v[86:87], v[76:77], v[82:83]
	v_mul_f64 v[84:85], v[78:79], v[82:83]
	v_fma_f64 v[76:77], v[76:77], v[82:83], -v[86:87]
	v_add_f64 v[98:99], v[84:85], v[76:77]
	v_add_f64 v[100:101], v[86:87], v[98:99]
	v_ldexp_f64 v[102:103], v[100:101], -2
	v_fract_f64_e32 v[104:105], v[102:103]
	v_cmp_neq_f64_e64 vcc, |v[102:103]|, s[26:27]
	v_cndmask_b32_e32 v103, 0, v105, vcc
	v_cndmask_b32_e32 v102, 0, v104, vcc
	v_add_f64 v[104:105], v[98:99], -v[84:85]
	v_add_f64 v[76:77], v[76:77], -v[104:105]
	;; [unrolled: 1-line block ×4, first 2 shown]
	v_fma_f64 v[78:79], v[78:79], v[82:83], -v[84:85]
	v_trig_preop_f64 v[84:85], |v[12:13]|, 2
	v_add_f64 v[76:77], v[76:77], v[104:105]
	v_mul_f64 v[104:105], v[84:85], v[82:83]
	v_add_f64 v[106:107], v[104:105], v[78:79]
	v_add_f64 v[108:109], v[106:107], v[76:77]
	v_add_f64 v[86:87], v[100:101], -v[86:87]
	v_add_f64 v[100:101], v[108:109], -v[106:107]
	;; [unrolled: 1-line block ×5, first 2 shown]
	v_add_f64 v[76:77], v[76:77], v[100:101]
	v_add_f64 v[100:101], v[106:107], -v[104:105]
	v_add_f64 v[78:79], v[78:79], -v[100:101]
	;; [unrolled: 1-line block ×4, first 2 shown]
	v_add_f64 v[78:79], v[78:79], v[100:101]
	v_add_f64 v[86:87], v[98:99], -v[86:87]
	v_add_f64 v[76:77], v[78:79], v[76:77]
	v_fma_f64 v[78:79], v[84:85], v[82:83], -v[104:105]
	v_add_f64 v[98:99], v[86:87], v[108:109]
	v_add_f64 v[76:77], v[78:79], v[76:77]
	v_ldexp_f64 v[78:79], v[102:103], 2
	v_add_f64 v[82:83], v[98:99], v[78:79]
	v_cmp_gt_f64_e32 vcc, 0, v[82:83]
	v_cndmask_b32_e32 v19, 0, v92, vcc
	v_add_f64 v[78:79], v[78:79], v[18:19]
	v_add_f64 v[82:83], v[98:99], v[78:79]
	v_cvt_i32_f64_e32 v19, v[82:83]
	v_cvt_f64_i32_e32 v[82:83], v19
	v_add_f64 v[78:79], v[78:79], -v[82:83]
	v_add_f64 v[86:87], v[98:99], -v[86:87]
	v_add_f64 v[82:83], v[98:99], v[78:79]
	v_add_f64 v[86:87], v[108:109], -v[86:87]
	v_add_f64 v[78:79], v[82:83], -v[78:79]
	v_cmp_le_f64_e32 vcc, 0.5, v[82:83]
	v_add_f64 v[76:77], v[86:87], v[76:77]
	v_add_f64 v[78:79], v[98:99], -v[78:79]
	v_addc_co_u32_e64 v81, s[10:11], 0, v19, vcc
	v_cndmask_b32_e32 v19, 0, v93, vcc
	v_add_f64 v[76:77], v[76:77], v[78:79]
	v_add_f64 v[78:79], v[82:83], -v[18:19]
	v_add_f64 v[82:83], v[78:79], v[76:77]
	v_add_f64 v[78:79], v[82:83], -v[78:79]
	s_mov_b32 s28, s30
	v_add_f64 v[76:77], v[76:77], -v[78:79]
	v_mul_f64 v[78:79], v[82:83], s[28:29]
	v_fma_f64 v[84:85], v[82:83], s[28:29], -v[78:79]
	s_mov_b32 s37, s35
	v_fmac_f64_e32 v[84:85], s[36:37], v[82:83]
	v_fmac_f64_e32 v[84:85], s[28:29], v[76:77]
	v_add_f64 v[76:77], v[78:79], v[84:85]
	v_add_f64 v[78:79], v[76:77], -v[78:79]
	v_add_f64 v[78:79], v[84:85], -v[78:79]
	s_andn2_saveexec_b64 s[10:11], s[60:61]
	s_cbranch_execnz .LBB162_153
	s_branch .LBB162_154
.LBB162_148:                            ;   in Loop: Header=BB162_4 Depth=1
	s_andn2_saveexec_b64 s[10:11], s[68:69]
	s_cbranch_execz .LBB162_150
.LBB162_149:                            ;   in Loop: Header=BB162_4 Depth=1
	v_mul_f64 v[72:73], |v[12:13]|, s[38:39]
	v_rndne_f64_e32 v[84:85], v[72:73]
	v_fma_f64 v[72:73], v[84:85], s[30:31], |v[12:13]|
	v_mul_f64 v[86:87], v[84:85], s[40:41]
	v_add_f64 v[102:103], v[72:73], v[86:87]
	v_fma_f64 v[74:75], s[40:41], v[84:85], v[72:73]
	s_mov_b32 s34, s40
	v_add_f64 v[72:73], v[72:73], -v[102:103]
	v_fma_f64 v[100:101], s[34:35], v[84:85], v[86:87]
	v_add_f64 v[72:73], v[72:73], v[86:87]
	v_add_f64 v[86:87], v[102:103], -v[74:75]
	v_add_f64 v[72:73], v[86:87], v[72:73]
	v_add_f64 v[86:87], v[72:73], -v[100:101]
	v_fmac_f64_e32 v[86:87], s[42:43], v[84:85]
	v_add_f64 v[72:73], v[74:75], v[86:87]
	v_add_f64 v[74:75], v[72:73], -v[74:75]
	v_add_f64 v[74:75], v[86:87], -v[74:75]
	v_cvt_i32_f64_e32 v97, v[84:85]
.LBB162_150:                            ;   in Loop: Header=BB162_4 Depth=1
	s_or_b64 exec, exec, s[10:11]
                                        ; implicit-def: $vgpr99
                                        ; implicit-def: $vgpr84_vgpr85
                                        ; implicit-def: $vgpr86_vgpr87
	s_and_saveexec_b64 s[10:11], s[60:61]
	s_xor_b64 s[60:61], exec, s[10:11]
	s_cbranch_execz .LBB162_163
; %bb.151:                              ;   in Loop: Header=BB162_4 Depth=1
	v_cmp_ge_f64_e64 vcc, |v[12:13]|, s[24:25]
	v_cndmask_b32_e32 v83, v98, v83, vcc
	v_cndmask_b32_e32 v82, v12, v82, vcc
	v_mul_f64 v[86:87], v[80:81], v[82:83]
	v_mul_f64 v[84:85], v[78:79], v[82:83]
	v_fma_f64 v[80:81], v[80:81], v[82:83], -v[86:87]
	v_add_f64 v[98:99], v[84:85], v[80:81]
	v_add_f64 v[100:101], v[86:87], v[98:99]
	v_ldexp_f64 v[102:103], v[100:101], -2
	v_fract_f64_e32 v[104:105], v[102:103]
	v_cmp_neq_f64_e64 vcc, |v[102:103]|, s[26:27]
	v_cndmask_b32_e32 v103, 0, v105, vcc
	v_cndmask_b32_e32 v102, 0, v104, vcc
	v_add_f64 v[104:105], v[98:99], -v[84:85]
	v_add_f64 v[80:81], v[80:81], -v[104:105]
	;; [unrolled: 1-line block ×4, first 2 shown]
	v_fma_f64 v[78:79], v[78:79], v[82:83], -v[84:85]
	v_mul_f64 v[84:85], v[76:77], v[82:83]
	v_add_f64 v[80:81], v[80:81], v[104:105]
	v_add_f64 v[104:105], v[84:85], v[78:79]
	;; [unrolled: 1-line block ×3, first 2 shown]
	v_add_f64 v[86:87], v[100:101], -v[86:87]
	v_add_f64 v[100:101], v[106:107], -v[104:105]
	;; [unrolled: 1-line block ×5, first 2 shown]
	v_add_f64 v[80:81], v[80:81], v[100:101]
	v_add_f64 v[100:101], v[104:105], -v[84:85]
	v_add_f64 v[78:79], v[78:79], -v[100:101]
	;; [unrolled: 1-line block ×4, first 2 shown]
	v_add_f64 v[78:79], v[78:79], v[100:101]
	v_add_f64 v[86:87], v[98:99], -v[86:87]
	v_add_f64 v[78:79], v[78:79], v[80:81]
	v_fma_f64 v[76:77], v[76:77], v[82:83], -v[84:85]
	v_add_f64 v[98:99], v[86:87], v[106:107]
	v_add_f64 v[76:77], v[76:77], v[78:79]
	v_ldexp_f64 v[78:79], v[102:103], 2
	v_add_f64 v[80:81], v[98:99], v[78:79]
	v_cmp_gt_f64_e32 vcc, 0, v[80:81]
	v_cndmask_b32_e32 v19, 0, v92, vcc
	v_add_f64 v[78:79], v[78:79], v[18:19]
	v_add_f64 v[80:81], v[98:99], v[78:79]
	v_cvt_i32_f64_e32 v19, v[80:81]
	v_cvt_f64_i32_e32 v[80:81], v19
	v_add_f64 v[78:79], v[78:79], -v[80:81]
	v_add_f64 v[86:87], v[98:99], -v[86:87]
	v_add_f64 v[80:81], v[98:99], v[78:79]
	v_add_f64 v[86:87], v[106:107], -v[86:87]
	v_add_f64 v[78:79], v[80:81], -v[78:79]
	v_cmp_le_f64_e32 vcc, 0.5, v[80:81]
	v_add_f64 v[76:77], v[86:87], v[76:77]
	v_add_f64 v[78:79], v[98:99], -v[78:79]
	v_addc_co_u32_e64 v99, s[10:11], 0, v19, vcc
	v_cndmask_b32_e32 v19, 0, v93, vcc
	v_add_f64 v[76:77], v[76:77], v[78:79]
	v_add_f64 v[78:79], v[80:81], -v[18:19]
	v_add_f64 v[80:81], v[78:79], v[76:77]
	v_add_f64 v[78:79], v[80:81], -v[78:79]
	s_mov_b32 s28, s30
	v_add_f64 v[76:77], v[76:77], -v[78:79]
	v_mul_f64 v[78:79], v[80:81], s[28:29]
	v_fma_f64 v[82:83], v[80:81], s[28:29], -v[78:79]
	s_mov_b32 s37, s35
	v_fmac_f64_e32 v[82:83], s[36:37], v[80:81]
	v_fmac_f64_e32 v[82:83], s[28:29], v[76:77]
	v_add_f64 v[84:85], v[78:79], v[82:83]
	v_add_f64 v[76:77], v[84:85], -v[78:79]
	v_add_f64 v[86:87], v[82:83], -v[76:77]
	s_andn2_saveexec_b64 s[10:11], s[60:61]
	s_cbranch_execnz .LBB162_164
	s_branch .LBB162_165
.LBB162_152:                            ;   in Loop: Header=BB162_4 Depth=1
	s_andn2_saveexec_b64 s[10:11], s[60:61]
	s_cbranch_execz .LBB162_154
.LBB162_153:                            ;   in Loop: Header=BB162_4 Depth=1
	v_mul_f64 v[76:77], |v[12:13]|, s[38:39]
	v_rndne_f64_e32 v[82:83], v[76:77]
	v_fma_f64 v[76:77], v[82:83], s[30:31], |v[12:13]|
	v_mul_f64 v[84:85], v[82:83], s[40:41]
	v_add_f64 v[98:99], v[76:77], v[84:85]
	v_fma_f64 v[78:79], s[40:41], v[82:83], v[76:77]
	s_mov_b32 s34, s40
	v_add_f64 v[76:77], v[76:77], -v[98:99]
	v_fma_f64 v[86:87], s[34:35], v[82:83], v[84:85]
	v_add_f64 v[76:77], v[76:77], v[84:85]
	v_add_f64 v[84:85], v[98:99], -v[78:79]
	v_add_f64 v[76:77], v[84:85], v[76:77]
	v_add_f64 v[84:85], v[76:77], -v[86:87]
	v_fmac_f64_e32 v[84:85], s[42:43], v[82:83]
	v_add_f64 v[76:77], v[78:79], v[84:85]
	v_add_f64 v[78:79], v[76:77], -v[78:79]
	v_add_f64 v[78:79], v[84:85], -v[78:79]
	v_cvt_i32_f64_e32 v81, v[82:83]
.LBB162_154:                            ;   in Loop: Header=BB162_4 Depth=1
	s_or_b64 exec, exec, s[10:11]
	v_mul_f64 v[82:83], v[72:73], v[72:73]
	v_pk_mov_b32 v[100:101], s[74:75], s[74:75] op_sel:[0,1]
	v_mul_f64 v[84:85], v[82:83], 0.5
	v_fma_f64 v[102:103], s[76:77], v[82:83], v[100:101]
	v_add_f64 v[86:87], -v[84:85], 1.0
	v_fma_f64 v[102:103], v[82:83], v[102:103], s[78:79]
	v_add_f64 v[98:99], -v[86:87], 1.0
	v_fma_f64 v[102:103], v[82:83], v[102:103], s[80:81]
	v_add_f64 v[84:85], v[98:99], -v[84:85]
	v_fma_f64 v[102:103], v[82:83], v[102:103], s[82:83]
	v_mul_f64 v[98:99], v[82:83], v[82:83]
	v_fma_f64 v[102:103], v[82:83], v[102:103], s[66:67]
	v_fma_f64 v[84:85], v[72:73], -v[74:75], v[84:85]
	v_fmac_f64_e32 v[84:85], v[98:99], v[102:103]
	v_add_f64 v[84:85], v[86:87], v[84:85]
	v_pk_mov_b32 v[86:87], s[84:85], s[84:85] op_sel:[0,1]
	v_fma_f64 v[98:99], s[86:87], v[82:83], v[86:87]
	v_fma_f64 v[98:99], v[82:83], v[98:99], s[88:89]
	;; [unrolled: 1-line block ×4, first 2 shown]
	v_mul_f64 v[102:103], v[72:73], -v[82:83]
	v_mul_f64 v[104:105], v[74:75], 0.5
	v_fmac_f64_e32 v[104:105], v[102:103], v[98:99]
	v_fma_f64 v[74:75], v[82:83], v[104:105], -v[74:75]
	s_mov_b32 s92, s66
	v_fmac_f64_e32 v[74:75], s[92:93], v[102:103]
	v_and_b32_e32 v12, 1, v80
	v_add_f64 v[72:73], v[72:73], -v[74:75]
	v_cmp_eq_u32_e32 vcc, 0, v12
	v_cndmask_b32_e32 v12, v84, v72, vcc
	v_lshlrev_b32_e32 v72, 30, v80
	v_cndmask_b32_e32 v19, v85, v73, vcc
	v_xor_b32_e32 v13, v72, v13
	v_mul_f64 v[72:73], |v[10:11]|, s[54:55]
	v_rndne_f64_e32 v[72:73], v[72:73]
	v_fma_f64 v[74:75], v[72:73], s[46:47], -|v[10:11]|
	v_fmac_f64_e32 v[74:75], s[50:51], v[72:73]
	v_pk_mov_b32 v[82:83], v[54:55], v[54:55] op_sel:[0,1]
	v_fmac_f64_e32 v[82:83], s[62:63], v[74:75]
	v_pk_mov_b32 v[84:85], v[56:57], v[56:57] op_sel:[0,1]
	;; [unrolled: 2-line block ×9, first 2 shown]
	v_fmac_f64_e32 v[82:83], v[74:75], v[84:85]
	v_and_b32_e32 v13, 0x80000000, v13
	v_fma_f64 v[82:83], v[74:75], v[82:83], 1.0
	s_mov_b32 s10, 0
	v_xor_b32_e32 v13, v19, v13
	v_fma_f64 v[74:75], v[74:75], v[82:83], 1.0
	v_cvt_i32_f64_e32 v19, v[72:73]
	s_mov_b32 s11, 0x4090cc00
	v_ldexp_f64 v[72:73], v[74:75], v19
	v_cmp_ngt_f64_e64 vcc, |v[10:11]|, s[10:11]
	v_bfi_b32 v19, s73, v93, v11
	v_mul_f64 v[10:11], v[76:77], v[76:77]
	v_mul_f64 v[74:75], v[10:11], 0.5
	v_fmac_f64_e32 v[100:101], s[76:77], v[10:11]
	v_add_f64 v[82:83], -v[74:75], 1.0
	v_fma_f64 v[98:99], v[10:11], v[100:101], s[78:79]
	v_add_f64 v[84:85], -v[82:83], 1.0
	v_fma_f64 v[98:99], v[10:11], v[98:99], s[80:81]
	v_add_f64 v[74:75], v[84:85], -v[74:75]
	v_fma_f64 v[98:99], v[10:11], v[98:99], s[82:83]
	v_mul_f64 v[84:85], v[10:11], v[10:11]
	v_fma_f64 v[98:99], v[10:11], v[98:99], s[66:67]
	v_fma_f64 v[74:75], v[76:77], -v[78:79], v[74:75]
	v_fmac_f64_e32 v[74:75], v[84:85], v[98:99]
	v_fmac_f64_e32 v[86:87], s[86:87], v[10:11]
	v_add_f64 v[74:75], v[82:83], v[74:75]
	v_fma_f64 v[82:83], v[10:11], v[86:87], s[88:89]
	v_fma_f64 v[82:83], v[10:11], v[82:83], s[90:91]
	;; [unrolled: 1-line block ×3, first 2 shown]
	v_mul_f64 v[84:85], v[76:77], -v[10:11]
	v_mul_f64 v[86:87], v[78:79], 0.5
	v_fmac_f64_e32 v[86:87], v[84:85], v[82:83]
	v_fma_f64 v[10:11], v[10:11], v[86:87], -v[78:79]
	v_fmac_f64_e32 v[10:11], s[92:93], v[84:85]
	v_add_f64 v[10:11], v[76:77], -v[10:11]
	v_and_b32_e32 v76, 1, v81
	v_cndmask_b32_e32 v73, 0, v73, vcc
	v_cndmask_b32_e32 v72, 0, v72, vcc
	v_cmp_eq_u32_e32 vcc, 0, v76
	v_xor_b32_e32 v11, 0x80000000, v11
	v_cndmask_b32_e32 v10, v10, v74, vcc
	v_lshlrev_b32_e32 v74, 30, v81
	v_cndmask_b32_e32 v11, v11, v75, vcc
	v_and_b32_e32 v74, 0x80000000, v74
	v_mul_f64 v[12:13], v[12:13], 4.0
	v_xor_b32_e32 v11, v11, v74
	v_mul_f64 v[10:11], v[12:13], v[10:11]
	v_mul_f64 v[10:11], v[72:73], v[10:11]
	;; [unrolled: 1-line block ×3, first 2 shown]
	v_pk_mov_b32 v[10:11], v[18:19], v[18:19] op_sel:[0,1]
.LBB162_155:                            ;   in Loop: Header=BB162_4 Depth=1
	s_or_b64 exec, exec, s[58:59]
.LBB162_156:                            ;   in Loop: Header=BB162_4 Depth=1
	s_andn2_saveexec_b64 s[10:11], s[44:45]
; %bb.157:                              ;   in Loop: Header=BB162_4 Depth=1
	v_add_f64 v[12:13], v[12:13], -v[12:13]
	v_pk_mov_b32 v[10:11], v[12:13], v[12:13] op_sel:[0,1]
; %bb.158:                              ;   in Loop: Header=BB162_4 Depth=1
	s_or_b64 exec, exec, s[10:11]
	s_andn2_saveexec_b64 s[14:15], s[14:15]
	s_cbranch_execnz .LBB162_138
.LBB162_159:                            ;   in Loop: Header=BB162_4 Depth=1
	s_or_b64 exec, exec, s[14:15]
	s_and_saveexec_b64 s[10:11], s[0:1]
	s_xor_b64 s[0:1], exec, s[10:11]
	s_cbranch_execz .LBB162_168
.LBB162_160:                            ;   in Loop: Header=BB162_4 Depth=1
	v_mov_b32_e32 v19, s70
	v_add_co_u32_e32 v72, vcc, s33, v20
	v_addc_co_u32_e32 v73, vcc, 0, v19, vcc
	global_store_dwordx4 v[72:73], v[6:9], off
	s_or_b64 exec, exec, s[0:1]
	s_and_saveexec_b64 s[0:1], s[2:3]
	s_cbranch_execnz .LBB162_169
.LBB162_161:                            ;   in Loop: Header=BB162_4 Depth=1
	s_or_b64 exec, exec, s[0:1]
	s_and_saveexec_b64 s[0:1], s[6:7]
	s_cbranch_execz .LBB162_170
.LBB162_162:                            ;   in Loop: Header=BB162_4 Depth=1
	v_mov_b32_e32 v3, s70
	v_add_co_u32_e32 v2, vcc, s33, v26
	v_addc_co_u32_e32 v3, vcc, v3, v1, vcc
	global_store_dwordx4 v[2:3], v[14:17], off offset:-8
	s_or_b64 exec, exec, s[0:1]
	s_and_saveexec_b64 s[0:1], s[8:9]
	s_cbranch_execz .LBB162_3
	s_branch .LBB162_171
.LBB162_163:                            ;   in Loop: Header=BB162_4 Depth=1
	s_andn2_saveexec_b64 s[10:11], s[60:61]
	s_cbranch_execz .LBB162_165
.LBB162_164:                            ;   in Loop: Header=BB162_4 Depth=1
	v_mul_f64 v[76:77], |v[12:13]|, s[38:39]
	v_rndne_f64_e32 v[76:77], v[76:77]
	v_fma_f64 v[78:79], v[76:77], s[30:31], |v[12:13]|
	v_mul_f64 v[82:83], v[76:77], s[40:41]
	v_add_f64 v[86:87], v[78:79], v[82:83]
	v_fma_f64 v[80:81], s[40:41], v[76:77], v[78:79]
	s_mov_b32 s34, s40
	v_add_f64 v[78:79], v[78:79], -v[86:87]
	v_fma_f64 v[84:85], s[34:35], v[76:77], v[82:83]
	v_add_f64 v[78:79], v[78:79], v[82:83]
	v_add_f64 v[82:83], v[86:87], -v[80:81]
	v_add_f64 v[78:79], v[82:83], v[78:79]
	v_add_f64 v[78:79], v[78:79], -v[84:85]
	v_fmac_f64_e32 v[78:79], s[42:43], v[76:77]
	v_add_f64 v[84:85], v[80:81], v[78:79]
	v_add_f64 v[80:81], v[84:85], -v[80:81]
	v_add_f64 v[86:87], v[78:79], -v[80:81]
	v_cvt_i32_f64_e32 v99, v[76:77]
.LBB162_165:                            ;   in Loop: Header=BB162_4 Depth=1
	s_or_b64 exec, exec, s[10:11]
	v_mul_f64 v[76:77], v[72:73], v[72:73]
	v_pk_mov_b32 v[100:101], s[74:75], s[74:75] op_sel:[0,1]
	v_mul_f64 v[78:79], v[76:77], 0.5
	v_fma_f64 v[102:103], s[76:77], v[76:77], v[100:101]
	v_add_f64 v[80:81], -v[78:79], 1.0
	v_fma_f64 v[102:103], v[76:77], v[102:103], s[78:79]
	v_add_f64 v[82:83], -v[80:81], 1.0
	v_fma_f64 v[102:103], v[76:77], v[102:103], s[80:81]
	v_add_f64 v[78:79], v[82:83], -v[78:79]
	v_fma_f64 v[102:103], v[76:77], v[102:103], s[82:83]
	v_mul_f64 v[82:83], v[76:77], v[76:77]
	v_fma_f64 v[102:103], v[76:77], v[102:103], s[66:67]
	v_fma_f64 v[78:79], v[72:73], -v[74:75], v[78:79]
	v_fmac_f64_e32 v[78:79], v[82:83], v[102:103]
	v_add_f64 v[78:79], v[80:81], v[78:79]
	v_pk_mov_b32 v[80:81], s[84:85], s[84:85] op_sel:[0,1]
	v_fma_f64 v[82:83], s[86:87], v[76:77], v[80:81]
	v_fma_f64 v[82:83], v[76:77], v[82:83], s[88:89]
	;; [unrolled: 1-line block ×4, first 2 shown]
	v_mul_f64 v[102:103], v[72:73], -v[76:77]
	v_mul_f64 v[104:105], v[74:75], 0.5
	v_fmac_f64_e32 v[104:105], v[102:103], v[82:83]
	v_fma_f64 v[74:75], v[76:77], v[104:105], -v[74:75]
	s_mov_b32 s92, s66
	v_fmac_f64_e32 v[74:75], s[92:93], v[102:103]
	v_and_b32_e32 v19, 1, v97
	v_add_f64 v[72:73], v[72:73], -v[74:75]
	v_cmp_eq_u32_e32 vcc, 0, v19
	v_cndmask_b32_e32 v19, v78, v72, vcc
	v_cndmask_b32_e32 v72, v79, v73, vcc
	v_lshlrev_b32_e32 v73, 30, v97
	v_xor_b32_e32 v73, v73, v13
	v_and_b32_e32 v73, 0x80000000, v73
	v_xor_b32_e32 v72, v72, v73
	v_cmp_class_f64_e64 vcc, v[12:13], s95
	v_cndmask_b32_e32 v13, v96, v72, vcc
	v_mul_f64 v[72:73], v[84:85], v[84:85]
	v_mul_f64 v[74:75], v[72:73], 0.5
	v_fmac_f64_e32 v[100:101], s[76:77], v[72:73]
	v_add_f64 v[76:77], -v[74:75], 1.0
	v_fma_f64 v[82:83], v[72:73], v[100:101], s[78:79]
	v_add_f64 v[78:79], -v[76:77], 1.0
	v_fma_f64 v[82:83], v[72:73], v[82:83], s[80:81]
	v_add_f64 v[74:75], v[78:79], -v[74:75]
	v_fma_f64 v[82:83], v[72:73], v[82:83], s[82:83]
	v_mul_f64 v[78:79], v[72:73], v[72:73]
	v_fma_f64 v[82:83], v[72:73], v[82:83], s[66:67]
	v_fma_f64 v[74:75], v[84:85], -v[86:87], v[74:75]
	v_fmac_f64_e32 v[74:75], v[78:79], v[82:83]
	v_fmac_f64_e32 v[80:81], s[86:87], v[72:73]
	v_add_f64 v[74:75], v[76:77], v[74:75]
	v_fma_f64 v[76:77], v[72:73], v[80:81], s[88:89]
	v_fma_f64 v[76:77], v[72:73], v[76:77], s[90:91]
	;; [unrolled: 1-line block ×3, first 2 shown]
	v_mul_f64 v[78:79], v[84:85], -v[72:73]
	v_mul_f64 v[80:81], v[86:87], 0.5
	v_fmac_f64_e32 v[80:81], v[78:79], v[76:77]
	v_fma_f64 v[72:73], v[72:73], v[80:81], -v[86:87]
	v_fmac_f64_e32 v[72:73], s[92:93], v[78:79]
	v_add_f64 v[72:73], v[84:85], -v[72:73]
	v_cndmask_b32_e32 v12, 0, v19, vcc
	v_xor_b32_e32 v19, 0x80000000, v73
	v_and_b32_e32 v73, 1, v99
	v_cmp_eq_u32_e64 s[10:11], 0, v73
	v_lshlrev_b32_e32 v73, 30, v99
	v_cndmask_b32_e64 v19, v19, v75, s[10:11]
	v_and_b32_e32 v73, 0x80000000, v73
	v_cndmask_b32_e64 v72, v72, v74, s[10:11]
	v_xor_b32_e32 v19, v19, v73
	v_cndmask_b32_e32 v72, 0, v72, vcc
	v_cndmask_b32_e32 v73, v96, v19, vcc
	v_mul_f64 v[12:13], v[12:13], v[72:73]
.LBB162_166:                            ;   in Loop: Header=BB162_4 Depth=1
	s_or_b64 exec, exec, s[58:59]
	v_add_co_u32_e32 v10, vcc, 0, v10
	v_bfi_b32 v19, s73, 0, v13
	v_addc_co_u32_e32 v11, vcc, -2.0, v11, vcc
	v_pk_mov_b32 v[12:13], v[18:19], v[18:19] op_sel:[0,1]
.LBB162_167:                            ;   in Loop: Header=BB162_4 Depth=1
	s_or_b64 exec, exec, s[44:45]
	s_or_b64 exec, exec, s[14:15]
	s_and_saveexec_b64 s[10:11], s[0:1]
	s_xor_b64 s[0:1], exec, s[10:11]
	s_cbranch_execnz .LBB162_160
.LBB162_168:                            ;   in Loop: Header=BB162_4 Depth=1
	s_or_b64 exec, exec, s[0:1]
	s_and_saveexec_b64 s[0:1], s[2:3]
	s_cbranch_execz .LBB162_161
.LBB162_169:                            ;   in Loop: Header=BB162_4 Depth=1
	v_mov_b32_e32 v7, s70
	v_add_co_u32_e32 v6, vcc, s33, v24
	v_addc_co_u32_e32 v7, vcc, 0, v7, vcc
	global_store_dwordx4 v[6:7], v[2:5], off
	s_or_b64 exec, exec, s[0:1]
	s_and_saveexec_b64 s[0:1], s[6:7]
	s_cbranch_execnz .LBB162_162
.LBB162_170:                            ;   in Loop: Header=BB162_4 Depth=1
	s_or_b64 exec, exec, s[0:1]
	s_and_saveexec_b64 s[0:1], s[8:9]
	s_cbranch_execz .LBB162_3
.LBB162_171:                            ;   in Loop: Header=BB162_4 Depth=1
	v_mov_b32_e32 v3, s70
	v_add_co_u32_e32 v2, vcc, s33, v22
	v_addc_co_u32_e32 v3, vcc, v3, v23, vcc
	global_store_dwordx4 v[2:3], v[10:13], off offset:-8
	s_branch .LBB162_3
.LBB162_172:
	s_cbranch_execz .LBB162_174
	s_branch .LBB162_329
.LBB162_173:
.LBB162_174:
	v_mov_b32_e32 v16, 0
	v_lshlrev_b32_e32 v2, 2, v0
	v_mov_b32_e32 v3, v16
	s_mov_b32 s33, 0
	v_cmp_gt_i64_e32 vcc, s[12:13], v[2:3]
	s_and_saveexec_b64 s[0:1], vcc
	s_cbranch_execz .LBB162_329
; %bb.175:
	s_load_dword s0, s[4:5], 0xd3c
	v_readlane_b32 s2, v112, 0
	v_readlane_b32 s4, v112, 2
	;; [unrolled: 1-line block ×4, first 2 shown]
	s_waitcnt lgkmcnt(0)
	s_and_b32 s0, s0, 0xffff
	s_lshl_b32 s92, s0, 2
	s_add_u32 s1, s2, s4
	v_lshlrev_b32_e32 v1, 6, v0
	s_addc_u32 s2, s3, s5
	v_add_lshl_u32 v18, v0, s0, 2
	v_mov_b32_e32 v0, s2
	v_add_co_u32_e32 v20, vcc, s1, v1
	s_mov_b32 s4, 0
	s_mov_b32 s6, 0
	;; [unrolled: 1-line block ×26, first 2 shown]
	v_mov_b32_e32 v19, v16
	v_addc_co_u32_e32 v21, vcc, 0, v0, vcc
	s_lshl_b32 s93, s0, 6
	s_mov_b32 s94, s33
	s_mov_b64 s[2:3], 0
	s_brev_b32 s95, -2
	s_mov_b32 s26, 0x7ff00000
	s_movk_i32 s27, 0x1f8
	s_mov_b32 s42, 0x40360000
	s_mov_b32 s5, 0x41d00000
	;; [unrolled: 1-line block ×3, first 2 shown]
	s_movk_i32 s43, 0xff80
	s_mov_b32 s9, 0x7ff00000
	s_mov_b32 s11, 0x3ff921fb
	;; [unrolled: 1-line block ×19, first 2 shown]
	s_brev_b32 s57, 8
	v_mov_b32_e32 v82, 0x260
	s_mov_b32 s59, 0x3e21eeb6
	s_mov_b32 s61, 0xbda907db
	;; [unrolled: 1-line block ×8, first 2 shown]
	v_mov_b32_e32 v83, 0x40100000
	v_mov_b32_e32 v84, 0x3ff00000
	;; [unrolled: 1-line block ×49, first 2 shown]
	s_mov_b32 s73, 0x3ec71de3
	s_mov_b32 s75, 0xbf2a01a0
	;; [unrolled: 1-line block ×4, first 2 shown]
	s_mov_b64 s[80:81], 0xffff
	s_branch .LBB162_180
.LBB162_176:                            ;   in Loop: Header=BB162_180 Depth=1
	s_or_b64 exec, exec, s[0:1]
	v_mul_f64 v[70:71], v[66:67], v[66:67]
	v_pk_mov_b32 v[92:93], s[58:59], s[58:59] op_sel:[0,1]
	v_mul_f64 v[72:73], v[70:71], 0.5
	v_fma_f64 v[94:95], s[60:61], v[70:71], v[92:93]
	v_add_f64 v[74:75], -v[72:73], 1.0
	v_fma_f64 v[94:95], v[70:71], v[94:95], s[62:63]
	v_add_f64 v[76:77], -v[74:75], 1.0
	v_fma_f64 v[94:95], v[70:71], v[94:95], s[64:65]
	v_add_f64 v[72:73], v[76:77], -v[72:73]
	v_fma_f64 v[94:95], v[70:71], v[94:95], s[66:67]
	v_mul_f64 v[76:77], v[70:71], v[70:71]
	v_fma_f64 v[94:95], v[70:71], v[94:95], s[50:51]
	v_fma_f64 v[72:73], v[66:67], -v[68:69], v[72:73]
	v_fmac_f64_e32 v[72:73], v[76:77], v[94:95]
	v_add_f64 v[72:73], v[74:75], v[72:73]
	v_pk_mov_b32 v[74:75], s[68:69], s[68:69] op_sel:[0,1]
	v_fma_f64 v[76:77], s[70:71], v[70:71], v[74:75]
	v_fma_f64 v[76:77], v[70:71], v[76:77], s[72:73]
	;; [unrolled: 1-line block ×4, first 2 shown]
	v_mul_f64 v[94:95], v[66:67], -v[70:71]
	v_mul_f64 v[96:97], v[68:69], 0.5
	v_fmac_f64_e32 v[96:97], v[94:95], v[76:77]
	v_fma_f64 v[68:69], v[70:71], v[96:97], -v[68:69]
	s_mov_b32 s76, s50
	v_fmac_f64_e32 v[68:69], s[76:77], v[94:95]
	v_and_b32_e32 v17, 1, v88
	v_add_f64 v[66:67], v[66:67], -v[68:69]
	v_cmp_eq_u32_e32 vcc, 0, v17
	v_cndmask_b32_e32 v17, v72, v66, vcc
	v_cndmask_b32_e32 v66, v73, v67, vcc
	v_lshlrev_b32_e32 v67, 30, v88
	v_xor_b32_e32 v67, v67, v3
	v_and_b32_e32 v67, 0x80000000, v67
	v_xor_b32_e32 v66, v66, v67
	v_cmp_class_f64_e64 vcc, v[2:3], s27
	v_cndmask_b32_e32 v3, v87, v66, vcc
	v_mul_f64 v[66:67], v[78:79], v[78:79]
	v_mul_f64 v[68:69], v[66:67], 0.5
	v_fmac_f64_e32 v[92:93], s[60:61], v[66:67]
	v_add_f64 v[70:71], -v[68:69], 1.0
	v_fma_f64 v[76:77], v[66:67], v[92:93], s[62:63]
	v_add_f64 v[72:73], -v[70:71], 1.0
	v_fma_f64 v[76:77], v[66:67], v[76:77], s[64:65]
	v_add_f64 v[68:69], v[72:73], -v[68:69]
	v_fma_f64 v[76:77], v[66:67], v[76:77], s[66:67]
	v_mul_f64 v[72:73], v[66:67], v[66:67]
	v_fma_f64 v[76:77], v[66:67], v[76:77], s[50:51]
	v_fma_f64 v[68:69], v[78:79], -v[80:81], v[68:69]
	v_fmac_f64_e32 v[68:69], v[72:73], v[76:77]
	v_fmac_f64_e32 v[74:75], s[70:71], v[66:67]
	v_add_f64 v[68:69], v[70:71], v[68:69]
	v_fma_f64 v[70:71], v[66:67], v[74:75], s[72:73]
	v_fma_f64 v[70:71], v[66:67], v[70:71], s[74:75]
	;; [unrolled: 1-line block ×3, first 2 shown]
	v_mul_f64 v[72:73], v[78:79], -v[66:67]
	v_mul_f64 v[74:75], v[80:81], 0.5
	v_fmac_f64_e32 v[74:75], v[72:73], v[70:71]
	v_fma_f64 v[66:67], v[66:67], v[74:75], -v[80:81]
	v_fmac_f64_e32 v[66:67], s[76:77], v[72:73]
	v_add_f64 v[66:67], v[78:79], -v[66:67]
	v_cndmask_b32_e32 v2, 0, v17, vcc
	v_xor_b32_e32 v17, 0x80000000, v67
	v_and_b32_e32 v67, 1, v90
	v_cmp_eq_u32_e64 s[0:1], 0, v67
	v_lshlrev_b32_e32 v67, 30, v90
	v_cndmask_b32_e64 v17, v17, v69, s[0:1]
	v_and_b32_e32 v67, 0x80000000, v67
	v_cndmask_b32_e64 v66, v66, v68, s[0:1]
	v_xor_b32_e32 v17, v17, v67
	v_cndmask_b32_e32 v66, 0, v66, vcc
	v_cndmask_b32_e32 v67, v87, v17, vcc
	v_mul_f64 v[2:3], v[2:3], v[66:67]
.LBB162_177:                            ;   in Loop: Header=BB162_180 Depth=1
	s_or_b64 exec, exec, s[86:87]
	v_add_co_u32_e32 v0, vcc, 0, v0
	v_bfi_b32 v17, s95, 0, v3
	v_addc_co_u32_e32 v1, vcc, -2.0, v1, vcc
	v_pk_mov_b32 v[2:3], v[16:17], v[16:17] op_sel:[0,1]
.LBB162_178:                            ;   in Loop: Header=BB162_180 Depth=1
	s_or_b64 exec, exec, s[84:85]
.LBB162_179:                            ;   in Loop: Header=BB162_180 Depth=1
	s_or_b64 exec, exec, s[82:83]
	v_cmp_le_i64_e32 vcc, s[12:13], v[18:19]
	v_cmp_lt_u64_e64 s[0:1], s[80:81], v[18:19]
	global_store_dwordx4 v[20:21], v[12:15], off
	global_store_dwordx4 v[20:21], v[8:11], off offset:16
	global_store_dwordx4 v[20:21], v[4:7], off offset:32
	;; [unrolled: 1-line block ×3, first 2 shown]
	s_or_b64 s[0:1], vcc, s[0:1]
	v_mov_b32_e32 v0, s33
	v_add_co_u32_e32 v18, vcc, s92, v18
	v_addc_co_u32_e32 v19, vcc, v19, v0, vcc
	v_mov_b32_e32 v0, s94
	s_and_b64 s[0:1], exec, s[0:1]
	v_add_co_u32_e32 v20, vcc, s93, v20
	s_or_b64 s[2:3], s[0:1], s[2:3]
	v_addc_co_u32_e32 v21, vcc, v21, v0, vcc
	s_andn2_b64 exec, exec, s[2:3]
	s_cbranch_execz .LBB162_329
.LBB162_180:                            ; =>This Inner Loop Header: Depth=1
	global_load_dwordx4 v[8:11], v[20:21], off offset:16
	global_load_dwordx4 v[12:15], v[20:21], off
	global_load_dwordx4 v[0:3], v[20:21], off offset:48
	global_load_dwordx4 v[4:7], v[20:21], off offset:32
	s_waitcnt vmcnt(2)
	v_and_b32_e32 v17, 0x7fffffff, v13
	v_cmp_gt_u32_e32 vcc, s26, v17
	s_and_saveexec_b64 s[0:1], vcc
	s_xor_b64 s[82:83], exec, s[0:1]
	s_cbranch_execz .LBB162_202
; %bb.181:                              ;   in Loop: Header=BB162_180 Depth=1
	v_cmp_class_f64_e64 s[0:1], v[14:15], s27
	s_and_saveexec_b64 s[84:85], s[0:1]
	s_xor_b64 s[84:85], exec, s[84:85]
	s_cbranch_execz .LBB162_199
; %bb.182:                              ;   in Loop: Header=BB162_180 Depth=1
	v_cmp_gt_u32_e32 vcc, s42, v17
	s_and_saveexec_b64 s[0:1], vcc
	s_xor_b64 s[86:87], exec, s[0:1]
	s_cbranch_execz .LBB162_188
; %bb.183:                              ;   in Loop: Header=BB162_180 Depth=1
	v_cmp_nlt_f64_e64 s[0:1], |v[14:15]|, s[4:5]
                                        ; implicit-def: $vgpr70
                                        ; implicit-def: $vgpr66_vgpr67
                                        ; implicit-def: $vgpr68_vgpr69
	s_and_saveexec_b64 s[88:89], s[0:1]
	s_xor_b64 s[88:89], exec, s[88:89]
	s_cbranch_execz .LBB162_185
; %bb.184:                              ;   in Loop: Header=BB162_180 Depth=1
	v_and_b32_e32 v17, 0x7fffffff, v15
	v_ldexp_f64 v[70:71], |v[14:15]|, s43
	v_cmp_ge_f64_e64 vcc, |v[14:15]|, s[6:7]
	v_trig_preop_f64 v[66:67], |v[14:15]|, 0
	v_cndmask_b32_e32 v71, v17, v71, vcc
	v_cndmask_b32_e32 v70, v14, v70, vcc
	v_trig_preop_f64 v[68:69], |v[14:15]|, 1
	v_mul_f64 v[74:75], v[66:67], v[70:71]
	v_mul_f64 v[72:73], v[68:69], v[70:71]
	v_fma_f64 v[66:67], v[66:67], v[70:71], -v[74:75]
	v_add_f64 v[76:77], v[72:73], v[66:67]
	v_add_f64 v[78:79], v[74:75], v[76:77]
	v_ldexp_f64 v[80:81], v[78:79], -2
	v_fract_f64_e32 v[88:89], v[80:81]
	v_cmp_neq_f64_e64 vcc, |v[80:81]|, s[8:9]
	v_cndmask_b32_e32 v81, 0, v89, vcc
	v_cndmask_b32_e32 v80, 0, v88, vcc
	v_add_f64 v[88:89], v[76:77], -v[72:73]
	v_add_f64 v[66:67], v[66:67], -v[88:89]
	;; [unrolled: 1-line block ×4, first 2 shown]
	v_fma_f64 v[68:69], v[68:69], v[70:71], -v[72:73]
	v_trig_preop_f64 v[72:73], |v[14:15]|, 2
	v_add_f64 v[66:67], v[66:67], v[88:89]
	v_mul_f64 v[88:89], v[72:73], v[70:71]
	v_add_f64 v[90:91], v[88:89], v[68:69]
	v_add_f64 v[92:93], v[90:91], v[66:67]
	v_add_f64 v[74:75], v[78:79], -v[74:75]
	v_add_f64 v[78:79], v[92:93], -v[90:91]
	;; [unrolled: 1-line block ×5, first 2 shown]
	v_add_f64 v[66:67], v[66:67], v[78:79]
	v_add_f64 v[78:79], v[90:91], -v[88:89]
	v_add_f64 v[68:69], v[68:69], -v[78:79]
	;; [unrolled: 1-line block ×4, first 2 shown]
	v_add_f64 v[68:69], v[68:69], v[78:79]
	v_add_f64 v[74:75], v[76:77], -v[74:75]
	v_add_f64 v[66:67], v[68:69], v[66:67]
	v_fma_f64 v[68:69], v[72:73], v[70:71], -v[88:89]
	v_add_f64 v[76:77], v[74:75], v[92:93]
	v_add_f64 v[66:67], v[68:69], v[66:67]
	v_ldexp_f64 v[68:69], v[80:81], 2
	v_add_f64 v[70:71], v[76:77], v[68:69]
	v_cmp_gt_f64_e32 vcc, 0, v[70:71]
	v_cndmask_b32_e32 v17, 0, v83, vcc
	v_add_f64 v[68:69], v[68:69], v[16:17]
	v_add_f64 v[70:71], v[76:77], v[68:69]
	v_cvt_i32_f64_e32 v17, v[70:71]
	v_cvt_f64_i32_e32 v[70:71], v17
	v_add_f64 v[68:69], v[68:69], -v[70:71]
	v_add_f64 v[74:75], v[76:77], -v[74:75]
	v_add_f64 v[72:73], v[76:77], v[68:69]
	v_add_f64 v[74:75], v[92:93], -v[74:75]
	v_add_f64 v[68:69], v[72:73], -v[68:69]
	v_cmp_le_f64_e32 vcc, 0.5, v[72:73]
	v_add_f64 v[66:67], v[74:75], v[66:67]
	v_add_f64 v[68:69], v[76:77], -v[68:69]
	v_addc_co_u32_e64 v70, s[0:1], 0, v17, vcc
	v_cndmask_b32_e32 v17, 0, v84, vcc
	v_add_f64 v[66:67], v[66:67], v[68:69]
	v_add_f64 v[68:69], v[72:73], -v[16:17]
	v_add_f64 v[72:73], v[68:69], v[66:67]
	v_add_f64 v[68:69], v[72:73], -v[68:69]
	s_mov_b32 s10, s14
	v_add_f64 v[66:67], v[66:67], -v[68:69]
	v_mul_f64 v[68:69], v[72:73], s[10:11]
	v_fma_f64 v[74:75], v[72:73], s[10:11], -v[68:69]
	s_mov_b32 s19, s17
	v_fmac_f64_e32 v[74:75], s[18:19], v[72:73]
	v_fmac_f64_e32 v[74:75], s[10:11], v[66:67]
	v_add_f64 v[66:67], v[68:69], v[74:75]
	v_add_f64 v[68:69], v[66:67], -v[68:69]
	v_add_f64 v[68:69], v[74:75], -v[68:69]
.LBB162_185:                            ;   in Loop: Header=BB162_180 Depth=1
	s_andn2_saveexec_b64 s[0:1], s[88:89]
	s_cbranch_execz .LBB162_187
; %bb.186:                              ;   in Loop: Header=BB162_180 Depth=1
	v_mul_f64 v[66:67], |v[14:15]|, s[20:21]
	v_rndne_f64_e32 v[70:71], v[66:67]
	v_fma_f64 v[66:67], v[70:71], s[14:15], |v[14:15]|
	v_mul_f64 v[72:73], v[70:71], s[22:23]
	v_add_f64 v[76:77], v[66:67], v[72:73]
	v_fma_f64 v[68:69], s[22:23], v[70:71], v[66:67]
	s_mov_b32 s16, s22
	v_add_f64 v[66:67], v[66:67], -v[76:77]
	v_fma_f64 v[74:75], s[16:17], v[70:71], v[72:73]
	v_add_f64 v[66:67], v[66:67], v[72:73]
	v_add_f64 v[72:73], v[76:77], -v[68:69]
	v_add_f64 v[66:67], v[72:73], v[66:67]
	v_add_f64 v[72:73], v[66:67], -v[74:75]
	v_fmac_f64_e32 v[72:73], s[24:25], v[70:71]
	v_add_f64 v[66:67], v[68:69], v[72:73]
	v_add_f64 v[68:69], v[66:67], -v[68:69]
	v_add_f64 v[68:69], v[72:73], -v[68:69]
	v_cvt_i32_f64_e32 v70, v[70:71]
.LBB162_187:                            ;   in Loop: Header=BB162_180 Depth=1
	s_or_b64 exec, exec, s[0:1]
	v_mul_f64 v[72:73], v[66:67], v[66:67]
	v_fma_f64 v[74:75], v[66:67], v[66:67], -v[72:73]
	v_add_f64 v[76:77], v[68:69], v[68:69]
	v_fmac_f64_e32 v[74:75], v[66:67], v[76:77]
	s_mov_b32 s0, 0xc751c08c
	v_add_f64 v[72:73], v[72:73], v[74:75]
	v_pk_mov_b32 v[74:75], v[22:23], v[22:23] op_sel:[0,1]
	s_mov_b32 s1, 0x3ef5e089
	v_fmac_f64_e32 v[74:75], s[0:1], v[72:73]
	v_pk_mov_b32 v[76:77], v[24:25], v[24:25] op_sel:[0,1]
	v_fmac_f64_e32 v[76:77], v[72:73], v[74:75]
	v_pk_mov_b32 v[74:75], v[26:27], v[26:27] op_sel:[0,1]
	;; [unrolled: 2-line block ×12, first 2 shown]
	v_fmac_f64_e32 v[74:75], v[72:73], v[76:77]
	v_mul_f64 v[72:73], v[72:73], v[74:75]
	v_mul_f64 v[74:75], v[66:67], v[72:73]
	v_add_f64 v[76:77], v[66:67], v[74:75]
	v_fma_f64 v[72:73], v[66:67], v[72:73], -v[74:75]
	v_add_f64 v[66:67], v[76:77], -v[66:67]
	v_add_f64 v[66:67], v[74:75], -v[66:67]
	v_add_f64 v[68:69], v[68:69], v[72:73]
	v_add_f64 v[66:67], v[68:69], v[66:67]
	;; [unrolled: 1-line block ×3, first 2 shown]
	v_rcp_f64_e32 v[72:73], v[68:69]
	v_and_b32_e32 v14, 1, v70
	v_add_f64 v[70:71], v[68:69], -v[76:77]
	v_add_f64 v[66:67], v[66:67], -v[70:71]
	v_fma_f64 v[70:71], -v[68:69], v[72:73], 1.0
	v_fmac_f64_e32 v[72:73], v[70:71], v[72:73]
	v_fma_f64 v[70:71], -v[68:69], v[72:73], 1.0
	v_fmac_f64_e32 v[72:73], v[70:71], v[72:73]
	v_mul_f64 v[70:71], v[68:69], v[72:73]
	v_fma_f64 v[74:75], v[72:73], v[68:69], -v[70:71]
	v_fmac_f64_e32 v[74:75], v[72:73], v[66:67]
	v_add_f64 v[66:67], v[70:71], v[74:75]
	v_add_f64 v[76:77], -v[66:67], 1.0
	v_add_f64 v[70:71], v[66:67], -v[70:71]
	v_add_f64 v[78:79], -v[76:77], 1.0
	v_add_f64 v[66:67], v[78:79], -v[66:67]
	v_add_f64 v[70:71], v[70:71], -v[74:75]
	v_add_f64 v[66:67], v[70:71], v[66:67]
	v_add_f64 v[66:67], v[76:77], v[66:67]
	v_mul_f64 v[66:67], v[72:73], v[66:67]
	v_add_f64 v[66:67], v[72:73], v[66:67]
	v_cmp_eq_u32_e32 vcc, 0, v14
	v_xor_b32_e32 v17, 0x80000000, v67
	v_cndmask_b32_e32 v14, v66, v68, vcc
	v_add_f64 v[66:67], |v[12:13]|, s[28:29]
	v_cndmask_b32_e32 v17, v17, v69, vcc
	v_add_f64 v[68:69], v[66:67], -|v[12:13]|
	v_add_f64 v[70:71], v[68:69], -v[66:67]
	s_mov_b32 s30, s28
	v_add_f64 v[70:71], |v[12:13]|, v[70:71]
	v_add_f64 v[68:69], v[68:69], s[30:31]
	v_add_f64 v[68:69], v[70:71], -v[68:69]
	v_add_f64 v[68:69], v[68:69], s[34:35]
	v_add_f64 v[70:71], v[66:67], v[68:69]
	v_add_f64 v[66:67], v[66:67], -v[70:71]
	s_mov_b32 s36, s38
	v_add_f64 v[66:67], v[68:69], v[66:67]
	v_mul_f64 v[68:69], v[70:71], s[36:37]
	v_rndne_f64_e32 v[68:69], v[68:69]
	s_mov_b32 s41, s29
	v_fmac_f64_e32 v[70:71], s[40:41], v[68:69]
	v_add_f64 v[72:73], v[66:67], v[70:71]
	s_mov_b32 s0, 0xf278e000
	v_add_f64 v[70:71], v[70:71], -v[72:73]
	s_mov_b32 s1, 0xbd53de6a
	v_add_f64 v[66:67], v[66:67], v[70:71]
	v_mul_f64 v[70:71], v[68:69], s[0:1]
	v_add_f64 v[74:75], v[72:73], v[70:71]
	v_add_f64 v[72:73], v[72:73], -v[74:75]
	v_add_f64 v[70:71], v[72:73], v[70:71]
	v_add_f64 v[66:67], v[66:67], v[70:71]
	;; [unrolled: 1-line block ×3, first 2 shown]
	s_mov_b32 s0, 0xf97b57a0
	v_add_f64 v[72:73], v[74:75], -v[70:71]
	s_mov_b32 s1, 0xbac9cc01
	v_add_f64 v[66:67], v[66:67], v[72:73]
	v_mul_f64 v[72:73], v[68:69], s[0:1]
	v_add_f64 v[74:75], v[70:71], v[72:73]
	v_add_f64 v[70:71], v[70:71], -v[74:75]
	v_add_f64 v[70:71], v[70:71], v[72:73]
	v_add_f64 v[66:67], v[66:67], v[70:71]
	;; [unrolled: 1-line block ×3, first 2 shown]
	v_add_f64 v[72:73], v[74:75], -v[70:71]
	v_add_f64 v[66:67], v[66:67], v[72:73]
	v_pk_mov_b32 v[72:73], v[48:49], v[48:49] op_sel:[0,1]
	v_fmac_f64_e32 v[72:73], s[46:47], v[70:71]
	v_pk_mov_b32 v[74:75], v[50:51], v[50:51] op_sel:[0,1]
	v_fmac_f64_e32 v[74:75], v[70:71], v[72:73]
	;; [unrolled: 2-line block ×9, first 2 shown]
	v_mul_f64 v[74:75], v[70:71], v[70:71]
	v_fma_f64 v[76:77], v[70:71], v[70:71], -v[74:75]
	v_add_f64 v[78:79], v[66:67], v[66:67]
	v_fmac_f64_e32 v[76:77], v[70:71], v[78:79]
	v_add_f64 v[78:79], v[74:75], v[76:77]
	v_add_f64 v[74:75], v[78:79], -v[74:75]
	v_add_f64 v[74:75], v[76:77], -v[74:75]
	v_mul_f64 v[76:77], v[78:79], v[72:73]
	v_fma_f64 v[78:79], v[78:79], v[72:73], -v[76:77]
	v_fmac_f64_e32 v[78:79], v[74:75], v[72:73]
	v_add_f64 v[72:73], v[76:77], v[78:79]
	v_add_f64 v[74:75], v[72:73], -v[76:77]
	v_add_f64 v[76:77], v[70:71], v[72:73]
	v_add_f64 v[74:75], v[78:79], -v[74:75]
	v_add_f64 v[70:71], v[76:77], -v[70:71]
	;; [unrolled: 1-line block ×3, first 2 shown]
	v_add_f64 v[66:67], v[66:67], v[74:75]
	v_add_f64 v[66:67], v[66:67], v[70:71]
	;; [unrolled: 1-line block ×3, first 2 shown]
	v_add_f64 v[72:73], v[70:71], -v[76:77]
	v_add_f64 v[66:67], v[66:67], -v[72:73]
	v_add_f64 v[72:73], v[70:71], 1.0
	v_add_f64 v[74:75], v[72:73], -1.0
	v_add_f64 v[70:71], v[70:71], -v[74:75]
	v_add_f64 v[66:67], v[66:67], v[70:71]
	v_add_f64 v[70:71], v[72:73], v[66:67]
	v_cvt_i32_f64_e32 v76, v[68:69]
	v_ldexp_f64 v[68:69], v[70:71], v76
	v_rcp_f64_e32 v[74:75], v[68:69]
	v_add_f64 v[70:71], v[70:71], -v[72:73]
	v_add_f64 v[66:67], v[66:67], -v[70:71]
	v_ldexp_f64 v[66:67], v[66:67], v76
	v_fma_f64 v[70:71], -v[68:69], v[74:75], 1.0
	v_fmac_f64_e32 v[74:75], v[70:71], v[74:75]
	v_fma_f64 v[70:71], -v[68:69], v[74:75], 1.0
	v_fmac_f64_e32 v[74:75], v[70:71], v[74:75]
	v_mul_f64 v[70:71], v[68:69], v[74:75]
	v_fma_f64 v[72:73], v[74:75], v[68:69], -v[70:71]
	v_fmac_f64_e32 v[72:73], v[74:75], v[66:67]
	v_add_f64 v[76:77], v[70:71], v[72:73]
	v_add_f64 v[78:79], -v[76:77], 1.0
	v_add_f64 v[70:71], v[76:77], -v[70:71]
	v_add_f64 v[80:81], -v[78:79], 1.0
	v_add_f64 v[76:77], v[80:81], -v[76:77]
	v_add_f64 v[70:71], v[70:71], -v[72:73]
	v_add_f64 v[70:71], v[70:71], v[76:77]
	v_add_f64 v[72:73], v[78:79], v[70:71]
	v_add_f64 v[76:77], v[78:79], -v[72:73]
	v_add_f64 v[70:71], v[70:71], v[76:77]
	v_mul_f64 v[76:77], v[74:75], v[72:73]
	v_mul_f64 v[78:79], v[68:69], v[76:77]
	v_fma_f64 v[80:81], v[76:77], v[68:69], -v[78:79]
	v_fmac_f64_e32 v[80:81], v[76:77], v[66:67]
	v_add_f64 v[88:89], v[78:79], v[80:81]
	v_add_f64 v[90:91], v[72:73], -v[88:89]
	v_add_f64 v[72:73], v[72:73], -v[90:91]
	v_add_f64 v[78:79], v[88:89], -v[78:79]
	v_add_f64 v[72:73], v[72:73], -v[88:89]
	v_add_f64 v[70:71], v[70:71], v[72:73]
	v_add_f64 v[72:73], v[78:79], -v[80:81]
	v_add_f64 v[70:71], v[72:73], v[70:71]
	v_add_f64 v[70:71], v[90:91], v[70:71]
	;; [unrolled: 1-line block ×3, first 2 shown]
	v_mul_f64 v[70:71], v[74:75], v[70:71]
	v_add_f64 v[74:75], v[72:73], -v[74:75]
	v_add_f64 v[74:75], v[76:77], -v[74:75]
	v_add_f64 v[70:71], v[74:75], v[70:71]
	v_add_f64 v[74:75], v[72:73], v[70:71]
	v_add_f64 v[72:73], v[74:75], -v[72:73]
	v_add_f64 v[70:71], v[70:71], -v[72:73]
	v_ldexp_f64 v[72:73], v[74:75], -2
	v_add_f64 v[74:75], v[68:69], -v[72:73]
	v_add_f64 v[68:69], v[68:69], -v[74:75]
	;; [unrolled: 1-line block ×3, first 2 shown]
	v_ldexp_f64 v[70:71], v[70:71], -2
	v_add_f64 v[66:67], v[66:67], v[68:69]
	v_add_f64 v[66:67], v[66:67], -v[70:71]
	v_add_f64 v[66:67], v[74:75], v[66:67]
	v_cmp_nge_f64_e64 vcc, |v[12:13]|, s[52:53]
	v_and_b32_e32 v92, 0x7fffffff, v13
	v_cndmask_b32_e32 v67, v85, v67, vcc
	v_cndmask_b32_e32 v66, 0, v66, vcc
	v_cmp_lt_f64_e64 vcc, |v[12:13]|, s[54:55]
	v_cndmask_b32_e32 v12, v66, v12, vcc
	v_cndmask_b32_e32 v66, v67, v92, vcc
	v_bfi_b32 v13, s95, v66, v13
	v_fma_f64 v[66:67], v[12:13], v[12:13], 1.0
	v_cmp_gt_f64_e32 vcc, s[56:57], v[66:67]
	v_cndmask_b32_e64 v68, 0, 1, vcc
	v_lshlrev_b32_e32 v68, 8, v68
	v_ldexp_f64 v[66:67], v[66:67], v68
	v_rsq_f64_e32 v[68:69], v[66:67]
	v_and_b32_e32 v15, 0x80000000, v15
	v_xor_b32_e32 v15, v17, v15
	v_cndmask_b32_e32 v17, 0, v86, vcc
	v_mul_f64 v[72:73], v[66:67], v[68:69]
	v_mul_f64 v[68:69], v[68:69], 0.5
	v_fma_f64 v[74:75], -v[68:69], v[72:73], 0.5
	v_fmac_f64_e32 v[72:73], v[72:73], v[74:75]
	v_fma_f64 v[76:77], -v[72:73], v[72:73], v[66:67]
	v_fmac_f64_e32 v[68:69], v[68:69], v[74:75]
	v_fmac_f64_e32 v[72:73], v[76:77], v[68:69]
	v_fma_f64 v[74:75], -v[72:73], v[72:73], v[66:67]
	v_fmac_f64_e32 v[72:73], v[74:75], v[68:69]
	v_ldexp_f64 v[68:69], v[72:73], v17
	v_cmp_class_f64_e32 vcc, v[66:67], v82
	v_fma_f64 v[70:71], v[14:15], v[14:15], 1.0
	v_cndmask_b32_e32 v67, v69, v67, vcc
	v_cndmask_b32_e32 v66, v68, v66, vcc
	v_mul_f64 v[68:69], v[12:13], v[70:71]
	v_mul_f64 v[66:67], v[66:67], v[70:71]
	v_fma_f64 v[68:69], v[12:13], v[68:69], 1.0
	v_mul_f64 v[12:13], v[12:13], v[66:67]
	v_div_scale_f64 v[66:67], s[0:1], v[68:69], v[68:69], v[12:13]
	v_rcp_f64_e32 v[70:71], v[66:67]
	v_fma_f64 v[72:73], -v[66:67], v[70:71], 1.0
	v_fmac_f64_e32 v[70:71], v[70:71], v[72:73]
	v_fma_f64 v[72:73], -v[66:67], v[70:71], 1.0
	v_fmac_f64_e32 v[70:71], v[70:71], v[72:73]
	v_div_scale_f64 v[72:73], vcc, v[12:13], v[68:69], v[12:13]
	v_mul_f64 v[74:75], v[72:73], v[70:71]
	v_fma_f64 v[66:67], -v[66:67], v[74:75], v[72:73]
	v_div_scale_f64 v[72:73], s[0:1], v[68:69], v[68:69], v[14:15]
	v_rcp_f64_e32 v[76:77], v[72:73]
	v_div_fmas_f64 v[66:67], v[66:67], v[70:71], v[74:75]
	v_div_fixup_f64 v[12:13], v[66:67], v[68:69], v[12:13]
	v_fma_f64 v[66:67], -v[72:73], v[76:77], 1.0
	v_fmac_f64_e32 v[76:77], v[76:77], v[66:67]
	v_fma_f64 v[66:67], -v[72:73], v[76:77], 1.0
	v_fmac_f64_e32 v[76:77], v[76:77], v[66:67]
	v_div_scale_f64 v[66:67], vcc, v[14:15], v[68:69], v[14:15]
	v_mul_f64 v[70:71], v[66:67], v[76:77]
	v_fma_f64 v[66:67], -v[72:73], v[70:71], v[66:67]
	s_nop 1
	v_div_fmas_f64 v[66:67], v[66:67], v[76:77], v[70:71]
	v_div_fixup_f64 v[14:15], v[66:67], v[68:69], v[14:15]
.LBB162_188:                            ;   in Loop: Header=BB162_180 Depth=1
	s_andn2_saveexec_b64 s[86:87], s[86:87]
	s_cbranch_execz .LBB162_191
; %bb.189:                              ;   in Loop: Header=BB162_180 Depth=1
	v_cmp_nlt_f64_e64 s[88:89], |v[14:15]|, s[4:5]
                                        ; implicit-def: $vgpr74
                                        ; implicit-def: $vgpr66_vgpr67
                                        ; implicit-def: $vgpr68_vgpr69
	s_and_saveexec_b64 s[0:1], s[88:89]
	s_xor_b64 s[90:91], exec, s[0:1]
	s_cbranch_execz .LBB162_192
; %bb.190:                              ;   in Loop: Header=BB162_180 Depth=1
	v_and_b32_e32 v17, 0x7fffffff, v15
	v_ldexp_f64 v[70:71], |v[14:15]|, s43
	v_cmp_ge_f64_e64 vcc, |v[14:15]|, s[6:7]
	v_trig_preop_f64 v[66:67], |v[14:15]|, 0
	v_cndmask_b32_e32 v71, v17, v71, vcc
	v_cndmask_b32_e32 v70, v14, v70, vcc
	v_trig_preop_f64 v[68:69], |v[14:15]|, 1
	v_mul_f64 v[74:75], v[66:67], v[70:71]
	v_mul_f64 v[72:73], v[68:69], v[70:71]
	v_fma_f64 v[66:67], v[66:67], v[70:71], -v[74:75]
	v_add_f64 v[76:77], v[72:73], v[66:67]
	v_add_f64 v[78:79], v[74:75], v[76:77]
	v_ldexp_f64 v[80:81], v[78:79], -2
	v_fract_f64_e32 v[88:89], v[80:81]
	v_cmp_neq_f64_e64 vcc, |v[80:81]|, s[8:9]
	v_cndmask_b32_e32 v81, 0, v89, vcc
	v_cndmask_b32_e32 v80, 0, v88, vcc
	v_add_f64 v[88:89], v[76:77], -v[72:73]
	v_add_f64 v[66:67], v[66:67], -v[88:89]
	;; [unrolled: 1-line block ×4, first 2 shown]
	v_fma_f64 v[68:69], v[68:69], v[70:71], -v[72:73]
	v_trig_preop_f64 v[72:73], |v[14:15]|, 2
	v_add_f64 v[66:67], v[66:67], v[88:89]
	v_mul_f64 v[88:89], v[72:73], v[70:71]
	v_add_f64 v[90:91], v[88:89], v[68:69]
	v_add_f64 v[92:93], v[90:91], v[66:67]
	v_add_f64 v[74:75], v[78:79], -v[74:75]
	v_add_f64 v[78:79], v[92:93], -v[90:91]
	;; [unrolled: 1-line block ×5, first 2 shown]
	v_add_f64 v[66:67], v[66:67], v[78:79]
	v_add_f64 v[78:79], v[90:91], -v[88:89]
	v_add_f64 v[68:69], v[68:69], -v[78:79]
	;; [unrolled: 1-line block ×4, first 2 shown]
	v_add_f64 v[68:69], v[68:69], v[78:79]
	v_add_f64 v[74:75], v[76:77], -v[74:75]
	v_add_f64 v[66:67], v[68:69], v[66:67]
	v_fma_f64 v[68:69], v[72:73], v[70:71], -v[88:89]
	v_add_f64 v[76:77], v[74:75], v[92:93]
	v_add_f64 v[66:67], v[68:69], v[66:67]
	v_ldexp_f64 v[68:69], v[80:81], 2
	v_add_f64 v[70:71], v[76:77], v[68:69]
	v_cmp_gt_f64_e32 vcc, 0, v[70:71]
	v_cndmask_b32_e32 v17, 0, v83, vcc
	v_add_f64 v[68:69], v[68:69], v[16:17]
	v_add_f64 v[70:71], v[76:77], v[68:69]
	v_cvt_i32_f64_e32 v17, v[70:71]
	v_cvt_f64_i32_e32 v[70:71], v17
	v_add_f64 v[68:69], v[68:69], -v[70:71]
	v_add_f64 v[74:75], v[76:77], -v[74:75]
	v_add_f64 v[70:71], v[76:77], v[68:69]
	v_add_f64 v[74:75], v[92:93], -v[74:75]
	v_add_f64 v[68:69], v[70:71], -v[68:69]
	v_cmp_le_f64_e32 vcc, 0.5, v[70:71]
	v_add_f64 v[66:67], v[74:75], v[66:67]
	v_add_f64 v[68:69], v[76:77], -v[68:69]
	v_addc_co_u32_e64 v74, s[0:1], 0, v17, vcc
	v_cndmask_b32_e32 v17, 0, v84, vcc
	v_add_f64 v[66:67], v[66:67], v[68:69]
	v_add_f64 v[68:69], v[70:71], -v[16:17]
	v_add_f64 v[70:71], v[68:69], v[66:67]
	v_add_f64 v[68:69], v[70:71], -v[68:69]
	s_mov_b32 s10, s14
	v_add_f64 v[66:67], v[66:67], -v[68:69]
	v_mul_f64 v[68:69], v[70:71], s[10:11]
	v_fma_f64 v[72:73], v[70:71], s[10:11], -v[68:69]
	s_mov_b32 s19, s17
	v_fmac_f64_e32 v[72:73], s[18:19], v[70:71]
	v_fmac_f64_e32 v[72:73], s[10:11], v[66:67]
	v_add_f64 v[66:67], v[68:69], v[72:73]
	v_add_f64 v[68:69], v[66:67], -v[68:69]
	v_add_f64 v[68:69], v[72:73], -v[68:69]
	s_andn2_saveexec_b64 s[0:1], s[90:91]
	s_cbranch_execz .LBB162_194
	s_branch .LBB162_193
.LBB162_191:                            ;   in Loop: Header=BB162_180 Depth=1
	s_or_b64 exec, exec, s[86:87]
	s_andn2_saveexec_b64 s[0:1], s[84:85]
	s_cbranch_execnz .LBB162_200
	s_branch .LBB162_201
.LBB162_192:                            ;   in Loop: Header=BB162_180 Depth=1
	s_andn2_saveexec_b64 s[0:1], s[90:91]
	s_cbranch_execz .LBB162_194
.LBB162_193:                            ;   in Loop: Header=BB162_180 Depth=1
	v_mul_f64 v[66:67], |v[14:15]|, s[20:21]
	v_rndne_f64_e32 v[70:71], v[66:67]
	v_fma_f64 v[66:67], v[70:71], s[14:15], |v[14:15]|
	v_mul_f64 v[72:73], v[70:71], s[22:23]
	v_add_f64 v[76:77], v[66:67], v[72:73]
	v_fma_f64 v[68:69], s[22:23], v[70:71], v[66:67]
	s_mov_b32 s16, s22
	v_add_f64 v[66:67], v[66:67], -v[76:77]
	v_fma_f64 v[74:75], s[16:17], v[70:71], v[72:73]
	v_add_f64 v[66:67], v[66:67], v[72:73]
	v_add_f64 v[72:73], v[76:77], -v[68:69]
	v_add_f64 v[66:67], v[72:73], v[66:67]
	v_add_f64 v[72:73], v[66:67], -v[74:75]
	v_fmac_f64_e32 v[72:73], s[24:25], v[70:71]
	v_add_f64 v[66:67], v[68:69], v[72:73]
	v_add_f64 v[68:69], v[66:67], -v[68:69]
	v_add_f64 v[68:69], v[72:73], -v[68:69]
	v_cvt_i32_f64_e32 v74, v[70:71]
.LBB162_194:                            ;   in Loop: Header=BB162_180 Depth=1
	s_or_b64 exec, exec, s[0:1]
                                        ; implicit-def: $vgpr75
                                        ; implicit-def: $vgpr70_vgpr71
                                        ; implicit-def: $vgpr72_vgpr73
	s_and_saveexec_b64 s[0:1], s[88:89]
	s_xor_b64 s[88:89], exec, s[0:1]
	s_cbranch_execz .LBB162_196
; %bb.195:                              ;   in Loop: Header=BB162_180 Depth=1
	v_and_b32_e32 v17, 0x7fffffff, v15
	v_ldexp_f64 v[76:77], |v[14:15]|, s43
	v_cmp_ge_f64_e64 vcc, |v[14:15]|, s[6:7]
	v_trig_preop_f64 v[70:71], |v[14:15]|, 0
	v_cndmask_b32_e32 v77, v17, v77, vcc
	v_cndmask_b32_e32 v76, v14, v76, vcc
	v_trig_preop_f64 v[72:73], |v[14:15]|, 1
	v_mul_f64 v[80:81], v[70:71], v[76:77]
	v_mul_f64 v[78:79], v[72:73], v[76:77]
	v_fma_f64 v[70:71], v[70:71], v[76:77], -v[80:81]
	v_add_f64 v[88:89], v[78:79], v[70:71]
	v_add_f64 v[90:91], v[80:81], v[88:89]
	v_ldexp_f64 v[92:93], v[90:91], -2
	v_fract_f64_e32 v[94:95], v[92:93]
	v_cmp_neq_f64_e64 vcc, |v[92:93]|, s[8:9]
	v_cndmask_b32_e32 v93, 0, v95, vcc
	v_cndmask_b32_e32 v92, 0, v94, vcc
	v_add_f64 v[94:95], v[88:89], -v[78:79]
	v_add_f64 v[70:71], v[70:71], -v[94:95]
	;; [unrolled: 1-line block ×4, first 2 shown]
	v_fma_f64 v[72:73], v[72:73], v[76:77], -v[78:79]
	v_trig_preop_f64 v[78:79], |v[14:15]|, 2
	v_add_f64 v[70:71], v[70:71], v[94:95]
	v_mul_f64 v[94:95], v[78:79], v[76:77]
	v_add_f64 v[96:97], v[94:95], v[72:73]
	v_add_f64 v[98:99], v[96:97], v[70:71]
	v_add_f64 v[80:81], v[90:91], -v[80:81]
	v_add_f64 v[90:91], v[98:99], -v[96:97]
	;; [unrolled: 1-line block ×5, first 2 shown]
	v_add_f64 v[70:71], v[70:71], v[90:91]
	v_add_f64 v[90:91], v[96:97], -v[94:95]
	v_add_f64 v[72:73], v[72:73], -v[90:91]
	;; [unrolled: 1-line block ×4, first 2 shown]
	v_add_f64 v[72:73], v[72:73], v[90:91]
	v_add_f64 v[80:81], v[88:89], -v[80:81]
	v_add_f64 v[70:71], v[72:73], v[70:71]
	v_fma_f64 v[72:73], v[78:79], v[76:77], -v[94:95]
	v_add_f64 v[88:89], v[80:81], v[98:99]
	v_add_f64 v[70:71], v[72:73], v[70:71]
	v_ldexp_f64 v[72:73], v[92:93], 2
	v_add_f64 v[76:77], v[88:89], v[72:73]
	v_cmp_gt_f64_e32 vcc, 0, v[76:77]
	v_cndmask_b32_e32 v17, 0, v83, vcc
	v_add_f64 v[72:73], v[72:73], v[16:17]
	v_add_f64 v[76:77], v[88:89], v[72:73]
	v_cvt_i32_f64_e32 v17, v[76:77]
	v_cvt_f64_i32_e32 v[76:77], v17
	v_add_f64 v[72:73], v[72:73], -v[76:77]
	v_add_f64 v[80:81], v[88:89], -v[80:81]
	v_add_f64 v[76:77], v[88:89], v[72:73]
	v_add_f64 v[80:81], v[98:99], -v[80:81]
	v_add_f64 v[72:73], v[76:77], -v[72:73]
	v_cmp_le_f64_e32 vcc, 0.5, v[76:77]
	v_add_f64 v[70:71], v[80:81], v[70:71]
	v_add_f64 v[72:73], v[88:89], -v[72:73]
	v_addc_co_u32_e64 v75, s[0:1], 0, v17, vcc
	v_cndmask_b32_e32 v17, 0, v84, vcc
	v_add_f64 v[70:71], v[70:71], v[72:73]
	v_add_f64 v[72:73], v[76:77], -v[16:17]
	v_add_f64 v[76:77], v[72:73], v[70:71]
	v_add_f64 v[72:73], v[76:77], -v[72:73]
	s_mov_b32 s10, s14
	v_add_f64 v[70:71], v[70:71], -v[72:73]
	v_mul_f64 v[72:73], v[76:77], s[10:11]
	v_fma_f64 v[78:79], v[76:77], s[10:11], -v[72:73]
	s_mov_b32 s19, s17
	v_fmac_f64_e32 v[78:79], s[18:19], v[76:77]
	v_fmac_f64_e32 v[78:79], s[10:11], v[70:71]
	v_add_f64 v[70:71], v[72:73], v[78:79]
	v_add_f64 v[72:73], v[70:71], -v[72:73]
	v_add_f64 v[72:73], v[78:79], -v[72:73]
	s_andn2_saveexec_b64 s[0:1], s[88:89]
	s_cbranch_execnz .LBB162_197
	s_branch .LBB162_198
.LBB162_196:                            ;   in Loop: Header=BB162_180 Depth=1
	s_andn2_saveexec_b64 s[0:1], s[88:89]
	s_cbranch_execz .LBB162_198
.LBB162_197:                            ;   in Loop: Header=BB162_180 Depth=1
	v_mul_f64 v[70:71], |v[14:15]|, s[20:21]
	v_rndne_f64_e32 v[76:77], v[70:71]
	v_fma_f64 v[70:71], v[76:77], s[14:15], |v[14:15]|
	v_mul_f64 v[78:79], v[76:77], s[22:23]
	v_add_f64 v[88:89], v[70:71], v[78:79]
	v_fma_f64 v[72:73], s[22:23], v[76:77], v[70:71]
	s_mov_b32 s16, s22
	v_add_f64 v[70:71], v[70:71], -v[88:89]
	v_fma_f64 v[80:81], s[16:17], v[76:77], v[78:79]
	v_add_f64 v[70:71], v[70:71], v[78:79]
	v_add_f64 v[78:79], v[88:89], -v[72:73]
	v_add_f64 v[70:71], v[78:79], v[70:71]
	v_add_f64 v[78:79], v[70:71], -v[80:81]
	v_fmac_f64_e32 v[78:79], s[24:25], v[76:77]
	v_add_f64 v[70:71], v[72:73], v[78:79]
	v_add_f64 v[72:73], v[70:71], -v[72:73]
	v_add_f64 v[72:73], v[78:79], -v[72:73]
	v_cvt_i32_f64_e32 v75, v[76:77]
.LBB162_198:                            ;   in Loop: Header=BB162_180 Depth=1
	s_or_b64 exec, exec, s[0:1]
	v_mul_f64 v[76:77], v[66:67], v[66:67]
	v_pk_mov_b32 v[90:91], s[58:59], s[58:59] op_sel:[0,1]
	v_mul_f64 v[78:79], v[76:77], 0.5
	v_fma_f64 v[92:93], s[60:61], v[76:77], v[90:91]
	v_add_f64 v[80:81], -v[78:79], 1.0
	v_fma_f64 v[92:93], v[76:77], v[92:93], s[62:63]
	v_add_f64 v[88:89], -v[80:81], 1.0
	v_fma_f64 v[92:93], v[76:77], v[92:93], s[64:65]
	v_add_f64 v[78:79], v[88:89], -v[78:79]
	v_fma_f64 v[92:93], v[76:77], v[92:93], s[66:67]
	v_mul_f64 v[88:89], v[76:77], v[76:77]
	v_fma_f64 v[92:93], v[76:77], v[92:93], s[50:51]
	v_fma_f64 v[78:79], v[66:67], -v[68:69], v[78:79]
	v_fmac_f64_e32 v[78:79], v[88:89], v[92:93]
	v_add_f64 v[78:79], v[80:81], v[78:79]
	v_pk_mov_b32 v[80:81], s[68:69], s[68:69] op_sel:[0,1]
	v_fma_f64 v[88:89], s[70:71], v[76:77], v[80:81]
	v_fma_f64 v[88:89], v[76:77], v[88:89], s[72:73]
	;; [unrolled: 1-line block ×4, first 2 shown]
	v_mul_f64 v[92:93], v[66:67], -v[76:77]
	v_mul_f64 v[94:95], v[68:69], 0.5
	v_fmac_f64_e32 v[94:95], v[92:93], v[88:89]
	v_fma_f64 v[68:69], v[76:77], v[94:95], -v[68:69]
	s_mov_b32 s76, s50
	v_fmac_f64_e32 v[68:69], s[76:77], v[92:93]
	v_and_b32_e32 v14, 1, v74
	v_add_f64 v[66:67], v[66:67], -v[68:69]
	v_cmp_eq_u32_e32 vcc, 0, v14
	v_cndmask_b32_e32 v14, v78, v66, vcc
	v_lshlrev_b32_e32 v66, 30, v74
	v_cndmask_b32_e32 v17, v79, v67, vcc
	v_xor_b32_e32 v15, v66, v15
	v_mul_f64 v[66:67], |v[12:13]|, s[38:39]
	v_rndne_f64_e32 v[66:67], v[66:67]
	v_fma_f64 v[68:69], v[66:67], s[28:29], -|v[12:13]|
	v_fmac_f64_e32 v[68:69], s[34:35], v[66:67]
	v_pk_mov_b32 v[76:77], v[48:49], v[48:49] op_sel:[0,1]
	v_fmac_f64_e32 v[76:77], s[46:47], v[68:69]
	v_pk_mov_b32 v[78:79], v[50:51], v[50:51] op_sel:[0,1]
	;; [unrolled: 2-line block ×9, first 2 shown]
	v_fmac_f64_e32 v[76:77], v[68:69], v[78:79]
	v_and_b32_e32 v15, 0x80000000, v15
	v_fma_f64 v[76:77], v[68:69], v[76:77], 1.0
	v_xor_b32_e32 v15, v17, v15
	v_fma_f64 v[68:69], v[68:69], v[76:77], 1.0
	v_cvt_i32_f64_e32 v17, v[66:67]
	v_ldexp_f64 v[66:67], v[68:69], v17
	v_cmp_ngt_f64_e64 vcc, |v[12:13]|, s[78:79]
	v_bfi_b32 v17, s95, v84, v13
	v_mul_f64 v[12:13], v[70:71], v[70:71]
	v_mul_f64 v[68:69], v[12:13], 0.5
	v_fmac_f64_e32 v[90:91], s[60:61], v[12:13]
	v_add_f64 v[76:77], -v[68:69], 1.0
	v_fma_f64 v[88:89], v[12:13], v[90:91], s[62:63]
	v_add_f64 v[78:79], -v[76:77], 1.0
	v_fma_f64 v[88:89], v[12:13], v[88:89], s[64:65]
	v_add_f64 v[68:69], v[78:79], -v[68:69]
	v_fma_f64 v[88:89], v[12:13], v[88:89], s[66:67]
	v_mul_f64 v[78:79], v[12:13], v[12:13]
	v_fma_f64 v[88:89], v[12:13], v[88:89], s[50:51]
	v_fma_f64 v[68:69], v[70:71], -v[72:73], v[68:69]
	v_fmac_f64_e32 v[68:69], v[78:79], v[88:89]
	v_fmac_f64_e32 v[80:81], s[70:71], v[12:13]
	v_add_f64 v[68:69], v[76:77], v[68:69]
	v_fma_f64 v[76:77], v[12:13], v[80:81], s[72:73]
	v_fma_f64 v[76:77], v[12:13], v[76:77], s[74:75]
	;; [unrolled: 1-line block ×3, first 2 shown]
	v_mul_f64 v[78:79], v[70:71], -v[12:13]
	v_mul_f64 v[80:81], v[72:73], 0.5
	v_fmac_f64_e32 v[80:81], v[78:79], v[76:77]
	v_fma_f64 v[12:13], v[12:13], v[80:81], -v[72:73]
	v_fmac_f64_e32 v[12:13], s[76:77], v[78:79]
	v_add_f64 v[12:13], v[70:71], -v[12:13]
	v_and_b32_e32 v70, 1, v75
	v_cndmask_b32_e32 v67, 0, v67, vcc
	v_cndmask_b32_e32 v66, 0, v66, vcc
	v_cmp_eq_u32_e32 vcc, 0, v70
	v_xor_b32_e32 v13, 0x80000000, v13
	v_cndmask_b32_e32 v12, v12, v68, vcc
	v_lshlrev_b32_e32 v68, 30, v75
	v_cndmask_b32_e32 v13, v13, v69, vcc
	v_and_b32_e32 v68, 0x80000000, v68
	v_mul_f64 v[14:15], v[14:15], 4.0
	v_xor_b32_e32 v13, v13, v68
	v_mul_f64 v[12:13], v[14:15], v[12:13]
	v_mul_f64 v[12:13], v[66:67], v[12:13]
	;; [unrolled: 1-line block ×3, first 2 shown]
	v_pk_mov_b32 v[12:13], v[16:17], v[16:17] op_sel:[0,1]
	s_or_b64 exec, exec, s[86:87]
.LBB162_199:                            ;   in Loop: Header=BB162_180 Depth=1
	s_andn2_saveexec_b64 s[0:1], s[84:85]
.LBB162_200:                            ;   in Loop: Header=BB162_180 Depth=1
	v_add_f64 v[14:15], v[14:15], -v[14:15]
	v_pk_mov_b32 v[12:13], v[14:15], v[14:15] op_sel:[0,1]
.LBB162_201:                            ;   in Loop: Header=BB162_180 Depth=1
	s_or_b64 exec, exec, s[0:1]
.LBB162_202:                            ;   in Loop: Header=BB162_180 Depth=1
	s_andn2_saveexec_b64 s[82:83], s[82:83]
	s_cbranch_execz .LBB162_218
; %bb.203:                              ;   in Loop: Header=BB162_180 Depth=1
	v_and_or_b32 v17, v13, s44, v12
	v_cmp_ne_u32_e32 vcc, 0, v17
	s_and_saveexec_b64 s[0:1], vcc
	s_xor_b64 s[0:1], exec, s[0:1]
; %bb.204:                              ;   in Loop: Header=BB162_180 Depth=1
	v_mul_f64 v[66:67], v[12:13], v[14:15]
	v_cmp_eq_f64_e32 vcc, 0, v[14:15]
	v_cndmask_b32_e32 v15, v67, v15, vcc
	v_cndmask_b32_e32 v14, v66, v14, vcc
; %bb.205:                              ;   in Loop: Header=BB162_180 Depth=1
	s_andn2_saveexec_b64 s[84:85], s[0:1]
	s_cbranch_execz .LBB162_217
; %bb.206:                              ;   in Loop: Header=BB162_180 Depth=1
	v_cmp_neq_f64_e64 s[0:1], |v[14:15]|, s[8:9]
	s_and_saveexec_b64 s[86:87], s[0:1]
	s_cbranch_execz .LBB162_216
; %bb.207:                              ;   in Loop: Header=BB162_180 Depth=1
	v_cmp_nlt_f64_e64 s[88:89], |v[14:15]|, s[4:5]
	v_trig_preop_f64 v[74:75], |v[14:15]|, 0
	v_trig_preop_f64 v[72:73], |v[14:15]|, 1
	v_ldexp_f64 v[76:77], |v[14:15]|, s43
	v_trig_preop_f64 v[70:71], |v[14:15]|, 2
	v_and_b32_e32 v89, 0x7fffffff, v15
                                        ; implicit-def: $vgpr88
                                        ; implicit-def: $vgpr66_vgpr67
                                        ; implicit-def: $vgpr68_vgpr69
	s_and_saveexec_b64 s[0:1], s[88:89]
	s_xor_b64 s[90:91], exec, s[0:1]
	s_cbranch_execz .LBB162_209
; %bb.208:                              ;   in Loop: Header=BB162_180 Depth=1
	v_cmp_ge_f64_e64 vcc, |v[14:15]|, s[6:7]
	v_cndmask_b32_e32 v67, v89, v77, vcc
	v_cndmask_b32_e32 v66, v14, v76, vcc
	v_mul_f64 v[78:79], v[74:75], v[66:67]
	v_mul_f64 v[68:69], v[72:73], v[66:67]
	v_fma_f64 v[80:81], v[74:75], v[66:67], -v[78:79]
	v_add_f64 v[90:91], v[68:69], v[80:81]
	v_add_f64 v[92:93], v[78:79], v[90:91]
	v_ldexp_f64 v[94:95], v[92:93], -2
	v_fract_f64_e32 v[96:97], v[94:95]
	v_cmp_neq_f64_e64 vcc, |v[94:95]|, s[8:9]
	v_cndmask_b32_e32 v95, 0, v97, vcc
	v_cndmask_b32_e32 v94, 0, v96, vcc
	v_add_f64 v[96:97], v[90:91], -v[68:69]
	v_add_f64 v[80:81], v[80:81], -v[96:97]
	v_add_f64 v[96:97], v[90:91], -v[96:97]
	v_add_f64 v[96:97], v[68:69], -v[96:97]
	v_add_f64 v[80:81], v[80:81], v[96:97]
	v_fma_f64 v[68:69], v[72:73], v[66:67], -v[68:69]
	v_mul_f64 v[96:97], v[70:71], v[66:67]
	v_add_f64 v[98:99], v[96:97], v[68:69]
	v_add_f64 v[100:101], v[98:99], v[80:81]
	v_add_f64 v[78:79], v[92:93], -v[78:79]
	v_add_f64 v[92:93], v[100:101], -v[98:99]
	;; [unrolled: 1-line block ×5, first 2 shown]
	v_add_f64 v[80:81], v[80:81], v[92:93]
	v_add_f64 v[92:93], v[98:99], -v[96:97]
	v_add_f64 v[68:69], v[68:69], -v[92:93]
	;; [unrolled: 1-line block ×5, first 2 shown]
	v_add_f64 v[90:91], v[78:79], v[100:101]
	v_add_f64 v[68:69], v[68:69], v[92:93]
	v_add_f64 v[78:79], v[90:91], -v[78:79]
	v_add_f64 v[68:69], v[68:69], v[80:81]
	v_fma_f64 v[66:67], v[70:71], v[66:67], -v[96:97]
	v_add_f64 v[78:79], v[100:101], -v[78:79]
	v_add_f64 v[66:67], v[66:67], v[68:69]
	v_ldexp_f64 v[68:69], v[94:95], 2
	v_add_f64 v[66:67], v[78:79], v[66:67]
	v_add_f64 v[78:79], v[90:91], v[68:69]
	v_cmp_gt_f64_e32 vcc, 0, v[78:79]
	v_cndmask_b32_e32 v17, 0, v83, vcc
	v_add_f64 v[68:69], v[68:69], v[16:17]
	v_add_f64 v[78:79], v[90:91], v[68:69]
	v_cvt_i32_f64_e32 v17, v[78:79]
	v_cvt_f64_i32_e32 v[78:79], v17
	v_add_f64 v[68:69], v[68:69], -v[78:79]
	v_add_f64 v[78:79], v[90:91], v[68:69]
	v_add_f64 v[68:69], v[78:79], -v[68:69]
	v_cmp_le_f64_e32 vcc, 0.5, v[78:79]
	v_add_f64 v[68:69], v[90:91], -v[68:69]
	v_addc_co_u32_e64 v88, s[0:1], 0, v17, vcc
	v_cndmask_b32_e32 v17, 0, v84, vcc
	v_add_f64 v[66:67], v[66:67], v[68:69]
	v_add_f64 v[68:69], v[78:79], -v[16:17]
	v_add_f64 v[78:79], v[68:69], v[66:67]
	v_add_f64 v[68:69], v[78:79], -v[68:69]
	s_mov_b32 s10, s14
	v_add_f64 v[66:67], v[66:67], -v[68:69]
	v_mul_f64 v[68:69], v[78:79], s[10:11]
	v_fma_f64 v[80:81], v[78:79], s[10:11], -v[68:69]
	s_mov_b32 s19, s17
	v_fmac_f64_e32 v[80:81], s[18:19], v[78:79]
	v_fmac_f64_e32 v[80:81], s[10:11], v[66:67]
	v_add_f64 v[66:67], v[68:69], v[80:81]
	v_add_f64 v[68:69], v[66:67], -v[68:69]
	v_add_f64 v[68:69], v[80:81], -v[68:69]
	s_andn2_saveexec_b64 s[0:1], s[90:91]
	s_cbranch_execz .LBB162_211
	s_branch .LBB162_210
.LBB162_209:                            ;   in Loop: Header=BB162_180 Depth=1
	s_andn2_saveexec_b64 s[0:1], s[90:91]
	s_cbranch_execz .LBB162_211
.LBB162_210:                            ;   in Loop: Header=BB162_180 Depth=1
	v_mul_f64 v[66:67], |v[14:15]|, s[20:21]
	v_rndne_f64_e32 v[78:79], v[66:67]
	v_fma_f64 v[66:67], v[78:79], s[14:15], |v[14:15]|
	v_mul_f64 v[80:81], v[78:79], s[22:23]
	v_add_f64 v[92:93], v[66:67], v[80:81]
	v_fma_f64 v[68:69], s[22:23], v[78:79], v[66:67]
	s_mov_b32 s16, s22
	v_add_f64 v[66:67], v[66:67], -v[92:93]
	v_fma_f64 v[90:91], s[16:17], v[78:79], v[80:81]
	v_add_f64 v[66:67], v[66:67], v[80:81]
	v_add_f64 v[80:81], v[92:93], -v[68:69]
	v_add_f64 v[66:67], v[80:81], v[66:67]
	v_add_f64 v[80:81], v[66:67], -v[90:91]
	v_fmac_f64_e32 v[80:81], s[24:25], v[78:79]
	v_add_f64 v[66:67], v[68:69], v[80:81]
	v_add_f64 v[68:69], v[66:67], -v[68:69]
	v_add_f64 v[68:69], v[80:81], -v[68:69]
	v_cvt_i32_f64_e32 v88, v[78:79]
.LBB162_211:                            ;   in Loop: Header=BB162_180 Depth=1
	s_or_b64 exec, exec, s[0:1]
                                        ; implicit-def: $vgpr90
                                        ; implicit-def: $vgpr78_vgpr79
                                        ; implicit-def: $vgpr80_vgpr81
	s_and_saveexec_b64 s[0:1], s[88:89]
	s_xor_b64 s[88:89], exec, s[0:1]
	s_cbranch_execz .LBB162_213
; %bb.212:                              ;   in Loop: Header=BB162_180 Depth=1
	v_cmp_ge_f64_e64 vcc, |v[14:15]|, s[6:7]
	v_cndmask_b32_e32 v77, v89, v77, vcc
	v_cndmask_b32_e32 v76, v14, v76, vcc
	v_mul_f64 v[80:81], v[74:75], v[76:77]
	v_mul_f64 v[78:79], v[72:73], v[76:77]
	v_fma_f64 v[74:75], v[74:75], v[76:77], -v[80:81]
	v_add_f64 v[90:91], v[78:79], v[74:75]
	v_add_f64 v[92:93], v[80:81], v[90:91]
	v_ldexp_f64 v[94:95], v[92:93], -2
	v_fract_f64_e32 v[96:97], v[94:95]
	v_cmp_neq_f64_e64 vcc, |v[94:95]|, s[8:9]
	v_cndmask_b32_e32 v95, 0, v97, vcc
	v_cndmask_b32_e32 v94, 0, v96, vcc
	v_add_f64 v[96:97], v[90:91], -v[78:79]
	v_add_f64 v[74:75], v[74:75], -v[96:97]
	;; [unrolled: 1-line block ×4, first 2 shown]
	v_fma_f64 v[72:73], v[72:73], v[76:77], -v[78:79]
	v_mul_f64 v[78:79], v[70:71], v[76:77]
	v_add_f64 v[74:75], v[74:75], v[96:97]
	v_add_f64 v[96:97], v[78:79], v[72:73]
	;; [unrolled: 1-line block ×3, first 2 shown]
	v_add_f64 v[80:81], v[92:93], -v[80:81]
	v_add_f64 v[92:93], v[98:99], -v[96:97]
	v_add_f64 v[74:75], v[74:75], -v[92:93]
	v_add_f64 v[92:93], v[98:99], -v[92:93]
	v_add_f64 v[92:93], v[96:97], -v[92:93]
	v_add_f64 v[74:75], v[74:75], v[92:93]
	v_add_f64 v[92:93], v[96:97], -v[78:79]
	v_add_f64 v[72:73], v[72:73], -v[92:93]
	v_add_f64 v[92:93], v[96:97], -v[92:93]
	v_add_f64 v[92:93], v[78:79], -v[92:93]
	v_add_f64 v[72:73], v[72:73], v[92:93]
	v_add_f64 v[80:81], v[90:91], -v[80:81]
	v_add_f64 v[72:73], v[72:73], v[74:75]
	v_fma_f64 v[70:71], v[70:71], v[76:77], -v[78:79]
	v_add_f64 v[90:91], v[80:81], v[98:99]
	v_add_f64 v[70:71], v[70:71], v[72:73]
	v_ldexp_f64 v[72:73], v[94:95], 2
	v_add_f64 v[74:75], v[90:91], v[72:73]
	v_cmp_gt_f64_e32 vcc, 0, v[74:75]
	v_cndmask_b32_e32 v17, 0, v83, vcc
	v_add_f64 v[72:73], v[72:73], v[16:17]
	v_add_f64 v[74:75], v[90:91], v[72:73]
	v_cvt_i32_f64_e32 v17, v[74:75]
	v_cvt_f64_i32_e32 v[74:75], v17
	v_add_f64 v[72:73], v[72:73], -v[74:75]
	v_add_f64 v[80:81], v[90:91], -v[80:81]
	v_add_f64 v[74:75], v[90:91], v[72:73]
	v_add_f64 v[80:81], v[98:99], -v[80:81]
	v_add_f64 v[72:73], v[74:75], -v[72:73]
	v_cmp_le_f64_e32 vcc, 0.5, v[74:75]
	v_add_f64 v[70:71], v[80:81], v[70:71]
	v_add_f64 v[72:73], v[90:91], -v[72:73]
	v_addc_co_u32_e64 v90, s[0:1], 0, v17, vcc
	v_cndmask_b32_e32 v17, 0, v84, vcc
	v_add_f64 v[70:71], v[70:71], v[72:73]
	v_add_f64 v[72:73], v[74:75], -v[16:17]
	v_add_f64 v[74:75], v[72:73], v[70:71]
	v_add_f64 v[72:73], v[74:75], -v[72:73]
	s_mov_b32 s10, s14
	v_add_f64 v[70:71], v[70:71], -v[72:73]
	v_mul_f64 v[72:73], v[74:75], s[10:11]
	v_fma_f64 v[76:77], v[74:75], s[10:11], -v[72:73]
	s_mov_b32 s19, s17
	v_fmac_f64_e32 v[76:77], s[18:19], v[74:75]
	v_fmac_f64_e32 v[76:77], s[10:11], v[70:71]
	v_add_f64 v[78:79], v[72:73], v[76:77]
	v_add_f64 v[70:71], v[78:79], -v[72:73]
	v_add_f64 v[80:81], v[76:77], -v[70:71]
	s_andn2_saveexec_b64 s[0:1], s[88:89]
	s_cbranch_execnz .LBB162_214
	s_branch .LBB162_215
.LBB162_213:                            ;   in Loop: Header=BB162_180 Depth=1
	s_andn2_saveexec_b64 s[0:1], s[88:89]
	s_cbranch_execz .LBB162_215
.LBB162_214:                            ;   in Loop: Header=BB162_180 Depth=1
	v_mul_f64 v[70:71], |v[14:15]|, s[20:21]
	v_rndne_f64_e32 v[70:71], v[70:71]
	v_fma_f64 v[72:73], v[70:71], s[14:15], |v[14:15]|
	v_mul_f64 v[76:77], v[70:71], s[22:23]
	v_add_f64 v[80:81], v[72:73], v[76:77]
	v_fma_f64 v[74:75], s[22:23], v[70:71], v[72:73]
	s_mov_b32 s16, s22
	v_add_f64 v[72:73], v[72:73], -v[80:81]
	v_fma_f64 v[78:79], s[16:17], v[70:71], v[76:77]
	v_add_f64 v[72:73], v[72:73], v[76:77]
	v_add_f64 v[76:77], v[80:81], -v[74:75]
	v_add_f64 v[72:73], v[76:77], v[72:73]
	v_add_f64 v[72:73], v[72:73], -v[78:79]
	v_fmac_f64_e32 v[72:73], s[24:25], v[70:71]
	v_add_f64 v[78:79], v[74:75], v[72:73]
	v_add_f64 v[74:75], v[78:79], -v[74:75]
	v_add_f64 v[80:81], v[72:73], -v[74:75]
	v_cvt_i32_f64_e32 v90, v[70:71]
.LBB162_215:                            ;   in Loop: Header=BB162_180 Depth=1
	s_or_b64 exec, exec, s[0:1]
	v_mul_f64 v[70:71], v[66:67], v[66:67]
	v_pk_mov_b32 v[92:93], s[58:59], s[58:59] op_sel:[0,1]
	v_mul_f64 v[72:73], v[70:71], 0.5
	v_fma_f64 v[94:95], s[60:61], v[70:71], v[92:93]
	v_add_f64 v[74:75], -v[72:73], 1.0
	v_fma_f64 v[94:95], v[70:71], v[94:95], s[62:63]
	v_add_f64 v[76:77], -v[74:75], 1.0
	v_fma_f64 v[94:95], v[70:71], v[94:95], s[64:65]
	v_add_f64 v[72:73], v[76:77], -v[72:73]
	v_fma_f64 v[94:95], v[70:71], v[94:95], s[66:67]
	v_mul_f64 v[76:77], v[70:71], v[70:71]
	v_fma_f64 v[94:95], v[70:71], v[94:95], s[50:51]
	v_fma_f64 v[72:73], v[66:67], -v[68:69], v[72:73]
	v_fmac_f64_e32 v[72:73], v[76:77], v[94:95]
	v_add_f64 v[72:73], v[74:75], v[72:73]
	v_pk_mov_b32 v[74:75], s[68:69], s[68:69] op_sel:[0,1]
	v_fma_f64 v[76:77], s[70:71], v[70:71], v[74:75]
	v_fma_f64 v[76:77], v[70:71], v[76:77], s[72:73]
	;; [unrolled: 1-line block ×4, first 2 shown]
	v_mul_f64 v[94:95], v[66:67], -v[70:71]
	v_mul_f64 v[96:97], v[68:69], 0.5
	v_fmac_f64_e32 v[96:97], v[94:95], v[76:77]
	v_fma_f64 v[68:69], v[70:71], v[96:97], -v[68:69]
	s_mov_b32 s76, s50
	v_fmac_f64_e32 v[68:69], s[76:77], v[94:95]
	v_and_b32_e32 v17, 1, v88
	v_add_f64 v[66:67], v[66:67], -v[68:69]
	v_cmp_eq_u32_e32 vcc, 0, v17
	v_cndmask_b32_e32 v17, v72, v66, vcc
	v_cndmask_b32_e32 v66, v73, v67, vcc
	v_lshlrev_b32_e32 v67, 30, v88
	v_xor_b32_e32 v67, v67, v15
	v_and_b32_e32 v67, 0x80000000, v67
	v_xor_b32_e32 v66, v66, v67
	v_cmp_class_f64_e64 vcc, v[14:15], s27
	v_cndmask_b32_e32 v15, v87, v66, vcc
	v_mul_f64 v[66:67], v[78:79], v[78:79]
	v_mul_f64 v[68:69], v[66:67], 0.5
	v_fmac_f64_e32 v[92:93], s[60:61], v[66:67]
	v_add_f64 v[70:71], -v[68:69], 1.0
	v_fma_f64 v[76:77], v[66:67], v[92:93], s[62:63]
	v_add_f64 v[72:73], -v[70:71], 1.0
	v_fma_f64 v[76:77], v[66:67], v[76:77], s[64:65]
	v_add_f64 v[68:69], v[72:73], -v[68:69]
	v_fma_f64 v[76:77], v[66:67], v[76:77], s[66:67]
	v_mul_f64 v[72:73], v[66:67], v[66:67]
	v_fma_f64 v[76:77], v[66:67], v[76:77], s[50:51]
	v_fma_f64 v[68:69], v[78:79], -v[80:81], v[68:69]
	v_fmac_f64_e32 v[68:69], v[72:73], v[76:77]
	v_fmac_f64_e32 v[74:75], s[70:71], v[66:67]
	v_add_f64 v[68:69], v[70:71], v[68:69]
	v_fma_f64 v[70:71], v[66:67], v[74:75], s[72:73]
	v_fma_f64 v[70:71], v[66:67], v[70:71], s[74:75]
	v_fma_f64 v[70:71], v[66:67], v[70:71], s[48:49]
	v_mul_f64 v[72:73], v[78:79], -v[66:67]
	v_mul_f64 v[74:75], v[80:81], 0.5
	v_fmac_f64_e32 v[74:75], v[72:73], v[70:71]
	v_fma_f64 v[66:67], v[66:67], v[74:75], -v[80:81]
	v_fmac_f64_e32 v[66:67], s[76:77], v[72:73]
	v_add_f64 v[66:67], v[78:79], -v[66:67]
	v_cndmask_b32_e32 v14, 0, v17, vcc
	v_xor_b32_e32 v17, 0x80000000, v67
	v_and_b32_e32 v67, 1, v90
	v_cmp_eq_u32_e64 s[0:1], 0, v67
	v_lshlrev_b32_e32 v67, 30, v90
	v_cndmask_b32_e64 v17, v17, v69, s[0:1]
	v_and_b32_e32 v67, 0x80000000, v67
	v_cndmask_b32_e64 v66, v66, v68, s[0:1]
	v_xor_b32_e32 v17, v17, v67
	v_cndmask_b32_e32 v66, 0, v66, vcc
	v_cndmask_b32_e32 v67, v87, v17, vcc
	v_mul_f64 v[14:15], v[14:15], v[66:67]
.LBB162_216:                            ;   in Loop: Header=BB162_180 Depth=1
	s_or_b64 exec, exec, s[86:87]
	v_add_co_u32_e32 v12, vcc, 0, v12
	v_bfi_b32 v17, s95, 0, v15
	v_addc_co_u32_e32 v13, vcc, -2.0, v13, vcc
	v_pk_mov_b32 v[14:15], v[16:17], v[16:17] op_sel:[0,1]
.LBB162_217:                            ;   in Loop: Header=BB162_180 Depth=1
	s_or_b64 exec, exec, s[84:85]
.LBB162_218:                            ;   in Loop: Header=BB162_180 Depth=1
	s_or_b64 exec, exec, s[82:83]
	v_and_b32_e32 v17, 0x7fffffff, v9
	v_cmp_gt_u32_e32 vcc, s26, v17
	s_and_saveexec_b64 s[0:1], vcc
	s_xor_b64 s[82:83], exec, s[0:1]
	s_cbranch_execz .LBB162_240
; %bb.219:                              ;   in Loop: Header=BB162_180 Depth=1
	v_cmp_class_f64_e64 s[0:1], v[10:11], s27
	s_and_saveexec_b64 s[84:85], s[0:1]
	s_xor_b64 s[84:85], exec, s[84:85]
	s_cbranch_execz .LBB162_237
; %bb.220:                              ;   in Loop: Header=BB162_180 Depth=1
	v_cmp_gt_u32_e32 vcc, s42, v17
	s_and_saveexec_b64 s[0:1], vcc
	s_xor_b64 s[86:87], exec, s[0:1]
	s_cbranch_execz .LBB162_226
; %bb.221:                              ;   in Loop: Header=BB162_180 Depth=1
	v_cmp_nlt_f64_e64 s[0:1], |v[10:11]|, s[4:5]
                                        ; implicit-def: $vgpr70
                                        ; implicit-def: $vgpr66_vgpr67
                                        ; implicit-def: $vgpr68_vgpr69
	s_and_saveexec_b64 s[88:89], s[0:1]
	s_xor_b64 s[88:89], exec, s[88:89]
	s_cbranch_execz .LBB162_223
; %bb.222:                              ;   in Loop: Header=BB162_180 Depth=1
	v_and_b32_e32 v17, 0x7fffffff, v11
	v_ldexp_f64 v[70:71], |v[10:11]|, s43
	v_cmp_ge_f64_e64 vcc, |v[10:11]|, s[6:7]
	v_trig_preop_f64 v[66:67], |v[10:11]|, 0
	v_cndmask_b32_e32 v71, v17, v71, vcc
	v_cndmask_b32_e32 v70, v10, v70, vcc
	v_trig_preop_f64 v[68:69], |v[10:11]|, 1
	v_mul_f64 v[74:75], v[66:67], v[70:71]
	v_mul_f64 v[72:73], v[68:69], v[70:71]
	v_fma_f64 v[66:67], v[66:67], v[70:71], -v[74:75]
	v_add_f64 v[76:77], v[72:73], v[66:67]
	v_add_f64 v[78:79], v[74:75], v[76:77]
	v_ldexp_f64 v[80:81], v[78:79], -2
	v_fract_f64_e32 v[88:89], v[80:81]
	v_cmp_neq_f64_e64 vcc, |v[80:81]|, s[8:9]
	v_cndmask_b32_e32 v81, 0, v89, vcc
	v_cndmask_b32_e32 v80, 0, v88, vcc
	v_add_f64 v[88:89], v[76:77], -v[72:73]
	v_add_f64 v[66:67], v[66:67], -v[88:89]
	;; [unrolled: 1-line block ×4, first 2 shown]
	v_fma_f64 v[68:69], v[68:69], v[70:71], -v[72:73]
	v_trig_preop_f64 v[72:73], |v[10:11]|, 2
	v_add_f64 v[66:67], v[66:67], v[88:89]
	v_mul_f64 v[88:89], v[72:73], v[70:71]
	v_add_f64 v[90:91], v[88:89], v[68:69]
	v_add_f64 v[92:93], v[90:91], v[66:67]
	v_add_f64 v[74:75], v[78:79], -v[74:75]
	v_add_f64 v[78:79], v[92:93], -v[90:91]
	v_add_f64 v[66:67], v[66:67], -v[78:79]
	v_add_f64 v[78:79], v[92:93], -v[78:79]
	v_add_f64 v[78:79], v[90:91], -v[78:79]
	v_add_f64 v[66:67], v[66:67], v[78:79]
	v_add_f64 v[78:79], v[90:91], -v[88:89]
	v_add_f64 v[68:69], v[68:69], -v[78:79]
	;; [unrolled: 1-line block ×4, first 2 shown]
	v_add_f64 v[68:69], v[68:69], v[78:79]
	v_add_f64 v[74:75], v[76:77], -v[74:75]
	v_add_f64 v[66:67], v[68:69], v[66:67]
	v_fma_f64 v[68:69], v[72:73], v[70:71], -v[88:89]
	v_add_f64 v[76:77], v[74:75], v[92:93]
	v_add_f64 v[66:67], v[68:69], v[66:67]
	v_ldexp_f64 v[68:69], v[80:81], 2
	v_add_f64 v[70:71], v[76:77], v[68:69]
	v_cmp_gt_f64_e32 vcc, 0, v[70:71]
	v_cndmask_b32_e32 v17, 0, v83, vcc
	v_add_f64 v[68:69], v[68:69], v[16:17]
	v_add_f64 v[70:71], v[76:77], v[68:69]
	v_cvt_i32_f64_e32 v17, v[70:71]
	v_cvt_f64_i32_e32 v[70:71], v17
	v_add_f64 v[68:69], v[68:69], -v[70:71]
	v_add_f64 v[74:75], v[76:77], -v[74:75]
	v_add_f64 v[72:73], v[76:77], v[68:69]
	v_add_f64 v[74:75], v[92:93], -v[74:75]
	v_add_f64 v[68:69], v[72:73], -v[68:69]
	v_cmp_le_f64_e32 vcc, 0.5, v[72:73]
	v_add_f64 v[66:67], v[74:75], v[66:67]
	v_add_f64 v[68:69], v[76:77], -v[68:69]
	v_addc_co_u32_e64 v70, s[0:1], 0, v17, vcc
	v_cndmask_b32_e32 v17, 0, v84, vcc
	v_add_f64 v[66:67], v[66:67], v[68:69]
	v_add_f64 v[68:69], v[72:73], -v[16:17]
	v_add_f64 v[72:73], v[68:69], v[66:67]
	v_add_f64 v[68:69], v[72:73], -v[68:69]
	s_mov_b32 s10, s14
	v_add_f64 v[66:67], v[66:67], -v[68:69]
	v_mul_f64 v[68:69], v[72:73], s[10:11]
	v_fma_f64 v[74:75], v[72:73], s[10:11], -v[68:69]
	s_mov_b32 s19, s17
	v_fmac_f64_e32 v[74:75], s[18:19], v[72:73]
	v_fmac_f64_e32 v[74:75], s[10:11], v[66:67]
	v_add_f64 v[66:67], v[68:69], v[74:75]
	v_add_f64 v[68:69], v[66:67], -v[68:69]
	v_add_f64 v[68:69], v[74:75], -v[68:69]
.LBB162_223:                            ;   in Loop: Header=BB162_180 Depth=1
	s_andn2_saveexec_b64 s[0:1], s[88:89]
	s_cbranch_execz .LBB162_225
; %bb.224:                              ;   in Loop: Header=BB162_180 Depth=1
	v_mul_f64 v[66:67], |v[10:11]|, s[20:21]
	v_rndne_f64_e32 v[70:71], v[66:67]
	v_fma_f64 v[66:67], v[70:71], s[14:15], |v[10:11]|
	v_mul_f64 v[72:73], v[70:71], s[22:23]
	v_add_f64 v[76:77], v[66:67], v[72:73]
	v_fma_f64 v[68:69], s[22:23], v[70:71], v[66:67]
	s_mov_b32 s16, s22
	v_add_f64 v[66:67], v[66:67], -v[76:77]
	v_fma_f64 v[74:75], s[16:17], v[70:71], v[72:73]
	v_add_f64 v[66:67], v[66:67], v[72:73]
	v_add_f64 v[72:73], v[76:77], -v[68:69]
	v_add_f64 v[66:67], v[72:73], v[66:67]
	v_add_f64 v[72:73], v[66:67], -v[74:75]
	v_fmac_f64_e32 v[72:73], s[24:25], v[70:71]
	v_add_f64 v[66:67], v[68:69], v[72:73]
	v_add_f64 v[68:69], v[66:67], -v[68:69]
	v_add_f64 v[68:69], v[72:73], -v[68:69]
	v_cvt_i32_f64_e32 v70, v[70:71]
.LBB162_225:                            ;   in Loop: Header=BB162_180 Depth=1
	s_or_b64 exec, exec, s[0:1]
	v_mul_f64 v[72:73], v[66:67], v[66:67]
	v_fma_f64 v[74:75], v[66:67], v[66:67], -v[72:73]
	v_add_f64 v[76:77], v[68:69], v[68:69]
	v_fmac_f64_e32 v[74:75], v[66:67], v[76:77]
	s_mov_b32 s0, 0xc751c08c
	v_add_f64 v[72:73], v[72:73], v[74:75]
	v_pk_mov_b32 v[74:75], v[22:23], v[22:23] op_sel:[0,1]
	s_mov_b32 s1, 0x3ef5e089
	v_fmac_f64_e32 v[74:75], s[0:1], v[72:73]
	v_pk_mov_b32 v[76:77], v[24:25], v[24:25] op_sel:[0,1]
	v_fmac_f64_e32 v[76:77], v[72:73], v[74:75]
	v_pk_mov_b32 v[74:75], v[26:27], v[26:27] op_sel:[0,1]
	;; [unrolled: 2-line block ×12, first 2 shown]
	v_fmac_f64_e32 v[74:75], v[72:73], v[76:77]
	v_mul_f64 v[72:73], v[72:73], v[74:75]
	v_mul_f64 v[74:75], v[66:67], v[72:73]
	v_add_f64 v[76:77], v[66:67], v[74:75]
	v_fma_f64 v[72:73], v[66:67], v[72:73], -v[74:75]
	v_add_f64 v[66:67], v[76:77], -v[66:67]
	v_add_f64 v[66:67], v[74:75], -v[66:67]
	v_add_f64 v[68:69], v[68:69], v[72:73]
	v_add_f64 v[66:67], v[68:69], v[66:67]
	;; [unrolled: 1-line block ×3, first 2 shown]
	v_rcp_f64_e32 v[72:73], v[68:69]
	v_and_b32_e32 v10, 1, v70
	v_add_f64 v[70:71], v[68:69], -v[76:77]
	v_add_f64 v[66:67], v[66:67], -v[70:71]
	v_fma_f64 v[70:71], -v[68:69], v[72:73], 1.0
	v_fmac_f64_e32 v[72:73], v[70:71], v[72:73]
	v_fma_f64 v[70:71], -v[68:69], v[72:73], 1.0
	v_fmac_f64_e32 v[72:73], v[70:71], v[72:73]
	v_mul_f64 v[70:71], v[68:69], v[72:73]
	v_fma_f64 v[74:75], v[72:73], v[68:69], -v[70:71]
	v_fmac_f64_e32 v[74:75], v[72:73], v[66:67]
	v_add_f64 v[66:67], v[70:71], v[74:75]
	v_add_f64 v[76:77], -v[66:67], 1.0
	v_add_f64 v[70:71], v[66:67], -v[70:71]
	v_add_f64 v[78:79], -v[76:77], 1.0
	v_add_f64 v[66:67], v[78:79], -v[66:67]
	v_add_f64 v[70:71], v[70:71], -v[74:75]
	v_add_f64 v[66:67], v[70:71], v[66:67]
	v_add_f64 v[66:67], v[76:77], v[66:67]
	v_mul_f64 v[66:67], v[72:73], v[66:67]
	v_add_f64 v[66:67], v[72:73], v[66:67]
	v_cmp_eq_u32_e32 vcc, 0, v10
	v_xor_b32_e32 v17, 0x80000000, v67
	v_cndmask_b32_e32 v10, v66, v68, vcc
	v_add_f64 v[66:67], |v[8:9]|, s[28:29]
	v_cndmask_b32_e32 v17, v17, v69, vcc
	v_add_f64 v[68:69], v[66:67], -|v[8:9]|
	v_add_f64 v[70:71], v[68:69], -v[66:67]
	s_mov_b32 s30, s28
	v_add_f64 v[70:71], |v[8:9]|, v[70:71]
	v_add_f64 v[68:69], v[68:69], s[30:31]
	v_add_f64 v[68:69], v[70:71], -v[68:69]
	v_add_f64 v[68:69], v[68:69], s[34:35]
	v_add_f64 v[70:71], v[66:67], v[68:69]
	v_add_f64 v[66:67], v[66:67], -v[70:71]
	s_mov_b32 s36, s38
	v_add_f64 v[66:67], v[68:69], v[66:67]
	v_mul_f64 v[68:69], v[70:71], s[36:37]
	v_rndne_f64_e32 v[68:69], v[68:69]
	s_mov_b32 s41, s29
	v_fmac_f64_e32 v[70:71], s[40:41], v[68:69]
	v_add_f64 v[72:73], v[66:67], v[70:71]
	s_mov_b32 s0, 0xf278e000
	v_add_f64 v[70:71], v[70:71], -v[72:73]
	s_mov_b32 s1, 0xbd53de6a
	v_add_f64 v[66:67], v[66:67], v[70:71]
	v_mul_f64 v[70:71], v[68:69], s[0:1]
	v_add_f64 v[74:75], v[72:73], v[70:71]
	v_add_f64 v[72:73], v[72:73], -v[74:75]
	v_add_f64 v[70:71], v[72:73], v[70:71]
	v_add_f64 v[66:67], v[66:67], v[70:71]
	;; [unrolled: 1-line block ×3, first 2 shown]
	s_mov_b32 s0, 0xf97b57a0
	v_add_f64 v[72:73], v[74:75], -v[70:71]
	s_mov_b32 s1, 0xbac9cc01
	v_add_f64 v[66:67], v[66:67], v[72:73]
	v_mul_f64 v[72:73], v[68:69], s[0:1]
	v_add_f64 v[74:75], v[70:71], v[72:73]
	v_add_f64 v[70:71], v[70:71], -v[74:75]
	v_add_f64 v[70:71], v[70:71], v[72:73]
	v_add_f64 v[66:67], v[66:67], v[70:71]
	;; [unrolled: 1-line block ×3, first 2 shown]
	v_add_f64 v[72:73], v[74:75], -v[70:71]
	v_add_f64 v[66:67], v[66:67], v[72:73]
	v_pk_mov_b32 v[72:73], v[48:49], v[48:49] op_sel:[0,1]
	v_fmac_f64_e32 v[72:73], s[46:47], v[70:71]
	v_pk_mov_b32 v[74:75], v[50:51], v[50:51] op_sel:[0,1]
	v_fmac_f64_e32 v[74:75], v[70:71], v[72:73]
	v_pk_mov_b32 v[72:73], v[52:53], v[52:53] op_sel:[0,1]
	v_fmac_f64_e32 v[72:73], v[70:71], v[74:75]
	v_pk_mov_b32 v[74:75], v[54:55], v[54:55] op_sel:[0,1]
	v_fmac_f64_e32 v[74:75], v[70:71], v[72:73]
	v_pk_mov_b32 v[72:73], v[56:57], v[56:57] op_sel:[0,1]
	v_fmac_f64_e32 v[72:73], v[70:71], v[74:75]
	v_pk_mov_b32 v[74:75], v[58:59], v[58:59] op_sel:[0,1]
	v_fmac_f64_e32 v[74:75], v[70:71], v[72:73]
	v_pk_mov_b32 v[72:73], v[60:61], v[60:61] op_sel:[0,1]
	v_fmac_f64_e32 v[72:73], v[70:71], v[74:75]
	v_pk_mov_b32 v[74:75], v[62:63], v[62:63] op_sel:[0,1]
	v_fmac_f64_e32 v[74:75], v[70:71], v[72:73]
	v_pk_mov_b32 v[72:73], v[64:65], v[64:65] op_sel:[0,1]
	v_fmac_f64_e32 v[72:73], v[70:71], v[74:75]
	v_mul_f64 v[74:75], v[70:71], v[70:71]
	v_fma_f64 v[76:77], v[70:71], v[70:71], -v[74:75]
	v_add_f64 v[78:79], v[66:67], v[66:67]
	v_fmac_f64_e32 v[76:77], v[70:71], v[78:79]
	v_add_f64 v[78:79], v[74:75], v[76:77]
	v_add_f64 v[74:75], v[78:79], -v[74:75]
	v_add_f64 v[74:75], v[76:77], -v[74:75]
	v_mul_f64 v[76:77], v[78:79], v[72:73]
	v_fma_f64 v[78:79], v[78:79], v[72:73], -v[76:77]
	v_fmac_f64_e32 v[78:79], v[74:75], v[72:73]
	v_add_f64 v[72:73], v[76:77], v[78:79]
	v_add_f64 v[74:75], v[72:73], -v[76:77]
	v_add_f64 v[76:77], v[70:71], v[72:73]
	v_add_f64 v[74:75], v[78:79], -v[74:75]
	v_add_f64 v[70:71], v[76:77], -v[70:71]
	;; [unrolled: 1-line block ×3, first 2 shown]
	v_add_f64 v[66:67], v[66:67], v[74:75]
	v_add_f64 v[66:67], v[66:67], v[70:71]
	;; [unrolled: 1-line block ×3, first 2 shown]
	v_add_f64 v[72:73], v[70:71], -v[76:77]
	v_add_f64 v[66:67], v[66:67], -v[72:73]
	v_add_f64 v[72:73], v[70:71], 1.0
	v_add_f64 v[74:75], v[72:73], -1.0
	v_add_f64 v[70:71], v[70:71], -v[74:75]
	v_add_f64 v[66:67], v[66:67], v[70:71]
	v_add_f64 v[70:71], v[72:73], v[66:67]
	v_cvt_i32_f64_e32 v76, v[68:69]
	v_ldexp_f64 v[68:69], v[70:71], v76
	v_rcp_f64_e32 v[74:75], v[68:69]
	v_add_f64 v[70:71], v[70:71], -v[72:73]
	v_add_f64 v[66:67], v[66:67], -v[70:71]
	v_ldexp_f64 v[66:67], v[66:67], v76
	v_fma_f64 v[70:71], -v[68:69], v[74:75], 1.0
	v_fmac_f64_e32 v[74:75], v[70:71], v[74:75]
	v_fma_f64 v[70:71], -v[68:69], v[74:75], 1.0
	v_fmac_f64_e32 v[74:75], v[70:71], v[74:75]
	v_mul_f64 v[70:71], v[68:69], v[74:75]
	v_fma_f64 v[72:73], v[74:75], v[68:69], -v[70:71]
	v_fmac_f64_e32 v[72:73], v[74:75], v[66:67]
	v_add_f64 v[76:77], v[70:71], v[72:73]
	v_add_f64 v[78:79], -v[76:77], 1.0
	v_add_f64 v[70:71], v[76:77], -v[70:71]
	v_add_f64 v[80:81], -v[78:79], 1.0
	v_add_f64 v[76:77], v[80:81], -v[76:77]
	v_add_f64 v[70:71], v[70:71], -v[72:73]
	v_add_f64 v[70:71], v[70:71], v[76:77]
	v_add_f64 v[72:73], v[78:79], v[70:71]
	v_add_f64 v[76:77], v[78:79], -v[72:73]
	v_add_f64 v[70:71], v[70:71], v[76:77]
	v_mul_f64 v[76:77], v[74:75], v[72:73]
	v_mul_f64 v[78:79], v[68:69], v[76:77]
	v_fma_f64 v[80:81], v[76:77], v[68:69], -v[78:79]
	v_fmac_f64_e32 v[80:81], v[76:77], v[66:67]
	v_add_f64 v[88:89], v[78:79], v[80:81]
	v_add_f64 v[90:91], v[72:73], -v[88:89]
	v_add_f64 v[72:73], v[72:73], -v[90:91]
	;; [unrolled: 1-line block ×4, first 2 shown]
	v_add_f64 v[70:71], v[70:71], v[72:73]
	v_add_f64 v[72:73], v[78:79], -v[80:81]
	v_add_f64 v[70:71], v[72:73], v[70:71]
	v_add_f64 v[70:71], v[90:91], v[70:71]
	;; [unrolled: 1-line block ×3, first 2 shown]
	v_mul_f64 v[70:71], v[74:75], v[70:71]
	v_add_f64 v[74:75], v[72:73], -v[74:75]
	v_add_f64 v[74:75], v[76:77], -v[74:75]
	v_add_f64 v[70:71], v[74:75], v[70:71]
	v_add_f64 v[74:75], v[72:73], v[70:71]
	v_add_f64 v[72:73], v[74:75], -v[72:73]
	v_add_f64 v[70:71], v[70:71], -v[72:73]
	v_ldexp_f64 v[72:73], v[74:75], -2
	v_add_f64 v[74:75], v[68:69], -v[72:73]
	v_add_f64 v[68:69], v[68:69], -v[74:75]
	;; [unrolled: 1-line block ×3, first 2 shown]
	v_ldexp_f64 v[70:71], v[70:71], -2
	v_add_f64 v[66:67], v[66:67], v[68:69]
	v_add_f64 v[66:67], v[66:67], -v[70:71]
	v_add_f64 v[66:67], v[74:75], v[66:67]
	v_cmp_nge_f64_e64 vcc, |v[8:9]|, s[52:53]
	v_and_b32_e32 v92, 0x7fffffff, v9
	v_cndmask_b32_e32 v67, v85, v67, vcc
	v_cndmask_b32_e32 v66, 0, v66, vcc
	v_cmp_lt_f64_e64 vcc, |v[8:9]|, s[54:55]
	v_cndmask_b32_e32 v8, v66, v8, vcc
	v_cndmask_b32_e32 v66, v67, v92, vcc
	v_bfi_b32 v9, s95, v66, v9
	v_fma_f64 v[66:67], v[8:9], v[8:9], 1.0
	v_cmp_gt_f64_e32 vcc, s[56:57], v[66:67]
	v_cndmask_b32_e64 v68, 0, 1, vcc
	v_lshlrev_b32_e32 v68, 8, v68
	v_ldexp_f64 v[66:67], v[66:67], v68
	v_rsq_f64_e32 v[68:69], v[66:67]
	v_and_b32_e32 v11, 0x80000000, v11
	v_xor_b32_e32 v11, v17, v11
	v_cndmask_b32_e32 v17, 0, v86, vcc
	v_mul_f64 v[72:73], v[66:67], v[68:69]
	v_mul_f64 v[68:69], v[68:69], 0.5
	v_fma_f64 v[74:75], -v[68:69], v[72:73], 0.5
	v_fmac_f64_e32 v[72:73], v[72:73], v[74:75]
	v_fma_f64 v[76:77], -v[72:73], v[72:73], v[66:67]
	v_fmac_f64_e32 v[68:69], v[68:69], v[74:75]
	v_fmac_f64_e32 v[72:73], v[76:77], v[68:69]
	v_fma_f64 v[74:75], -v[72:73], v[72:73], v[66:67]
	v_fmac_f64_e32 v[72:73], v[74:75], v[68:69]
	v_ldexp_f64 v[68:69], v[72:73], v17
	v_cmp_class_f64_e32 vcc, v[66:67], v82
	v_fma_f64 v[70:71], v[10:11], v[10:11], 1.0
	v_cndmask_b32_e32 v67, v69, v67, vcc
	v_cndmask_b32_e32 v66, v68, v66, vcc
	v_mul_f64 v[68:69], v[8:9], v[70:71]
	v_mul_f64 v[66:67], v[66:67], v[70:71]
	v_fma_f64 v[68:69], v[8:9], v[68:69], 1.0
	v_mul_f64 v[8:9], v[8:9], v[66:67]
	v_div_scale_f64 v[66:67], s[0:1], v[68:69], v[68:69], v[8:9]
	v_rcp_f64_e32 v[70:71], v[66:67]
	v_fma_f64 v[72:73], -v[66:67], v[70:71], 1.0
	v_fmac_f64_e32 v[70:71], v[70:71], v[72:73]
	v_fma_f64 v[72:73], -v[66:67], v[70:71], 1.0
	v_fmac_f64_e32 v[70:71], v[70:71], v[72:73]
	v_div_scale_f64 v[72:73], vcc, v[8:9], v[68:69], v[8:9]
	v_mul_f64 v[74:75], v[72:73], v[70:71]
	v_fma_f64 v[66:67], -v[66:67], v[74:75], v[72:73]
	v_div_scale_f64 v[72:73], s[0:1], v[68:69], v[68:69], v[10:11]
	v_rcp_f64_e32 v[76:77], v[72:73]
	v_div_fmas_f64 v[66:67], v[66:67], v[70:71], v[74:75]
	v_div_fixup_f64 v[8:9], v[66:67], v[68:69], v[8:9]
	v_fma_f64 v[66:67], -v[72:73], v[76:77], 1.0
	v_fmac_f64_e32 v[76:77], v[76:77], v[66:67]
	v_fma_f64 v[66:67], -v[72:73], v[76:77], 1.0
	v_fmac_f64_e32 v[76:77], v[76:77], v[66:67]
	v_div_scale_f64 v[66:67], vcc, v[10:11], v[68:69], v[10:11]
	v_mul_f64 v[70:71], v[66:67], v[76:77]
	v_fma_f64 v[66:67], -v[72:73], v[70:71], v[66:67]
	s_nop 1
	v_div_fmas_f64 v[66:67], v[66:67], v[76:77], v[70:71]
	v_div_fixup_f64 v[10:11], v[66:67], v[68:69], v[10:11]
.LBB162_226:                            ;   in Loop: Header=BB162_180 Depth=1
	s_andn2_saveexec_b64 s[86:87], s[86:87]
	s_cbranch_execz .LBB162_236
; %bb.227:                              ;   in Loop: Header=BB162_180 Depth=1
	v_cmp_nlt_f64_e64 s[88:89], |v[10:11]|, s[4:5]
                                        ; implicit-def: $vgpr74
                                        ; implicit-def: $vgpr66_vgpr67
                                        ; implicit-def: $vgpr68_vgpr69
	s_and_saveexec_b64 s[0:1], s[88:89]
	s_xor_b64 s[90:91], exec, s[0:1]
	s_cbranch_execz .LBB162_229
; %bb.228:                              ;   in Loop: Header=BB162_180 Depth=1
	v_and_b32_e32 v17, 0x7fffffff, v11
	v_ldexp_f64 v[70:71], |v[10:11]|, s43
	v_cmp_ge_f64_e64 vcc, |v[10:11]|, s[6:7]
	v_trig_preop_f64 v[66:67], |v[10:11]|, 0
	v_cndmask_b32_e32 v71, v17, v71, vcc
	v_cndmask_b32_e32 v70, v10, v70, vcc
	v_trig_preop_f64 v[68:69], |v[10:11]|, 1
	v_mul_f64 v[74:75], v[66:67], v[70:71]
	v_mul_f64 v[72:73], v[68:69], v[70:71]
	v_fma_f64 v[66:67], v[66:67], v[70:71], -v[74:75]
	v_add_f64 v[76:77], v[72:73], v[66:67]
	v_add_f64 v[78:79], v[74:75], v[76:77]
	v_ldexp_f64 v[80:81], v[78:79], -2
	v_fract_f64_e32 v[88:89], v[80:81]
	v_cmp_neq_f64_e64 vcc, |v[80:81]|, s[8:9]
	v_cndmask_b32_e32 v81, 0, v89, vcc
	v_cndmask_b32_e32 v80, 0, v88, vcc
	v_add_f64 v[88:89], v[76:77], -v[72:73]
	v_add_f64 v[66:67], v[66:67], -v[88:89]
	;; [unrolled: 1-line block ×4, first 2 shown]
	v_fma_f64 v[68:69], v[68:69], v[70:71], -v[72:73]
	v_trig_preop_f64 v[72:73], |v[10:11]|, 2
	v_add_f64 v[66:67], v[66:67], v[88:89]
	v_mul_f64 v[88:89], v[72:73], v[70:71]
	v_add_f64 v[90:91], v[88:89], v[68:69]
	v_add_f64 v[92:93], v[90:91], v[66:67]
	v_add_f64 v[74:75], v[78:79], -v[74:75]
	v_add_f64 v[78:79], v[92:93], -v[90:91]
	;; [unrolled: 1-line block ×5, first 2 shown]
	v_add_f64 v[66:67], v[66:67], v[78:79]
	v_add_f64 v[78:79], v[90:91], -v[88:89]
	v_add_f64 v[68:69], v[68:69], -v[78:79]
	;; [unrolled: 1-line block ×4, first 2 shown]
	v_add_f64 v[68:69], v[68:69], v[78:79]
	v_add_f64 v[74:75], v[76:77], -v[74:75]
	v_add_f64 v[66:67], v[68:69], v[66:67]
	v_fma_f64 v[68:69], v[72:73], v[70:71], -v[88:89]
	v_add_f64 v[76:77], v[74:75], v[92:93]
	v_add_f64 v[66:67], v[68:69], v[66:67]
	v_ldexp_f64 v[68:69], v[80:81], 2
	v_add_f64 v[70:71], v[76:77], v[68:69]
	v_cmp_gt_f64_e32 vcc, 0, v[70:71]
	v_cndmask_b32_e32 v17, 0, v83, vcc
	v_add_f64 v[68:69], v[68:69], v[16:17]
	v_add_f64 v[70:71], v[76:77], v[68:69]
	v_cvt_i32_f64_e32 v17, v[70:71]
	v_cvt_f64_i32_e32 v[70:71], v17
	v_add_f64 v[68:69], v[68:69], -v[70:71]
	v_add_f64 v[74:75], v[76:77], -v[74:75]
	v_add_f64 v[70:71], v[76:77], v[68:69]
	v_add_f64 v[74:75], v[92:93], -v[74:75]
	v_add_f64 v[68:69], v[70:71], -v[68:69]
	v_cmp_le_f64_e32 vcc, 0.5, v[70:71]
	v_add_f64 v[66:67], v[74:75], v[66:67]
	v_add_f64 v[68:69], v[76:77], -v[68:69]
	v_addc_co_u32_e64 v74, s[0:1], 0, v17, vcc
	v_cndmask_b32_e32 v17, 0, v84, vcc
	v_add_f64 v[66:67], v[66:67], v[68:69]
	v_add_f64 v[68:69], v[70:71], -v[16:17]
	v_add_f64 v[70:71], v[68:69], v[66:67]
	v_add_f64 v[68:69], v[70:71], -v[68:69]
	s_mov_b32 s10, s14
	v_add_f64 v[66:67], v[66:67], -v[68:69]
	v_mul_f64 v[68:69], v[70:71], s[10:11]
	v_fma_f64 v[72:73], v[70:71], s[10:11], -v[68:69]
	s_mov_b32 s19, s17
	v_fmac_f64_e32 v[72:73], s[18:19], v[70:71]
	v_fmac_f64_e32 v[72:73], s[10:11], v[66:67]
	v_add_f64 v[66:67], v[68:69], v[72:73]
	v_add_f64 v[68:69], v[66:67], -v[68:69]
	v_add_f64 v[68:69], v[72:73], -v[68:69]
	s_andn2_saveexec_b64 s[0:1], s[90:91]
	s_cbranch_execz .LBB162_231
	s_branch .LBB162_230
.LBB162_229:                            ;   in Loop: Header=BB162_180 Depth=1
	s_andn2_saveexec_b64 s[0:1], s[90:91]
	s_cbranch_execz .LBB162_231
.LBB162_230:                            ;   in Loop: Header=BB162_180 Depth=1
	v_mul_f64 v[66:67], |v[10:11]|, s[20:21]
	v_rndne_f64_e32 v[70:71], v[66:67]
	v_fma_f64 v[66:67], v[70:71], s[14:15], |v[10:11]|
	v_mul_f64 v[72:73], v[70:71], s[22:23]
	v_add_f64 v[76:77], v[66:67], v[72:73]
	v_fma_f64 v[68:69], s[22:23], v[70:71], v[66:67]
	s_mov_b32 s16, s22
	v_add_f64 v[66:67], v[66:67], -v[76:77]
	v_fma_f64 v[74:75], s[16:17], v[70:71], v[72:73]
	v_add_f64 v[66:67], v[66:67], v[72:73]
	v_add_f64 v[72:73], v[76:77], -v[68:69]
	v_add_f64 v[66:67], v[72:73], v[66:67]
	v_add_f64 v[72:73], v[66:67], -v[74:75]
	v_fmac_f64_e32 v[72:73], s[24:25], v[70:71]
	v_add_f64 v[66:67], v[68:69], v[72:73]
	v_add_f64 v[68:69], v[66:67], -v[68:69]
	v_add_f64 v[68:69], v[72:73], -v[68:69]
	v_cvt_i32_f64_e32 v74, v[70:71]
.LBB162_231:                            ;   in Loop: Header=BB162_180 Depth=1
	s_or_b64 exec, exec, s[0:1]
                                        ; implicit-def: $vgpr75
                                        ; implicit-def: $vgpr70_vgpr71
                                        ; implicit-def: $vgpr72_vgpr73
	s_and_saveexec_b64 s[0:1], s[88:89]
	s_xor_b64 s[88:89], exec, s[0:1]
	s_cbranch_execz .LBB162_233
; %bb.232:                              ;   in Loop: Header=BB162_180 Depth=1
	v_and_b32_e32 v17, 0x7fffffff, v11
	v_ldexp_f64 v[76:77], |v[10:11]|, s43
	v_cmp_ge_f64_e64 vcc, |v[10:11]|, s[6:7]
	v_trig_preop_f64 v[70:71], |v[10:11]|, 0
	v_cndmask_b32_e32 v77, v17, v77, vcc
	v_cndmask_b32_e32 v76, v10, v76, vcc
	v_trig_preop_f64 v[72:73], |v[10:11]|, 1
	v_mul_f64 v[80:81], v[70:71], v[76:77]
	v_mul_f64 v[78:79], v[72:73], v[76:77]
	v_fma_f64 v[70:71], v[70:71], v[76:77], -v[80:81]
	v_add_f64 v[88:89], v[78:79], v[70:71]
	v_add_f64 v[90:91], v[80:81], v[88:89]
	v_ldexp_f64 v[92:93], v[90:91], -2
	v_fract_f64_e32 v[94:95], v[92:93]
	v_cmp_neq_f64_e64 vcc, |v[92:93]|, s[8:9]
	v_cndmask_b32_e32 v93, 0, v95, vcc
	v_cndmask_b32_e32 v92, 0, v94, vcc
	v_add_f64 v[94:95], v[88:89], -v[78:79]
	v_add_f64 v[70:71], v[70:71], -v[94:95]
	;; [unrolled: 1-line block ×4, first 2 shown]
	v_fma_f64 v[72:73], v[72:73], v[76:77], -v[78:79]
	v_trig_preop_f64 v[78:79], |v[10:11]|, 2
	v_add_f64 v[70:71], v[70:71], v[94:95]
	v_mul_f64 v[94:95], v[78:79], v[76:77]
	v_add_f64 v[96:97], v[94:95], v[72:73]
	v_add_f64 v[98:99], v[96:97], v[70:71]
	v_add_f64 v[80:81], v[90:91], -v[80:81]
	v_add_f64 v[90:91], v[98:99], -v[96:97]
	v_add_f64 v[70:71], v[70:71], -v[90:91]
	v_add_f64 v[90:91], v[98:99], -v[90:91]
	v_add_f64 v[90:91], v[96:97], -v[90:91]
	v_add_f64 v[70:71], v[70:71], v[90:91]
	v_add_f64 v[90:91], v[96:97], -v[94:95]
	v_add_f64 v[72:73], v[72:73], -v[90:91]
	;; [unrolled: 1-line block ×4, first 2 shown]
	v_add_f64 v[72:73], v[72:73], v[90:91]
	v_add_f64 v[80:81], v[88:89], -v[80:81]
	v_add_f64 v[70:71], v[72:73], v[70:71]
	v_fma_f64 v[72:73], v[78:79], v[76:77], -v[94:95]
	v_add_f64 v[88:89], v[80:81], v[98:99]
	v_add_f64 v[70:71], v[72:73], v[70:71]
	v_ldexp_f64 v[72:73], v[92:93], 2
	v_add_f64 v[76:77], v[88:89], v[72:73]
	v_cmp_gt_f64_e32 vcc, 0, v[76:77]
	v_cndmask_b32_e32 v17, 0, v83, vcc
	v_add_f64 v[72:73], v[72:73], v[16:17]
	v_add_f64 v[76:77], v[88:89], v[72:73]
	v_cvt_i32_f64_e32 v17, v[76:77]
	v_cvt_f64_i32_e32 v[76:77], v17
	v_add_f64 v[72:73], v[72:73], -v[76:77]
	v_add_f64 v[80:81], v[88:89], -v[80:81]
	v_add_f64 v[76:77], v[88:89], v[72:73]
	v_add_f64 v[80:81], v[98:99], -v[80:81]
	v_add_f64 v[72:73], v[76:77], -v[72:73]
	v_cmp_le_f64_e32 vcc, 0.5, v[76:77]
	v_add_f64 v[70:71], v[80:81], v[70:71]
	v_add_f64 v[72:73], v[88:89], -v[72:73]
	v_addc_co_u32_e64 v75, s[0:1], 0, v17, vcc
	v_cndmask_b32_e32 v17, 0, v84, vcc
	v_add_f64 v[70:71], v[70:71], v[72:73]
	v_add_f64 v[72:73], v[76:77], -v[16:17]
	v_add_f64 v[76:77], v[72:73], v[70:71]
	v_add_f64 v[72:73], v[76:77], -v[72:73]
	s_mov_b32 s10, s14
	v_add_f64 v[70:71], v[70:71], -v[72:73]
	v_mul_f64 v[72:73], v[76:77], s[10:11]
	v_fma_f64 v[78:79], v[76:77], s[10:11], -v[72:73]
	s_mov_b32 s19, s17
	v_fmac_f64_e32 v[78:79], s[18:19], v[76:77]
	v_fmac_f64_e32 v[78:79], s[10:11], v[70:71]
	v_add_f64 v[70:71], v[72:73], v[78:79]
	v_add_f64 v[72:73], v[70:71], -v[72:73]
	v_add_f64 v[72:73], v[78:79], -v[72:73]
	s_andn2_saveexec_b64 s[0:1], s[88:89]
	s_cbranch_execnz .LBB162_234
	s_branch .LBB162_235
.LBB162_233:                            ;   in Loop: Header=BB162_180 Depth=1
	s_andn2_saveexec_b64 s[0:1], s[88:89]
	s_cbranch_execz .LBB162_235
.LBB162_234:                            ;   in Loop: Header=BB162_180 Depth=1
	v_mul_f64 v[70:71], |v[10:11]|, s[20:21]
	v_rndne_f64_e32 v[76:77], v[70:71]
	v_fma_f64 v[70:71], v[76:77], s[14:15], |v[10:11]|
	v_mul_f64 v[78:79], v[76:77], s[22:23]
	v_add_f64 v[88:89], v[70:71], v[78:79]
	v_fma_f64 v[72:73], s[22:23], v[76:77], v[70:71]
	s_mov_b32 s16, s22
	v_add_f64 v[70:71], v[70:71], -v[88:89]
	v_fma_f64 v[80:81], s[16:17], v[76:77], v[78:79]
	v_add_f64 v[70:71], v[70:71], v[78:79]
	v_add_f64 v[78:79], v[88:89], -v[72:73]
	v_add_f64 v[70:71], v[78:79], v[70:71]
	v_add_f64 v[78:79], v[70:71], -v[80:81]
	v_fmac_f64_e32 v[78:79], s[24:25], v[76:77]
	v_add_f64 v[70:71], v[72:73], v[78:79]
	v_add_f64 v[72:73], v[70:71], -v[72:73]
	v_add_f64 v[72:73], v[78:79], -v[72:73]
	v_cvt_i32_f64_e32 v75, v[76:77]
.LBB162_235:                            ;   in Loop: Header=BB162_180 Depth=1
	s_or_b64 exec, exec, s[0:1]
	v_mul_f64 v[76:77], v[66:67], v[66:67]
	v_pk_mov_b32 v[90:91], s[58:59], s[58:59] op_sel:[0,1]
	v_mul_f64 v[78:79], v[76:77], 0.5
	v_fma_f64 v[92:93], s[60:61], v[76:77], v[90:91]
	v_add_f64 v[80:81], -v[78:79], 1.0
	v_fma_f64 v[92:93], v[76:77], v[92:93], s[62:63]
	v_add_f64 v[88:89], -v[80:81], 1.0
	v_fma_f64 v[92:93], v[76:77], v[92:93], s[64:65]
	v_add_f64 v[78:79], v[88:89], -v[78:79]
	v_fma_f64 v[92:93], v[76:77], v[92:93], s[66:67]
	v_mul_f64 v[88:89], v[76:77], v[76:77]
	v_fma_f64 v[92:93], v[76:77], v[92:93], s[50:51]
	v_fma_f64 v[78:79], v[66:67], -v[68:69], v[78:79]
	v_fmac_f64_e32 v[78:79], v[88:89], v[92:93]
	v_add_f64 v[78:79], v[80:81], v[78:79]
	v_pk_mov_b32 v[80:81], s[68:69], s[68:69] op_sel:[0,1]
	v_fma_f64 v[88:89], s[70:71], v[76:77], v[80:81]
	v_fma_f64 v[88:89], v[76:77], v[88:89], s[72:73]
	;; [unrolled: 1-line block ×4, first 2 shown]
	v_mul_f64 v[92:93], v[66:67], -v[76:77]
	v_mul_f64 v[94:95], v[68:69], 0.5
	v_fmac_f64_e32 v[94:95], v[92:93], v[88:89]
	v_fma_f64 v[68:69], v[76:77], v[94:95], -v[68:69]
	s_mov_b32 s76, s50
	v_fmac_f64_e32 v[68:69], s[76:77], v[92:93]
	v_and_b32_e32 v10, 1, v74
	v_add_f64 v[66:67], v[66:67], -v[68:69]
	v_cmp_eq_u32_e32 vcc, 0, v10
	v_cndmask_b32_e32 v10, v78, v66, vcc
	v_lshlrev_b32_e32 v66, 30, v74
	v_cndmask_b32_e32 v17, v79, v67, vcc
	v_xor_b32_e32 v11, v66, v11
	v_mul_f64 v[66:67], |v[8:9]|, s[38:39]
	v_rndne_f64_e32 v[66:67], v[66:67]
	v_fma_f64 v[68:69], v[66:67], s[28:29], -|v[8:9]|
	v_fmac_f64_e32 v[68:69], s[34:35], v[66:67]
	v_pk_mov_b32 v[76:77], v[48:49], v[48:49] op_sel:[0,1]
	v_fmac_f64_e32 v[76:77], s[46:47], v[68:69]
	v_pk_mov_b32 v[78:79], v[50:51], v[50:51] op_sel:[0,1]
	;; [unrolled: 2-line block ×9, first 2 shown]
	v_fmac_f64_e32 v[76:77], v[68:69], v[78:79]
	v_and_b32_e32 v11, 0x80000000, v11
	v_fma_f64 v[76:77], v[68:69], v[76:77], 1.0
	v_xor_b32_e32 v11, v17, v11
	v_fma_f64 v[68:69], v[68:69], v[76:77], 1.0
	v_cvt_i32_f64_e32 v17, v[66:67]
	v_ldexp_f64 v[66:67], v[68:69], v17
	v_cmp_ngt_f64_e64 vcc, |v[8:9]|, s[78:79]
	v_bfi_b32 v17, s95, v84, v9
	v_mul_f64 v[8:9], v[70:71], v[70:71]
	v_mul_f64 v[68:69], v[8:9], 0.5
	v_fmac_f64_e32 v[90:91], s[60:61], v[8:9]
	v_add_f64 v[76:77], -v[68:69], 1.0
	v_fma_f64 v[88:89], v[8:9], v[90:91], s[62:63]
	v_add_f64 v[78:79], -v[76:77], 1.0
	v_fma_f64 v[88:89], v[8:9], v[88:89], s[64:65]
	v_add_f64 v[68:69], v[78:79], -v[68:69]
	v_fma_f64 v[88:89], v[8:9], v[88:89], s[66:67]
	v_mul_f64 v[78:79], v[8:9], v[8:9]
	v_fma_f64 v[88:89], v[8:9], v[88:89], s[50:51]
	v_fma_f64 v[68:69], v[70:71], -v[72:73], v[68:69]
	v_fmac_f64_e32 v[68:69], v[78:79], v[88:89]
	v_fmac_f64_e32 v[80:81], s[70:71], v[8:9]
	v_add_f64 v[68:69], v[76:77], v[68:69]
	v_fma_f64 v[76:77], v[8:9], v[80:81], s[72:73]
	v_fma_f64 v[76:77], v[8:9], v[76:77], s[74:75]
	;; [unrolled: 1-line block ×3, first 2 shown]
	v_mul_f64 v[78:79], v[70:71], -v[8:9]
	v_mul_f64 v[80:81], v[72:73], 0.5
	v_fmac_f64_e32 v[80:81], v[78:79], v[76:77]
	v_fma_f64 v[8:9], v[8:9], v[80:81], -v[72:73]
	v_fmac_f64_e32 v[8:9], s[76:77], v[78:79]
	v_add_f64 v[8:9], v[70:71], -v[8:9]
	v_and_b32_e32 v70, 1, v75
	v_cndmask_b32_e32 v67, 0, v67, vcc
	v_cndmask_b32_e32 v66, 0, v66, vcc
	v_cmp_eq_u32_e32 vcc, 0, v70
	v_xor_b32_e32 v9, 0x80000000, v9
	v_cndmask_b32_e32 v8, v8, v68, vcc
	v_lshlrev_b32_e32 v68, 30, v75
	v_cndmask_b32_e32 v9, v9, v69, vcc
	v_and_b32_e32 v68, 0x80000000, v68
	v_mul_f64 v[10:11], v[10:11], 4.0
	v_xor_b32_e32 v9, v9, v68
	v_mul_f64 v[8:9], v[10:11], v[8:9]
	v_mul_f64 v[8:9], v[66:67], v[8:9]
	v_mul_f64 v[10:11], v[66:67], v[8:9]
	v_pk_mov_b32 v[8:9], v[16:17], v[16:17] op_sel:[0,1]
.LBB162_236:                            ;   in Loop: Header=BB162_180 Depth=1
	s_or_b64 exec, exec, s[86:87]
.LBB162_237:                            ;   in Loop: Header=BB162_180 Depth=1
	s_andn2_saveexec_b64 s[0:1], s[84:85]
; %bb.238:                              ;   in Loop: Header=BB162_180 Depth=1
	v_add_f64 v[10:11], v[10:11], -v[10:11]
	v_pk_mov_b32 v[8:9], v[10:11], v[10:11] op_sel:[0,1]
; %bb.239:                              ;   in Loop: Header=BB162_180 Depth=1
	s_or_b64 exec, exec, s[0:1]
.LBB162_240:                            ;   in Loop: Header=BB162_180 Depth=1
	s_andn2_saveexec_b64 s[82:83], s[82:83]
	s_cbranch_execz .LBB162_256
; %bb.241:                              ;   in Loop: Header=BB162_180 Depth=1
	v_and_or_b32 v17, v9, s44, v8
	v_cmp_ne_u32_e32 vcc, 0, v17
	s_and_saveexec_b64 s[0:1], vcc
	s_xor_b64 s[0:1], exec, s[0:1]
; %bb.242:                              ;   in Loop: Header=BB162_180 Depth=1
	v_mul_f64 v[66:67], v[8:9], v[10:11]
	v_cmp_eq_f64_e32 vcc, 0, v[10:11]
	v_cndmask_b32_e32 v11, v67, v11, vcc
	v_cndmask_b32_e32 v10, v66, v10, vcc
; %bb.243:                              ;   in Loop: Header=BB162_180 Depth=1
	s_andn2_saveexec_b64 s[84:85], s[0:1]
	s_cbranch_execz .LBB162_255
; %bb.244:                              ;   in Loop: Header=BB162_180 Depth=1
	v_cmp_neq_f64_e64 s[0:1], |v[10:11]|, s[8:9]
	s_and_saveexec_b64 s[86:87], s[0:1]
	s_cbranch_execz .LBB162_254
; %bb.245:                              ;   in Loop: Header=BB162_180 Depth=1
	v_cmp_nlt_f64_e64 s[88:89], |v[10:11]|, s[4:5]
	v_trig_preop_f64 v[74:75], |v[10:11]|, 0
	v_trig_preop_f64 v[72:73], |v[10:11]|, 1
	v_ldexp_f64 v[76:77], |v[10:11]|, s43
	v_trig_preop_f64 v[70:71], |v[10:11]|, 2
	v_and_b32_e32 v89, 0x7fffffff, v11
                                        ; implicit-def: $vgpr88
                                        ; implicit-def: $vgpr66_vgpr67
                                        ; implicit-def: $vgpr68_vgpr69
	s_and_saveexec_b64 s[0:1], s[88:89]
	s_xor_b64 s[90:91], exec, s[0:1]
	s_cbranch_execz .LBB162_247
; %bb.246:                              ;   in Loop: Header=BB162_180 Depth=1
	v_cmp_ge_f64_e64 vcc, |v[10:11]|, s[6:7]
	v_cndmask_b32_e32 v67, v89, v77, vcc
	v_cndmask_b32_e32 v66, v10, v76, vcc
	v_mul_f64 v[78:79], v[74:75], v[66:67]
	v_mul_f64 v[68:69], v[72:73], v[66:67]
	v_fma_f64 v[80:81], v[74:75], v[66:67], -v[78:79]
	v_add_f64 v[90:91], v[68:69], v[80:81]
	v_add_f64 v[92:93], v[78:79], v[90:91]
	v_ldexp_f64 v[94:95], v[92:93], -2
	v_fract_f64_e32 v[96:97], v[94:95]
	v_cmp_neq_f64_e64 vcc, |v[94:95]|, s[8:9]
	v_cndmask_b32_e32 v95, 0, v97, vcc
	v_cndmask_b32_e32 v94, 0, v96, vcc
	v_add_f64 v[96:97], v[90:91], -v[68:69]
	v_add_f64 v[80:81], v[80:81], -v[96:97]
	;; [unrolled: 1-line block ×4, first 2 shown]
	v_add_f64 v[80:81], v[80:81], v[96:97]
	v_fma_f64 v[68:69], v[72:73], v[66:67], -v[68:69]
	v_mul_f64 v[96:97], v[70:71], v[66:67]
	v_add_f64 v[98:99], v[96:97], v[68:69]
	v_add_f64 v[100:101], v[98:99], v[80:81]
	v_add_f64 v[78:79], v[92:93], -v[78:79]
	v_add_f64 v[92:93], v[100:101], -v[98:99]
	;; [unrolled: 1-line block ×5, first 2 shown]
	v_add_f64 v[80:81], v[80:81], v[92:93]
	v_add_f64 v[92:93], v[98:99], -v[96:97]
	v_add_f64 v[68:69], v[68:69], -v[92:93]
	;; [unrolled: 1-line block ×5, first 2 shown]
	v_add_f64 v[90:91], v[78:79], v[100:101]
	v_add_f64 v[68:69], v[68:69], v[92:93]
	v_add_f64 v[78:79], v[90:91], -v[78:79]
	v_add_f64 v[68:69], v[68:69], v[80:81]
	v_fma_f64 v[66:67], v[70:71], v[66:67], -v[96:97]
	v_add_f64 v[78:79], v[100:101], -v[78:79]
	v_add_f64 v[66:67], v[66:67], v[68:69]
	v_ldexp_f64 v[68:69], v[94:95], 2
	v_add_f64 v[66:67], v[78:79], v[66:67]
	v_add_f64 v[78:79], v[90:91], v[68:69]
	v_cmp_gt_f64_e32 vcc, 0, v[78:79]
	v_cndmask_b32_e32 v17, 0, v83, vcc
	v_add_f64 v[68:69], v[68:69], v[16:17]
	v_add_f64 v[78:79], v[90:91], v[68:69]
	v_cvt_i32_f64_e32 v17, v[78:79]
	v_cvt_f64_i32_e32 v[78:79], v17
	v_add_f64 v[68:69], v[68:69], -v[78:79]
	v_add_f64 v[78:79], v[90:91], v[68:69]
	v_add_f64 v[68:69], v[78:79], -v[68:69]
	v_cmp_le_f64_e32 vcc, 0.5, v[78:79]
	v_add_f64 v[68:69], v[90:91], -v[68:69]
	v_addc_co_u32_e64 v88, s[0:1], 0, v17, vcc
	v_cndmask_b32_e32 v17, 0, v84, vcc
	v_add_f64 v[66:67], v[66:67], v[68:69]
	v_add_f64 v[68:69], v[78:79], -v[16:17]
	v_add_f64 v[78:79], v[68:69], v[66:67]
	v_add_f64 v[68:69], v[78:79], -v[68:69]
	s_mov_b32 s10, s14
	v_add_f64 v[66:67], v[66:67], -v[68:69]
	v_mul_f64 v[68:69], v[78:79], s[10:11]
	v_fma_f64 v[80:81], v[78:79], s[10:11], -v[68:69]
	s_mov_b32 s19, s17
	v_fmac_f64_e32 v[80:81], s[18:19], v[78:79]
	v_fmac_f64_e32 v[80:81], s[10:11], v[66:67]
	v_add_f64 v[66:67], v[68:69], v[80:81]
	v_add_f64 v[68:69], v[66:67], -v[68:69]
	v_add_f64 v[68:69], v[80:81], -v[68:69]
	s_andn2_saveexec_b64 s[0:1], s[90:91]
	s_cbranch_execz .LBB162_249
	s_branch .LBB162_248
.LBB162_247:                            ;   in Loop: Header=BB162_180 Depth=1
	s_andn2_saveexec_b64 s[0:1], s[90:91]
	s_cbranch_execz .LBB162_249
.LBB162_248:                            ;   in Loop: Header=BB162_180 Depth=1
	v_mul_f64 v[66:67], |v[10:11]|, s[20:21]
	v_rndne_f64_e32 v[78:79], v[66:67]
	v_fma_f64 v[66:67], v[78:79], s[14:15], |v[10:11]|
	v_mul_f64 v[80:81], v[78:79], s[22:23]
	v_add_f64 v[92:93], v[66:67], v[80:81]
	v_fma_f64 v[68:69], s[22:23], v[78:79], v[66:67]
	s_mov_b32 s16, s22
	v_add_f64 v[66:67], v[66:67], -v[92:93]
	v_fma_f64 v[90:91], s[16:17], v[78:79], v[80:81]
	v_add_f64 v[66:67], v[66:67], v[80:81]
	v_add_f64 v[80:81], v[92:93], -v[68:69]
	v_add_f64 v[66:67], v[80:81], v[66:67]
	v_add_f64 v[80:81], v[66:67], -v[90:91]
	v_fmac_f64_e32 v[80:81], s[24:25], v[78:79]
	v_add_f64 v[66:67], v[68:69], v[80:81]
	v_add_f64 v[68:69], v[66:67], -v[68:69]
	v_add_f64 v[68:69], v[80:81], -v[68:69]
	v_cvt_i32_f64_e32 v88, v[78:79]
.LBB162_249:                            ;   in Loop: Header=BB162_180 Depth=1
	s_or_b64 exec, exec, s[0:1]
                                        ; implicit-def: $vgpr90
                                        ; implicit-def: $vgpr78_vgpr79
                                        ; implicit-def: $vgpr80_vgpr81
	s_and_saveexec_b64 s[0:1], s[88:89]
	s_xor_b64 s[88:89], exec, s[0:1]
	s_cbranch_execz .LBB162_251
; %bb.250:                              ;   in Loop: Header=BB162_180 Depth=1
	v_cmp_ge_f64_e64 vcc, |v[10:11]|, s[6:7]
	v_cndmask_b32_e32 v77, v89, v77, vcc
	v_cndmask_b32_e32 v76, v10, v76, vcc
	v_mul_f64 v[80:81], v[74:75], v[76:77]
	v_mul_f64 v[78:79], v[72:73], v[76:77]
	v_fma_f64 v[74:75], v[74:75], v[76:77], -v[80:81]
	v_add_f64 v[90:91], v[78:79], v[74:75]
	v_add_f64 v[92:93], v[80:81], v[90:91]
	v_ldexp_f64 v[94:95], v[92:93], -2
	v_fract_f64_e32 v[96:97], v[94:95]
	v_cmp_neq_f64_e64 vcc, |v[94:95]|, s[8:9]
	v_cndmask_b32_e32 v95, 0, v97, vcc
	v_cndmask_b32_e32 v94, 0, v96, vcc
	v_add_f64 v[96:97], v[90:91], -v[78:79]
	v_add_f64 v[74:75], v[74:75], -v[96:97]
	;; [unrolled: 1-line block ×4, first 2 shown]
	v_fma_f64 v[72:73], v[72:73], v[76:77], -v[78:79]
	v_mul_f64 v[78:79], v[70:71], v[76:77]
	v_add_f64 v[74:75], v[74:75], v[96:97]
	v_add_f64 v[96:97], v[78:79], v[72:73]
	;; [unrolled: 1-line block ×3, first 2 shown]
	v_add_f64 v[80:81], v[92:93], -v[80:81]
	v_add_f64 v[92:93], v[98:99], -v[96:97]
	;; [unrolled: 1-line block ×5, first 2 shown]
	v_add_f64 v[74:75], v[74:75], v[92:93]
	v_add_f64 v[92:93], v[96:97], -v[78:79]
	v_add_f64 v[72:73], v[72:73], -v[92:93]
	;; [unrolled: 1-line block ×4, first 2 shown]
	v_add_f64 v[72:73], v[72:73], v[92:93]
	v_add_f64 v[80:81], v[90:91], -v[80:81]
	v_add_f64 v[72:73], v[72:73], v[74:75]
	v_fma_f64 v[70:71], v[70:71], v[76:77], -v[78:79]
	v_add_f64 v[90:91], v[80:81], v[98:99]
	v_add_f64 v[70:71], v[70:71], v[72:73]
	v_ldexp_f64 v[72:73], v[94:95], 2
	v_add_f64 v[74:75], v[90:91], v[72:73]
	v_cmp_gt_f64_e32 vcc, 0, v[74:75]
	v_cndmask_b32_e32 v17, 0, v83, vcc
	v_add_f64 v[72:73], v[72:73], v[16:17]
	v_add_f64 v[74:75], v[90:91], v[72:73]
	v_cvt_i32_f64_e32 v17, v[74:75]
	v_cvt_f64_i32_e32 v[74:75], v17
	v_add_f64 v[72:73], v[72:73], -v[74:75]
	v_add_f64 v[80:81], v[90:91], -v[80:81]
	v_add_f64 v[74:75], v[90:91], v[72:73]
	v_add_f64 v[80:81], v[98:99], -v[80:81]
	v_add_f64 v[72:73], v[74:75], -v[72:73]
	v_cmp_le_f64_e32 vcc, 0.5, v[74:75]
	v_add_f64 v[70:71], v[80:81], v[70:71]
	v_add_f64 v[72:73], v[90:91], -v[72:73]
	v_addc_co_u32_e64 v90, s[0:1], 0, v17, vcc
	v_cndmask_b32_e32 v17, 0, v84, vcc
	v_add_f64 v[70:71], v[70:71], v[72:73]
	v_add_f64 v[72:73], v[74:75], -v[16:17]
	v_add_f64 v[74:75], v[72:73], v[70:71]
	v_add_f64 v[72:73], v[74:75], -v[72:73]
	s_mov_b32 s10, s14
	v_add_f64 v[70:71], v[70:71], -v[72:73]
	v_mul_f64 v[72:73], v[74:75], s[10:11]
	v_fma_f64 v[76:77], v[74:75], s[10:11], -v[72:73]
	s_mov_b32 s19, s17
	v_fmac_f64_e32 v[76:77], s[18:19], v[74:75]
	v_fmac_f64_e32 v[76:77], s[10:11], v[70:71]
	v_add_f64 v[78:79], v[72:73], v[76:77]
	v_add_f64 v[70:71], v[78:79], -v[72:73]
	v_add_f64 v[80:81], v[76:77], -v[70:71]
	s_andn2_saveexec_b64 s[0:1], s[88:89]
	s_cbranch_execnz .LBB162_252
	s_branch .LBB162_253
.LBB162_251:                            ;   in Loop: Header=BB162_180 Depth=1
	s_andn2_saveexec_b64 s[0:1], s[88:89]
	s_cbranch_execz .LBB162_253
.LBB162_252:                            ;   in Loop: Header=BB162_180 Depth=1
	v_mul_f64 v[70:71], |v[10:11]|, s[20:21]
	v_rndne_f64_e32 v[70:71], v[70:71]
	v_fma_f64 v[72:73], v[70:71], s[14:15], |v[10:11]|
	v_mul_f64 v[76:77], v[70:71], s[22:23]
	v_add_f64 v[80:81], v[72:73], v[76:77]
	v_fma_f64 v[74:75], s[22:23], v[70:71], v[72:73]
	s_mov_b32 s16, s22
	v_add_f64 v[72:73], v[72:73], -v[80:81]
	v_fma_f64 v[78:79], s[16:17], v[70:71], v[76:77]
	v_add_f64 v[72:73], v[72:73], v[76:77]
	v_add_f64 v[76:77], v[80:81], -v[74:75]
	v_add_f64 v[72:73], v[76:77], v[72:73]
	v_add_f64 v[72:73], v[72:73], -v[78:79]
	v_fmac_f64_e32 v[72:73], s[24:25], v[70:71]
	v_add_f64 v[78:79], v[74:75], v[72:73]
	v_add_f64 v[74:75], v[78:79], -v[74:75]
	v_add_f64 v[80:81], v[72:73], -v[74:75]
	v_cvt_i32_f64_e32 v90, v[70:71]
.LBB162_253:                            ;   in Loop: Header=BB162_180 Depth=1
	s_or_b64 exec, exec, s[0:1]
	v_mul_f64 v[70:71], v[66:67], v[66:67]
	v_pk_mov_b32 v[92:93], s[58:59], s[58:59] op_sel:[0,1]
	v_mul_f64 v[72:73], v[70:71], 0.5
	v_fma_f64 v[94:95], s[60:61], v[70:71], v[92:93]
	v_add_f64 v[74:75], -v[72:73], 1.0
	v_fma_f64 v[94:95], v[70:71], v[94:95], s[62:63]
	v_add_f64 v[76:77], -v[74:75], 1.0
	v_fma_f64 v[94:95], v[70:71], v[94:95], s[64:65]
	v_add_f64 v[72:73], v[76:77], -v[72:73]
	v_fma_f64 v[94:95], v[70:71], v[94:95], s[66:67]
	v_mul_f64 v[76:77], v[70:71], v[70:71]
	v_fma_f64 v[94:95], v[70:71], v[94:95], s[50:51]
	v_fma_f64 v[72:73], v[66:67], -v[68:69], v[72:73]
	v_fmac_f64_e32 v[72:73], v[76:77], v[94:95]
	v_add_f64 v[72:73], v[74:75], v[72:73]
	v_pk_mov_b32 v[74:75], s[68:69], s[68:69] op_sel:[0,1]
	v_fma_f64 v[76:77], s[70:71], v[70:71], v[74:75]
	v_fma_f64 v[76:77], v[70:71], v[76:77], s[72:73]
	;; [unrolled: 1-line block ×4, first 2 shown]
	v_mul_f64 v[94:95], v[66:67], -v[70:71]
	v_mul_f64 v[96:97], v[68:69], 0.5
	v_fmac_f64_e32 v[96:97], v[94:95], v[76:77]
	v_fma_f64 v[68:69], v[70:71], v[96:97], -v[68:69]
	s_mov_b32 s76, s50
	v_fmac_f64_e32 v[68:69], s[76:77], v[94:95]
	v_and_b32_e32 v17, 1, v88
	v_add_f64 v[66:67], v[66:67], -v[68:69]
	v_cmp_eq_u32_e32 vcc, 0, v17
	v_cndmask_b32_e32 v17, v72, v66, vcc
	v_cndmask_b32_e32 v66, v73, v67, vcc
	v_lshlrev_b32_e32 v67, 30, v88
	v_xor_b32_e32 v67, v67, v11
	v_and_b32_e32 v67, 0x80000000, v67
	v_xor_b32_e32 v66, v66, v67
	v_cmp_class_f64_e64 vcc, v[10:11], s27
	v_cndmask_b32_e32 v11, v87, v66, vcc
	v_mul_f64 v[66:67], v[78:79], v[78:79]
	v_mul_f64 v[68:69], v[66:67], 0.5
	v_fmac_f64_e32 v[92:93], s[60:61], v[66:67]
	v_add_f64 v[70:71], -v[68:69], 1.0
	v_fma_f64 v[76:77], v[66:67], v[92:93], s[62:63]
	v_add_f64 v[72:73], -v[70:71], 1.0
	v_fma_f64 v[76:77], v[66:67], v[76:77], s[64:65]
	v_add_f64 v[68:69], v[72:73], -v[68:69]
	v_fma_f64 v[76:77], v[66:67], v[76:77], s[66:67]
	v_mul_f64 v[72:73], v[66:67], v[66:67]
	v_fma_f64 v[76:77], v[66:67], v[76:77], s[50:51]
	v_fma_f64 v[68:69], v[78:79], -v[80:81], v[68:69]
	v_fmac_f64_e32 v[68:69], v[72:73], v[76:77]
	v_fmac_f64_e32 v[74:75], s[70:71], v[66:67]
	v_add_f64 v[68:69], v[70:71], v[68:69]
	v_fma_f64 v[70:71], v[66:67], v[74:75], s[72:73]
	v_fma_f64 v[70:71], v[66:67], v[70:71], s[74:75]
	v_fma_f64 v[70:71], v[66:67], v[70:71], s[48:49]
	v_mul_f64 v[72:73], v[78:79], -v[66:67]
	v_mul_f64 v[74:75], v[80:81], 0.5
	v_fmac_f64_e32 v[74:75], v[72:73], v[70:71]
	v_fma_f64 v[66:67], v[66:67], v[74:75], -v[80:81]
	v_fmac_f64_e32 v[66:67], s[76:77], v[72:73]
	v_add_f64 v[66:67], v[78:79], -v[66:67]
	v_cndmask_b32_e32 v10, 0, v17, vcc
	v_xor_b32_e32 v17, 0x80000000, v67
	v_and_b32_e32 v67, 1, v90
	v_cmp_eq_u32_e64 s[0:1], 0, v67
	v_lshlrev_b32_e32 v67, 30, v90
	v_cndmask_b32_e64 v17, v17, v69, s[0:1]
	v_and_b32_e32 v67, 0x80000000, v67
	v_cndmask_b32_e64 v66, v66, v68, s[0:1]
	v_xor_b32_e32 v17, v17, v67
	v_cndmask_b32_e32 v66, 0, v66, vcc
	v_cndmask_b32_e32 v67, v87, v17, vcc
	v_mul_f64 v[10:11], v[10:11], v[66:67]
.LBB162_254:                            ;   in Loop: Header=BB162_180 Depth=1
	s_or_b64 exec, exec, s[86:87]
	v_add_co_u32_e32 v8, vcc, 0, v8
	v_bfi_b32 v17, s95, 0, v11
	v_addc_co_u32_e32 v9, vcc, -2.0, v9, vcc
	v_pk_mov_b32 v[10:11], v[16:17], v[16:17] op_sel:[0,1]
.LBB162_255:                            ;   in Loop: Header=BB162_180 Depth=1
	s_or_b64 exec, exec, s[84:85]
.LBB162_256:                            ;   in Loop: Header=BB162_180 Depth=1
	s_or_b64 exec, exec, s[82:83]
	s_waitcnt vmcnt(0)
	v_and_b32_e32 v17, 0x7fffffff, v5
	v_cmp_gt_u32_e32 vcc, s26, v17
	s_and_saveexec_b64 s[0:1], vcc
	s_xor_b64 s[82:83], exec, s[0:1]
	s_cbranch_execz .LBB162_278
; %bb.257:                              ;   in Loop: Header=BB162_180 Depth=1
	v_cmp_class_f64_e64 s[0:1], v[6:7], s27
	s_and_saveexec_b64 s[84:85], s[0:1]
	s_xor_b64 s[84:85], exec, s[84:85]
	s_cbranch_execz .LBB162_275
; %bb.258:                              ;   in Loop: Header=BB162_180 Depth=1
	v_cmp_gt_u32_e32 vcc, s42, v17
	s_and_saveexec_b64 s[0:1], vcc
	s_xor_b64 s[86:87], exec, s[0:1]
	s_cbranch_execz .LBB162_264
; %bb.259:                              ;   in Loop: Header=BB162_180 Depth=1
	v_cmp_nlt_f64_e64 s[0:1], |v[6:7]|, s[4:5]
                                        ; implicit-def: $vgpr70
                                        ; implicit-def: $vgpr66_vgpr67
                                        ; implicit-def: $vgpr68_vgpr69
	s_and_saveexec_b64 s[88:89], s[0:1]
	s_xor_b64 s[88:89], exec, s[88:89]
	s_cbranch_execz .LBB162_261
; %bb.260:                              ;   in Loop: Header=BB162_180 Depth=1
	v_and_b32_e32 v17, 0x7fffffff, v7
	v_ldexp_f64 v[70:71], |v[6:7]|, s43
	v_cmp_ge_f64_e64 vcc, |v[6:7]|, s[6:7]
	v_trig_preop_f64 v[66:67], |v[6:7]|, 0
	v_cndmask_b32_e32 v71, v17, v71, vcc
	v_cndmask_b32_e32 v70, v6, v70, vcc
	v_trig_preop_f64 v[68:69], |v[6:7]|, 1
	v_mul_f64 v[74:75], v[66:67], v[70:71]
	v_mul_f64 v[72:73], v[68:69], v[70:71]
	v_fma_f64 v[66:67], v[66:67], v[70:71], -v[74:75]
	v_add_f64 v[76:77], v[72:73], v[66:67]
	v_add_f64 v[78:79], v[74:75], v[76:77]
	v_ldexp_f64 v[80:81], v[78:79], -2
	v_fract_f64_e32 v[88:89], v[80:81]
	v_cmp_neq_f64_e64 vcc, |v[80:81]|, s[8:9]
	v_cndmask_b32_e32 v81, 0, v89, vcc
	v_cndmask_b32_e32 v80, 0, v88, vcc
	v_add_f64 v[88:89], v[76:77], -v[72:73]
	v_add_f64 v[66:67], v[66:67], -v[88:89]
	;; [unrolled: 1-line block ×4, first 2 shown]
	v_fma_f64 v[68:69], v[68:69], v[70:71], -v[72:73]
	v_trig_preop_f64 v[72:73], |v[6:7]|, 2
	v_add_f64 v[66:67], v[66:67], v[88:89]
	v_mul_f64 v[88:89], v[72:73], v[70:71]
	v_add_f64 v[90:91], v[88:89], v[68:69]
	v_add_f64 v[92:93], v[90:91], v[66:67]
	v_add_f64 v[74:75], v[78:79], -v[74:75]
	v_add_f64 v[78:79], v[92:93], -v[90:91]
	;; [unrolled: 1-line block ×5, first 2 shown]
	v_add_f64 v[66:67], v[66:67], v[78:79]
	v_add_f64 v[78:79], v[90:91], -v[88:89]
	v_add_f64 v[68:69], v[68:69], -v[78:79]
	v_add_f64 v[78:79], v[90:91], -v[78:79]
	v_add_f64 v[78:79], v[88:89], -v[78:79]
	v_add_f64 v[68:69], v[68:69], v[78:79]
	v_add_f64 v[74:75], v[76:77], -v[74:75]
	v_add_f64 v[66:67], v[68:69], v[66:67]
	v_fma_f64 v[68:69], v[72:73], v[70:71], -v[88:89]
	v_add_f64 v[76:77], v[74:75], v[92:93]
	v_add_f64 v[66:67], v[68:69], v[66:67]
	v_ldexp_f64 v[68:69], v[80:81], 2
	v_add_f64 v[70:71], v[76:77], v[68:69]
	v_cmp_gt_f64_e32 vcc, 0, v[70:71]
	v_cndmask_b32_e32 v17, 0, v83, vcc
	v_add_f64 v[68:69], v[68:69], v[16:17]
	v_add_f64 v[70:71], v[76:77], v[68:69]
	v_cvt_i32_f64_e32 v17, v[70:71]
	v_cvt_f64_i32_e32 v[70:71], v17
	v_add_f64 v[68:69], v[68:69], -v[70:71]
	v_add_f64 v[74:75], v[76:77], -v[74:75]
	v_add_f64 v[72:73], v[76:77], v[68:69]
	v_add_f64 v[74:75], v[92:93], -v[74:75]
	v_add_f64 v[68:69], v[72:73], -v[68:69]
	v_cmp_le_f64_e32 vcc, 0.5, v[72:73]
	v_add_f64 v[66:67], v[74:75], v[66:67]
	v_add_f64 v[68:69], v[76:77], -v[68:69]
	v_addc_co_u32_e64 v70, s[0:1], 0, v17, vcc
	v_cndmask_b32_e32 v17, 0, v84, vcc
	v_add_f64 v[66:67], v[66:67], v[68:69]
	v_add_f64 v[68:69], v[72:73], -v[16:17]
	v_add_f64 v[72:73], v[68:69], v[66:67]
	v_add_f64 v[68:69], v[72:73], -v[68:69]
	s_mov_b32 s10, s14
	v_add_f64 v[66:67], v[66:67], -v[68:69]
	v_mul_f64 v[68:69], v[72:73], s[10:11]
	v_fma_f64 v[74:75], v[72:73], s[10:11], -v[68:69]
	s_mov_b32 s19, s17
	v_fmac_f64_e32 v[74:75], s[18:19], v[72:73]
	v_fmac_f64_e32 v[74:75], s[10:11], v[66:67]
	v_add_f64 v[66:67], v[68:69], v[74:75]
	v_add_f64 v[68:69], v[66:67], -v[68:69]
	v_add_f64 v[68:69], v[74:75], -v[68:69]
.LBB162_261:                            ;   in Loop: Header=BB162_180 Depth=1
	s_andn2_saveexec_b64 s[0:1], s[88:89]
	s_cbranch_execz .LBB162_263
; %bb.262:                              ;   in Loop: Header=BB162_180 Depth=1
	v_mul_f64 v[66:67], |v[6:7]|, s[20:21]
	v_rndne_f64_e32 v[70:71], v[66:67]
	v_fma_f64 v[66:67], v[70:71], s[14:15], |v[6:7]|
	v_mul_f64 v[72:73], v[70:71], s[22:23]
	v_add_f64 v[76:77], v[66:67], v[72:73]
	v_fma_f64 v[68:69], s[22:23], v[70:71], v[66:67]
	s_mov_b32 s16, s22
	v_add_f64 v[66:67], v[66:67], -v[76:77]
	v_fma_f64 v[74:75], s[16:17], v[70:71], v[72:73]
	v_add_f64 v[66:67], v[66:67], v[72:73]
	v_add_f64 v[72:73], v[76:77], -v[68:69]
	v_add_f64 v[66:67], v[72:73], v[66:67]
	v_add_f64 v[72:73], v[66:67], -v[74:75]
	v_fmac_f64_e32 v[72:73], s[24:25], v[70:71]
	v_add_f64 v[66:67], v[68:69], v[72:73]
	v_add_f64 v[68:69], v[66:67], -v[68:69]
	v_add_f64 v[68:69], v[72:73], -v[68:69]
	v_cvt_i32_f64_e32 v70, v[70:71]
.LBB162_263:                            ;   in Loop: Header=BB162_180 Depth=1
	s_or_b64 exec, exec, s[0:1]
	v_mul_f64 v[72:73], v[66:67], v[66:67]
	v_fma_f64 v[74:75], v[66:67], v[66:67], -v[72:73]
	v_add_f64 v[76:77], v[68:69], v[68:69]
	v_fmac_f64_e32 v[74:75], v[66:67], v[76:77]
	s_mov_b32 s0, 0xc751c08c
	v_add_f64 v[72:73], v[72:73], v[74:75]
	v_pk_mov_b32 v[74:75], v[22:23], v[22:23] op_sel:[0,1]
	s_mov_b32 s1, 0x3ef5e089
	v_fmac_f64_e32 v[74:75], s[0:1], v[72:73]
	v_pk_mov_b32 v[76:77], v[24:25], v[24:25] op_sel:[0,1]
	v_fmac_f64_e32 v[76:77], v[72:73], v[74:75]
	v_pk_mov_b32 v[74:75], v[26:27], v[26:27] op_sel:[0,1]
	;; [unrolled: 2-line block ×12, first 2 shown]
	v_fmac_f64_e32 v[74:75], v[72:73], v[76:77]
	v_mul_f64 v[72:73], v[72:73], v[74:75]
	v_mul_f64 v[74:75], v[66:67], v[72:73]
	v_add_f64 v[76:77], v[66:67], v[74:75]
	v_fma_f64 v[72:73], v[66:67], v[72:73], -v[74:75]
	v_add_f64 v[66:67], v[76:77], -v[66:67]
	v_add_f64 v[66:67], v[74:75], -v[66:67]
	v_add_f64 v[68:69], v[68:69], v[72:73]
	v_add_f64 v[66:67], v[68:69], v[66:67]
	;; [unrolled: 1-line block ×3, first 2 shown]
	v_rcp_f64_e32 v[72:73], v[68:69]
	v_and_b32_e32 v6, 1, v70
	v_add_f64 v[70:71], v[68:69], -v[76:77]
	v_add_f64 v[66:67], v[66:67], -v[70:71]
	v_fma_f64 v[70:71], -v[68:69], v[72:73], 1.0
	v_fmac_f64_e32 v[72:73], v[70:71], v[72:73]
	v_fma_f64 v[70:71], -v[68:69], v[72:73], 1.0
	v_fmac_f64_e32 v[72:73], v[70:71], v[72:73]
	v_mul_f64 v[70:71], v[68:69], v[72:73]
	v_fma_f64 v[74:75], v[72:73], v[68:69], -v[70:71]
	v_fmac_f64_e32 v[74:75], v[72:73], v[66:67]
	v_add_f64 v[66:67], v[70:71], v[74:75]
	v_add_f64 v[76:77], -v[66:67], 1.0
	v_add_f64 v[70:71], v[66:67], -v[70:71]
	v_add_f64 v[78:79], -v[76:77], 1.0
	v_add_f64 v[66:67], v[78:79], -v[66:67]
	v_add_f64 v[70:71], v[70:71], -v[74:75]
	v_add_f64 v[66:67], v[70:71], v[66:67]
	v_add_f64 v[66:67], v[76:77], v[66:67]
	v_mul_f64 v[66:67], v[72:73], v[66:67]
	v_add_f64 v[66:67], v[72:73], v[66:67]
	v_cmp_eq_u32_e32 vcc, 0, v6
	v_xor_b32_e32 v17, 0x80000000, v67
	v_cndmask_b32_e32 v6, v66, v68, vcc
	v_add_f64 v[66:67], |v[4:5]|, s[28:29]
	v_cndmask_b32_e32 v17, v17, v69, vcc
	v_add_f64 v[68:69], v[66:67], -|v[4:5]|
	v_add_f64 v[70:71], v[68:69], -v[66:67]
	s_mov_b32 s30, s28
	v_add_f64 v[70:71], |v[4:5]|, v[70:71]
	v_add_f64 v[68:69], v[68:69], s[30:31]
	v_add_f64 v[68:69], v[70:71], -v[68:69]
	v_add_f64 v[68:69], v[68:69], s[34:35]
	v_add_f64 v[70:71], v[66:67], v[68:69]
	v_add_f64 v[66:67], v[66:67], -v[70:71]
	s_mov_b32 s36, s38
	v_add_f64 v[66:67], v[68:69], v[66:67]
	v_mul_f64 v[68:69], v[70:71], s[36:37]
	v_rndne_f64_e32 v[68:69], v[68:69]
	s_mov_b32 s41, s29
	v_fmac_f64_e32 v[70:71], s[40:41], v[68:69]
	v_add_f64 v[72:73], v[66:67], v[70:71]
	s_mov_b32 s0, 0xf278e000
	v_add_f64 v[70:71], v[70:71], -v[72:73]
	s_mov_b32 s1, 0xbd53de6a
	v_add_f64 v[66:67], v[66:67], v[70:71]
	v_mul_f64 v[70:71], v[68:69], s[0:1]
	v_add_f64 v[74:75], v[72:73], v[70:71]
	v_add_f64 v[72:73], v[72:73], -v[74:75]
	v_add_f64 v[70:71], v[72:73], v[70:71]
	v_add_f64 v[66:67], v[66:67], v[70:71]
	;; [unrolled: 1-line block ×3, first 2 shown]
	s_mov_b32 s0, 0xf97b57a0
	v_add_f64 v[72:73], v[74:75], -v[70:71]
	s_mov_b32 s1, 0xbac9cc01
	v_add_f64 v[66:67], v[66:67], v[72:73]
	v_mul_f64 v[72:73], v[68:69], s[0:1]
	v_add_f64 v[74:75], v[70:71], v[72:73]
	v_add_f64 v[70:71], v[70:71], -v[74:75]
	v_add_f64 v[70:71], v[70:71], v[72:73]
	v_add_f64 v[66:67], v[66:67], v[70:71]
	;; [unrolled: 1-line block ×3, first 2 shown]
	v_add_f64 v[72:73], v[74:75], -v[70:71]
	v_add_f64 v[66:67], v[66:67], v[72:73]
	v_pk_mov_b32 v[72:73], v[48:49], v[48:49] op_sel:[0,1]
	v_fmac_f64_e32 v[72:73], s[46:47], v[70:71]
	v_pk_mov_b32 v[74:75], v[50:51], v[50:51] op_sel:[0,1]
	v_fmac_f64_e32 v[74:75], v[70:71], v[72:73]
	;; [unrolled: 2-line block ×9, first 2 shown]
	v_mul_f64 v[74:75], v[70:71], v[70:71]
	v_fma_f64 v[76:77], v[70:71], v[70:71], -v[74:75]
	v_add_f64 v[78:79], v[66:67], v[66:67]
	v_fmac_f64_e32 v[76:77], v[70:71], v[78:79]
	v_add_f64 v[78:79], v[74:75], v[76:77]
	v_add_f64 v[74:75], v[78:79], -v[74:75]
	v_add_f64 v[74:75], v[76:77], -v[74:75]
	v_mul_f64 v[76:77], v[78:79], v[72:73]
	v_fma_f64 v[78:79], v[78:79], v[72:73], -v[76:77]
	v_fmac_f64_e32 v[78:79], v[74:75], v[72:73]
	v_add_f64 v[72:73], v[76:77], v[78:79]
	v_add_f64 v[74:75], v[72:73], -v[76:77]
	v_add_f64 v[76:77], v[70:71], v[72:73]
	v_add_f64 v[74:75], v[78:79], -v[74:75]
	v_add_f64 v[70:71], v[76:77], -v[70:71]
	;; [unrolled: 1-line block ×3, first 2 shown]
	v_add_f64 v[66:67], v[66:67], v[74:75]
	v_add_f64 v[66:67], v[66:67], v[70:71]
	v_add_f64 v[70:71], v[76:77], v[66:67]
	v_add_f64 v[72:73], v[70:71], -v[76:77]
	v_add_f64 v[66:67], v[66:67], -v[72:73]
	v_add_f64 v[72:73], v[70:71], 1.0
	v_add_f64 v[74:75], v[72:73], -1.0
	v_add_f64 v[70:71], v[70:71], -v[74:75]
	v_add_f64 v[66:67], v[66:67], v[70:71]
	v_add_f64 v[70:71], v[72:73], v[66:67]
	v_cvt_i32_f64_e32 v76, v[68:69]
	v_ldexp_f64 v[68:69], v[70:71], v76
	v_rcp_f64_e32 v[74:75], v[68:69]
	v_add_f64 v[70:71], v[70:71], -v[72:73]
	v_add_f64 v[66:67], v[66:67], -v[70:71]
	v_ldexp_f64 v[66:67], v[66:67], v76
	v_fma_f64 v[70:71], -v[68:69], v[74:75], 1.0
	v_fmac_f64_e32 v[74:75], v[70:71], v[74:75]
	v_fma_f64 v[70:71], -v[68:69], v[74:75], 1.0
	v_fmac_f64_e32 v[74:75], v[70:71], v[74:75]
	v_mul_f64 v[70:71], v[68:69], v[74:75]
	v_fma_f64 v[72:73], v[74:75], v[68:69], -v[70:71]
	v_fmac_f64_e32 v[72:73], v[74:75], v[66:67]
	v_add_f64 v[76:77], v[70:71], v[72:73]
	v_add_f64 v[78:79], -v[76:77], 1.0
	v_add_f64 v[70:71], v[76:77], -v[70:71]
	v_add_f64 v[80:81], -v[78:79], 1.0
	v_add_f64 v[76:77], v[80:81], -v[76:77]
	v_add_f64 v[70:71], v[70:71], -v[72:73]
	v_add_f64 v[70:71], v[70:71], v[76:77]
	v_add_f64 v[72:73], v[78:79], v[70:71]
	v_add_f64 v[76:77], v[78:79], -v[72:73]
	v_add_f64 v[70:71], v[70:71], v[76:77]
	v_mul_f64 v[76:77], v[74:75], v[72:73]
	v_mul_f64 v[78:79], v[68:69], v[76:77]
	v_fma_f64 v[80:81], v[76:77], v[68:69], -v[78:79]
	v_fmac_f64_e32 v[80:81], v[76:77], v[66:67]
	v_add_f64 v[88:89], v[78:79], v[80:81]
	v_add_f64 v[90:91], v[72:73], -v[88:89]
	v_add_f64 v[72:73], v[72:73], -v[90:91]
	;; [unrolled: 1-line block ×4, first 2 shown]
	v_add_f64 v[70:71], v[70:71], v[72:73]
	v_add_f64 v[72:73], v[78:79], -v[80:81]
	v_add_f64 v[70:71], v[72:73], v[70:71]
	v_add_f64 v[70:71], v[90:91], v[70:71]
	;; [unrolled: 1-line block ×3, first 2 shown]
	v_mul_f64 v[70:71], v[74:75], v[70:71]
	v_add_f64 v[74:75], v[72:73], -v[74:75]
	v_add_f64 v[74:75], v[76:77], -v[74:75]
	v_add_f64 v[70:71], v[74:75], v[70:71]
	v_add_f64 v[74:75], v[72:73], v[70:71]
	v_add_f64 v[72:73], v[74:75], -v[72:73]
	v_add_f64 v[70:71], v[70:71], -v[72:73]
	v_ldexp_f64 v[72:73], v[74:75], -2
	v_add_f64 v[74:75], v[68:69], -v[72:73]
	v_add_f64 v[68:69], v[68:69], -v[74:75]
	;; [unrolled: 1-line block ×3, first 2 shown]
	v_ldexp_f64 v[70:71], v[70:71], -2
	v_add_f64 v[66:67], v[66:67], v[68:69]
	v_add_f64 v[66:67], v[66:67], -v[70:71]
	v_add_f64 v[66:67], v[74:75], v[66:67]
	v_cmp_nge_f64_e64 vcc, |v[4:5]|, s[52:53]
	v_and_b32_e32 v92, 0x7fffffff, v5
	v_cndmask_b32_e32 v67, v85, v67, vcc
	v_cndmask_b32_e32 v66, 0, v66, vcc
	v_cmp_lt_f64_e64 vcc, |v[4:5]|, s[54:55]
	v_cndmask_b32_e32 v4, v66, v4, vcc
	v_cndmask_b32_e32 v66, v67, v92, vcc
	v_bfi_b32 v5, s95, v66, v5
	v_fma_f64 v[66:67], v[4:5], v[4:5], 1.0
	v_cmp_gt_f64_e32 vcc, s[56:57], v[66:67]
	v_cndmask_b32_e64 v68, 0, 1, vcc
	v_lshlrev_b32_e32 v68, 8, v68
	v_ldexp_f64 v[66:67], v[66:67], v68
	v_rsq_f64_e32 v[68:69], v[66:67]
	v_and_b32_e32 v7, 0x80000000, v7
	v_xor_b32_e32 v7, v17, v7
	v_cndmask_b32_e32 v17, 0, v86, vcc
	v_mul_f64 v[72:73], v[66:67], v[68:69]
	v_mul_f64 v[68:69], v[68:69], 0.5
	v_fma_f64 v[74:75], -v[68:69], v[72:73], 0.5
	v_fmac_f64_e32 v[72:73], v[72:73], v[74:75]
	v_fma_f64 v[76:77], -v[72:73], v[72:73], v[66:67]
	v_fmac_f64_e32 v[68:69], v[68:69], v[74:75]
	v_fmac_f64_e32 v[72:73], v[76:77], v[68:69]
	v_fma_f64 v[74:75], -v[72:73], v[72:73], v[66:67]
	v_fmac_f64_e32 v[72:73], v[74:75], v[68:69]
	v_ldexp_f64 v[68:69], v[72:73], v17
	v_cmp_class_f64_e32 vcc, v[66:67], v82
	v_fma_f64 v[70:71], v[6:7], v[6:7], 1.0
	v_cndmask_b32_e32 v67, v69, v67, vcc
	v_cndmask_b32_e32 v66, v68, v66, vcc
	v_mul_f64 v[68:69], v[4:5], v[70:71]
	v_mul_f64 v[66:67], v[66:67], v[70:71]
	v_fma_f64 v[68:69], v[4:5], v[68:69], 1.0
	v_mul_f64 v[4:5], v[4:5], v[66:67]
	v_div_scale_f64 v[66:67], s[0:1], v[68:69], v[68:69], v[4:5]
	v_rcp_f64_e32 v[70:71], v[66:67]
	v_fma_f64 v[72:73], -v[66:67], v[70:71], 1.0
	v_fmac_f64_e32 v[70:71], v[70:71], v[72:73]
	v_fma_f64 v[72:73], -v[66:67], v[70:71], 1.0
	v_fmac_f64_e32 v[70:71], v[70:71], v[72:73]
	v_div_scale_f64 v[72:73], vcc, v[4:5], v[68:69], v[4:5]
	v_mul_f64 v[74:75], v[72:73], v[70:71]
	v_fma_f64 v[66:67], -v[66:67], v[74:75], v[72:73]
	v_div_scale_f64 v[72:73], s[0:1], v[68:69], v[68:69], v[6:7]
	v_rcp_f64_e32 v[76:77], v[72:73]
	v_div_fmas_f64 v[66:67], v[66:67], v[70:71], v[74:75]
	v_div_fixup_f64 v[4:5], v[66:67], v[68:69], v[4:5]
	v_fma_f64 v[66:67], -v[72:73], v[76:77], 1.0
	v_fmac_f64_e32 v[76:77], v[76:77], v[66:67]
	v_fma_f64 v[66:67], -v[72:73], v[76:77], 1.0
	v_fmac_f64_e32 v[76:77], v[76:77], v[66:67]
	v_div_scale_f64 v[66:67], vcc, v[6:7], v[68:69], v[6:7]
	v_mul_f64 v[70:71], v[66:67], v[76:77]
	v_fma_f64 v[66:67], -v[72:73], v[70:71], v[66:67]
	s_nop 1
	v_div_fmas_f64 v[66:67], v[66:67], v[76:77], v[70:71]
	v_div_fixup_f64 v[6:7], v[66:67], v[68:69], v[6:7]
.LBB162_264:                            ;   in Loop: Header=BB162_180 Depth=1
	s_andn2_saveexec_b64 s[86:87], s[86:87]
	s_cbranch_execz .LBB162_274
; %bb.265:                              ;   in Loop: Header=BB162_180 Depth=1
	v_cmp_nlt_f64_e64 s[88:89], |v[6:7]|, s[4:5]
                                        ; implicit-def: $vgpr74
                                        ; implicit-def: $vgpr66_vgpr67
                                        ; implicit-def: $vgpr68_vgpr69
	s_and_saveexec_b64 s[0:1], s[88:89]
	s_xor_b64 s[90:91], exec, s[0:1]
	s_cbranch_execz .LBB162_267
; %bb.266:                              ;   in Loop: Header=BB162_180 Depth=1
	v_and_b32_e32 v17, 0x7fffffff, v7
	v_ldexp_f64 v[70:71], |v[6:7]|, s43
	v_cmp_ge_f64_e64 vcc, |v[6:7]|, s[6:7]
	v_trig_preop_f64 v[66:67], |v[6:7]|, 0
	v_cndmask_b32_e32 v71, v17, v71, vcc
	v_cndmask_b32_e32 v70, v6, v70, vcc
	v_trig_preop_f64 v[68:69], |v[6:7]|, 1
	v_mul_f64 v[74:75], v[66:67], v[70:71]
	v_mul_f64 v[72:73], v[68:69], v[70:71]
	v_fma_f64 v[66:67], v[66:67], v[70:71], -v[74:75]
	v_add_f64 v[76:77], v[72:73], v[66:67]
	v_add_f64 v[78:79], v[74:75], v[76:77]
	v_ldexp_f64 v[80:81], v[78:79], -2
	v_fract_f64_e32 v[88:89], v[80:81]
	v_cmp_neq_f64_e64 vcc, |v[80:81]|, s[8:9]
	v_cndmask_b32_e32 v81, 0, v89, vcc
	v_cndmask_b32_e32 v80, 0, v88, vcc
	v_add_f64 v[88:89], v[76:77], -v[72:73]
	v_add_f64 v[66:67], v[66:67], -v[88:89]
	;; [unrolled: 1-line block ×4, first 2 shown]
	v_fma_f64 v[68:69], v[68:69], v[70:71], -v[72:73]
	v_trig_preop_f64 v[72:73], |v[6:7]|, 2
	v_add_f64 v[66:67], v[66:67], v[88:89]
	v_mul_f64 v[88:89], v[72:73], v[70:71]
	v_add_f64 v[90:91], v[88:89], v[68:69]
	v_add_f64 v[92:93], v[90:91], v[66:67]
	v_add_f64 v[74:75], v[78:79], -v[74:75]
	v_add_f64 v[78:79], v[92:93], -v[90:91]
	;; [unrolled: 1-line block ×5, first 2 shown]
	v_add_f64 v[66:67], v[66:67], v[78:79]
	v_add_f64 v[78:79], v[90:91], -v[88:89]
	v_add_f64 v[68:69], v[68:69], -v[78:79]
	;; [unrolled: 1-line block ×4, first 2 shown]
	v_add_f64 v[68:69], v[68:69], v[78:79]
	v_add_f64 v[74:75], v[76:77], -v[74:75]
	v_add_f64 v[66:67], v[68:69], v[66:67]
	v_fma_f64 v[68:69], v[72:73], v[70:71], -v[88:89]
	v_add_f64 v[76:77], v[74:75], v[92:93]
	v_add_f64 v[66:67], v[68:69], v[66:67]
	v_ldexp_f64 v[68:69], v[80:81], 2
	v_add_f64 v[70:71], v[76:77], v[68:69]
	v_cmp_gt_f64_e32 vcc, 0, v[70:71]
	v_cndmask_b32_e32 v17, 0, v83, vcc
	v_add_f64 v[68:69], v[68:69], v[16:17]
	v_add_f64 v[70:71], v[76:77], v[68:69]
	v_cvt_i32_f64_e32 v17, v[70:71]
	v_cvt_f64_i32_e32 v[70:71], v17
	v_add_f64 v[68:69], v[68:69], -v[70:71]
	v_add_f64 v[74:75], v[76:77], -v[74:75]
	v_add_f64 v[70:71], v[76:77], v[68:69]
	v_add_f64 v[74:75], v[92:93], -v[74:75]
	v_add_f64 v[68:69], v[70:71], -v[68:69]
	v_cmp_le_f64_e32 vcc, 0.5, v[70:71]
	v_add_f64 v[66:67], v[74:75], v[66:67]
	v_add_f64 v[68:69], v[76:77], -v[68:69]
	v_addc_co_u32_e64 v74, s[0:1], 0, v17, vcc
	v_cndmask_b32_e32 v17, 0, v84, vcc
	v_add_f64 v[66:67], v[66:67], v[68:69]
	v_add_f64 v[68:69], v[70:71], -v[16:17]
	v_add_f64 v[70:71], v[68:69], v[66:67]
	v_add_f64 v[68:69], v[70:71], -v[68:69]
	s_mov_b32 s10, s14
	v_add_f64 v[66:67], v[66:67], -v[68:69]
	v_mul_f64 v[68:69], v[70:71], s[10:11]
	v_fma_f64 v[72:73], v[70:71], s[10:11], -v[68:69]
	s_mov_b32 s19, s17
	v_fmac_f64_e32 v[72:73], s[18:19], v[70:71]
	v_fmac_f64_e32 v[72:73], s[10:11], v[66:67]
	v_add_f64 v[66:67], v[68:69], v[72:73]
	v_add_f64 v[68:69], v[66:67], -v[68:69]
	v_add_f64 v[68:69], v[72:73], -v[68:69]
	s_andn2_saveexec_b64 s[0:1], s[90:91]
	s_cbranch_execz .LBB162_269
	s_branch .LBB162_268
.LBB162_267:                            ;   in Loop: Header=BB162_180 Depth=1
	s_andn2_saveexec_b64 s[0:1], s[90:91]
	s_cbranch_execz .LBB162_269
.LBB162_268:                            ;   in Loop: Header=BB162_180 Depth=1
	v_mul_f64 v[66:67], |v[6:7]|, s[20:21]
	v_rndne_f64_e32 v[70:71], v[66:67]
	v_fma_f64 v[66:67], v[70:71], s[14:15], |v[6:7]|
	v_mul_f64 v[72:73], v[70:71], s[22:23]
	v_add_f64 v[76:77], v[66:67], v[72:73]
	v_fma_f64 v[68:69], s[22:23], v[70:71], v[66:67]
	s_mov_b32 s16, s22
	v_add_f64 v[66:67], v[66:67], -v[76:77]
	v_fma_f64 v[74:75], s[16:17], v[70:71], v[72:73]
	v_add_f64 v[66:67], v[66:67], v[72:73]
	v_add_f64 v[72:73], v[76:77], -v[68:69]
	v_add_f64 v[66:67], v[72:73], v[66:67]
	v_add_f64 v[72:73], v[66:67], -v[74:75]
	v_fmac_f64_e32 v[72:73], s[24:25], v[70:71]
	v_add_f64 v[66:67], v[68:69], v[72:73]
	v_add_f64 v[68:69], v[66:67], -v[68:69]
	v_add_f64 v[68:69], v[72:73], -v[68:69]
	v_cvt_i32_f64_e32 v74, v[70:71]
.LBB162_269:                            ;   in Loop: Header=BB162_180 Depth=1
	s_or_b64 exec, exec, s[0:1]
                                        ; implicit-def: $vgpr75
                                        ; implicit-def: $vgpr70_vgpr71
                                        ; implicit-def: $vgpr72_vgpr73
	s_and_saveexec_b64 s[0:1], s[88:89]
	s_xor_b64 s[88:89], exec, s[0:1]
	s_cbranch_execz .LBB162_271
; %bb.270:                              ;   in Loop: Header=BB162_180 Depth=1
	v_and_b32_e32 v17, 0x7fffffff, v7
	v_ldexp_f64 v[76:77], |v[6:7]|, s43
	v_cmp_ge_f64_e64 vcc, |v[6:7]|, s[6:7]
	v_trig_preop_f64 v[70:71], |v[6:7]|, 0
	v_cndmask_b32_e32 v77, v17, v77, vcc
	v_cndmask_b32_e32 v76, v6, v76, vcc
	v_trig_preop_f64 v[72:73], |v[6:7]|, 1
	v_mul_f64 v[80:81], v[70:71], v[76:77]
	v_mul_f64 v[78:79], v[72:73], v[76:77]
	v_fma_f64 v[70:71], v[70:71], v[76:77], -v[80:81]
	v_add_f64 v[88:89], v[78:79], v[70:71]
	v_add_f64 v[90:91], v[80:81], v[88:89]
	v_ldexp_f64 v[92:93], v[90:91], -2
	v_fract_f64_e32 v[94:95], v[92:93]
	v_cmp_neq_f64_e64 vcc, |v[92:93]|, s[8:9]
	v_cndmask_b32_e32 v93, 0, v95, vcc
	v_cndmask_b32_e32 v92, 0, v94, vcc
	v_add_f64 v[94:95], v[88:89], -v[78:79]
	v_add_f64 v[70:71], v[70:71], -v[94:95]
	;; [unrolled: 1-line block ×4, first 2 shown]
	v_fma_f64 v[72:73], v[72:73], v[76:77], -v[78:79]
	v_trig_preop_f64 v[78:79], |v[6:7]|, 2
	v_add_f64 v[70:71], v[70:71], v[94:95]
	v_mul_f64 v[94:95], v[78:79], v[76:77]
	v_add_f64 v[96:97], v[94:95], v[72:73]
	v_add_f64 v[98:99], v[96:97], v[70:71]
	v_add_f64 v[80:81], v[90:91], -v[80:81]
	v_add_f64 v[90:91], v[98:99], -v[96:97]
	;; [unrolled: 1-line block ×5, first 2 shown]
	v_add_f64 v[70:71], v[70:71], v[90:91]
	v_add_f64 v[90:91], v[96:97], -v[94:95]
	v_add_f64 v[72:73], v[72:73], -v[90:91]
	;; [unrolled: 1-line block ×4, first 2 shown]
	v_add_f64 v[72:73], v[72:73], v[90:91]
	v_add_f64 v[80:81], v[88:89], -v[80:81]
	v_add_f64 v[70:71], v[72:73], v[70:71]
	v_fma_f64 v[72:73], v[78:79], v[76:77], -v[94:95]
	v_add_f64 v[88:89], v[80:81], v[98:99]
	v_add_f64 v[70:71], v[72:73], v[70:71]
	v_ldexp_f64 v[72:73], v[92:93], 2
	v_add_f64 v[76:77], v[88:89], v[72:73]
	v_cmp_gt_f64_e32 vcc, 0, v[76:77]
	v_cndmask_b32_e32 v17, 0, v83, vcc
	v_add_f64 v[72:73], v[72:73], v[16:17]
	v_add_f64 v[76:77], v[88:89], v[72:73]
	v_cvt_i32_f64_e32 v17, v[76:77]
	v_cvt_f64_i32_e32 v[76:77], v17
	v_add_f64 v[72:73], v[72:73], -v[76:77]
	v_add_f64 v[80:81], v[88:89], -v[80:81]
	v_add_f64 v[76:77], v[88:89], v[72:73]
	v_add_f64 v[80:81], v[98:99], -v[80:81]
	v_add_f64 v[72:73], v[76:77], -v[72:73]
	v_cmp_le_f64_e32 vcc, 0.5, v[76:77]
	v_add_f64 v[70:71], v[80:81], v[70:71]
	v_add_f64 v[72:73], v[88:89], -v[72:73]
	v_addc_co_u32_e64 v75, s[0:1], 0, v17, vcc
	v_cndmask_b32_e32 v17, 0, v84, vcc
	v_add_f64 v[70:71], v[70:71], v[72:73]
	v_add_f64 v[72:73], v[76:77], -v[16:17]
	v_add_f64 v[76:77], v[72:73], v[70:71]
	v_add_f64 v[72:73], v[76:77], -v[72:73]
	s_mov_b32 s10, s14
	v_add_f64 v[70:71], v[70:71], -v[72:73]
	v_mul_f64 v[72:73], v[76:77], s[10:11]
	v_fma_f64 v[78:79], v[76:77], s[10:11], -v[72:73]
	s_mov_b32 s19, s17
	v_fmac_f64_e32 v[78:79], s[18:19], v[76:77]
	v_fmac_f64_e32 v[78:79], s[10:11], v[70:71]
	v_add_f64 v[70:71], v[72:73], v[78:79]
	v_add_f64 v[72:73], v[70:71], -v[72:73]
	v_add_f64 v[72:73], v[78:79], -v[72:73]
	s_andn2_saveexec_b64 s[0:1], s[88:89]
	s_cbranch_execnz .LBB162_272
	s_branch .LBB162_273
.LBB162_271:                            ;   in Loop: Header=BB162_180 Depth=1
	s_andn2_saveexec_b64 s[0:1], s[88:89]
	s_cbranch_execz .LBB162_273
.LBB162_272:                            ;   in Loop: Header=BB162_180 Depth=1
	v_mul_f64 v[70:71], |v[6:7]|, s[20:21]
	v_rndne_f64_e32 v[76:77], v[70:71]
	v_fma_f64 v[70:71], v[76:77], s[14:15], |v[6:7]|
	v_mul_f64 v[78:79], v[76:77], s[22:23]
	v_add_f64 v[88:89], v[70:71], v[78:79]
	v_fma_f64 v[72:73], s[22:23], v[76:77], v[70:71]
	s_mov_b32 s16, s22
	v_add_f64 v[70:71], v[70:71], -v[88:89]
	v_fma_f64 v[80:81], s[16:17], v[76:77], v[78:79]
	v_add_f64 v[70:71], v[70:71], v[78:79]
	v_add_f64 v[78:79], v[88:89], -v[72:73]
	v_add_f64 v[70:71], v[78:79], v[70:71]
	v_add_f64 v[78:79], v[70:71], -v[80:81]
	v_fmac_f64_e32 v[78:79], s[24:25], v[76:77]
	v_add_f64 v[70:71], v[72:73], v[78:79]
	v_add_f64 v[72:73], v[70:71], -v[72:73]
	v_add_f64 v[72:73], v[78:79], -v[72:73]
	v_cvt_i32_f64_e32 v75, v[76:77]
.LBB162_273:                            ;   in Loop: Header=BB162_180 Depth=1
	s_or_b64 exec, exec, s[0:1]
	v_mul_f64 v[76:77], v[66:67], v[66:67]
	v_pk_mov_b32 v[90:91], s[58:59], s[58:59] op_sel:[0,1]
	v_mul_f64 v[78:79], v[76:77], 0.5
	v_fma_f64 v[92:93], s[60:61], v[76:77], v[90:91]
	v_add_f64 v[80:81], -v[78:79], 1.0
	v_fma_f64 v[92:93], v[76:77], v[92:93], s[62:63]
	v_add_f64 v[88:89], -v[80:81], 1.0
	v_fma_f64 v[92:93], v[76:77], v[92:93], s[64:65]
	v_add_f64 v[78:79], v[88:89], -v[78:79]
	v_fma_f64 v[92:93], v[76:77], v[92:93], s[66:67]
	v_mul_f64 v[88:89], v[76:77], v[76:77]
	v_fma_f64 v[92:93], v[76:77], v[92:93], s[50:51]
	v_fma_f64 v[78:79], v[66:67], -v[68:69], v[78:79]
	v_fmac_f64_e32 v[78:79], v[88:89], v[92:93]
	v_add_f64 v[78:79], v[80:81], v[78:79]
	v_pk_mov_b32 v[80:81], s[68:69], s[68:69] op_sel:[0,1]
	v_fma_f64 v[88:89], s[70:71], v[76:77], v[80:81]
	v_fma_f64 v[88:89], v[76:77], v[88:89], s[72:73]
	;; [unrolled: 1-line block ×4, first 2 shown]
	v_mul_f64 v[92:93], v[66:67], -v[76:77]
	v_mul_f64 v[94:95], v[68:69], 0.5
	v_fmac_f64_e32 v[94:95], v[92:93], v[88:89]
	v_fma_f64 v[68:69], v[76:77], v[94:95], -v[68:69]
	s_mov_b32 s76, s50
	v_fmac_f64_e32 v[68:69], s[76:77], v[92:93]
	v_and_b32_e32 v6, 1, v74
	v_add_f64 v[66:67], v[66:67], -v[68:69]
	v_cmp_eq_u32_e32 vcc, 0, v6
	v_cndmask_b32_e32 v6, v78, v66, vcc
	v_lshlrev_b32_e32 v66, 30, v74
	v_cndmask_b32_e32 v17, v79, v67, vcc
	v_xor_b32_e32 v7, v66, v7
	v_mul_f64 v[66:67], |v[4:5]|, s[38:39]
	v_rndne_f64_e32 v[66:67], v[66:67]
	v_fma_f64 v[68:69], v[66:67], s[28:29], -|v[4:5]|
	v_fmac_f64_e32 v[68:69], s[34:35], v[66:67]
	v_pk_mov_b32 v[76:77], v[48:49], v[48:49] op_sel:[0,1]
	v_fmac_f64_e32 v[76:77], s[46:47], v[68:69]
	v_pk_mov_b32 v[78:79], v[50:51], v[50:51] op_sel:[0,1]
	;; [unrolled: 2-line block ×9, first 2 shown]
	v_fmac_f64_e32 v[76:77], v[68:69], v[78:79]
	v_and_b32_e32 v7, 0x80000000, v7
	v_fma_f64 v[76:77], v[68:69], v[76:77], 1.0
	v_xor_b32_e32 v7, v17, v7
	v_fma_f64 v[68:69], v[68:69], v[76:77], 1.0
	v_cvt_i32_f64_e32 v17, v[66:67]
	v_ldexp_f64 v[66:67], v[68:69], v17
	v_cmp_ngt_f64_e64 vcc, |v[4:5]|, s[78:79]
	v_bfi_b32 v17, s95, v84, v5
	v_mul_f64 v[4:5], v[70:71], v[70:71]
	v_mul_f64 v[68:69], v[4:5], 0.5
	v_fmac_f64_e32 v[90:91], s[60:61], v[4:5]
	v_add_f64 v[76:77], -v[68:69], 1.0
	v_fma_f64 v[88:89], v[4:5], v[90:91], s[62:63]
	v_add_f64 v[78:79], -v[76:77], 1.0
	v_fma_f64 v[88:89], v[4:5], v[88:89], s[64:65]
	v_add_f64 v[68:69], v[78:79], -v[68:69]
	v_fma_f64 v[88:89], v[4:5], v[88:89], s[66:67]
	v_mul_f64 v[78:79], v[4:5], v[4:5]
	v_fma_f64 v[88:89], v[4:5], v[88:89], s[50:51]
	v_fma_f64 v[68:69], v[70:71], -v[72:73], v[68:69]
	v_fmac_f64_e32 v[68:69], v[78:79], v[88:89]
	v_fmac_f64_e32 v[80:81], s[70:71], v[4:5]
	v_add_f64 v[68:69], v[76:77], v[68:69]
	v_fma_f64 v[76:77], v[4:5], v[80:81], s[72:73]
	v_fma_f64 v[76:77], v[4:5], v[76:77], s[74:75]
	;; [unrolled: 1-line block ×3, first 2 shown]
	v_mul_f64 v[78:79], v[70:71], -v[4:5]
	v_mul_f64 v[80:81], v[72:73], 0.5
	v_fmac_f64_e32 v[80:81], v[78:79], v[76:77]
	v_fma_f64 v[4:5], v[4:5], v[80:81], -v[72:73]
	v_fmac_f64_e32 v[4:5], s[76:77], v[78:79]
	v_add_f64 v[4:5], v[70:71], -v[4:5]
	v_and_b32_e32 v70, 1, v75
	v_cndmask_b32_e32 v67, 0, v67, vcc
	v_cndmask_b32_e32 v66, 0, v66, vcc
	v_cmp_eq_u32_e32 vcc, 0, v70
	v_xor_b32_e32 v5, 0x80000000, v5
	v_cndmask_b32_e32 v4, v4, v68, vcc
	v_lshlrev_b32_e32 v68, 30, v75
	v_cndmask_b32_e32 v5, v5, v69, vcc
	v_and_b32_e32 v68, 0x80000000, v68
	v_mul_f64 v[6:7], v[6:7], 4.0
	v_xor_b32_e32 v5, v5, v68
	v_mul_f64 v[4:5], v[6:7], v[4:5]
	v_mul_f64 v[4:5], v[66:67], v[4:5]
	;; [unrolled: 1-line block ×3, first 2 shown]
	v_pk_mov_b32 v[4:5], v[16:17], v[16:17] op_sel:[0,1]
.LBB162_274:                            ;   in Loop: Header=BB162_180 Depth=1
	s_or_b64 exec, exec, s[86:87]
.LBB162_275:                            ;   in Loop: Header=BB162_180 Depth=1
	s_andn2_saveexec_b64 s[0:1], s[84:85]
; %bb.276:                              ;   in Loop: Header=BB162_180 Depth=1
	v_add_f64 v[6:7], v[6:7], -v[6:7]
	v_pk_mov_b32 v[4:5], v[6:7], v[6:7] op_sel:[0,1]
; %bb.277:                              ;   in Loop: Header=BB162_180 Depth=1
	s_or_b64 exec, exec, s[0:1]
.LBB162_278:                            ;   in Loop: Header=BB162_180 Depth=1
	s_andn2_saveexec_b64 s[82:83], s[82:83]
	s_cbranch_execz .LBB162_294
; %bb.279:                              ;   in Loop: Header=BB162_180 Depth=1
	v_and_or_b32 v17, v5, s44, v4
	v_cmp_ne_u32_e32 vcc, 0, v17
	s_and_saveexec_b64 s[0:1], vcc
	s_xor_b64 s[0:1], exec, s[0:1]
; %bb.280:                              ;   in Loop: Header=BB162_180 Depth=1
	v_mul_f64 v[66:67], v[4:5], v[6:7]
	v_cmp_eq_f64_e32 vcc, 0, v[6:7]
	v_cndmask_b32_e32 v7, v67, v7, vcc
	v_cndmask_b32_e32 v6, v66, v6, vcc
; %bb.281:                              ;   in Loop: Header=BB162_180 Depth=1
	s_andn2_saveexec_b64 s[84:85], s[0:1]
	s_cbranch_execz .LBB162_293
; %bb.282:                              ;   in Loop: Header=BB162_180 Depth=1
	v_cmp_neq_f64_e64 s[0:1], |v[6:7]|, s[8:9]
	s_and_saveexec_b64 s[86:87], s[0:1]
	s_cbranch_execz .LBB162_292
; %bb.283:                              ;   in Loop: Header=BB162_180 Depth=1
	v_cmp_nlt_f64_e64 s[88:89], |v[6:7]|, s[4:5]
	v_trig_preop_f64 v[74:75], |v[6:7]|, 0
	v_trig_preop_f64 v[72:73], |v[6:7]|, 1
	v_ldexp_f64 v[76:77], |v[6:7]|, s43
	v_trig_preop_f64 v[70:71], |v[6:7]|, 2
	v_and_b32_e32 v89, 0x7fffffff, v7
                                        ; implicit-def: $vgpr88
                                        ; implicit-def: $vgpr66_vgpr67
                                        ; implicit-def: $vgpr68_vgpr69
	s_and_saveexec_b64 s[0:1], s[88:89]
	s_xor_b64 s[90:91], exec, s[0:1]
	s_cbranch_execz .LBB162_285
; %bb.284:                              ;   in Loop: Header=BB162_180 Depth=1
	v_cmp_ge_f64_e64 vcc, |v[6:7]|, s[6:7]
	v_cndmask_b32_e32 v67, v89, v77, vcc
	v_cndmask_b32_e32 v66, v6, v76, vcc
	v_mul_f64 v[78:79], v[74:75], v[66:67]
	v_mul_f64 v[68:69], v[72:73], v[66:67]
	v_fma_f64 v[80:81], v[74:75], v[66:67], -v[78:79]
	v_add_f64 v[90:91], v[68:69], v[80:81]
	v_add_f64 v[92:93], v[78:79], v[90:91]
	v_ldexp_f64 v[94:95], v[92:93], -2
	v_fract_f64_e32 v[96:97], v[94:95]
	v_cmp_neq_f64_e64 vcc, |v[94:95]|, s[8:9]
	v_cndmask_b32_e32 v95, 0, v97, vcc
	v_cndmask_b32_e32 v94, 0, v96, vcc
	v_add_f64 v[96:97], v[90:91], -v[68:69]
	v_add_f64 v[80:81], v[80:81], -v[96:97]
	;; [unrolled: 1-line block ×4, first 2 shown]
	v_add_f64 v[80:81], v[80:81], v[96:97]
	v_fma_f64 v[68:69], v[72:73], v[66:67], -v[68:69]
	v_mul_f64 v[96:97], v[70:71], v[66:67]
	v_add_f64 v[98:99], v[96:97], v[68:69]
	v_add_f64 v[100:101], v[98:99], v[80:81]
	v_add_f64 v[78:79], v[92:93], -v[78:79]
	v_add_f64 v[92:93], v[100:101], -v[98:99]
	v_add_f64 v[80:81], v[80:81], -v[92:93]
	v_add_f64 v[92:93], v[100:101], -v[92:93]
	v_add_f64 v[92:93], v[98:99], -v[92:93]
	v_add_f64 v[80:81], v[80:81], v[92:93]
	v_add_f64 v[92:93], v[98:99], -v[96:97]
	v_add_f64 v[68:69], v[68:69], -v[92:93]
	v_add_f64 v[92:93], v[98:99], -v[92:93]
	v_add_f64 v[78:79], v[90:91], -v[78:79]
	v_add_f64 v[92:93], v[96:97], -v[92:93]
	v_add_f64 v[90:91], v[78:79], v[100:101]
	v_add_f64 v[68:69], v[68:69], v[92:93]
	v_add_f64 v[78:79], v[90:91], -v[78:79]
	v_add_f64 v[68:69], v[68:69], v[80:81]
	v_fma_f64 v[66:67], v[70:71], v[66:67], -v[96:97]
	v_add_f64 v[78:79], v[100:101], -v[78:79]
	v_add_f64 v[66:67], v[66:67], v[68:69]
	v_ldexp_f64 v[68:69], v[94:95], 2
	v_add_f64 v[66:67], v[78:79], v[66:67]
	v_add_f64 v[78:79], v[90:91], v[68:69]
	v_cmp_gt_f64_e32 vcc, 0, v[78:79]
	v_cndmask_b32_e32 v17, 0, v83, vcc
	v_add_f64 v[68:69], v[68:69], v[16:17]
	v_add_f64 v[78:79], v[90:91], v[68:69]
	v_cvt_i32_f64_e32 v17, v[78:79]
	v_cvt_f64_i32_e32 v[78:79], v17
	v_add_f64 v[68:69], v[68:69], -v[78:79]
	v_add_f64 v[78:79], v[90:91], v[68:69]
	v_add_f64 v[68:69], v[78:79], -v[68:69]
	v_cmp_le_f64_e32 vcc, 0.5, v[78:79]
	v_add_f64 v[68:69], v[90:91], -v[68:69]
	v_addc_co_u32_e64 v88, s[0:1], 0, v17, vcc
	v_cndmask_b32_e32 v17, 0, v84, vcc
	v_add_f64 v[66:67], v[66:67], v[68:69]
	v_add_f64 v[68:69], v[78:79], -v[16:17]
	v_add_f64 v[78:79], v[68:69], v[66:67]
	v_add_f64 v[68:69], v[78:79], -v[68:69]
	s_mov_b32 s10, s14
	v_add_f64 v[66:67], v[66:67], -v[68:69]
	v_mul_f64 v[68:69], v[78:79], s[10:11]
	v_fma_f64 v[80:81], v[78:79], s[10:11], -v[68:69]
	s_mov_b32 s19, s17
	v_fmac_f64_e32 v[80:81], s[18:19], v[78:79]
	v_fmac_f64_e32 v[80:81], s[10:11], v[66:67]
	v_add_f64 v[66:67], v[68:69], v[80:81]
	v_add_f64 v[68:69], v[66:67], -v[68:69]
	v_add_f64 v[68:69], v[80:81], -v[68:69]
	s_andn2_saveexec_b64 s[0:1], s[90:91]
	s_cbranch_execz .LBB162_287
	s_branch .LBB162_286
.LBB162_285:                            ;   in Loop: Header=BB162_180 Depth=1
	s_andn2_saveexec_b64 s[0:1], s[90:91]
	s_cbranch_execz .LBB162_287
.LBB162_286:                            ;   in Loop: Header=BB162_180 Depth=1
	v_mul_f64 v[66:67], |v[6:7]|, s[20:21]
	v_rndne_f64_e32 v[78:79], v[66:67]
	v_fma_f64 v[66:67], v[78:79], s[14:15], |v[6:7]|
	v_mul_f64 v[80:81], v[78:79], s[22:23]
	v_add_f64 v[92:93], v[66:67], v[80:81]
	v_fma_f64 v[68:69], s[22:23], v[78:79], v[66:67]
	s_mov_b32 s16, s22
	v_add_f64 v[66:67], v[66:67], -v[92:93]
	v_fma_f64 v[90:91], s[16:17], v[78:79], v[80:81]
	v_add_f64 v[66:67], v[66:67], v[80:81]
	v_add_f64 v[80:81], v[92:93], -v[68:69]
	v_add_f64 v[66:67], v[80:81], v[66:67]
	v_add_f64 v[80:81], v[66:67], -v[90:91]
	v_fmac_f64_e32 v[80:81], s[24:25], v[78:79]
	v_add_f64 v[66:67], v[68:69], v[80:81]
	v_add_f64 v[68:69], v[66:67], -v[68:69]
	v_add_f64 v[68:69], v[80:81], -v[68:69]
	v_cvt_i32_f64_e32 v88, v[78:79]
.LBB162_287:                            ;   in Loop: Header=BB162_180 Depth=1
	s_or_b64 exec, exec, s[0:1]
                                        ; implicit-def: $vgpr90
                                        ; implicit-def: $vgpr78_vgpr79
                                        ; implicit-def: $vgpr80_vgpr81
	s_and_saveexec_b64 s[0:1], s[88:89]
	s_xor_b64 s[88:89], exec, s[0:1]
	s_cbranch_execz .LBB162_289
; %bb.288:                              ;   in Loop: Header=BB162_180 Depth=1
	v_cmp_ge_f64_e64 vcc, |v[6:7]|, s[6:7]
	v_cndmask_b32_e32 v77, v89, v77, vcc
	v_cndmask_b32_e32 v76, v6, v76, vcc
	v_mul_f64 v[80:81], v[74:75], v[76:77]
	v_mul_f64 v[78:79], v[72:73], v[76:77]
	v_fma_f64 v[74:75], v[74:75], v[76:77], -v[80:81]
	v_add_f64 v[90:91], v[78:79], v[74:75]
	v_add_f64 v[92:93], v[80:81], v[90:91]
	v_ldexp_f64 v[94:95], v[92:93], -2
	v_fract_f64_e32 v[96:97], v[94:95]
	v_cmp_neq_f64_e64 vcc, |v[94:95]|, s[8:9]
	v_cndmask_b32_e32 v95, 0, v97, vcc
	v_cndmask_b32_e32 v94, 0, v96, vcc
	v_add_f64 v[96:97], v[90:91], -v[78:79]
	v_add_f64 v[74:75], v[74:75], -v[96:97]
	v_add_f64 v[96:97], v[90:91], -v[96:97]
	v_add_f64 v[96:97], v[78:79], -v[96:97]
	v_fma_f64 v[72:73], v[72:73], v[76:77], -v[78:79]
	v_mul_f64 v[78:79], v[70:71], v[76:77]
	v_add_f64 v[74:75], v[74:75], v[96:97]
	v_add_f64 v[96:97], v[78:79], v[72:73]
	;; [unrolled: 1-line block ×3, first 2 shown]
	v_add_f64 v[80:81], v[92:93], -v[80:81]
	v_add_f64 v[92:93], v[98:99], -v[96:97]
	v_add_f64 v[74:75], v[74:75], -v[92:93]
	v_add_f64 v[92:93], v[98:99], -v[92:93]
	v_add_f64 v[92:93], v[96:97], -v[92:93]
	v_add_f64 v[74:75], v[74:75], v[92:93]
	v_add_f64 v[92:93], v[96:97], -v[78:79]
	v_add_f64 v[72:73], v[72:73], -v[92:93]
	;; [unrolled: 1-line block ×4, first 2 shown]
	v_add_f64 v[72:73], v[72:73], v[92:93]
	v_add_f64 v[80:81], v[90:91], -v[80:81]
	v_add_f64 v[72:73], v[72:73], v[74:75]
	v_fma_f64 v[70:71], v[70:71], v[76:77], -v[78:79]
	v_add_f64 v[90:91], v[80:81], v[98:99]
	v_add_f64 v[70:71], v[70:71], v[72:73]
	v_ldexp_f64 v[72:73], v[94:95], 2
	v_add_f64 v[74:75], v[90:91], v[72:73]
	v_cmp_gt_f64_e32 vcc, 0, v[74:75]
	v_cndmask_b32_e32 v17, 0, v83, vcc
	v_add_f64 v[72:73], v[72:73], v[16:17]
	v_add_f64 v[74:75], v[90:91], v[72:73]
	v_cvt_i32_f64_e32 v17, v[74:75]
	v_cvt_f64_i32_e32 v[74:75], v17
	v_add_f64 v[72:73], v[72:73], -v[74:75]
	v_add_f64 v[80:81], v[90:91], -v[80:81]
	v_add_f64 v[74:75], v[90:91], v[72:73]
	v_add_f64 v[80:81], v[98:99], -v[80:81]
	v_add_f64 v[72:73], v[74:75], -v[72:73]
	v_cmp_le_f64_e32 vcc, 0.5, v[74:75]
	v_add_f64 v[70:71], v[80:81], v[70:71]
	v_add_f64 v[72:73], v[90:91], -v[72:73]
	v_addc_co_u32_e64 v90, s[0:1], 0, v17, vcc
	v_cndmask_b32_e32 v17, 0, v84, vcc
	v_add_f64 v[70:71], v[70:71], v[72:73]
	v_add_f64 v[72:73], v[74:75], -v[16:17]
	v_add_f64 v[74:75], v[72:73], v[70:71]
	v_add_f64 v[72:73], v[74:75], -v[72:73]
	s_mov_b32 s10, s14
	v_add_f64 v[70:71], v[70:71], -v[72:73]
	v_mul_f64 v[72:73], v[74:75], s[10:11]
	v_fma_f64 v[76:77], v[74:75], s[10:11], -v[72:73]
	s_mov_b32 s19, s17
	v_fmac_f64_e32 v[76:77], s[18:19], v[74:75]
	v_fmac_f64_e32 v[76:77], s[10:11], v[70:71]
	v_add_f64 v[78:79], v[72:73], v[76:77]
	v_add_f64 v[70:71], v[78:79], -v[72:73]
	v_add_f64 v[80:81], v[76:77], -v[70:71]
	s_andn2_saveexec_b64 s[0:1], s[88:89]
	s_cbranch_execnz .LBB162_290
	s_branch .LBB162_291
.LBB162_289:                            ;   in Loop: Header=BB162_180 Depth=1
	s_andn2_saveexec_b64 s[0:1], s[88:89]
	s_cbranch_execz .LBB162_291
.LBB162_290:                            ;   in Loop: Header=BB162_180 Depth=1
	v_mul_f64 v[70:71], |v[6:7]|, s[20:21]
	v_rndne_f64_e32 v[70:71], v[70:71]
	v_fma_f64 v[72:73], v[70:71], s[14:15], |v[6:7]|
	v_mul_f64 v[76:77], v[70:71], s[22:23]
	v_add_f64 v[80:81], v[72:73], v[76:77]
	v_fma_f64 v[74:75], s[22:23], v[70:71], v[72:73]
	s_mov_b32 s16, s22
	v_add_f64 v[72:73], v[72:73], -v[80:81]
	v_fma_f64 v[78:79], s[16:17], v[70:71], v[76:77]
	v_add_f64 v[72:73], v[72:73], v[76:77]
	v_add_f64 v[76:77], v[80:81], -v[74:75]
	v_add_f64 v[72:73], v[76:77], v[72:73]
	v_add_f64 v[72:73], v[72:73], -v[78:79]
	v_fmac_f64_e32 v[72:73], s[24:25], v[70:71]
	v_add_f64 v[78:79], v[74:75], v[72:73]
	v_add_f64 v[74:75], v[78:79], -v[74:75]
	v_add_f64 v[80:81], v[72:73], -v[74:75]
	v_cvt_i32_f64_e32 v90, v[70:71]
.LBB162_291:                            ;   in Loop: Header=BB162_180 Depth=1
	s_or_b64 exec, exec, s[0:1]
	v_mul_f64 v[70:71], v[66:67], v[66:67]
	v_pk_mov_b32 v[92:93], s[58:59], s[58:59] op_sel:[0,1]
	v_mul_f64 v[72:73], v[70:71], 0.5
	v_fma_f64 v[94:95], s[60:61], v[70:71], v[92:93]
	v_add_f64 v[74:75], -v[72:73], 1.0
	v_fma_f64 v[94:95], v[70:71], v[94:95], s[62:63]
	v_add_f64 v[76:77], -v[74:75], 1.0
	v_fma_f64 v[94:95], v[70:71], v[94:95], s[64:65]
	v_add_f64 v[72:73], v[76:77], -v[72:73]
	v_fma_f64 v[94:95], v[70:71], v[94:95], s[66:67]
	v_mul_f64 v[76:77], v[70:71], v[70:71]
	v_fma_f64 v[94:95], v[70:71], v[94:95], s[50:51]
	v_fma_f64 v[72:73], v[66:67], -v[68:69], v[72:73]
	v_fmac_f64_e32 v[72:73], v[76:77], v[94:95]
	v_add_f64 v[72:73], v[74:75], v[72:73]
	v_pk_mov_b32 v[74:75], s[68:69], s[68:69] op_sel:[0,1]
	v_fma_f64 v[76:77], s[70:71], v[70:71], v[74:75]
	v_fma_f64 v[76:77], v[70:71], v[76:77], s[72:73]
	;; [unrolled: 1-line block ×4, first 2 shown]
	v_mul_f64 v[94:95], v[66:67], -v[70:71]
	v_mul_f64 v[96:97], v[68:69], 0.5
	v_fmac_f64_e32 v[96:97], v[94:95], v[76:77]
	v_fma_f64 v[68:69], v[70:71], v[96:97], -v[68:69]
	s_mov_b32 s76, s50
	v_fmac_f64_e32 v[68:69], s[76:77], v[94:95]
	v_and_b32_e32 v17, 1, v88
	v_add_f64 v[66:67], v[66:67], -v[68:69]
	v_cmp_eq_u32_e32 vcc, 0, v17
	v_cndmask_b32_e32 v17, v72, v66, vcc
	v_cndmask_b32_e32 v66, v73, v67, vcc
	v_lshlrev_b32_e32 v67, 30, v88
	v_xor_b32_e32 v67, v67, v7
	v_and_b32_e32 v67, 0x80000000, v67
	v_xor_b32_e32 v66, v66, v67
	v_cmp_class_f64_e64 vcc, v[6:7], s27
	v_cndmask_b32_e32 v7, v87, v66, vcc
	v_mul_f64 v[66:67], v[78:79], v[78:79]
	v_mul_f64 v[68:69], v[66:67], 0.5
	v_fmac_f64_e32 v[92:93], s[60:61], v[66:67]
	v_add_f64 v[70:71], -v[68:69], 1.0
	v_fma_f64 v[76:77], v[66:67], v[92:93], s[62:63]
	v_add_f64 v[72:73], -v[70:71], 1.0
	v_fma_f64 v[76:77], v[66:67], v[76:77], s[64:65]
	v_add_f64 v[68:69], v[72:73], -v[68:69]
	v_fma_f64 v[76:77], v[66:67], v[76:77], s[66:67]
	v_mul_f64 v[72:73], v[66:67], v[66:67]
	v_fma_f64 v[76:77], v[66:67], v[76:77], s[50:51]
	v_fma_f64 v[68:69], v[78:79], -v[80:81], v[68:69]
	v_fmac_f64_e32 v[68:69], v[72:73], v[76:77]
	v_fmac_f64_e32 v[74:75], s[70:71], v[66:67]
	v_add_f64 v[68:69], v[70:71], v[68:69]
	v_fma_f64 v[70:71], v[66:67], v[74:75], s[72:73]
	v_fma_f64 v[70:71], v[66:67], v[70:71], s[74:75]
	;; [unrolled: 1-line block ×3, first 2 shown]
	v_mul_f64 v[72:73], v[78:79], -v[66:67]
	v_mul_f64 v[74:75], v[80:81], 0.5
	v_fmac_f64_e32 v[74:75], v[72:73], v[70:71]
	v_fma_f64 v[66:67], v[66:67], v[74:75], -v[80:81]
	v_fmac_f64_e32 v[66:67], s[76:77], v[72:73]
	v_add_f64 v[66:67], v[78:79], -v[66:67]
	v_cndmask_b32_e32 v6, 0, v17, vcc
	v_xor_b32_e32 v17, 0x80000000, v67
	v_and_b32_e32 v67, 1, v90
	v_cmp_eq_u32_e64 s[0:1], 0, v67
	v_lshlrev_b32_e32 v67, 30, v90
	v_cndmask_b32_e64 v17, v17, v69, s[0:1]
	v_and_b32_e32 v67, 0x80000000, v67
	v_cndmask_b32_e64 v66, v66, v68, s[0:1]
	v_xor_b32_e32 v17, v17, v67
	v_cndmask_b32_e32 v66, 0, v66, vcc
	v_cndmask_b32_e32 v67, v87, v17, vcc
	v_mul_f64 v[6:7], v[6:7], v[66:67]
.LBB162_292:                            ;   in Loop: Header=BB162_180 Depth=1
	s_or_b64 exec, exec, s[86:87]
	v_add_co_u32_e32 v4, vcc, 0, v4
	v_bfi_b32 v17, s95, 0, v7
	v_addc_co_u32_e32 v5, vcc, -2.0, v5, vcc
	v_pk_mov_b32 v[6:7], v[16:17], v[16:17] op_sel:[0,1]
.LBB162_293:                            ;   in Loop: Header=BB162_180 Depth=1
	s_or_b64 exec, exec, s[84:85]
.LBB162_294:                            ;   in Loop: Header=BB162_180 Depth=1
	s_or_b64 exec, exec, s[82:83]
	v_and_b32_e32 v17, 0x7fffffff, v1
	v_cmp_gt_u32_e32 vcc, s26, v17
	s_and_saveexec_b64 s[0:1], vcc
	s_xor_b64 s[82:83], exec, s[0:1]
	s_cbranch_execz .LBB162_316
; %bb.295:                              ;   in Loop: Header=BB162_180 Depth=1
	v_cmp_class_f64_e64 s[0:1], v[2:3], s27
	s_and_saveexec_b64 s[84:85], s[0:1]
	s_xor_b64 s[84:85], exec, s[84:85]
	s_cbranch_execz .LBB162_313
; %bb.296:                              ;   in Loop: Header=BB162_180 Depth=1
	v_cmp_gt_u32_e32 vcc, s42, v17
	s_and_saveexec_b64 s[0:1], vcc
	s_xor_b64 s[86:87], exec, s[0:1]
	s_cbranch_execz .LBB162_302
; %bb.297:                              ;   in Loop: Header=BB162_180 Depth=1
	v_cmp_nlt_f64_e64 s[0:1], |v[2:3]|, s[4:5]
                                        ; implicit-def: $vgpr70
                                        ; implicit-def: $vgpr66_vgpr67
                                        ; implicit-def: $vgpr68_vgpr69
	s_and_saveexec_b64 s[88:89], s[0:1]
	s_xor_b64 s[88:89], exec, s[88:89]
	s_cbranch_execz .LBB162_299
; %bb.298:                              ;   in Loop: Header=BB162_180 Depth=1
	v_and_b32_e32 v17, 0x7fffffff, v3
	v_ldexp_f64 v[70:71], |v[2:3]|, s43
	v_cmp_ge_f64_e64 vcc, |v[2:3]|, s[6:7]
	v_trig_preop_f64 v[66:67], |v[2:3]|, 0
	v_cndmask_b32_e32 v71, v17, v71, vcc
	v_cndmask_b32_e32 v70, v2, v70, vcc
	v_trig_preop_f64 v[68:69], |v[2:3]|, 1
	v_mul_f64 v[74:75], v[66:67], v[70:71]
	v_mul_f64 v[72:73], v[68:69], v[70:71]
	v_fma_f64 v[66:67], v[66:67], v[70:71], -v[74:75]
	v_add_f64 v[76:77], v[72:73], v[66:67]
	v_add_f64 v[78:79], v[74:75], v[76:77]
	v_ldexp_f64 v[80:81], v[78:79], -2
	v_fract_f64_e32 v[88:89], v[80:81]
	v_cmp_neq_f64_e64 vcc, |v[80:81]|, s[8:9]
	v_cndmask_b32_e32 v81, 0, v89, vcc
	v_cndmask_b32_e32 v80, 0, v88, vcc
	v_add_f64 v[88:89], v[76:77], -v[72:73]
	v_add_f64 v[66:67], v[66:67], -v[88:89]
	;; [unrolled: 1-line block ×4, first 2 shown]
	v_fma_f64 v[68:69], v[68:69], v[70:71], -v[72:73]
	v_trig_preop_f64 v[72:73], |v[2:3]|, 2
	v_add_f64 v[66:67], v[66:67], v[88:89]
	v_mul_f64 v[88:89], v[72:73], v[70:71]
	v_add_f64 v[90:91], v[88:89], v[68:69]
	v_add_f64 v[92:93], v[90:91], v[66:67]
	v_add_f64 v[74:75], v[78:79], -v[74:75]
	v_add_f64 v[78:79], v[92:93], -v[90:91]
	;; [unrolled: 1-line block ×5, first 2 shown]
	v_add_f64 v[66:67], v[66:67], v[78:79]
	v_add_f64 v[78:79], v[90:91], -v[88:89]
	v_add_f64 v[68:69], v[68:69], -v[78:79]
	;; [unrolled: 1-line block ×4, first 2 shown]
	v_add_f64 v[68:69], v[68:69], v[78:79]
	v_add_f64 v[74:75], v[76:77], -v[74:75]
	v_add_f64 v[66:67], v[68:69], v[66:67]
	v_fma_f64 v[68:69], v[72:73], v[70:71], -v[88:89]
	v_add_f64 v[76:77], v[74:75], v[92:93]
	v_add_f64 v[66:67], v[68:69], v[66:67]
	v_ldexp_f64 v[68:69], v[80:81], 2
	v_add_f64 v[70:71], v[76:77], v[68:69]
	v_cmp_gt_f64_e32 vcc, 0, v[70:71]
	v_cndmask_b32_e32 v17, 0, v83, vcc
	v_add_f64 v[68:69], v[68:69], v[16:17]
	v_add_f64 v[70:71], v[76:77], v[68:69]
	v_cvt_i32_f64_e32 v17, v[70:71]
	v_cvt_f64_i32_e32 v[70:71], v17
	v_add_f64 v[68:69], v[68:69], -v[70:71]
	v_add_f64 v[74:75], v[76:77], -v[74:75]
	v_add_f64 v[72:73], v[76:77], v[68:69]
	v_add_f64 v[74:75], v[92:93], -v[74:75]
	v_add_f64 v[68:69], v[72:73], -v[68:69]
	v_cmp_le_f64_e32 vcc, 0.5, v[72:73]
	v_add_f64 v[66:67], v[74:75], v[66:67]
	v_add_f64 v[68:69], v[76:77], -v[68:69]
	v_addc_co_u32_e64 v70, s[0:1], 0, v17, vcc
	v_cndmask_b32_e32 v17, 0, v84, vcc
	v_add_f64 v[66:67], v[66:67], v[68:69]
	v_add_f64 v[68:69], v[72:73], -v[16:17]
	v_add_f64 v[72:73], v[68:69], v[66:67]
	v_add_f64 v[68:69], v[72:73], -v[68:69]
	s_mov_b32 s10, s14
	v_add_f64 v[66:67], v[66:67], -v[68:69]
	v_mul_f64 v[68:69], v[72:73], s[10:11]
	v_fma_f64 v[74:75], v[72:73], s[10:11], -v[68:69]
	s_mov_b32 s19, s17
	v_fmac_f64_e32 v[74:75], s[18:19], v[72:73]
	v_fmac_f64_e32 v[74:75], s[10:11], v[66:67]
	v_add_f64 v[66:67], v[68:69], v[74:75]
	v_add_f64 v[68:69], v[66:67], -v[68:69]
	v_add_f64 v[68:69], v[74:75], -v[68:69]
.LBB162_299:                            ;   in Loop: Header=BB162_180 Depth=1
	s_andn2_saveexec_b64 s[0:1], s[88:89]
	s_cbranch_execz .LBB162_301
; %bb.300:                              ;   in Loop: Header=BB162_180 Depth=1
	v_mul_f64 v[66:67], |v[2:3]|, s[20:21]
	v_rndne_f64_e32 v[70:71], v[66:67]
	v_fma_f64 v[66:67], v[70:71], s[14:15], |v[2:3]|
	v_mul_f64 v[72:73], v[70:71], s[22:23]
	v_add_f64 v[76:77], v[66:67], v[72:73]
	v_fma_f64 v[68:69], s[22:23], v[70:71], v[66:67]
	s_mov_b32 s16, s22
	v_add_f64 v[66:67], v[66:67], -v[76:77]
	v_fma_f64 v[74:75], s[16:17], v[70:71], v[72:73]
	v_add_f64 v[66:67], v[66:67], v[72:73]
	v_add_f64 v[72:73], v[76:77], -v[68:69]
	v_add_f64 v[66:67], v[72:73], v[66:67]
	v_add_f64 v[72:73], v[66:67], -v[74:75]
	v_fmac_f64_e32 v[72:73], s[24:25], v[70:71]
	v_add_f64 v[66:67], v[68:69], v[72:73]
	v_add_f64 v[68:69], v[66:67], -v[68:69]
	v_add_f64 v[68:69], v[72:73], -v[68:69]
	v_cvt_i32_f64_e32 v70, v[70:71]
.LBB162_301:                            ;   in Loop: Header=BB162_180 Depth=1
	s_or_b64 exec, exec, s[0:1]
	v_mul_f64 v[72:73], v[66:67], v[66:67]
	v_fma_f64 v[74:75], v[66:67], v[66:67], -v[72:73]
	v_add_f64 v[76:77], v[68:69], v[68:69]
	v_fmac_f64_e32 v[74:75], v[66:67], v[76:77]
	s_mov_b32 s0, 0xc751c08c
	v_add_f64 v[72:73], v[72:73], v[74:75]
	v_pk_mov_b32 v[74:75], v[22:23], v[22:23] op_sel:[0,1]
	s_mov_b32 s1, 0x3ef5e089
	v_fmac_f64_e32 v[74:75], s[0:1], v[72:73]
	v_pk_mov_b32 v[76:77], v[24:25], v[24:25] op_sel:[0,1]
	v_fmac_f64_e32 v[76:77], v[72:73], v[74:75]
	v_pk_mov_b32 v[74:75], v[26:27], v[26:27] op_sel:[0,1]
	;; [unrolled: 2-line block ×12, first 2 shown]
	v_fmac_f64_e32 v[74:75], v[72:73], v[76:77]
	v_mul_f64 v[72:73], v[72:73], v[74:75]
	v_mul_f64 v[74:75], v[66:67], v[72:73]
	v_add_f64 v[76:77], v[66:67], v[74:75]
	v_fma_f64 v[72:73], v[66:67], v[72:73], -v[74:75]
	v_add_f64 v[66:67], v[76:77], -v[66:67]
	v_add_f64 v[66:67], v[74:75], -v[66:67]
	v_add_f64 v[68:69], v[68:69], v[72:73]
	v_add_f64 v[66:67], v[68:69], v[66:67]
	;; [unrolled: 1-line block ×3, first 2 shown]
	v_rcp_f64_e32 v[72:73], v[68:69]
	v_and_b32_e32 v2, 1, v70
	v_add_f64 v[70:71], v[68:69], -v[76:77]
	v_add_f64 v[66:67], v[66:67], -v[70:71]
	v_fma_f64 v[70:71], -v[68:69], v[72:73], 1.0
	v_fmac_f64_e32 v[72:73], v[70:71], v[72:73]
	v_fma_f64 v[70:71], -v[68:69], v[72:73], 1.0
	v_fmac_f64_e32 v[72:73], v[70:71], v[72:73]
	v_mul_f64 v[70:71], v[68:69], v[72:73]
	v_fma_f64 v[74:75], v[72:73], v[68:69], -v[70:71]
	v_fmac_f64_e32 v[74:75], v[72:73], v[66:67]
	v_add_f64 v[66:67], v[70:71], v[74:75]
	v_add_f64 v[76:77], -v[66:67], 1.0
	v_add_f64 v[70:71], v[66:67], -v[70:71]
	v_add_f64 v[78:79], -v[76:77], 1.0
	v_add_f64 v[66:67], v[78:79], -v[66:67]
	v_add_f64 v[70:71], v[70:71], -v[74:75]
	v_add_f64 v[66:67], v[70:71], v[66:67]
	v_add_f64 v[66:67], v[76:77], v[66:67]
	v_mul_f64 v[66:67], v[72:73], v[66:67]
	v_add_f64 v[66:67], v[72:73], v[66:67]
	v_cmp_eq_u32_e32 vcc, 0, v2
	v_xor_b32_e32 v17, 0x80000000, v67
	v_cndmask_b32_e32 v2, v66, v68, vcc
	v_add_f64 v[66:67], |v[0:1]|, s[28:29]
	v_cndmask_b32_e32 v17, v17, v69, vcc
	v_add_f64 v[68:69], v[66:67], -|v[0:1]|
	v_add_f64 v[70:71], v[68:69], -v[66:67]
	s_mov_b32 s30, s28
	v_add_f64 v[70:71], |v[0:1]|, v[70:71]
	v_add_f64 v[68:69], v[68:69], s[30:31]
	v_add_f64 v[68:69], v[70:71], -v[68:69]
	v_add_f64 v[68:69], v[68:69], s[34:35]
	v_add_f64 v[70:71], v[66:67], v[68:69]
	v_add_f64 v[66:67], v[66:67], -v[70:71]
	s_mov_b32 s36, s38
	v_add_f64 v[66:67], v[68:69], v[66:67]
	v_mul_f64 v[68:69], v[70:71], s[36:37]
	v_rndne_f64_e32 v[68:69], v[68:69]
	s_mov_b32 s41, s29
	v_fmac_f64_e32 v[70:71], s[40:41], v[68:69]
	v_add_f64 v[72:73], v[66:67], v[70:71]
	s_mov_b32 s0, 0xf278e000
	v_add_f64 v[70:71], v[70:71], -v[72:73]
	s_mov_b32 s1, 0xbd53de6a
	v_add_f64 v[66:67], v[66:67], v[70:71]
	v_mul_f64 v[70:71], v[68:69], s[0:1]
	v_add_f64 v[74:75], v[72:73], v[70:71]
	v_add_f64 v[72:73], v[72:73], -v[74:75]
	v_add_f64 v[70:71], v[72:73], v[70:71]
	v_add_f64 v[66:67], v[66:67], v[70:71]
	;; [unrolled: 1-line block ×3, first 2 shown]
	s_mov_b32 s0, 0xf97b57a0
	v_add_f64 v[72:73], v[74:75], -v[70:71]
	s_mov_b32 s1, 0xbac9cc01
	v_add_f64 v[66:67], v[66:67], v[72:73]
	v_mul_f64 v[72:73], v[68:69], s[0:1]
	v_add_f64 v[74:75], v[70:71], v[72:73]
	v_add_f64 v[70:71], v[70:71], -v[74:75]
	v_add_f64 v[70:71], v[70:71], v[72:73]
	v_add_f64 v[66:67], v[66:67], v[70:71]
	;; [unrolled: 1-line block ×3, first 2 shown]
	v_add_f64 v[72:73], v[74:75], -v[70:71]
	v_add_f64 v[66:67], v[66:67], v[72:73]
	v_pk_mov_b32 v[72:73], v[48:49], v[48:49] op_sel:[0,1]
	v_fmac_f64_e32 v[72:73], s[46:47], v[70:71]
	v_pk_mov_b32 v[74:75], v[50:51], v[50:51] op_sel:[0,1]
	v_fmac_f64_e32 v[74:75], v[70:71], v[72:73]
	;; [unrolled: 2-line block ×9, first 2 shown]
	v_mul_f64 v[74:75], v[70:71], v[70:71]
	v_fma_f64 v[76:77], v[70:71], v[70:71], -v[74:75]
	v_add_f64 v[78:79], v[66:67], v[66:67]
	v_fmac_f64_e32 v[76:77], v[70:71], v[78:79]
	v_add_f64 v[78:79], v[74:75], v[76:77]
	v_add_f64 v[74:75], v[78:79], -v[74:75]
	v_add_f64 v[74:75], v[76:77], -v[74:75]
	v_mul_f64 v[76:77], v[78:79], v[72:73]
	v_fma_f64 v[78:79], v[78:79], v[72:73], -v[76:77]
	v_fmac_f64_e32 v[78:79], v[74:75], v[72:73]
	v_add_f64 v[72:73], v[76:77], v[78:79]
	v_add_f64 v[74:75], v[72:73], -v[76:77]
	v_add_f64 v[76:77], v[70:71], v[72:73]
	v_add_f64 v[74:75], v[78:79], -v[74:75]
	v_add_f64 v[70:71], v[76:77], -v[70:71]
	;; [unrolled: 1-line block ×3, first 2 shown]
	v_add_f64 v[66:67], v[66:67], v[74:75]
	v_add_f64 v[66:67], v[66:67], v[70:71]
	;; [unrolled: 1-line block ×3, first 2 shown]
	v_add_f64 v[72:73], v[70:71], -v[76:77]
	v_add_f64 v[66:67], v[66:67], -v[72:73]
	v_add_f64 v[72:73], v[70:71], 1.0
	v_add_f64 v[74:75], v[72:73], -1.0
	v_add_f64 v[70:71], v[70:71], -v[74:75]
	v_add_f64 v[66:67], v[66:67], v[70:71]
	v_add_f64 v[70:71], v[72:73], v[66:67]
	v_cvt_i32_f64_e32 v76, v[68:69]
	v_ldexp_f64 v[68:69], v[70:71], v76
	v_rcp_f64_e32 v[74:75], v[68:69]
	v_add_f64 v[70:71], v[70:71], -v[72:73]
	v_add_f64 v[66:67], v[66:67], -v[70:71]
	v_ldexp_f64 v[66:67], v[66:67], v76
	v_fma_f64 v[70:71], -v[68:69], v[74:75], 1.0
	v_fmac_f64_e32 v[74:75], v[70:71], v[74:75]
	v_fma_f64 v[70:71], -v[68:69], v[74:75], 1.0
	v_fmac_f64_e32 v[74:75], v[70:71], v[74:75]
	v_mul_f64 v[70:71], v[68:69], v[74:75]
	v_fma_f64 v[72:73], v[74:75], v[68:69], -v[70:71]
	v_fmac_f64_e32 v[72:73], v[74:75], v[66:67]
	v_add_f64 v[76:77], v[70:71], v[72:73]
	v_add_f64 v[78:79], -v[76:77], 1.0
	v_add_f64 v[70:71], v[76:77], -v[70:71]
	v_add_f64 v[80:81], -v[78:79], 1.0
	v_add_f64 v[76:77], v[80:81], -v[76:77]
	v_add_f64 v[70:71], v[70:71], -v[72:73]
	v_add_f64 v[70:71], v[70:71], v[76:77]
	v_add_f64 v[72:73], v[78:79], v[70:71]
	v_add_f64 v[76:77], v[78:79], -v[72:73]
	v_add_f64 v[70:71], v[70:71], v[76:77]
	v_mul_f64 v[76:77], v[74:75], v[72:73]
	v_mul_f64 v[78:79], v[68:69], v[76:77]
	v_fma_f64 v[80:81], v[76:77], v[68:69], -v[78:79]
	v_fmac_f64_e32 v[80:81], v[76:77], v[66:67]
	v_add_f64 v[88:89], v[78:79], v[80:81]
	v_add_f64 v[90:91], v[72:73], -v[88:89]
	v_add_f64 v[72:73], v[72:73], -v[90:91]
	;; [unrolled: 1-line block ×4, first 2 shown]
	v_add_f64 v[70:71], v[70:71], v[72:73]
	v_add_f64 v[72:73], v[78:79], -v[80:81]
	v_add_f64 v[70:71], v[72:73], v[70:71]
	v_add_f64 v[70:71], v[90:91], v[70:71]
	;; [unrolled: 1-line block ×3, first 2 shown]
	v_mul_f64 v[70:71], v[74:75], v[70:71]
	v_add_f64 v[74:75], v[72:73], -v[74:75]
	v_add_f64 v[74:75], v[76:77], -v[74:75]
	v_add_f64 v[70:71], v[74:75], v[70:71]
	v_add_f64 v[74:75], v[72:73], v[70:71]
	v_add_f64 v[72:73], v[74:75], -v[72:73]
	v_add_f64 v[70:71], v[70:71], -v[72:73]
	v_ldexp_f64 v[72:73], v[74:75], -2
	v_add_f64 v[74:75], v[68:69], -v[72:73]
	v_add_f64 v[68:69], v[68:69], -v[74:75]
	;; [unrolled: 1-line block ×3, first 2 shown]
	v_ldexp_f64 v[70:71], v[70:71], -2
	v_add_f64 v[66:67], v[66:67], v[68:69]
	v_add_f64 v[66:67], v[66:67], -v[70:71]
	v_add_f64 v[66:67], v[74:75], v[66:67]
	v_cmp_nge_f64_e64 vcc, |v[0:1]|, s[52:53]
	v_and_b32_e32 v92, 0x7fffffff, v1
	v_cndmask_b32_e32 v67, v85, v67, vcc
	v_cndmask_b32_e32 v66, 0, v66, vcc
	v_cmp_lt_f64_e64 vcc, |v[0:1]|, s[54:55]
	v_cndmask_b32_e32 v0, v66, v0, vcc
	v_cndmask_b32_e32 v66, v67, v92, vcc
	v_bfi_b32 v1, s95, v66, v1
	v_fma_f64 v[66:67], v[0:1], v[0:1], 1.0
	v_cmp_gt_f64_e32 vcc, s[56:57], v[66:67]
	v_cndmask_b32_e64 v68, 0, 1, vcc
	v_lshlrev_b32_e32 v68, 8, v68
	v_ldexp_f64 v[66:67], v[66:67], v68
	v_rsq_f64_e32 v[68:69], v[66:67]
	v_and_b32_e32 v3, 0x80000000, v3
	v_xor_b32_e32 v3, v17, v3
	v_cndmask_b32_e32 v17, 0, v86, vcc
	v_mul_f64 v[72:73], v[66:67], v[68:69]
	v_mul_f64 v[68:69], v[68:69], 0.5
	v_fma_f64 v[74:75], -v[68:69], v[72:73], 0.5
	v_fmac_f64_e32 v[72:73], v[72:73], v[74:75]
	v_fma_f64 v[76:77], -v[72:73], v[72:73], v[66:67]
	v_fmac_f64_e32 v[68:69], v[68:69], v[74:75]
	v_fmac_f64_e32 v[72:73], v[76:77], v[68:69]
	v_fma_f64 v[74:75], -v[72:73], v[72:73], v[66:67]
	v_fmac_f64_e32 v[72:73], v[74:75], v[68:69]
	v_ldexp_f64 v[68:69], v[72:73], v17
	v_cmp_class_f64_e32 vcc, v[66:67], v82
	v_fma_f64 v[70:71], v[2:3], v[2:3], 1.0
	v_cndmask_b32_e32 v67, v69, v67, vcc
	v_cndmask_b32_e32 v66, v68, v66, vcc
	v_mul_f64 v[68:69], v[0:1], v[70:71]
	v_mul_f64 v[66:67], v[66:67], v[70:71]
	v_fma_f64 v[68:69], v[0:1], v[68:69], 1.0
	v_mul_f64 v[0:1], v[0:1], v[66:67]
	v_div_scale_f64 v[66:67], s[0:1], v[68:69], v[68:69], v[0:1]
	v_rcp_f64_e32 v[70:71], v[66:67]
	v_fma_f64 v[72:73], -v[66:67], v[70:71], 1.0
	v_fmac_f64_e32 v[70:71], v[70:71], v[72:73]
	v_fma_f64 v[72:73], -v[66:67], v[70:71], 1.0
	v_fmac_f64_e32 v[70:71], v[70:71], v[72:73]
	v_div_scale_f64 v[72:73], vcc, v[0:1], v[68:69], v[0:1]
	v_mul_f64 v[74:75], v[72:73], v[70:71]
	v_fma_f64 v[66:67], -v[66:67], v[74:75], v[72:73]
	v_div_scale_f64 v[72:73], s[0:1], v[68:69], v[68:69], v[2:3]
	v_rcp_f64_e32 v[76:77], v[72:73]
	v_div_fmas_f64 v[66:67], v[66:67], v[70:71], v[74:75]
	v_div_fixup_f64 v[0:1], v[66:67], v[68:69], v[0:1]
	v_fma_f64 v[66:67], -v[72:73], v[76:77], 1.0
	v_fmac_f64_e32 v[76:77], v[76:77], v[66:67]
	v_fma_f64 v[66:67], -v[72:73], v[76:77], 1.0
	v_fmac_f64_e32 v[76:77], v[76:77], v[66:67]
	v_div_scale_f64 v[66:67], vcc, v[2:3], v[68:69], v[2:3]
	v_mul_f64 v[70:71], v[66:67], v[76:77]
	v_fma_f64 v[66:67], -v[72:73], v[70:71], v[66:67]
	s_nop 1
	v_div_fmas_f64 v[66:67], v[66:67], v[76:77], v[70:71]
	v_div_fixup_f64 v[2:3], v[66:67], v[68:69], v[2:3]
.LBB162_302:                            ;   in Loop: Header=BB162_180 Depth=1
	s_andn2_saveexec_b64 s[86:87], s[86:87]
	s_cbranch_execz .LBB162_312
; %bb.303:                              ;   in Loop: Header=BB162_180 Depth=1
	v_cmp_nlt_f64_e64 s[88:89], |v[2:3]|, s[4:5]
                                        ; implicit-def: $vgpr74
                                        ; implicit-def: $vgpr66_vgpr67
                                        ; implicit-def: $vgpr68_vgpr69
	s_and_saveexec_b64 s[0:1], s[88:89]
	s_xor_b64 s[90:91], exec, s[0:1]
	s_cbranch_execz .LBB162_305
; %bb.304:                              ;   in Loop: Header=BB162_180 Depth=1
	v_and_b32_e32 v17, 0x7fffffff, v3
	v_ldexp_f64 v[70:71], |v[2:3]|, s43
	v_cmp_ge_f64_e64 vcc, |v[2:3]|, s[6:7]
	v_trig_preop_f64 v[66:67], |v[2:3]|, 0
	v_cndmask_b32_e32 v71, v17, v71, vcc
	v_cndmask_b32_e32 v70, v2, v70, vcc
	v_trig_preop_f64 v[68:69], |v[2:3]|, 1
	v_mul_f64 v[74:75], v[66:67], v[70:71]
	v_mul_f64 v[72:73], v[68:69], v[70:71]
	v_fma_f64 v[66:67], v[66:67], v[70:71], -v[74:75]
	v_add_f64 v[76:77], v[72:73], v[66:67]
	v_add_f64 v[78:79], v[74:75], v[76:77]
	v_ldexp_f64 v[80:81], v[78:79], -2
	v_fract_f64_e32 v[88:89], v[80:81]
	v_cmp_neq_f64_e64 vcc, |v[80:81]|, s[8:9]
	v_cndmask_b32_e32 v81, 0, v89, vcc
	v_cndmask_b32_e32 v80, 0, v88, vcc
	v_add_f64 v[88:89], v[76:77], -v[72:73]
	v_add_f64 v[66:67], v[66:67], -v[88:89]
	;; [unrolled: 1-line block ×4, first 2 shown]
	v_fma_f64 v[68:69], v[68:69], v[70:71], -v[72:73]
	v_trig_preop_f64 v[72:73], |v[2:3]|, 2
	v_add_f64 v[66:67], v[66:67], v[88:89]
	v_mul_f64 v[88:89], v[72:73], v[70:71]
	v_add_f64 v[90:91], v[88:89], v[68:69]
	v_add_f64 v[92:93], v[90:91], v[66:67]
	v_add_f64 v[74:75], v[78:79], -v[74:75]
	v_add_f64 v[78:79], v[92:93], -v[90:91]
	;; [unrolled: 1-line block ×5, first 2 shown]
	v_add_f64 v[66:67], v[66:67], v[78:79]
	v_add_f64 v[78:79], v[90:91], -v[88:89]
	v_add_f64 v[68:69], v[68:69], -v[78:79]
	;; [unrolled: 1-line block ×4, first 2 shown]
	v_add_f64 v[68:69], v[68:69], v[78:79]
	v_add_f64 v[74:75], v[76:77], -v[74:75]
	v_add_f64 v[66:67], v[68:69], v[66:67]
	v_fma_f64 v[68:69], v[72:73], v[70:71], -v[88:89]
	v_add_f64 v[76:77], v[74:75], v[92:93]
	v_add_f64 v[66:67], v[68:69], v[66:67]
	v_ldexp_f64 v[68:69], v[80:81], 2
	v_add_f64 v[70:71], v[76:77], v[68:69]
	v_cmp_gt_f64_e32 vcc, 0, v[70:71]
	v_cndmask_b32_e32 v17, 0, v83, vcc
	v_add_f64 v[68:69], v[68:69], v[16:17]
	v_add_f64 v[70:71], v[76:77], v[68:69]
	v_cvt_i32_f64_e32 v17, v[70:71]
	v_cvt_f64_i32_e32 v[70:71], v17
	v_add_f64 v[68:69], v[68:69], -v[70:71]
	v_add_f64 v[74:75], v[76:77], -v[74:75]
	v_add_f64 v[70:71], v[76:77], v[68:69]
	v_add_f64 v[74:75], v[92:93], -v[74:75]
	v_add_f64 v[68:69], v[70:71], -v[68:69]
	v_cmp_le_f64_e32 vcc, 0.5, v[70:71]
	v_add_f64 v[66:67], v[74:75], v[66:67]
	v_add_f64 v[68:69], v[76:77], -v[68:69]
	v_addc_co_u32_e64 v74, s[0:1], 0, v17, vcc
	v_cndmask_b32_e32 v17, 0, v84, vcc
	v_add_f64 v[66:67], v[66:67], v[68:69]
	v_add_f64 v[68:69], v[70:71], -v[16:17]
	v_add_f64 v[70:71], v[68:69], v[66:67]
	v_add_f64 v[68:69], v[70:71], -v[68:69]
	s_mov_b32 s10, s14
	v_add_f64 v[66:67], v[66:67], -v[68:69]
	v_mul_f64 v[68:69], v[70:71], s[10:11]
	v_fma_f64 v[72:73], v[70:71], s[10:11], -v[68:69]
	s_mov_b32 s19, s17
	v_fmac_f64_e32 v[72:73], s[18:19], v[70:71]
	v_fmac_f64_e32 v[72:73], s[10:11], v[66:67]
	v_add_f64 v[66:67], v[68:69], v[72:73]
	v_add_f64 v[68:69], v[66:67], -v[68:69]
	v_add_f64 v[68:69], v[72:73], -v[68:69]
	s_andn2_saveexec_b64 s[0:1], s[90:91]
	s_cbranch_execz .LBB162_307
	s_branch .LBB162_306
.LBB162_305:                            ;   in Loop: Header=BB162_180 Depth=1
	s_andn2_saveexec_b64 s[0:1], s[90:91]
	s_cbranch_execz .LBB162_307
.LBB162_306:                            ;   in Loop: Header=BB162_180 Depth=1
	v_mul_f64 v[66:67], |v[2:3]|, s[20:21]
	v_rndne_f64_e32 v[70:71], v[66:67]
	v_fma_f64 v[66:67], v[70:71], s[14:15], |v[2:3]|
	v_mul_f64 v[72:73], v[70:71], s[22:23]
	v_add_f64 v[76:77], v[66:67], v[72:73]
	v_fma_f64 v[68:69], s[22:23], v[70:71], v[66:67]
	s_mov_b32 s16, s22
	v_add_f64 v[66:67], v[66:67], -v[76:77]
	v_fma_f64 v[74:75], s[16:17], v[70:71], v[72:73]
	v_add_f64 v[66:67], v[66:67], v[72:73]
	v_add_f64 v[72:73], v[76:77], -v[68:69]
	v_add_f64 v[66:67], v[72:73], v[66:67]
	v_add_f64 v[72:73], v[66:67], -v[74:75]
	v_fmac_f64_e32 v[72:73], s[24:25], v[70:71]
	v_add_f64 v[66:67], v[68:69], v[72:73]
	v_add_f64 v[68:69], v[66:67], -v[68:69]
	v_add_f64 v[68:69], v[72:73], -v[68:69]
	v_cvt_i32_f64_e32 v74, v[70:71]
.LBB162_307:                            ;   in Loop: Header=BB162_180 Depth=1
	s_or_b64 exec, exec, s[0:1]
                                        ; implicit-def: $vgpr75
                                        ; implicit-def: $vgpr70_vgpr71
                                        ; implicit-def: $vgpr72_vgpr73
	s_and_saveexec_b64 s[0:1], s[88:89]
	s_xor_b64 s[88:89], exec, s[0:1]
	s_cbranch_execz .LBB162_309
; %bb.308:                              ;   in Loop: Header=BB162_180 Depth=1
	v_and_b32_e32 v17, 0x7fffffff, v3
	v_ldexp_f64 v[76:77], |v[2:3]|, s43
	v_cmp_ge_f64_e64 vcc, |v[2:3]|, s[6:7]
	v_trig_preop_f64 v[70:71], |v[2:3]|, 0
	v_cndmask_b32_e32 v77, v17, v77, vcc
	v_cndmask_b32_e32 v76, v2, v76, vcc
	v_trig_preop_f64 v[72:73], |v[2:3]|, 1
	v_mul_f64 v[80:81], v[70:71], v[76:77]
	v_mul_f64 v[78:79], v[72:73], v[76:77]
	v_fma_f64 v[70:71], v[70:71], v[76:77], -v[80:81]
	v_add_f64 v[88:89], v[78:79], v[70:71]
	v_add_f64 v[90:91], v[80:81], v[88:89]
	v_ldexp_f64 v[92:93], v[90:91], -2
	v_fract_f64_e32 v[94:95], v[92:93]
	v_cmp_neq_f64_e64 vcc, |v[92:93]|, s[8:9]
	v_cndmask_b32_e32 v93, 0, v95, vcc
	v_cndmask_b32_e32 v92, 0, v94, vcc
	v_add_f64 v[94:95], v[88:89], -v[78:79]
	v_add_f64 v[70:71], v[70:71], -v[94:95]
	;; [unrolled: 1-line block ×4, first 2 shown]
	v_fma_f64 v[72:73], v[72:73], v[76:77], -v[78:79]
	v_trig_preop_f64 v[78:79], |v[2:3]|, 2
	v_add_f64 v[70:71], v[70:71], v[94:95]
	v_mul_f64 v[94:95], v[78:79], v[76:77]
	v_add_f64 v[96:97], v[94:95], v[72:73]
	v_add_f64 v[98:99], v[96:97], v[70:71]
	v_add_f64 v[80:81], v[90:91], -v[80:81]
	v_add_f64 v[90:91], v[98:99], -v[96:97]
	;; [unrolled: 1-line block ×5, first 2 shown]
	v_add_f64 v[70:71], v[70:71], v[90:91]
	v_add_f64 v[90:91], v[96:97], -v[94:95]
	v_add_f64 v[72:73], v[72:73], -v[90:91]
	;; [unrolled: 1-line block ×4, first 2 shown]
	v_add_f64 v[72:73], v[72:73], v[90:91]
	v_add_f64 v[80:81], v[88:89], -v[80:81]
	v_add_f64 v[70:71], v[72:73], v[70:71]
	v_fma_f64 v[72:73], v[78:79], v[76:77], -v[94:95]
	v_add_f64 v[88:89], v[80:81], v[98:99]
	v_add_f64 v[70:71], v[72:73], v[70:71]
	v_ldexp_f64 v[72:73], v[92:93], 2
	v_add_f64 v[76:77], v[88:89], v[72:73]
	v_cmp_gt_f64_e32 vcc, 0, v[76:77]
	v_cndmask_b32_e32 v17, 0, v83, vcc
	v_add_f64 v[72:73], v[72:73], v[16:17]
	v_add_f64 v[76:77], v[88:89], v[72:73]
	v_cvt_i32_f64_e32 v17, v[76:77]
	v_cvt_f64_i32_e32 v[76:77], v17
	v_add_f64 v[72:73], v[72:73], -v[76:77]
	v_add_f64 v[80:81], v[88:89], -v[80:81]
	v_add_f64 v[76:77], v[88:89], v[72:73]
	v_add_f64 v[80:81], v[98:99], -v[80:81]
	v_add_f64 v[72:73], v[76:77], -v[72:73]
	v_cmp_le_f64_e32 vcc, 0.5, v[76:77]
	v_add_f64 v[70:71], v[80:81], v[70:71]
	v_add_f64 v[72:73], v[88:89], -v[72:73]
	v_addc_co_u32_e64 v75, s[0:1], 0, v17, vcc
	v_cndmask_b32_e32 v17, 0, v84, vcc
	v_add_f64 v[70:71], v[70:71], v[72:73]
	v_add_f64 v[72:73], v[76:77], -v[16:17]
	v_add_f64 v[76:77], v[72:73], v[70:71]
	v_add_f64 v[72:73], v[76:77], -v[72:73]
	s_mov_b32 s10, s14
	v_add_f64 v[70:71], v[70:71], -v[72:73]
	v_mul_f64 v[72:73], v[76:77], s[10:11]
	v_fma_f64 v[78:79], v[76:77], s[10:11], -v[72:73]
	s_mov_b32 s19, s17
	v_fmac_f64_e32 v[78:79], s[18:19], v[76:77]
	v_fmac_f64_e32 v[78:79], s[10:11], v[70:71]
	v_add_f64 v[70:71], v[72:73], v[78:79]
	v_add_f64 v[72:73], v[70:71], -v[72:73]
	v_add_f64 v[72:73], v[78:79], -v[72:73]
	s_andn2_saveexec_b64 s[0:1], s[88:89]
	s_cbranch_execnz .LBB162_310
	s_branch .LBB162_311
.LBB162_309:                            ;   in Loop: Header=BB162_180 Depth=1
	s_andn2_saveexec_b64 s[0:1], s[88:89]
	s_cbranch_execz .LBB162_311
.LBB162_310:                            ;   in Loop: Header=BB162_180 Depth=1
	v_mul_f64 v[70:71], |v[2:3]|, s[20:21]
	v_rndne_f64_e32 v[76:77], v[70:71]
	v_fma_f64 v[70:71], v[76:77], s[14:15], |v[2:3]|
	v_mul_f64 v[78:79], v[76:77], s[22:23]
	v_add_f64 v[88:89], v[70:71], v[78:79]
	v_fma_f64 v[72:73], s[22:23], v[76:77], v[70:71]
	s_mov_b32 s16, s22
	v_add_f64 v[70:71], v[70:71], -v[88:89]
	v_fma_f64 v[80:81], s[16:17], v[76:77], v[78:79]
	v_add_f64 v[70:71], v[70:71], v[78:79]
	v_add_f64 v[78:79], v[88:89], -v[72:73]
	v_add_f64 v[70:71], v[78:79], v[70:71]
	v_add_f64 v[78:79], v[70:71], -v[80:81]
	v_fmac_f64_e32 v[78:79], s[24:25], v[76:77]
	v_add_f64 v[70:71], v[72:73], v[78:79]
	v_add_f64 v[72:73], v[70:71], -v[72:73]
	v_add_f64 v[72:73], v[78:79], -v[72:73]
	v_cvt_i32_f64_e32 v75, v[76:77]
.LBB162_311:                            ;   in Loop: Header=BB162_180 Depth=1
	s_or_b64 exec, exec, s[0:1]
	v_mul_f64 v[76:77], v[66:67], v[66:67]
	v_pk_mov_b32 v[90:91], s[58:59], s[58:59] op_sel:[0,1]
	v_mul_f64 v[78:79], v[76:77], 0.5
	v_fma_f64 v[92:93], s[60:61], v[76:77], v[90:91]
	v_add_f64 v[80:81], -v[78:79], 1.0
	v_fma_f64 v[92:93], v[76:77], v[92:93], s[62:63]
	v_add_f64 v[88:89], -v[80:81], 1.0
	v_fma_f64 v[92:93], v[76:77], v[92:93], s[64:65]
	v_add_f64 v[78:79], v[88:89], -v[78:79]
	v_fma_f64 v[92:93], v[76:77], v[92:93], s[66:67]
	v_mul_f64 v[88:89], v[76:77], v[76:77]
	v_fma_f64 v[92:93], v[76:77], v[92:93], s[50:51]
	v_fma_f64 v[78:79], v[66:67], -v[68:69], v[78:79]
	v_fmac_f64_e32 v[78:79], v[88:89], v[92:93]
	v_add_f64 v[78:79], v[80:81], v[78:79]
	v_pk_mov_b32 v[80:81], s[68:69], s[68:69] op_sel:[0,1]
	v_fma_f64 v[88:89], s[70:71], v[76:77], v[80:81]
	v_fma_f64 v[88:89], v[76:77], v[88:89], s[72:73]
	;; [unrolled: 1-line block ×4, first 2 shown]
	v_mul_f64 v[92:93], v[66:67], -v[76:77]
	v_mul_f64 v[94:95], v[68:69], 0.5
	v_fmac_f64_e32 v[94:95], v[92:93], v[88:89]
	v_fma_f64 v[68:69], v[76:77], v[94:95], -v[68:69]
	s_mov_b32 s76, s50
	v_fmac_f64_e32 v[68:69], s[76:77], v[92:93]
	v_and_b32_e32 v2, 1, v74
	v_add_f64 v[66:67], v[66:67], -v[68:69]
	v_cmp_eq_u32_e32 vcc, 0, v2
	v_cndmask_b32_e32 v2, v78, v66, vcc
	v_lshlrev_b32_e32 v66, 30, v74
	v_cndmask_b32_e32 v17, v79, v67, vcc
	v_xor_b32_e32 v3, v66, v3
	v_mul_f64 v[66:67], |v[0:1]|, s[38:39]
	v_rndne_f64_e32 v[66:67], v[66:67]
	v_fma_f64 v[68:69], v[66:67], s[28:29], -|v[0:1]|
	v_fmac_f64_e32 v[68:69], s[34:35], v[66:67]
	v_pk_mov_b32 v[76:77], v[48:49], v[48:49] op_sel:[0,1]
	v_fmac_f64_e32 v[76:77], s[46:47], v[68:69]
	v_pk_mov_b32 v[78:79], v[50:51], v[50:51] op_sel:[0,1]
	;; [unrolled: 2-line block ×9, first 2 shown]
	v_fmac_f64_e32 v[76:77], v[68:69], v[78:79]
	v_and_b32_e32 v3, 0x80000000, v3
	v_fma_f64 v[76:77], v[68:69], v[76:77], 1.0
	v_xor_b32_e32 v3, v17, v3
	v_fma_f64 v[68:69], v[68:69], v[76:77], 1.0
	v_cvt_i32_f64_e32 v17, v[66:67]
	v_ldexp_f64 v[66:67], v[68:69], v17
	v_cmp_ngt_f64_e64 vcc, |v[0:1]|, s[78:79]
	v_bfi_b32 v17, s95, v84, v1
	v_mul_f64 v[0:1], v[70:71], v[70:71]
	v_mul_f64 v[68:69], v[0:1], 0.5
	v_fmac_f64_e32 v[90:91], s[60:61], v[0:1]
	v_add_f64 v[76:77], -v[68:69], 1.0
	v_fma_f64 v[88:89], v[0:1], v[90:91], s[62:63]
	v_add_f64 v[78:79], -v[76:77], 1.0
	v_fma_f64 v[88:89], v[0:1], v[88:89], s[64:65]
	v_add_f64 v[68:69], v[78:79], -v[68:69]
	v_fma_f64 v[88:89], v[0:1], v[88:89], s[66:67]
	v_mul_f64 v[78:79], v[0:1], v[0:1]
	v_fma_f64 v[88:89], v[0:1], v[88:89], s[50:51]
	v_fma_f64 v[68:69], v[70:71], -v[72:73], v[68:69]
	v_fmac_f64_e32 v[68:69], v[78:79], v[88:89]
	v_fmac_f64_e32 v[80:81], s[70:71], v[0:1]
	v_add_f64 v[68:69], v[76:77], v[68:69]
	v_fma_f64 v[76:77], v[0:1], v[80:81], s[72:73]
	v_fma_f64 v[76:77], v[0:1], v[76:77], s[74:75]
	;; [unrolled: 1-line block ×3, first 2 shown]
	v_mul_f64 v[78:79], v[70:71], -v[0:1]
	v_mul_f64 v[80:81], v[72:73], 0.5
	v_fmac_f64_e32 v[80:81], v[78:79], v[76:77]
	v_fma_f64 v[0:1], v[0:1], v[80:81], -v[72:73]
	v_fmac_f64_e32 v[0:1], s[76:77], v[78:79]
	v_add_f64 v[0:1], v[70:71], -v[0:1]
	v_and_b32_e32 v70, 1, v75
	v_cndmask_b32_e32 v67, 0, v67, vcc
	v_cndmask_b32_e32 v66, 0, v66, vcc
	v_cmp_eq_u32_e32 vcc, 0, v70
	v_xor_b32_e32 v1, 0x80000000, v1
	v_cndmask_b32_e32 v0, v0, v68, vcc
	v_lshlrev_b32_e32 v68, 30, v75
	v_cndmask_b32_e32 v1, v1, v69, vcc
	v_and_b32_e32 v68, 0x80000000, v68
	v_mul_f64 v[2:3], v[2:3], 4.0
	v_xor_b32_e32 v1, v1, v68
	v_mul_f64 v[0:1], v[2:3], v[0:1]
	v_mul_f64 v[0:1], v[66:67], v[0:1]
	;; [unrolled: 1-line block ×3, first 2 shown]
	v_pk_mov_b32 v[0:1], v[16:17], v[16:17] op_sel:[0,1]
.LBB162_312:                            ;   in Loop: Header=BB162_180 Depth=1
	s_or_b64 exec, exec, s[86:87]
.LBB162_313:                            ;   in Loop: Header=BB162_180 Depth=1
	s_andn2_saveexec_b64 s[0:1], s[84:85]
; %bb.314:                              ;   in Loop: Header=BB162_180 Depth=1
	v_add_f64 v[2:3], v[2:3], -v[2:3]
	v_pk_mov_b32 v[0:1], v[2:3], v[2:3] op_sel:[0,1]
; %bb.315:                              ;   in Loop: Header=BB162_180 Depth=1
	s_or_b64 exec, exec, s[0:1]
.LBB162_316:                            ;   in Loop: Header=BB162_180 Depth=1
	s_andn2_saveexec_b64 s[82:83], s[82:83]
	s_cbranch_execz .LBB162_179
; %bb.317:                              ;   in Loop: Header=BB162_180 Depth=1
	v_and_or_b32 v17, v1, s44, v0
	v_cmp_ne_u32_e32 vcc, 0, v17
	s_and_saveexec_b64 s[0:1], vcc
	s_xor_b64 s[0:1], exec, s[0:1]
; %bb.318:                              ;   in Loop: Header=BB162_180 Depth=1
	v_mul_f64 v[66:67], v[0:1], v[2:3]
	v_cmp_eq_f64_e32 vcc, 0, v[2:3]
	v_cndmask_b32_e32 v3, v67, v3, vcc
	v_cndmask_b32_e32 v2, v66, v2, vcc
; %bb.319:                              ;   in Loop: Header=BB162_180 Depth=1
	s_andn2_saveexec_b64 s[84:85], s[0:1]
	s_cbranch_execz .LBB162_178
; %bb.320:                              ;   in Loop: Header=BB162_180 Depth=1
	v_cmp_neq_f64_e64 s[0:1], |v[2:3]|, s[8:9]
	s_and_saveexec_b64 s[86:87], s[0:1]
	s_cbranch_execz .LBB162_177
; %bb.321:                              ;   in Loop: Header=BB162_180 Depth=1
	v_cmp_nlt_f64_e64 s[88:89], |v[2:3]|, s[4:5]
	v_trig_preop_f64 v[74:75], |v[2:3]|, 0
	v_trig_preop_f64 v[72:73], |v[2:3]|, 1
	v_ldexp_f64 v[76:77], |v[2:3]|, s43
	v_trig_preop_f64 v[70:71], |v[2:3]|, 2
	v_and_b32_e32 v89, 0x7fffffff, v3
                                        ; implicit-def: $vgpr88
                                        ; implicit-def: $vgpr66_vgpr67
                                        ; implicit-def: $vgpr68_vgpr69
	s_and_saveexec_b64 s[0:1], s[88:89]
	s_xor_b64 s[90:91], exec, s[0:1]
	s_cbranch_execz .LBB162_323
; %bb.322:                              ;   in Loop: Header=BB162_180 Depth=1
	v_cmp_ge_f64_e64 vcc, |v[2:3]|, s[6:7]
	v_cndmask_b32_e32 v67, v89, v77, vcc
	v_cndmask_b32_e32 v66, v2, v76, vcc
	v_mul_f64 v[78:79], v[74:75], v[66:67]
	v_mul_f64 v[68:69], v[72:73], v[66:67]
	v_fma_f64 v[80:81], v[74:75], v[66:67], -v[78:79]
	v_add_f64 v[90:91], v[68:69], v[80:81]
	v_add_f64 v[92:93], v[78:79], v[90:91]
	v_ldexp_f64 v[94:95], v[92:93], -2
	v_fract_f64_e32 v[96:97], v[94:95]
	v_cmp_neq_f64_e64 vcc, |v[94:95]|, s[8:9]
	v_cndmask_b32_e32 v95, 0, v97, vcc
	v_cndmask_b32_e32 v94, 0, v96, vcc
	v_add_f64 v[96:97], v[90:91], -v[68:69]
	v_add_f64 v[80:81], v[80:81], -v[96:97]
	;; [unrolled: 1-line block ×4, first 2 shown]
	v_add_f64 v[80:81], v[80:81], v[96:97]
	v_fma_f64 v[68:69], v[72:73], v[66:67], -v[68:69]
	v_mul_f64 v[96:97], v[70:71], v[66:67]
	v_add_f64 v[98:99], v[96:97], v[68:69]
	v_add_f64 v[100:101], v[98:99], v[80:81]
	v_add_f64 v[78:79], v[92:93], -v[78:79]
	v_add_f64 v[92:93], v[100:101], -v[98:99]
	;; [unrolled: 1-line block ×5, first 2 shown]
	v_add_f64 v[80:81], v[80:81], v[92:93]
	v_add_f64 v[92:93], v[98:99], -v[96:97]
	v_add_f64 v[68:69], v[68:69], -v[92:93]
	;; [unrolled: 1-line block ×5, first 2 shown]
	v_add_f64 v[90:91], v[78:79], v[100:101]
	v_add_f64 v[68:69], v[68:69], v[92:93]
	v_add_f64 v[78:79], v[90:91], -v[78:79]
	v_add_f64 v[68:69], v[68:69], v[80:81]
	v_fma_f64 v[66:67], v[70:71], v[66:67], -v[96:97]
	v_add_f64 v[78:79], v[100:101], -v[78:79]
	v_add_f64 v[66:67], v[66:67], v[68:69]
	v_ldexp_f64 v[68:69], v[94:95], 2
	v_add_f64 v[66:67], v[78:79], v[66:67]
	v_add_f64 v[78:79], v[90:91], v[68:69]
	v_cmp_gt_f64_e32 vcc, 0, v[78:79]
	v_cndmask_b32_e32 v17, 0, v83, vcc
	v_add_f64 v[68:69], v[68:69], v[16:17]
	v_add_f64 v[78:79], v[90:91], v[68:69]
	v_cvt_i32_f64_e32 v17, v[78:79]
	v_cvt_f64_i32_e32 v[78:79], v17
	v_add_f64 v[68:69], v[68:69], -v[78:79]
	v_add_f64 v[78:79], v[90:91], v[68:69]
	v_add_f64 v[68:69], v[78:79], -v[68:69]
	v_cmp_le_f64_e32 vcc, 0.5, v[78:79]
	v_add_f64 v[68:69], v[90:91], -v[68:69]
	v_addc_co_u32_e64 v88, s[0:1], 0, v17, vcc
	v_cndmask_b32_e32 v17, 0, v84, vcc
	v_add_f64 v[66:67], v[66:67], v[68:69]
	v_add_f64 v[68:69], v[78:79], -v[16:17]
	v_add_f64 v[78:79], v[68:69], v[66:67]
	v_add_f64 v[68:69], v[78:79], -v[68:69]
	s_mov_b32 s10, s14
	v_add_f64 v[66:67], v[66:67], -v[68:69]
	v_mul_f64 v[68:69], v[78:79], s[10:11]
	v_fma_f64 v[80:81], v[78:79], s[10:11], -v[68:69]
	s_mov_b32 s19, s17
	v_fmac_f64_e32 v[80:81], s[18:19], v[78:79]
	v_fmac_f64_e32 v[80:81], s[10:11], v[66:67]
	v_add_f64 v[66:67], v[68:69], v[80:81]
	v_add_f64 v[68:69], v[66:67], -v[68:69]
	v_add_f64 v[68:69], v[80:81], -v[68:69]
	s_andn2_saveexec_b64 s[0:1], s[90:91]
	s_cbranch_execz .LBB162_325
	s_branch .LBB162_324
.LBB162_323:                            ;   in Loop: Header=BB162_180 Depth=1
	s_andn2_saveexec_b64 s[0:1], s[90:91]
	s_cbranch_execz .LBB162_325
.LBB162_324:                            ;   in Loop: Header=BB162_180 Depth=1
	v_mul_f64 v[66:67], |v[2:3]|, s[20:21]
	v_rndne_f64_e32 v[78:79], v[66:67]
	v_fma_f64 v[66:67], v[78:79], s[14:15], |v[2:3]|
	v_mul_f64 v[80:81], v[78:79], s[22:23]
	v_add_f64 v[92:93], v[66:67], v[80:81]
	v_fma_f64 v[68:69], s[22:23], v[78:79], v[66:67]
	s_mov_b32 s16, s22
	v_add_f64 v[66:67], v[66:67], -v[92:93]
	v_fma_f64 v[90:91], s[16:17], v[78:79], v[80:81]
	v_add_f64 v[66:67], v[66:67], v[80:81]
	v_add_f64 v[80:81], v[92:93], -v[68:69]
	v_add_f64 v[66:67], v[80:81], v[66:67]
	v_add_f64 v[80:81], v[66:67], -v[90:91]
	v_fmac_f64_e32 v[80:81], s[24:25], v[78:79]
	v_add_f64 v[66:67], v[68:69], v[80:81]
	v_add_f64 v[68:69], v[66:67], -v[68:69]
	v_add_f64 v[68:69], v[80:81], -v[68:69]
	v_cvt_i32_f64_e32 v88, v[78:79]
.LBB162_325:                            ;   in Loop: Header=BB162_180 Depth=1
	s_or_b64 exec, exec, s[0:1]
                                        ; implicit-def: $vgpr90
                                        ; implicit-def: $vgpr78_vgpr79
                                        ; implicit-def: $vgpr80_vgpr81
	s_and_saveexec_b64 s[0:1], s[88:89]
	s_xor_b64 s[88:89], exec, s[0:1]
	s_cbranch_execz .LBB162_327
; %bb.326:                              ;   in Loop: Header=BB162_180 Depth=1
	v_cmp_ge_f64_e64 vcc, |v[2:3]|, s[6:7]
	v_cndmask_b32_e32 v77, v89, v77, vcc
	v_cndmask_b32_e32 v76, v2, v76, vcc
	v_mul_f64 v[80:81], v[74:75], v[76:77]
	v_mul_f64 v[78:79], v[72:73], v[76:77]
	v_fma_f64 v[74:75], v[74:75], v[76:77], -v[80:81]
	v_add_f64 v[90:91], v[78:79], v[74:75]
	v_add_f64 v[92:93], v[80:81], v[90:91]
	v_ldexp_f64 v[94:95], v[92:93], -2
	v_fract_f64_e32 v[96:97], v[94:95]
	v_cmp_neq_f64_e64 vcc, |v[94:95]|, s[8:9]
	v_cndmask_b32_e32 v95, 0, v97, vcc
	v_cndmask_b32_e32 v94, 0, v96, vcc
	v_add_f64 v[96:97], v[90:91], -v[78:79]
	v_add_f64 v[74:75], v[74:75], -v[96:97]
	;; [unrolled: 1-line block ×4, first 2 shown]
	v_fma_f64 v[72:73], v[72:73], v[76:77], -v[78:79]
	v_mul_f64 v[78:79], v[70:71], v[76:77]
	v_add_f64 v[74:75], v[74:75], v[96:97]
	v_add_f64 v[96:97], v[78:79], v[72:73]
	;; [unrolled: 1-line block ×3, first 2 shown]
	v_add_f64 v[80:81], v[92:93], -v[80:81]
	v_add_f64 v[92:93], v[98:99], -v[96:97]
	;; [unrolled: 1-line block ×5, first 2 shown]
	v_add_f64 v[74:75], v[74:75], v[92:93]
	v_add_f64 v[92:93], v[96:97], -v[78:79]
	v_add_f64 v[72:73], v[72:73], -v[92:93]
	;; [unrolled: 1-line block ×4, first 2 shown]
	v_add_f64 v[72:73], v[72:73], v[92:93]
	v_add_f64 v[80:81], v[90:91], -v[80:81]
	v_add_f64 v[72:73], v[72:73], v[74:75]
	v_fma_f64 v[70:71], v[70:71], v[76:77], -v[78:79]
	v_add_f64 v[90:91], v[80:81], v[98:99]
	v_add_f64 v[70:71], v[70:71], v[72:73]
	v_ldexp_f64 v[72:73], v[94:95], 2
	v_add_f64 v[74:75], v[90:91], v[72:73]
	v_cmp_gt_f64_e32 vcc, 0, v[74:75]
	v_cndmask_b32_e32 v17, 0, v83, vcc
	v_add_f64 v[72:73], v[72:73], v[16:17]
	v_add_f64 v[74:75], v[90:91], v[72:73]
	v_cvt_i32_f64_e32 v17, v[74:75]
	v_cvt_f64_i32_e32 v[74:75], v17
	v_add_f64 v[72:73], v[72:73], -v[74:75]
	v_add_f64 v[80:81], v[90:91], -v[80:81]
	v_add_f64 v[74:75], v[90:91], v[72:73]
	v_add_f64 v[80:81], v[98:99], -v[80:81]
	v_add_f64 v[72:73], v[74:75], -v[72:73]
	v_cmp_le_f64_e32 vcc, 0.5, v[74:75]
	v_add_f64 v[70:71], v[80:81], v[70:71]
	v_add_f64 v[72:73], v[90:91], -v[72:73]
	v_addc_co_u32_e64 v90, s[0:1], 0, v17, vcc
	v_cndmask_b32_e32 v17, 0, v84, vcc
	v_add_f64 v[70:71], v[70:71], v[72:73]
	v_add_f64 v[72:73], v[74:75], -v[16:17]
	v_add_f64 v[74:75], v[72:73], v[70:71]
	v_add_f64 v[72:73], v[74:75], -v[72:73]
	s_mov_b32 s10, s14
	v_add_f64 v[70:71], v[70:71], -v[72:73]
	v_mul_f64 v[72:73], v[74:75], s[10:11]
	v_fma_f64 v[76:77], v[74:75], s[10:11], -v[72:73]
	s_mov_b32 s19, s17
	v_fmac_f64_e32 v[76:77], s[18:19], v[74:75]
	v_fmac_f64_e32 v[76:77], s[10:11], v[70:71]
	v_add_f64 v[78:79], v[72:73], v[76:77]
	v_add_f64 v[70:71], v[78:79], -v[72:73]
	v_add_f64 v[80:81], v[76:77], -v[70:71]
	s_andn2_saveexec_b64 s[0:1], s[88:89]
	s_cbranch_execz .LBB162_176
	s_branch .LBB162_328
.LBB162_327:                            ;   in Loop: Header=BB162_180 Depth=1
	s_andn2_saveexec_b64 s[0:1], s[88:89]
	s_cbranch_execz .LBB162_176
.LBB162_328:                            ;   in Loop: Header=BB162_180 Depth=1
	v_mul_f64 v[70:71], |v[2:3]|, s[20:21]
	v_rndne_f64_e32 v[70:71], v[70:71]
	v_fma_f64 v[72:73], v[70:71], s[14:15], |v[2:3]|
	v_mul_f64 v[76:77], v[70:71], s[22:23]
	v_add_f64 v[80:81], v[72:73], v[76:77]
	v_fma_f64 v[74:75], s[22:23], v[70:71], v[72:73]
	s_mov_b32 s16, s22
	v_add_f64 v[72:73], v[72:73], -v[80:81]
	v_fma_f64 v[78:79], s[16:17], v[70:71], v[76:77]
	v_add_f64 v[72:73], v[72:73], v[76:77]
	v_add_f64 v[76:77], v[80:81], -v[74:75]
	v_add_f64 v[72:73], v[76:77], v[72:73]
	v_add_f64 v[72:73], v[72:73], -v[78:79]
	v_fmac_f64_e32 v[72:73], s[24:25], v[70:71]
	v_add_f64 v[78:79], v[74:75], v[72:73]
	v_add_f64 v[74:75], v[78:79], -v[74:75]
	v_add_f64 v[80:81], v[72:73], -v[74:75]
	v_cvt_i32_f64_e32 v90, v[70:71]
	s_branch .LBB162_176
.LBB162_329:
	s_endpgm
	.section	.rodata,"a",@progbits
	.p2align	6, 0x0
	.amdhsa_kernel _ZN2at6native12_GLOBAL__N_125multi_tensor_apply_kernelINS1_18TensorListMetadataILi1EEENS1_14UnaryOpFunctorIN3c107complexIdEELi1ELi1ELi0EEEJNS0_4TanhIS8_EEEEEvT_T0_DpT1_
		.amdhsa_group_segment_fixed_size 0
		.amdhsa_private_segment_fixed_size 0
		.amdhsa_kernarg_size 3632
		.amdhsa_user_sgpr_count 6
		.amdhsa_user_sgpr_private_segment_buffer 1
		.amdhsa_user_sgpr_dispatch_ptr 0
		.amdhsa_user_sgpr_queue_ptr 0
		.amdhsa_user_sgpr_kernarg_segment_ptr 1
		.amdhsa_user_sgpr_dispatch_id 0
		.amdhsa_user_sgpr_flat_scratch_init 0
		.amdhsa_user_sgpr_kernarg_preload_length 0
		.amdhsa_user_sgpr_kernarg_preload_offset 0
		.amdhsa_user_sgpr_private_segment_size 0
		.amdhsa_uses_dynamic_stack 0
		.amdhsa_system_sgpr_private_segment_wavefront_offset 0
		.amdhsa_system_sgpr_workgroup_id_x 1
		.amdhsa_system_sgpr_workgroup_id_y 0
		.amdhsa_system_sgpr_workgroup_id_z 0
		.amdhsa_system_sgpr_workgroup_info 0
		.amdhsa_system_vgpr_workitem_id 0
		.amdhsa_next_free_vgpr 113
		.amdhsa_next_free_sgpr 96
		.amdhsa_accum_offset 116
		.amdhsa_reserve_vcc 1
		.amdhsa_reserve_flat_scratch 0
		.amdhsa_float_round_mode_32 0
		.amdhsa_float_round_mode_16_64 0
		.amdhsa_float_denorm_mode_32 3
		.amdhsa_float_denorm_mode_16_64 3
		.amdhsa_dx10_clamp 1
		.amdhsa_ieee_mode 1
		.amdhsa_fp16_overflow 0
		.amdhsa_tg_split 0
		.amdhsa_exception_fp_ieee_invalid_op 0
		.amdhsa_exception_fp_denorm_src 0
		.amdhsa_exception_fp_ieee_div_zero 0
		.amdhsa_exception_fp_ieee_overflow 0
		.amdhsa_exception_fp_ieee_underflow 0
		.amdhsa_exception_fp_ieee_inexact 0
		.amdhsa_exception_int_div_zero 0
	.end_amdhsa_kernel
	.section	.text._ZN2at6native12_GLOBAL__N_125multi_tensor_apply_kernelINS1_18TensorListMetadataILi1EEENS1_14UnaryOpFunctorIN3c107complexIdEELi1ELi1ELi0EEEJNS0_4TanhIS8_EEEEEvT_T0_DpT1_,"axG",@progbits,_ZN2at6native12_GLOBAL__N_125multi_tensor_apply_kernelINS1_18TensorListMetadataILi1EEENS1_14UnaryOpFunctorIN3c107complexIdEELi1ELi1ELi0EEEJNS0_4TanhIS8_EEEEEvT_T0_DpT1_,comdat
.Lfunc_end162:
	.size	_ZN2at6native12_GLOBAL__N_125multi_tensor_apply_kernelINS1_18TensorListMetadataILi1EEENS1_14UnaryOpFunctorIN3c107complexIdEELi1ELi1ELi0EEEJNS0_4TanhIS8_EEEEEvT_T0_DpT1_, .Lfunc_end162-_ZN2at6native12_GLOBAL__N_125multi_tensor_apply_kernelINS1_18TensorListMetadataILi1EEENS1_14UnaryOpFunctorIN3c107complexIdEELi1ELi1ELi0EEEJNS0_4TanhIS8_EEEEEvT_T0_DpT1_
                                        ; -- End function
	.section	.AMDGPU.csdata,"",@progbits
; Kernel info:
; codeLenInByte = 56460
; NumSgprs: 100
; NumVgprs: 113
; NumAgprs: 0
; TotalNumVgprs: 113
; ScratchSize: 0
; MemoryBound: 1
; FloatMode: 240
; IeeeMode: 1
; LDSByteSize: 0 bytes/workgroup (compile time only)
; SGPRBlocks: 12
; VGPRBlocks: 14
; NumSGPRsForWavesPerEU: 100
; NumVGPRsForWavesPerEU: 113
; AccumOffset: 116
; Occupancy: 4
; WaveLimiterHint : 0
; COMPUTE_PGM_RSRC2:SCRATCH_EN: 0
; COMPUTE_PGM_RSRC2:USER_SGPR: 6
; COMPUTE_PGM_RSRC2:TRAP_HANDLER: 0
; COMPUTE_PGM_RSRC2:TGID_X_EN: 1
; COMPUTE_PGM_RSRC2:TGID_Y_EN: 0
; COMPUTE_PGM_RSRC2:TGID_Z_EN: 0
; COMPUTE_PGM_RSRC2:TIDIG_COMP_CNT: 0
; COMPUTE_PGM_RSRC3_GFX90A:ACCUM_OFFSET: 28
; COMPUTE_PGM_RSRC3_GFX90A:TG_SPLIT: 0
	.section	.text._ZN2at6native12_GLOBAL__N_125multi_tensor_apply_kernelINS1_18TensorListMetadataILi1EEENS1_14UnaryOpFunctorIN3c107complexIfEELi1ELi1ELi0EEEJNS0_4TanhIS8_EEEEEvT_T0_DpT1_,"axG",@progbits,_ZN2at6native12_GLOBAL__N_125multi_tensor_apply_kernelINS1_18TensorListMetadataILi1EEENS1_14UnaryOpFunctorIN3c107complexIfEELi1ELi1ELi0EEEJNS0_4TanhIS8_EEEEEvT_T0_DpT1_,comdat
	.globl	_ZN2at6native12_GLOBAL__N_125multi_tensor_apply_kernelINS1_18TensorListMetadataILi1EEENS1_14UnaryOpFunctorIN3c107complexIfEELi1ELi1ELi0EEEJNS0_4TanhIS8_EEEEEvT_T0_DpT1_ ; -- Begin function _ZN2at6native12_GLOBAL__N_125multi_tensor_apply_kernelINS1_18TensorListMetadataILi1EEENS1_14UnaryOpFunctorIN3c107complexIfEELi1ELi1ELi0EEEJNS0_4TanhIS8_EEEEEvT_T0_DpT1_
	.p2align	8
	.type	_ZN2at6native12_GLOBAL__N_125multi_tensor_apply_kernelINS1_18TensorListMetadataILi1EEENS1_14UnaryOpFunctorIN3c107complexIfEELi1ELi1ELi0EEEJNS0_4TanhIS8_EEEEEvT_T0_DpT1_,@function
_ZN2at6native12_GLOBAL__N_125multi_tensor_apply_kernelINS1_18TensorListMetadataILi1EEENS1_14UnaryOpFunctorIN3c107complexIfEELi1ELi1ELi0EEEJNS0_4TanhIS8_EEEEEvT_T0_DpT1_: ; @_ZN2at6native12_GLOBAL__N_125multi_tensor_apply_kernelINS1_18TensorListMetadataILi1EEENS1_14UnaryOpFunctorIN3c107complexIfEELi1ELi1ELi0EEEJNS0_4TanhIS8_EEEEEvT_T0_DpT1_
; %bb.0:
	v_mov_b32_e32 v1, s6
	global_load_ubyte v1, v1, s[4:5] offset:1760
	s_add_u32 s0, s4, s6
	s_mul_hi_u32 s1, s6, 3
	s_mul_i32 s6, s6, 3
	s_addc_u32 s2, s5, 0
	s_add_u32 s0, s0, s6
	s_addc_u32 s1, s2, s1
	s_load_dword s0, s[0:1], 0x820
	s_mov_b32 s7, 0
	s_waitcnt vmcnt(0)
	v_readfirstlane_b32 s2, v1
	s_lshl_b32 s1, s2, 3
	s_load_dwordx2 s[2:3], s[4:5], s1 offset:0x370
	s_load_dwordx2 s[18:19], s[4:5], s1 offset:0x0
	s_waitcnt lgkmcnt(0)
	s_ashr_i32 s1, s0, 31
	s_lshl_b64 s[20:21], s[0:1], 19
	s_lshl_b64 s[0:1], s[0:1], 16
	s_and_b32 s6, s18, 31
	s_sub_u32 s16, s2, s0
	s_subb_u32 s17, s3, s1
	s_and_b32 s0, s2, 3
	s_mov_b32 s1, s7
	s_or_b64 s[0:1], s[6:7], s[0:1]
	s_cmp_eq_u64 s[0:1], 0
	s_cbranch_scc1 .LBB163_173
; %bb.1:
	v_cmp_lt_i64_e64 s[0:1], s[16:17], 1
	s_and_b64 vcc, exec, s[0:1]
	s_cbranch_vccnz .LBB163_172
; %bb.2:
	s_load_dword s0, s[4:5], 0xd3c
	v_mov_b32_e32 v4, 0x10000
	v_mov_b32_e32 v5, 0
	v_cmp_lt_u64_e32 vcc, s[16:17], v[4:5]
	v_lshlrev_b32_e32 v1, 3, v0
	s_waitcnt lgkmcnt(0)
	s_and_b32 s2, s0, 0xffff
	s_and_b64 s[0:1], vcc, exec
	s_cselect_b32 s23, s17, 0
	s_cselect_b32 s22, s16, 0x10000
	s_lshl_b32 s3, s2, 1
	s_lshl_b32 s33, s2, 2
	s_add_u32 s6, s18, s20
	s_addc_u32 s7, s19, s21
	v_mov_b32_e32 v2, s7
	v_add_co_u32_e32 v4, vcc, s6, v1
	s_mul_i32 s0, s2, 3
	v_addc_co_u32_e32 v5, vcc, 0, v2, vcc
	v_add_co_u32_e32 v1, vcc, s0, v0
	v_addc_co_u32_e64 v20, s[0:1], 0, 0, vcc
	v_add_co_u32_e32 v21, vcc, s3, v0
	v_addc_co_u32_e64 v22, s[0:1], 0, 0, vcc
	v_add_co_u32_e32 v23, vcc, s2, v0
	v_lshlrev_b32_e32 v2, 3, v23
	s_mov_b32 s26, 0
	v_addc_co_u32_e64 v24, s[0:1], 0, 0, vcc
	v_mov_b32_e32 v7, s7
	v_add_co_u32_e32 v6, vcc, s6, v2
	v_mov_b32_e32 v3, 0
	s_lshl_b32 s40, s2, 5
	s_mul_i32 s41, s2, 24
	s_mov_b32 s42, s26
	s_lshl_b32 s43, s2, 4
	s_mov_b32 s44, s26
	v_addc_co_u32_e32 v7, vcc, 0, v7, vcc
	s_mov_b64 s[24:25], 0
	s_brev_b32 s45, -2
	s_mov_b32 s46, 0x7f800000
	s_movk_i32 s47, 0x1f8
	s_mov_b32 s48, 0x41300000
	s_brev_b32 s49, 18
	s_mov_b32 s50, 0xfe5163ab
	s_mov_b32 s51, 0x3c439041
	;; [unrolled: 1-line block ×10, first 2 shown]
	v_mov_b32_e32 v25, 0x3f93f425
	s_mov_b32 s60, 0xbf317218
	v_mov_b32_e32 v9, 0x3f317218
	v_mov_b32_e32 v26, 0x3d2aadcc
	;; [unrolled: 1-line block ×4, first 2 shown]
	s_mov_b32 s27, -1.0
	s_mov_b32 s61, 0x42b2d4fc
	s_mov_b32 s62, 0x39800000
	;; [unrolled: 1-line block ×3, first 2 shown]
	v_mov_b32_e32 v29, 0x260
	v_mov_b32_e32 v30, 0xbe2aaa9d
	;; [unrolled: 1-line block ×4, first 2 shown]
	s_mov_b32 s64, 0xbfb8aa3b
	s_mov_b32 s65, 0xb2a5705f
	;; [unrolled: 1-line block ×4, first 2 shown]
	v_not_b32_e32 v33, 63
	v_not_b32_e32 v34, 31
	v_mov_b32_e32 v11, -1.0
	v_mov_b32_e32 v35, 0x7f800000
	v_mov_b32_e32 v36, 0x7fc00000
	s_branch .LBB163_4
.LBB163_3:                              ;   in Loop: Header=BB163_4 Depth=1
	s_or_b64 exec, exec, s[0:1]
	s_add_u32 s24, s24, s33
	s_addc_u32 s25, s25, 0
	v_pk_mov_b32 v[12:13], s[16:17], s[16:17] op_sel:[0,1]
	v_cmp_ge_i64_e32 vcc, s[24:25], v[12:13]
	v_mov_b32_e32 v12, 0xffff
	v_mov_b32_e32 v13, 0
	v_cmp_gt_u64_e64 s[0:1], s[24:25], v[12:13]
	s_or_b64 s[0:1], vcc, s[0:1]
	v_mov_b32_e32 v2, s26
	v_add_co_u32_e32 v4, vcc, s40, v4
	v_addc_co_u32_e32 v5, vcc, v5, v2, vcc
	v_add_co_u32_e32 v6, vcc, s40, v6
	v_addc_co_u32_e32 v7, vcc, v7, v2, vcc
	s_and_b64 vcc, exec, s[0:1]
	s_cbranch_vccnz .LBB163_172
.LBB163_4:                              ; =>This Inner Loop Header: Depth=1
	v_mov_b32_e32 v2, s25
	v_add_co_u32_e32 v12, vcc, s24, v0
	v_addc_co_u32_e32 v13, vcc, 0, v2, vcc
	v_cmp_gt_u64_e64 s[0:1], s[22:23], v[12:13]
	v_mov_b32_e32 v12, 0
	v_mov_b32_e32 v13, 0
	s_and_saveexec_b64 s[2:3], s[0:1]
	s_cbranch_execz .LBB163_6
; %bb.5:                                ;   in Loop: Header=BB163_4 Depth=1
	global_load_dwordx2 v[12:13], v[4:5], off
.LBB163_6:                              ;   in Loop: Header=BB163_4 Depth=1
	s_or_b64 exec, exec, s[2:3]
	v_mov_b32_e32 v2, s25
	v_add_co_u32_e32 v14, vcc, s24, v23
	v_addc_co_u32_e32 v15, vcc, v24, v2, vcc
	v_cmp_gt_u64_e64 s[2:3], s[22:23], v[14:15]
	v_mov_b32_e32 v14, 0
	v_mov_b32_e32 v16, 0
	;; [unrolled: 1-line block ×3, first 2 shown]
	s_and_saveexec_b64 s[6:7], s[2:3]
	s_cbranch_execz .LBB163_8
; %bb.7:                                ;   in Loop: Header=BB163_4 Depth=1
	global_load_dwordx2 v[16:17], v[6:7], off
.LBB163_8:                              ;   in Loop: Header=BB163_4 Depth=1
	s_or_b64 exec, exec, s[6:7]
	v_mov_b32_e32 v2, s25
	v_add_co_u32_e32 v18, vcc, s24, v21
	v_addc_co_u32_e32 v19, vcc, v22, v2, vcc
	v_cmp_gt_u64_e64 s[6:7], s[22:23], v[18:19]
	v_mov_b32_e32 v15, 0
	s_and_saveexec_b64 s[8:9], s[6:7]
	s_cbranch_execz .LBB163_10
; %bb.9:                                ;   in Loop: Header=BB163_4 Depth=1
	v_mov_b32_e32 v2, s44
	v_add_co_u32_e32 v14, vcc, s43, v4
	v_addc_co_u32_e32 v15, vcc, v5, v2, vcc
	global_load_dwordx2 v[14:15], v[14:15], off
.LBB163_10:                             ;   in Loop: Header=BB163_4 Depth=1
	s_or_b64 exec, exec, s[8:9]
	v_mov_b32_e32 v2, s25
	v_add_co_u32_e32 v18, vcc, s24, v1
	v_addc_co_u32_e32 v19, vcc, v20, v2, vcc
	v_cmp_gt_u64_e64 s[8:9], s[22:23], v[18:19]
	v_mov_b32_e32 v18, 0
	v_mov_b32_e32 v19, 0
	s_and_saveexec_b64 s[10:11], s[8:9]
	s_cbranch_execz .LBB163_12
; %bb.11:                               ;   in Loop: Header=BB163_4 Depth=1
	v_mov_b32_e32 v2, s42
	v_add_co_u32_e32 v18, vcc, s41, v4
	v_addc_co_u32_e32 v19, vcc, v5, v2, vcc
	global_load_dwordx2 v[18:19], v[18:19], off
.LBB163_12:                             ;   in Loop: Header=BB163_4 Depth=1
	s_or_b64 exec, exec, s[10:11]
	s_waitcnt vmcnt(0)
	v_and_b32_e32 v8, 0x7fffffff, v12
	v_cmp_gt_u32_e32 vcc, s46, v8
	s_and_saveexec_b64 s[10:11], vcc
	s_xor_b64 s[28:29], exec, s[10:11]
	s_cbranch_execz .LBB163_34
; %bb.13:                               ;   in Loop: Header=BB163_4 Depth=1
	v_cmp_class_f32_e64 s[10:11], v13, s47
	s_and_saveexec_b64 s[12:13], s[10:11]
	s_xor_b64 s[30:31], exec, s[12:13]
	s_cbranch_execz .LBB163_31
; %bb.14:                               ;   in Loop: Header=BB163_4 Depth=1
	v_and_b32_e32 v37, 0x7fffffff, v13
	v_cmp_gt_u32_e32 vcc, s48, v8
	s_and_saveexec_b64 s[10:11], vcc
	s_xor_b64 s[34:35], exec, s[10:11]
	s_cbranch_execz .LBB163_20
; %bb.15:                               ;   in Loop: Header=BB163_4 Depth=1
	v_cmp_nlt_f32_e64 s[10:11], |v13|, s49
                                        ; implicit-def: $vgpr10
                                        ; implicit-def: $vgpr2
	s_and_saveexec_b64 s[12:13], s[10:11]
	s_xor_b64 s[36:37], exec, s[12:13]
	s_cbranch_execz .LBB163_17
; %bb.16:                               ;   in Loop: Header=BB163_4 Depth=1
	v_lshrrev_b32_e32 v2, 23, v37
	v_add_u32_e32 v2, 0xffffff88, v2
	v_cmp_lt_u32_e32 vcc, 63, v2
	v_cndmask_b32_e32 v10, 0, v33, vcc
	v_add_u32_e32 v2, v10, v2
	v_cmp_lt_u32_e64 s[10:11], 31, v2
	v_cndmask_b32_e64 v10, 0, v34, s[10:11]
	v_add_u32_e32 v2, v10, v2
	v_cmp_lt_u32_e64 s[12:13], 31, v2
	v_cndmask_b32_e64 v10, 0, v34, s[12:13]
	v_add_u32_e32 v10, v10, v2
	v_and_b32_e32 v2, 0x7fffff, v37
	v_or_b32_e32 v50, 0x800000, v2
	v_mad_u64_u32 v[38:39], s[14:15], v50, s50, 0
	v_mov_b32_e32 v2, v39
	v_mad_u64_u32 v[40:41], s[14:15], v50, s51, v[2:3]
	v_mov_b32_e32 v2, v41
	;; [unrolled: 2-line block ×6, first 2 shown]
	v_mad_u64_u32 v[50:51], s[14:15], v50, s56, v[2:3]
	v_cndmask_b32_e32 v39, v48, v44, vcc
	v_cndmask_b32_e32 v2, v50, v46, vcc
	;; [unrolled: 1-line block ×3, first 2 shown]
	v_cndmask_b32_e64 v41, v2, v39, s[10:11]
	v_cndmask_b32_e64 v2, v43, v2, s[10:11]
	v_cndmask_b32_e32 v43, v46, v42, vcc
	v_cndmask_b32_e64 v39, v39, v43, s[10:11]
	v_cndmask_b32_e64 v2, v2, v41, s[12:13]
	;; [unrolled: 1-line block ×3, first 2 shown]
	v_sub_u32_e32 v45, 32, v10
	v_alignbit_b32 v46, v2, v41, v45
	v_cmp_eq_u32_e64 s[14:15], 0, v10
	v_cndmask_b32_e64 v10, v46, v2, s[14:15]
	v_cndmask_b32_e32 v2, v44, v40, vcc
	v_cndmask_b32_e64 v40, v43, v2, s[10:11]
	v_cndmask_b32_e64 v39, v39, v40, s[12:13]
	v_alignbit_b32 v43, v41, v39, v45
	v_cndmask_b32_e64 v41, v43, v41, s[14:15]
	v_bfe_u32 v46, v10, 29, 1
	v_cndmask_b32_e32 v38, v42, v38, vcc
	v_alignbit_b32 v43, v10, v41, 30
	v_sub_u32_e32 v47, 0, v46
	v_cndmask_b32_e64 v2, v2, v38, s[10:11]
	v_xor_b32_e32 v48, v43, v47
	v_cndmask_b32_e64 v2, v40, v2, s[12:13]
	v_alignbit_b32 v38, v39, v2, v45
	v_ffbh_u32_e32 v40, v48
	v_cndmask_b32_e64 v38, v38, v39, s[14:15]
	v_add_u32_e32 v40, 1, v40
	v_cmp_ne_u32_e32 vcc, v43, v47
	v_alignbit_b32 v39, v41, v38, 30
	v_cndmask_b32_e32 v40, 33, v40, vcc
	v_alignbit_b32 v2, v38, v2, 30
	v_xor_b32_e32 v39, v39, v47
	v_sub_u32_e32 v41, 32, v40
	v_xor_b32_e32 v2, v2, v47
	v_alignbit_b32 v42, v48, v39, v41
	v_alignbit_b32 v2, v39, v2, v41
	;; [unrolled: 1-line block ×3, first 2 shown]
	v_ffbh_u32_e32 v39, v38
	v_min_u32_e32 v39, 32, v39
	v_lshrrev_b32_e32 v44, 29, v10
	v_sub_u32_e32 v41, 31, v39
	v_alignbit_b32 v2, v38, v2, v41
	v_lshlrev_b32_e32 v38, 31, v44
	v_or_b32_e32 v41, 0x33800000, v38
	v_add_lshl_u32 v39, v39, v40, 23
	v_lshrrev_b32_e32 v2, 9, v2
	v_sub_u32_e32 v39, v41, v39
	v_or_b32_e32 v2, v39, v2
	v_alignbit_b32 v39, v40, v42, 9
	v_or_b32_e32 v38, v39, v38
	v_xor_b32_e32 v38, 1.0, v38
	v_mul_f32_e32 v39, 0x3fc90fda, v38
	v_fma_f32 v40, v38, s57, -v39
	v_fmac_f32_e32 v40, 0x33a22168, v38
	v_fmac_f32_e32 v40, 0x3fc90fda, v2
	v_lshrrev_b32_e32 v10, 30, v10
	v_add_f32_e32 v2, v39, v40
	v_add_u32_e32 v10, v46, v10
.LBB163_17:                             ;   in Loop: Header=BB163_4 Depth=1
	s_andn2_saveexec_b64 s[10:11], s[36:37]
; %bb.18:                               ;   in Loop: Header=BB163_4 Depth=1
	v_mul_f32_e64 v2, |v13|, s58
	v_rndne_f32_e32 v38, v2
	v_cvt_i32_f32_e32 v10, v38
	v_fma_f32 v2, v38, s59, |v13|
	v_fmac_f32_e32 v2, 0xb3a22168, v38
	v_fmac_f32_e32 v2, 0xa7c234c4, v38
; %bb.19:                               ;   in Loop: Header=BB163_4 Depth=1
	s_or_b64 exec, exec, s[10:11]
	v_mul_f32_e32 v38, v2, v2
	v_mov_b32_e32 v39, 0xbf039337
	v_fmac_f32_e32 v39, 0x3c971480, v38
	v_fma_f32 v39, v38, v39, v25
	v_rcp_f32_e32 v39, v39
	v_mov_b32_e32 v40, 0x3ec54587
	v_fmac_f32_e32 v40, 0xbc8cedd3, v38
	v_and_b32_e32 v10, 1, v10
	v_mul_f32_e32 v39, v40, v39
	v_mul_f32_e32 v38, v38, v39
	v_fma_f32 v39, v38, v2, v2
	v_rcp_f32_e32 v40, v39
	v_sub_f32_e32 v41, v39, v2
	v_fma_f32 v2, v38, v2, -v41
	v_cmp_eq_u32_e32 vcc, 0, v10
	v_fma_f32 v38, v39, -v40, 1.0
	v_fma_f32 v2, v2, -v40, v38
	v_fma_f32 v2, v2, -v40, -v40
	v_add_f32_e64 v10, |v12|, s60
	v_cndmask_b32_e32 v2, v2, v39, vcc
	v_sub_f32_e64 v39, v10, |v12|
	v_sub_f32_e32 v38, v39, v10
	v_pk_add_f32 v[38:39], v[8:9], v[38:39]
	v_sub_f32_e32 v8, v38, v39
	v_add_f32_e32 v8, 0x3102e308, v8
	v_add_f32_e32 v38, v10, v8
	v_sub_f32_e32 v10, v10, v38
	v_add_f32_e32 v8, v8, v10
	v_mul_f32_e32 v10, 0x3fb8aa3b, v38
	v_rndne_f32_e32 v46, v10
	v_fmac_f32_e32 v38, 0xbf317200, v46
	v_add_f32_e32 v10, v8, v38
	v_sub_f32_e32 v38, v38, v10
	v_add_f32_e32 v8, v8, v38
	v_mul_f32_e32 v38, 0x35bfbc00, v46
	v_sub_f32_e32 v40, v10, v38
	v_sub_f32_e32 v10, v10, v40
	;; [unrolled: 1-line block ×3, first 2 shown]
	v_add_f32_e32 v8, v8, v10
	v_add_f32_e32 v41, v40, v8
	v_mul_f32_e32 v39, 0x2ea39ef3, v46
	v_mov_b32_e32 v38, v41
	v_pk_add_f32 v[42:43], v[40:41], v[38:39] neg_lo:[0,1] neg_hi:[0,1]
	v_sub_f32_e32 v10, v41, v43
	v_sub_f32_e32 v10, v10, v39
	v_add_f32_e32 v8, v8, v42
	v_add_f32_e32 v8, v8, v10
	;; [unrolled: 1-line block ×3, first 2 shown]
	v_sub_f32_e32 v39, v43, v38
	v_mov_b32_e32 v10, 0x3c091de6
	v_add_f32_e32 v8, v8, v39
	v_mul_f32_e32 v40, v38, v38
	v_fmac_f32_e32 v10, 0x3ab42872, v38
	v_add_f32_e32 v39, v8, v8
	v_fma_f32 v41, v38, v38, -v40
	v_fma_f32 v10, v38, v10, v26
	v_fmac_f32_e32 v41, v38, v39
	v_fma_f32 v10, v38, v10, v27
	v_add_f32_e32 v39, v40, v41
	v_fma_f32 v10, v38, v10, v28
	v_sub_f32_e32 v40, v39, v40
	v_sub_f32_e32 v40, v41, v40
	v_mul_f32_e32 v41, v10, v39
	v_fma_f32 v39, v39, v10, -v41
	v_fmac_f32_e32 v39, v40, v10
	v_add_f32_e32 v40, v41, v39
	v_sub_f32_e32 v10, v40, v41
	v_sub_f32_e32 v39, v39, v10
	v_add_f32_e32 v10, v38, v40
	v_sub_f32_e32 v38, v10, v38
	v_sub_f32_e32 v38, v40, v38
	v_add_f32_e32 v8, v8, v39
	v_add_f32_e32 v38, v8, v38
	;; [unrolled: 1-line block ×3, first 2 shown]
	v_add_f32_e32 v41, 1.0, v40
	v_pk_add_f32 v[42:43], v[40:41], v[10:11] neg_lo:[0,1] neg_hi:[0,1]
	v_pk_add_f32 v[44:45], v[40:41], s[26:27]
	v_mov_b32_e32 v43, v45
	v_mov_b32_e32 v39, v40
	v_cvt_i32_f32_e32 v8, v46
	v_pk_add_f32 v[38:39], v[38:39], v[42:43] neg_lo:[0,1] neg_hi:[0,1]
	v_add_f32_e32 v10, v38, v39
	v_add_f32_e32 v38, v41, v10
	v_ldexp_f32 v39, v38, v8
	v_rcp_f32_e32 v40, v39
	v_sub_f32_e32 v38, v38, v41
	v_sub_f32_e32 v10, v10, v38
	v_ldexp_f32 v8, v10, v8
	v_mul_f32_e32 v10, v39, v40
	v_fma_f32 v38, v40, v39, -v10
	v_fmac_f32_e32 v38, v40, v8
	v_add_f32_e32 v41, v10, v38
	v_sub_f32_e32 v42, 1.0, v41
	v_sub_f32_e32 v43, 1.0, v42
	v_sub_f32_e32 v10, v41, v10
	v_sub_f32_e32 v43, v43, v41
	;; [unrolled: 1-line block ×3, first 2 shown]
	v_add_f32_e32 v10, v10, v43
	v_add_f32_e32 v38, v42, v10
	v_mul_f32_e32 v41, v40, v38
	v_mul_f32_e32 v43, v39, v41
	v_fma_f32 v44, v41, v39, -v43
	v_fmac_f32_e32 v44, v41, v8
	v_sub_f32_e32 v42, v42, v38
	v_add_f32_e32 v10, v10, v42
	v_add_f32_e32 v42, v43, v44
	v_sub_f32_e32 v45, v38, v42
	v_sub_f32_e32 v38, v38, v45
	;; [unrolled: 1-line block ×4, first 2 shown]
	v_add_f32_e32 v10, v10, v38
	v_sub_f32_e32 v38, v43, v44
	v_add_f32_e32 v10, v38, v10
	v_add_f32_e32 v10, v45, v10
	;; [unrolled: 1-line block ×3, first 2 shown]
	v_mul_f32_e32 v10, v40, v10
	v_sub_f32_e32 v40, v38, v40
	v_sub_f32_e32 v40, v41, v40
	v_add_f32_e32 v10, v40, v10
	v_add_f32_e32 v40, v38, v10
	v_sub_f32_e32 v38, v40, v38
	v_sub_f32_e32 v10, v10, v38
	v_ldexp_f32 v38, v40, -2
	v_sub_f32_e32 v40, v39, v38
	v_sub_f32_e32 v39, v39, v40
	;; [unrolled: 1-line block ×3, first 2 shown]
	v_ldexp_f32 v10, v10, -2
	v_add_f32_e32 v8, v8, v38
	v_sub_f32_e32 v8, v8, v10
	v_add_f32_e32 v8, v40, v8
	v_cmp_ngt_f32_e64 vcc, |v12|, s61
	v_cndmask_b32_e32 v8, v35, v8, vcc
	v_cmp_lt_f32_e64 s[10:11], |v12|, s62
	v_cndmask_b32_e64 v8, v8, |v12|, s[10:11]
	v_bfi_b32 v8, s45, v8, v12
	v_fma_f32 v10, v8, v8, 1.0
	v_mul_f32_e32 v12, 0x4f800000, v10
	v_cmp_gt_f32_e32 vcc, s63, v10
	v_cndmask_b32_e32 v10, v10, v12, vcc
	v_sqrt_f32_e32 v12, v10
	v_xor_b32_e32 v2, v37, v2
	v_xor_b32_e32 v2, v2, v13
	v_fma_f32 v13, v2, v2, 1.0
	v_add_u32_e32 v37, -1, v12
	v_fma_f32 v38, -v37, v12, v10
	v_cmp_ge_f32_e64 s[10:11], 0, v38
	v_add_u32_e32 v38, 1, v12
	v_cndmask_b32_e64 v37, v12, v37, s[10:11]
	v_fma_f32 v12, -v38, v12, v10
	v_cmp_lt_f32_e64 s[10:11], 0, v12
	v_cndmask_b32_e64 v12, v37, v38, s[10:11]
	v_mul_f32_e32 v37, 0x37800000, v12
	v_cndmask_b32_e32 v12, v12, v37, vcc
	v_cmp_class_f32_e32 vcc, v10, v29
	v_cndmask_b32_e32 v10, v12, v10, vcc
	v_mul_f32_e32 v12, v8, v13
	v_mul_f32_e32 v10, v10, v13
	v_fma_f32 v37, v8, v12, 1.0
	v_mul_f32_e32 v8, v8, v10
	v_div_scale_f32 v10, s[10:11], v37, v37, v8
	v_rcp_f32_e32 v12, v10
	v_fma_f32 v13, -v10, v12, 1.0
	v_fmac_f32_e32 v12, v13, v12
	v_div_scale_f32 v13, vcc, v8, v37, v8
	v_mul_f32_e32 v38, v13, v12
	v_fma_f32 v39, -v10, v38, v13
	v_fmac_f32_e32 v38, v39, v12
	v_fma_f32 v10, -v10, v38, v13
	v_div_scale_f32 v13, s[10:11], v37, v37, v2
	v_rcp_f32_e32 v39, v13
	v_div_fmas_f32 v10, v10, v12, v38
	v_div_fixup_f32 v12, v10, v37, v8
	v_fma_f32 v8, -v13, v39, 1.0
	v_fmac_f32_e32 v39, v8, v39
	v_div_scale_f32 v8, vcc, v2, v37, v2
	v_mul_f32_e32 v10, v8, v39
	v_fma_f32 v38, -v13, v10, v8
	v_fmac_f32_e32 v10, v38, v39
	v_fma_f32 v8, -v13, v10, v8
	v_div_fmas_f32 v8, v8, v39, v10
	v_div_fixup_f32 v13, v8, v37, v2
                                        ; implicit-def: $vgpr37
.LBB163_20:                             ;   in Loop: Header=BB163_4 Depth=1
	s_andn2_saveexec_b64 s[34:35], s[34:35]
	s_cbranch_execz .LBB163_23
; %bb.21:                               ;   in Loop: Header=BB163_4 Depth=1
	v_lshrrev_b32_e32 v2, 23, v37
	v_and_b32_e32 v8, 0x7fffff, v37
	v_cmp_nlt_f32_e64 s[36:37], |v13|, s49
	v_add_u32_e32 v39, 0xffffff88, v2
	v_or_b32_e32 v38, 0x800000, v8
                                        ; implicit-def: $vgpr8
                                        ; implicit-def: $vgpr10
	s_and_saveexec_b64 s[10:11], s[36:37]
	s_xor_b64 s[38:39], exec, s[10:11]
	s_cbranch_execz .LBB163_24
; %bb.22:                               ;   in Loop: Header=BB163_4 Depth=1
	v_cmp_lt_u32_e32 vcc, 63, v39
	v_cndmask_b32_e32 v2, 0, v33, vcc
	v_add_u32_e32 v2, v2, v39
	v_cmp_lt_u32_e64 s[10:11], 31, v2
	v_cndmask_b32_e64 v8, 0, v34, s[10:11]
	v_add_u32_e32 v2, v8, v2
	v_cmp_lt_u32_e64 s[12:13], 31, v2
	v_cndmask_b32_e64 v8, 0, v34, s[12:13]
	v_mad_u64_u32 v[40:41], s[14:15], v38, s50, 0
	v_add_u32_e32 v8, v8, v2
	v_mov_b32_e32 v2, v41
	v_mad_u64_u32 v[42:43], s[14:15], v38, s51, v[2:3]
	v_mov_b32_e32 v2, v43
	v_mad_u64_u32 v[44:45], s[14:15], v38, s52, v[2:3]
	;; [unrolled: 2-line block ×6, first 2 shown]
	v_cndmask_b32_e32 v10, v50, v46, vcc
	v_cndmask_b32_e32 v2, v52, v48, vcc
	;; [unrolled: 1-line block ×3, first 2 shown]
	v_cndmask_b32_e64 v41, v2, v10, s[10:11]
	v_cndmask_b32_e64 v2, v43, v2, s[10:11]
	v_cndmask_b32_e32 v43, v48, v44, vcc
	v_cndmask_b32_e64 v10, v10, v43, s[10:11]
	v_sub_u32_e32 v45, 32, v8
	v_cmp_eq_u32_e64 s[14:15], 0, v8
	v_cndmask_b32_e32 v8, v46, v42, vcc
	v_cndmask_b32_e64 v2, v2, v41, s[12:13]
	v_cndmask_b32_e64 v41, v41, v10, s[12:13]
	;; [unrolled: 1-line block ×3, first 2 shown]
	v_alignbit_b32 v47, v2, v41, v45
	v_cndmask_b32_e64 v10, v10, v42, s[12:13]
	v_cndmask_b32_e32 v40, v44, v40, vcc
	v_cndmask_b32_e64 v2, v47, v2, s[14:15]
	v_alignbit_b32 v43, v41, v10, v45
	v_cndmask_b32_e64 v8, v8, v40, s[10:11]
	v_cndmask_b32_e64 v41, v43, v41, s[14:15]
	v_bfe_u32 v47, v2, 29, 1
	v_cndmask_b32_e64 v8, v42, v8, s[12:13]
	v_alignbit_b32 v43, v2, v41, 30
	v_sub_u32_e32 v48, 0, v47
	v_alignbit_b32 v40, v10, v8, v45
	v_xor_b32_e32 v49, v43, v48
	v_cndmask_b32_e64 v10, v40, v10, s[14:15]
	v_alignbit_b32 v40, v41, v10, 30
	v_ffbh_u32_e32 v41, v49
	v_add_u32_e32 v41, 1, v41
	v_cmp_ne_u32_e32 vcc, v43, v48
	v_cndmask_b32_e32 v41, 33, v41, vcc
	v_alignbit_b32 v8, v10, v8, 30
	v_xor_b32_e32 v40, v40, v48
	v_sub_u32_e32 v42, 32, v41
	v_xor_b32_e32 v8, v8, v48
	v_alignbit_b32 v43, v49, v40, v42
	v_alignbit_b32 v8, v40, v8, v42
	;; [unrolled: 1-line block ×3, first 2 shown]
	v_ffbh_u32_e32 v40, v10
	v_min_u32_e32 v40, 32, v40
	v_lshrrev_b32_e32 v46, 29, v2
	v_sub_u32_e32 v42, 31, v40
	v_alignbit_b32 v8, v10, v8, v42
	v_lshlrev_b32_e32 v10, 31, v46
	v_or_b32_e32 v42, 0x33800000, v10
	v_add_lshl_u32 v40, v40, v41, 23
	v_lshrrev_b32_e32 v8, 9, v8
	v_sub_u32_e32 v40, v42, v40
	v_or_b32_e32 v8, v40, v8
	v_alignbit_b32 v40, v41, v43, 9
	v_or_b32_e32 v10, v40, v10
	v_xor_b32_e32 v10, 1.0, v10
	v_mul_f32_e32 v40, 0x3fc90fda, v10
	v_fma_f32 v41, v10, s57, -v40
	v_fmac_f32_e32 v41, 0x33a22168, v10
	v_fmac_f32_e32 v41, 0x3fc90fda, v8
	v_lshrrev_b32_e32 v2, 30, v2
	v_add_f32_e32 v10, v40, v41
	v_add_u32_e32 v8, v47, v2
	s_andn2_saveexec_b64 s[10:11], s[38:39]
	s_branch .LBB163_25
.LBB163_23:                             ;   in Loop: Header=BB163_4 Depth=1
	s_or_b64 exec, exec, s[34:35]
	s_andn2_saveexec_b64 s[10:11], s[30:31]
	s_cbranch_execnz .LBB163_32
	s_branch .LBB163_33
.LBB163_24:                             ;   in Loop: Header=BB163_4 Depth=1
	s_andn2_saveexec_b64 s[10:11], s[38:39]
.LBB163_25:                             ;   in Loop: Header=BB163_4 Depth=1
	v_mul_f32_e64 v2, |v13|, s58
	v_rndne_f32_e32 v2, v2
	v_cvt_i32_f32_e32 v8, v2
	v_fma_f32 v10, v2, s59, |v13|
	v_fmac_f32_e32 v10, 0xb3a22168, v2
	v_fmac_f32_e32 v10, 0xa7c234c4, v2
; %bb.26:                               ;   in Loop: Header=BB163_4 Depth=1
	s_or_b64 exec, exec, s[10:11]
                                        ; implicit-def: $vgpr2
                                        ; implicit-def: $vgpr40
	s_and_saveexec_b64 s[10:11], s[36:37]
	s_xor_b64 s[36:37], exec, s[10:11]
	s_cbranch_execz .LBB163_28
; %bb.27:                               ;   in Loop: Header=BB163_4 Depth=1
	v_cmp_lt_u32_e32 vcc, 63, v39
	v_cndmask_b32_e32 v2, 0, v33, vcc
	v_add_u32_e32 v2, v2, v39
	v_cmp_lt_u32_e64 s[10:11], 31, v2
	v_cndmask_b32_e64 v39, 0, v34, s[10:11]
	v_add_u32_e32 v2, v39, v2
	v_cmp_lt_u32_e64 s[12:13], 31, v2
	v_cndmask_b32_e64 v39, 0, v34, s[12:13]
	v_mad_u64_u32 v[40:41], s[14:15], v38, s50, 0
	v_add_u32_e32 v52, v39, v2
	v_mov_b32_e32 v2, v41
	v_mad_u64_u32 v[42:43], s[14:15], v38, s51, v[2:3]
	v_mov_b32_e32 v2, v43
	v_mad_u64_u32 v[44:45], s[14:15], v38, s52, v[2:3]
	;; [unrolled: 2-line block ×6, first 2 shown]
	v_cndmask_b32_e32 v41, v50, v46, vcc
	v_cndmask_b32_e32 v2, v38, v48, vcc
	;; [unrolled: 1-line block ×3, first 2 shown]
	v_cndmask_b32_e64 v38, v2, v41, s[10:11]
	v_cndmask_b32_e64 v2, v39, v2, s[10:11]
	v_cndmask_b32_e32 v39, v48, v44, vcc
	v_cndmask_b32_e64 v41, v41, v39, s[10:11]
	v_cndmask_b32_e32 v42, v46, v42, vcc
	v_cndmask_b32_e64 v2, v2, v38, s[12:13]
	v_cndmask_b32_e64 v38, v38, v41, s[12:13]
	v_sub_u32_e32 v43, 32, v52
	v_cndmask_b32_e64 v39, v39, v42, s[10:11]
	v_alignbit_b32 v45, v2, v38, v43
	v_cmp_eq_u32_e64 s[14:15], 0, v52
	v_cndmask_b32_e64 v41, v41, v39, s[12:13]
	v_cndmask_b32_e64 v2, v45, v2, s[14:15]
	v_alignbit_b32 v45, v38, v41, v43
	v_cndmask_b32_e32 v40, v44, v40, vcc
	v_cndmask_b32_e64 v38, v45, v38, s[14:15]
	v_bfe_u32 v47, v2, 29, 1
	v_cndmask_b32_e64 v40, v42, v40, s[10:11]
	v_alignbit_b32 v45, v2, v38, 30
	v_sub_u32_e32 v48, 0, v47
	v_cndmask_b32_e64 v39, v39, v40, s[12:13]
	v_xor_b32_e32 v49, v45, v48
	v_alignbit_b32 v40, v41, v39, v43
	v_cndmask_b32_e64 v40, v40, v41, s[14:15]
	v_ffbh_u32_e32 v41, v49
	v_add_u32_e32 v41, 1, v41
	v_cmp_ne_u32_e32 vcc, v45, v48
	v_alignbit_b32 v38, v38, v40, 30
	v_cndmask_b32_e32 v41, 33, v41, vcc
	v_alignbit_b32 v39, v40, v39, 30
	v_xor_b32_e32 v38, v38, v48
	v_sub_u32_e32 v42, 32, v41
	v_xor_b32_e32 v39, v39, v48
	v_alignbit_b32 v43, v49, v38, v42
	v_alignbit_b32 v38, v38, v39, v42
	;; [unrolled: 1-line block ×3, first 2 shown]
	v_ffbh_u32_e32 v40, v39
	v_min_u32_e32 v40, 32, v40
	v_lshrrev_b32_e32 v46, 29, v2
	v_sub_u32_e32 v42, 31, v40
	v_alignbit_b32 v38, v39, v38, v42
	v_lshlrev_b32_e32 v39, 31, v46
	v_or_b32_e32 v42, 0x33800000, v39
	v_add_lshl_u32 v40, v40, v41, 23
	v_lshrrev_b32_e32 v38, 9, v38
	v_sub_u32_e32 v40, v42, v40
	v_or_b32_e32 v38, v40, v38
	v_alignbit_b32 v40, v41, v43, 9
	v_or_b32_e32 v39, v40, v39
	v_xor_b32_e32 v39, 1.0, v39
	v_mul_f32_e32 v40, 0x3fc90fda, v39
	v_fma_f32 v41, v39, s57, -v40
	v_fmac_f32_e32 v41, 0x33a22168, v39
	v_fmac_f32_e32 v41, 0x3fc90fda, v38
	v_lshrrev_b32_e32 v2, 30, v2
	v_add_f32_e32 v40, v40, v41
	v_add_u32_e32 v2, v47, v2
	s_andn2_saveexec_b64 s[10:11], s[36:37]
	s_cbranch_execnz .LBB163_29
	s_branch .LBB163_30
.LBB163_28:                             ;   in Loop: Header=BB163_4 Depth=1
	s_andn2_saveexec_b64 s[10:11], s[36:37]
.LBB163_29:                             ;   in Loop: Header=BB163_4 Depth=1
	v_mul_f32_e64 v2, |v13|, s58
	v_rndne_f32_e32 v38, v2
	v_cvt_i32_f32_e32 v2, v38
	v_fma_f32 v40, v38, s59, |v13|
	v_fmac_f32_e32 v40, 0xb3a22168, v38
	v_fmac_f32_e32 v40, 0xa7c234c4, v38
.LBB163_30:                             ;   in Loop: Header=BB163_4 Depth=1
	s_or_b64 exec, exec, s[10:11]
	v_mul_f32_e32 v38, v10, v10
	v_mov_b32_e32 v39, 0x3c0881c4
	v_fmac_f32_e32 v39, 0xb94c1982, v38
	v_fma_f32 v39, v38, v39, v30
	v_mul_f32_e32 v39, v38, v39
	v_fmac_f32_e32 v10, v10, v39
	v_mov_b32_e32 v39, 0xbab64f3b
	v_fmac_f32_e32 v39, 0x37d75334, v38
	v_fma_f32 v39, v38, v39, v31
	v_fma_f32 v39, v38, v39, v32
	v_fma_f32 v38, v38, v39, 1.0
	v_and_b32_e32 v39, 1, v8
	v_lshlrev_b32_e32 v8, 30, v8
	v_and_b32_e32 v8, 0x80000000, v8
	v_cmp_eq_u32_e32 vcc, 0, v39
	v_xor_b32_e32 v8, v37, v8
	v_mul_f32_e64 v37, |v12|, s64
	v_cndmask_b32_e32 v10, v38, v10, vcc
	v_rndne_f32_e32 v38, v37
	v_sub_f32_e32 v39, v37, v38
	v_fma_f32 v37, |v12|, s64, -v37
	v_fma_f32 v37, |v12|, s65, v37
	v_add_f32_e32 v37, v39, v37
	v_exp_f32_e32 v37, v37
	v_cvt_i32_f32_e32 v38, v38
	v_xor_b32_e32 v8, v8, v10
	v_xor_b32_e32 v8, v8, v13
	v_mul_f32_e32 v13, v40, v40
	v_ldexp_f32 v10, v37, v38
	v_mov_b32_e32 v37, 0x3c0881c4
	v_fmac_f32_e32 v37, 0xb94c1982, v13
	v_fma_f32 v37, v13, v37, v30
	v_mul_f32_e32 v37, v13, v37
	v_fmac_f32_e32 v40, v40, v37
	v_mov_b32_e32 v37, 0xbab64f3b
	v_fmac_f32_e32 v37, 0x37d75334, v13
	v_fma_f32 v37, v13, v37, v31
	v_cmp_ngt_f32_e64 vcc, |v12|, s66
	v_fma_f32 v37, v13, v37, v32
	v_cndmask_b32_e32 v10, 0, v10, vcc
	v_cmp_nlt_f32_e64 vcc, |v12|, s67
	v_fma_f32 v13, v13, v37, 1.0
	v_and_b32_e32 v37, 1, v2
	v_cndmask_b32_e32 v10, v35, v10, vcc
	v_cmp_eq_u32_e32 vcc, 0, v37
	v_lshlrev_b32_e32 v2, 30, v2
	v_cndmask_b32_e64 v13, -v40, v13, vcc
	v_and_b32_e32 v2, 0x80000000, v2
	v_mul_f32_e32 v8, 4.0, v8
	v_xor_b32_e32 v2, v2, v13
	v_mul_f32_e32 v2, v8, v2
	v_mul_f32_e32 v2, v10, v2
	v_bfi_b32 v12, s45, 1.0, v12
	v_mul_f32_e32 v13, v10, v2
	s_or_b64 exec, exec, s[34:35]
.LBB163_31:                             ;   in Loop: Header=BB163_4 Depth=1
	s_andn2_saveexec_b64 s[10:11], s[30:31]
.LBB163_32:                             ;   in Loop: Header=BB163_4 Depth=1
	v_sub_f32_e32 v13, v13, v13
	v_mov_b32_e32 v12, v13
.LBB163_33:                             ;   in Loop: Header=BB163_4 Depth=1
	s_or_b64 exec, exec, s[10:11]
.LBB163_34:                             ;   in Loop: Header=BB163_4 Depth=1
	s_andn2_saveexec_b64 s[28:29], s[28:29]
	s_cbranch_execz .LBB163_50
; %bb.35:                               ;   in Loop: Header=BB163_4 Depth=1
	v_and_b32_e32 v2, 0x7fffff, v12
	v_cmp_ne_u32_e32 vcc, 0, v2
	s_and_saveexec_b64 s[10:11], vcc
	s_xor_b64 s[10:11], exec, s[10:11]
; %bb.36:                               ;   in Loop: Header=BB163_4 Depth=1
	v_mul_f32_e32 v2, v13, v12
	v_cmp_eq_f32_e32 vcc, 0, v13
	v_cndmask_b32_e32 v13, v2, v13, vcc
; %bb.37:                               ;   in Loop: Header=BB163_4 Depth=1
	s_andn2_saveexec_b64 s[30:31], s[10:11]
	s_cbranch_execz .LBB163_49
; %bb.38:                               ;   in Loop: Header=BB163_4 Depth=1
	v_cmp_neq_f32_e64 s[10:11], |v13|, s46
	s_and_saveexec_b64 s[34:35], s[10:11]
	s_cbranch_execz .LBB163_48
; %bb.39:                               ;   in Loop: Header=BB163_4 Depth=1
	v_and_b32_e32 v8, 0x7fffffff, v13
	v_lshrrev_b32_e32 v2, 23, v8
	v_and_b32_e32 v10, 0x7fffff, v8
	v_cmp_nlt_f32_e64 s[36:37], |v13|, s49
	v_add_u32_e32 v39, 0xffffff88, v2
	v_or_b32_e32 v38, 0x800000, v10
                                        ; implicit-def: $vgpr10
                                        ; implicit-def: $vgpr37
	s_and_saveexec_b64 s[10:11], s[36:37]
	s_xor_b64 s[38:39], exec, s[10:11]
	s_cbranch_execz .LBB163_41
; %bb.40:                               ;   in Loop: Header=BB163_4 Depth=1
	v_cmp_lt_u32_e32 vcc, 63, v39
	v_cndmask_b32_e32 v2, 0, v33, vcc
	v_add_u32_e32 v2, v2, v39
	v_cmp_lt_u32_e64 s[10:11], 31, v2
	v_cndmask_b32_e64 v10, 0, v34, s[10:11]
	v_add_u32_e32 v2, v10, v2
	v_cmp_lt_u32_e64 s[12:13], 31, v2
	v_cndmask_b32_e64 v10, 0, v34, s[12:13]
	v_mad_u64_u32 v[40:41], s[14:15], v38, s50, 0
	v_add_u32_e32 v10, v10, v2
	v_mov_b32_e32 v2, v41
	v_mad_u64_u32 v[42:43], s[14:15], v38, s51, v[2:3]
	v_mov_b32_e32 v2, v43
	v_mad_u64_u32 v[44:45], s[14:15], v38, s52, v[2:3]
	;; [unrolled: 2-line block ×6, first 2 shown]
	v_cndmask_b32_e32 v37, v50, v46, vcc
	v_cndmask_b32_e32 v2, v52, v48, vcc
	;; [unrolled: 1-line block ×3, first 2 shown]
	v_cndmask_b32_e64 v41, v2, v37, s[10:11]
	v_cndmask_b32_e64 v2, v43, v2, s[10:11]
	v_cndmask_b32_e32 v43, v48, v44, vcc
	v_cndmask_b32_e64 v37, v37, v43, s[10:11]
	v_sub_u32_e32 v45, 32, v10
	v_cmp_eq_u32_e64 s[14:15], 0, v10
	v_cndmask_b32_e32 v10, v46, v42, vcc
	v_cndmask_b32_e64 v2, v2, v41, s[12:13]
	v_cndmask_b32_e64 v41, v41, v37, s[12:13]
	;; [unrolled: 1-line block ×3, first 2 shown]
	v_alignbit_b32 v47, v2, v41, v45
	v_cndmask_b32_e64 v37, v37, v42, s[12:13]
	v_cndmask_b32_e32 v40, v44, v40, vcc
	v_cndmask_b32_e64 v2, v47, v2, s[14:15]
	v_alignbit_b32 v43, v41, v37, v45
	v_cndmask_b32_e64 v10, v10, v40, s[10:11]
	v_cndmask_b32_e64 v41, v43, v41, s[14:15]
	v_bfe_u32 v47, v2, 29, 1
	v_cndmask_b32_e64 v10, v42, v10, s[12:13]
	v_alignbit_b32 v43, v2, v41, 30
	v_sub_u32_e32 v48, 0, v47
	v_alignbit_b32 v40, v37, v10, v45
	v_xor_b32_e32 v49, v43, v48
	v_cndmask_b32_e64 v37, v40, v37, s[14:15]
	v_alignbit_b32 v40, v41, v37, 30
	v_ffbh_u32_e32 v41, v49
	v_add_u32_e32 v41, 1, v41
	v_cmp_ne_u32_e32 vcc, v43, v48
	v_cndmask_b32_e32 v41, 33, v41, vcc
	v_alignbit_b32 v10, v37, v10, 30
	v_xor_b32_e32 v40, v40, v48
	v_sub_u32_e32 v42, 32, v41
	v_xor_b32_e32 v10, v10, v48
	v_alignbit_b32 v43, v49, v40, v42
	v_alignbit_b32 v10, v40, v10, v42
	;; [unrolled: 1-line block ×3, first 2 shown]
	v_ffbh_u32_e32 v40, v37
	v_min_u32_e32 v40, 32, v40
	v_lshrrev_b32_e32 v46, 29, v2
	v_sub_u32_e32 v42, 31, v40
	v_alignbit_b32 v10, v37, v10, v42
	v_lshlrev_b32_e32 v37, 31, v46
	v_or_b32_e32 v42, 0x33800000, v37
	v_add_lshl_u32 v40, v40, v41, 23
	v_lshrrev_b32_e32 v10, 9, v10
	v_sub_u32_e32 v40, v42, v40
	v_or_b32_e32 v10, v40, v10
	v_alignbit_b32 v40, v41, v43, 9
	v_or_b32_e32 v37, v40, v37
	v_xor_b32_e32 v37, 1.0, v37
	v_mul_f32_e32 v40, 0x3fc90fda, v37
	v_fma_f32 v41, v37, s57, -v40
	v_fmac_f32_e32 v41, 0x33a22168, v37
	v_fmac_f32_e32 v41, 0x3fc90fda, v10
	v_lshrrev_b32_e32 v2, 30, v2
	v_add_f32_e32 v37, v40, v41
	v_add_u32_e32 v10, v47, v2
.LBB163_41:                             ;   in Loop: Header=BB163_4 Depth=1
	s_or_saveexec_b64 s[10:11], s[38:39]
	v_mul_f32_e64 v2, |v13|, s58
	v_rndne_f32_e32 v41, v2
	s_xor_b64 exec, exec, s[10:11]
; %bb.42:                               ;   in Loop: Header=BB163_4 Depth=1
	v_cvt_i32_f32_e32 v10, v41
	v_fma_f32 v37, v41, s59, |v13|
	v_fmac_f32_e32 v37, 0xb3a22168, v41
	v_fmac_f32_e32 v37, 0xa7c234c4, v41
; %bb.43:                               ;   in Loop: Header=BB163_4 Depth=1
	s_or_b64 exec, exec, s[10:11]
                                        ; implicit-def: $vgpr2
                                        ; implicit-def: $vgpr40
	s_and_saveexec_b64 s[10:11], s[36:37]
	s_xor_b64 s[36:37], exec, s[10:11]
	s_cbranch_execz .LBB163_45
; %bb.44:                               ;   in Loop: Header=BB163_4 Depth=1
	v_cmp_lt_u32_e32 vcc, 63, v39
	v_cndmask_b32_e32 v2, 0, v33, vcc
	v_add_u32_e32 v2, v2, v39
	v_cmp_lt_u32_e64 s[10:11], 31, v2
	v_cndmask_b32_e64 v39, 0, v34, s[10:11]
	v_add_u32_e32 v2, v39, v2
	v_cmp_lt_u32_e64 s[12:13], 31, v2
	v_cndmask_b32_e64 v39, 0, v34, s[12:13]
	v_mad_u64_u32 v[40:41], s[14:15], v38, s50, 0
	v_add_u32_e32 v52, v39, v2
	v_mov_b32_e32 v2, v41
	v_mad_u64_u32 v[42:43], s[14:15], v38, s51, v[2:3]
	v_mov_b32_e32 v2, v43
	v_mad_u64_u32 v[44:45], s[14:15], v38, s52, v[2:3]
	;; [unrolled: 2-line block ×6, first 2 shown]
	v_cndmask_b32_e32 v41, v50, v46, vcc
	v_cndmask_b32_e32 v2, v38, v48, vcc
	;; [unrolled: 1-line block ×3, first 2 shown]
	v_cndmask_b32_e64 v38, v2, v41, s[10:11]
	v_cndmask_b32_e64 v2, v39, v2, s[10:11]
	v_cndmask_b32_e32 v39, v48, v44, vcc
	v_cndmask_b32_e64 v41, v41, v39, s[10:11]
	v_cndmask_b32_e32 v42, v46, v42, vcc
	v_cndmask_b32_e64 v2, v2, v38, s[12:13]
	v_cndmask_b32_e64 v38, v38, v41, s[12:13]
	v_sub_u32_e32 v43, 32, v52
	v_cndmask_b32_e64 v39, v39, v42, s[10:11]
	v_alignbit_b32 v45, v2, v38, v43
	v_cmp_eq_u32_e64 s[14:15], 0, v52
	v_cndmask_b32_e64 v41, v41, v39, s[12:13]
	v_cndmask_b32_e64 v2, v45, v2, s[14:15]
	v_alignbit_b32 v45, v38, v41, v43
	v_cndmask_b32_e32 v40, v44, v40, vcc
	v_cndmask_b32_e64 v38, v45, v38, s[14:15]
	v_bfe_u32 v47, v2, 29, 1
	v_cndmask_b32_e64 v40, v42, v40, s[10:11]
	v_alignbit_b32 v45, v2, v38, 30
	v_sub_u32_e32 v48, 0, v47
	v_cndmask_b32_e64 v39, v39, v40, s[12:13]
	v_xor_b32_e32 v49, v45, v48
	v_alignbit_b32 v40, v41, v39, v43
	v_cndmask_b32_e64 v40, v40, v41, s[14:15]
	v_ffbh_u32_e32 v41, v49
	v_add_u32_e32 v41, 1, v41
	v_cmp_ne_u32_e32 vcc, v45, v48
	v_alignbit_b32 v38, v38, v40, 30
	v_cndmask_b32_e32 v41, 33, v41, vcc
	v_alignbit_b32 v39, v40, v39, 30
	v_xor_b32_e32 v38, v38, v48
	v_sub_u32_e32 v42, 32, v41
	v_xor_b32_e32 v39, v39, v48
	v_alignbit_b32 v43, v49, v38, v42
	v_alignbit_b32 v38, v38, v39, v42
	;; [unrolled: 1-line block ×3, first 2 shown]
	v_ffbh_u32_e32 v40, v39
	v_min_u32_e32 v40, 32, v40
	v_lshrrev_b32_e32 v46, 29, v2
	v_sub_u32_e32 v42, 31, v40
	v_alignbit_b32 v38, v39, v38, v42
	v_lshlrev_b32_e32 v39, 31, v46
	v_or_b32_e32 v42, 0x33800000, v39
	v_add_lshl_u32 v40, v40, v41, 23
	v_lshrrev_b32_e32 v38, 9, v38
	v_sub_u32_e32 v40, v42, v40
	v_or_b32_e32 v38, v40, v38
	v_alignbit_b32 v40, v41, v43, 9
	v_or_b32_e32 v39, v40, v39
	v_xor_b32_e32 v39, 1.0, v39
	v_mul_f32_e32 v40, 0x3fc90fda, v39
	v_fma_f32 v41, v39, s57, -v40
	v_fmac_f32_e32 v41, 0x33a22168, v39
	v_fmac_f32_e32 v41, 0x3fc90fda, v38
	v_lshrrev_b32_e32 v2, 30, v2
	v_add_f32_e32 v40, v40, v41
	v_add_u32_e32 v2, v47, v2
                                        ; implicit-def: $vgpr41
	s_andn2_saveexec_b64 s[10:11], s[36:37]
	s_cbranch_execnz .LBB163_46
	s_branch .LBB163_47
.LBB163_45:                             ;   in Loop: Header=BB163_4 Depth=1
	s_andn2_saveexec_b64 s[10:11], s[36:37]
.LBB163_46:                             ;   in Loop: Header=BB163_4 Depth=1
	v_cvt_i32_f32_e32 v2, v41
	v_fma_f32 v40, v41, s59, |v13|
	v_fmac_f32_e32 v40, 0xb3a22168, v41
	v_fmac_f32_e32 v40, 0xa7c234c4, v41
.LBB163_47:                             ;   in Loop: Header=BB163_4 Depth=1
	s_or_b64 exec, exec, s[10:11]
	v_mul_f32_e32 v38, v37, v37
	v_mov_b32_e32 v39, 0x3c0881c4
	v_fmac_f32_e32 v39, 0xb94c1982, v38
	v_fma_f32 v39, v38, v39, v30
	v_mul_f32_e32 v39, v38, v39
	v_fmac_f32_e32 v37, v37, v39
	v_mov_b32_e32 v39, 0xbab64f3b
	v_fmac_f32_e32 v39, 0x37d75334, v38
	v_fma_f32 v39, v38, v39, v31
	v_fma_f32 v39, v38, v39, v32
	v_fma_f32 v38, v38, v39, 1.0
	v_and_b32_e32 v39, 1, v10
	v_lshlrev_b32_e32 v10, 30, v10
	v_cmp_eq_u32_e32 vcc, 0, v39
	v_and_b32_e32 v10, 0x80000000, v10
	v_cndmask_b32_e32 v37, v38, v37, vcc
	v_xor_b32_e32 v8, v8, v10
	v_xor_b32_e32 v8, v8, v37
	v_mul_f32_e32 v10, v40, v40
	v_mov_b32_e32 v37, 0x3c0881c4
	v_fmac_f32_e32 v37, 0xb94c1982, v10
	v_fma_f32 v37, v10, v37, v30
	v_mul_f32_e32 v37, v10, v37
	v_fmac_f32_e32 v40, v40, v37
	v_mov_b32_e32 v37, 0xbab64f3b
	v_fmac_f32_e32 v37, 0x37d75334, v10
	v_fma_f32 v37, v10, v37, v31
	v_fma_f32 v37, v10, v37, v32
	v_fma_f32 v10, v10, v37, 1.0
	v_and_b32_e32 v37, 1, v2
	v_cmp_eq_u32_e32 vcc, 0, v37
	v_lshlrev_b32_e32 v2, 30, v2
	v_cndmask_b32_e64 v10, -v40, v10, vcc
	v_and_b32_e32 v2, 0x80000000, v2
	v_xor_b32_e32 v8, v8, v13
	v_xor_b32_e32 v2, v2, v10
	v_mul_f32_e32 v2, v8, v2
	v_cmp_class_f32_e64 vcc, v13, s47
	v_cndmask_b32_e32 v13, v36, v2, vcc
.LBB163_48:                             ;   in Loop: Header=BB163_4 Depth=1
	s_or_b64 exec, exec, s[34:35]
	v_add_u32_e32 v12, -2.0, v12
	v_bfi_b32 v13, s45, 0, v13
.LBB163_49:                             ;   in Loop: Header=BB163_4 Depth=1
	s_or_b64 exec, exec, s[30:31]
.LBB163_50:                             ;   in Loop: Header=BB163_4 Depth=1
	s_or_b64 exec, exec, s[28:29]
	v_and_b32_e32 v8, 0x7fffffff, v16
	v_cmp_gt_u32_e32 vcc, s46, v8
	s_and_saveexec_b64 s[10:11], vcc
	s_xor_b64 s[28:29], exec, s[10:11]
	s_cbranch_execz .LBB163_72
; %bb.51:                               ;   in Loop: Header=BB163_4 Depth=1
	v_cmp_class_f32_e64 s[10:11], v17, s47
	s_and_saveexec_b64 s[12:13], s[10:11]
	s_xor_b64 s[30:31], exec, s[12:13]
	s_cbranch_execz .LBB163_69
; %bb.52:                               ;   in Loop: Header=BB163_4 Depth=1
	v_and_b32_e32 v37, 0x7fffffff, v17
	v_cmp_gt_u32_e32 vcc, s48, v8
	s_and_saveexec_b64 s[10:11], vcc
	s_xor_b64 s[34:35], exec, s[10:11]
	s_cbranch_execz .LBB163_58
; %bb.53:                               ;   in Loop: Header=BB163_4 Depth=1
	v_cmp_nlt_f32_e64 s[10:11], |v17|, s49
                                        ; implicit-def: $vgpr10
                                        ; implicit-def: $vgpr2
	s_and_saveexec_b64 s[12:13], s[10:11]
	s_xor_b64 s[36:37], exec, s[12:13]
	s_cbranch_execz .LBB163_55
; %bb.54:                               ;   in Loop: Header=BB163_4 Depth=1
	v_lshrrev_b32_e32 v2, 23, v37
	v_add_u32_e32 v2, 0xffffff88, v2
	v_cmp_lt_u32_e32 vcc, 63, v2
	v_cndmask_b32_e32 v10, 0, v33, vcc
	v_add_u32_e32 v2, v10, v2
	v_cmp_lt_u32_e64 s[10:11], 31, v2
	v_cndmask_b32_e64 v10, 0, v34, s[10:11]
	v_add_u32_e32 v2, v10, v2
	v_cmp_lt_u32_e64 s[12:13], 31, v2
	v_cndmask_b32_e64 v10, 0, v34, s[12:13]
	v_add_u32_e32 v10, v10, v2
	v_and_b32_e32 v2, 0x7fffff, v37
	v_or_b32_e32 v50, 0x800000, v2
	v_mad_u64_u32 v[38:39], s[14:15], v50, s50, 0
	v_mov_b32_e32 v2, v39
	v_mad_u64_u32 v[40:41], s[14:15], v50, s51, v[2:3]
	v_mov_b32_e32 v2, v41
	;; [unrolled: 2-line block ×6, first 2 shown]
	v_mad_u64_u32 v[50:51], s[14:15], v50, s56, v[2:3]
	v_cndmask_b32_e32 v39, v48, v44, vcc
	v_cndmask_b32_e32 v2, v50, v46, vcc
	v_cndmask_b32_e32 v43, v51, v48, vcc
	v_cndmask_b32_e64 v41, v2, v39, s[10:11]
	v_cndmask_b32_e64 v2, v43, v2, s[10:11]
	v_cndmask_b32_e32 v43, v46, v42, vcc
	v_cndmask_b32_e64 v39, v39, v43, s[10:11]
	v_cndmask_b32_e64 v2, v2, v41, s[12:13]
	;; [unrolled: 1-line block ×3, first 2 shown]
	v_sub_u32_e32 v45, 32, v10
	v_alignbit_b32 v46, v2, v41, v45
	v_cmp_eq_u32_e64 s[14:15], 0, v10
	v_cndmask_b32_e64 v10, v46, v2, s[14:15]
	v_cndmask_b32_e32 v2, v44, v40, vcc
	v_cndmask_b32_e64 v40, v43, v2, s[10:11]
	v_cndmask_b32_e64 v39, v39, v40, s[12:13]
	v_alignbit_b32 v43, v41, v39, v45
	v_cndmask_b32_e64 v41, v43, v41, s[14:15]
	v_bfe_u32 v46, v10, 29, 1
	v_cndmask_b32_e32 v38, v42, v38, vcc
	v_alignbit_b32 v43, v10, v41, 30
	v_sub_u32_e32 v47, 0, v46
	v_cndmask_b32_e64 v2, v2, v38, s[10:11]
	v_xor_b32_e32 v48, v43, v47
	v_cndmask_b32_e64 v2, v40, v2, s[12:13]
	v_alignbit_b32 v38, v39, v2, v45
	v_ffbh_u32_e32 v40, v48
	v_cndmask_b32_e64 v38, v38, v39, s[14:15]
	v_add_u32_e32 v40, 1, v40
	v_cmp_ne_u32_e32 vcc, v43, v47
	v_alignbit_b32 v39, v41, v38, 30
	v_cndmask_b32_e32 v40, 33, v40, vcc
	v_alignbit_b32 v2, v38, v2, 30
	v_xor_b32_e32 v39, v39, v47
	v_sub_u32_e32 v41, 32, v40
	v_xor_b32_e32 v2, v2, v47
	v_alignbit_b32 v42, v48, v39, v41
	v_alignbit_b32 v2, v39, v2, v41
	;; [unrolled: 1-line block ×3, first 2 shown]
	v_ffbh_u32_e32 v39, v38
	v_min_u32_e32 v39, 32, v39
	v_lshrrev_b32_e32 v44, 29, v10
	v_sub_u32_e32 v41, 31, v39
	v_alignbit_b32 v2, v38, v2, v41
	v_lshlrev_b32_e32 v38, 31, v44
	v_or_b32_e32 v41, 0x33800000, v38
	v_add_lshl_u32 v39, v39, v40, 23
	v_lshrrev_b32_e32 v2, 9, v2
	v_sub_u32_e32 v39, v41, v39
	v_or_b32_e32 v2, v39, v2
	v_alignbit_b32 v39, v40, v42, 9
	v_or_b32_e32 v38, v39, v38
	v_xor_b32_e32 v38, 1.0, v38
	v_mul_f32_e32 v39, 0x3fc90fda, v38
	v_fma_f32 v40, v38, s57, -v39
	v_fmac_f32_e32 v40, 0x33a22168, v38
	v_fmac_f32_e32 v40, 0x3fc90fda, v2
	v_lshrrev_b32_e32 v10, 30, v10
	v_add_f32_e32 v2, v39, v40
	v_add_u32_e32 v10, v46, v10
.LBB163_55:                             ;   in Loop: Header=BB163_4 Depth=1
	s_andn2_saveexec_b64 s[10:11], s[36:37]
; %bb.56:                               ;   in Loop: Header=BB163_4 Depth=1
	v_mul_f32_e64 v2, |v17|, s58
	v_rndne_f32_e32 v38, v2
	v_cvt_i32_f32_e32 v10, v38
	v_fma_f32 v2, v38, s59, |v17|
	v_fmac_f32_e32 v2, 0xb3a22168, v38
	v_fmac_f32_e32 v2, 0xa7c234c4, v38
; %bb.57:                               ;   in Loop: Header=BB163_4 Depth=1
	s_or_b64 exec, exec, s[10:11]
	v_mul_f32_e32 v38, v2, v2
	v_mov_b32_e32 v39, 0xbf039337
	v_fmac_f32_e32 v39, 0x3c971480, v38
	v_fma_f32 v39, v38, v39, v25
	v_rcp_f32_e32 v39, v39
	v_mov_b32_e32 v40, 0x3ec54587
	v_fmac_f32_e32 v40, 0xbc8cedd3, v38
	v_and_b32_e32 v10, 1, v10
	v_mul_f32_e32 v39, v40, v39
	v_mul_f32_e32 v38, v38, v39
	v_fma_f32 v39, v38, v2, v2
	v_rcp_f32_e32 v40, v39
	v_sub_f32_e32 v41, v39, v2
	v_fma_f32 v2, v38, v2, -v41
	v_cmp_eq_u32_e32 vcc, 0, v10
	v_fma_f32 v38, v39, -v40, 1.0
	v_fma_f32 v2, v2, -v40, v38
	v_fma_f32 v2, v2, -v40, -v40
	v_add_f32_e64 v10, |v16|, s60
	v_cndmask_b32_e32 v2, v2, v39, vcc
	v_sub_f32_e64 v39, v10, |v16|
	v_sub_f32_e32 v38, v39, v10
	v_pk_add_f32 v[38:39], v[8:9], v[38:39]
	v_sub_f32_e32 v8, v38, v39
	v_add_f32_e32 v8, 0x3102e308, v8
	v_add_f32_e32 v38, v10, v8
	v_sub_f32_e32 v10, v10, v38
	v_add_f32_e32 v8, v8, v10
	v_mul_f32_e32 v10, 0x3fb8aa3b, v38
	v_rndne_f32_e32 v46, v10
	v_fmac_f32_e32 v38, 0xbf317200, v46
	v_add_f32_e32 v10, v8, v38
	v_sub_f32_e32 v38, v38, v10
	v_add_f32_e32 v8, v8, v38
	v_mul_f32_e32 v38, 0x35bfbc00, v46
	v_sub_f32_e32 v40, v10, v38
	v_sub_f32_e32 v10, v10, v40
	;; [unrolled: 1-line block ×3, first 2 shown]
	v_add_f32_e32 v8, v8, v10
	v_add_f32_e32 v41, v40, v8
	v_mul_f32_e32 v39, 0x2ea39ef3, v46
	v_mov_b32_e32 v38, v41
	v_pk_add_f32 v[42:43], v[40:41], v[38:39] neg_lo:[0,1] neg_hi:[0,1]
	v_sub_f32_e32 v10, v41, v43
	v_sub_f32_e32 v10, v10, v39
	v_add_f32_e32 v8, v8, v42
	v_add_f32_e32 v8, v8, v10
	;; [unrolled: 1-line block ×3, first 2 shown]
	v_sub_f32_e32 v39, v43, v38
	v_mov_b32_e32 v10, 0x3c091de6
	v_add_f32_e32 v8, v8, v39
	v_mul_f32_e32 v40, v38, v38
	v_fmac_f32_e32 v10, 0x3ab42872, v38
	v_add_f32_e32 v39, v8, v8
	v_fma_f32 v41, v38, v38, -v40
	v_fma_f32 v10, v38, v10, v26
	v_fmac_f32_e32 v41, v38, v39
	v_fma_f32 v10, v38, v10, v27
	v_add_f32_e32 v39, v40, v41
	v_fma_f32 v10, v38, v10, v28
	v_sub_f32_e32 v40, v39, v40
	v_sub_f32_e32 v40, v41, v40
	v_mul_f32_e32 v41, v10, v39
	v_fma_f32 v39, v39, v10, -v41
	v_fmac_f32_e32 v39, v40, v10
	v_add_f32_e32 v40, v41, v39
	v_sub_f32_e32 v10, v40, v41
	v_sub_f32_e32 v39, v39, v10
	v_add_f32_e32 v10, v38, v40
	v_sub_f32_e32 v38, v10, v38
	v_sub_f32_e32 v38, v40, v38
	v_add_f32_e32 v8, v8, v39
	v_add_f32_e32 v38, v8, v38
	;; [unrolled: 1-line block ×3, first 2 shown]
	v_add_f32_e32 v41, 1.0, v40
	v_pk_add_f32 v[42:43], v[40:41], v[10:11] neg_lo:[0,1] neg_hi:[0,1]
	v_pk_add_f32 v[44:45], v[40:41], s[26:27]
	v_mov_b32_e32 v43, v45
	v_mov_b32_e32 v39, v40
	v_cvt_i32_f32_e32 v8, v46
	v_pk_add_f32 v[38:39], v[38:39], v[42:43] neg_lo:[0,1] neg_hi:[0,1]
	v_add_f32_e32 v10, v38, v39
	v_add_f32_e32 v38, v41, v10
	v_ldexp_f32 v39, v38, v8
	v_rcp_f32_e32 v40, v39
	v_sub_f32_e32 v38, v38, v41
	v_sub_f32_e32 v10, v10, v38
	v_ldexp_f32 v8, v10, v8
	v_mul_f32_e32 v10, v39, v40
	v_fma_f32 v38, v40, v39, -v10
	v_fmac_f32_e32 v38, v40, v8
	v_add_f32_e32 v41, v10, v38
	v_sub_f32_e32 v42, 1.0, v41
	v_sub_f32_e32 v43, 1.0, v42
	v_sub_f32_e32 v10, v41, v10
	v_sub_f32_e32 v43, v43, v41
	;; [unrolled: 1-line block ×3, first 2 shown]
	v_add_f32_e32 v10, v10, v43
	v_add_f32_e32 v38, v42, v10
	v_mul_f32_e32 v41, v40, v38
	v_mul_f32_e32 v43, v39, v41
	v_fma_f32 v44, v41, v39, -v43
	v_fmac_f32_e32 v44, v41, v8
	v_sub_f32_e32 v42, v42, v38
	v_add_f32_e32 v10, v10, v42
	v_add_f32_e32 v42, v43, v44
	v_sub_f32_e32 v45, v38, v42
	v_sub_f32_e32 v38, v38, v45
	;; [unrolled: 1-line block ×4, first 2 shown]
	v_add_f32_e32 v10, v10, v38
	v_sub_f32_e32 v38, v43, v44
	v_add_f32_e32 v10, v38, v10
	v_add_f32_e32 v10, v45, v10
	;; [unrolled: 1-line block ×3, first 2 shown]
	v_mul_f32_e32 v10, v40, v10
	v_sub_f32_e32 v40, v38, v40
	v_sub_f32_e32 v40, v41, v40
	v_add_f32_e32 v10, v40, v10
	v_add_f32_e32 v40, v38, v10
	v_sub_f32_e32 v38, v40, v38
	v_sub_f32_e32 v10, v10, v38
	v_ldexp_f32 v38, v40, -2
	v_sub_f32_e32 v40, v39, v38
	v_sub_f32_e32 v39, v39, v40
	;; [unrolled: 1-line block ×3, first 2 shown]
	v_ldexp_f32 v10, v10, -2
	v_add_f32_e32 v8, v8, v38
	v_sub_f32_e32 v8, v8, v10
	v_add_f32_e32 v8, v40, v8
	v_cmp_ngt_f32_e64 vcc, |v16|, s61
	v_cndmask_b32_e32 v8, v35, v8, vcc
	v_cmp_lt_f32_e64 s[10:11], |v16|, s62
	v_cndmask_b32_e64 v8, v8, |v16|, s[10:11]
	v_bfi_b32 v8, s45, v8, v16
	v_fma_f32 v10, v8, v8, 1.0
	v_mul_f32_e32 v16, 0x4f800000, v10
	v_cmp_gt_f32_e32 vcc, s63, v10
	v_cndmask_b32_e32 v10, v10, v16, vcc
	v_sqrt_f32_e32 v16, v10
	v_xor_b32_e32 v2, v37, v2
	v_xor_b32_e32 v2, v2, v17
	v_fma_f32 v17, v2, v2, 1.0
	v_add_u32_e32 v37, -1, v16
	v_fma_f32 v38, -v37, v16, v10
	v_cmp_ge_f32_e64 s[10:11], 0, v38
	v_add_u32_e32 v38, 1, v16
	v_cndmask_b32_e64 v37, v16, v37, s[10:11]
	v_fma_f32 v16, -v38, v16, v10
	v_cmp_lt_f32_e64 s[10:11], 0, v16
	v_cndmask_b32_e64 v16, v37, v38, s[10:11]
	v_mul_f32_e32 v37, 0x37800000, v16
	v_cndmask_b32_e32 v16, v16, v37, vcc
	v_cmp_class_f32_e32 vcc, v10, v29
	v_cndmask_b32_e32 v10, v16, v10, vcc
	v_mul_f32_e32 v16, v8, v17
	v_mul_f32_e32 v10, v10, v17
	v_fma_f32 v37, v8, v16, 1.0
	v_mul_f32_e32 v8, v8, v10
	v_div_scale_f32 v10, s[10:11], v37, v37, v8
	v_rcp_f32_e32 v16, v10
	v_fma_f32 v17, -v10, v16, 1.0
	v_fmac_f32_e32 v16, v17, v16
	v_div_scale_f32 v17, vcc, v8, v37, v8
	v_mul_f32_e32 v38, v17, v16
	v_fma_f32 v39, -v10, v38, v17
	v_fmac_f32_e32 v38, v39, v16
	v_fma_f32 v10, -v10, v38, v17
	v_div_scale_f32 v17, s[10:11], v37, v37, v2
	v_rcp_f32_e32 v39, v17
	v_div_fmas_f32 v10, v10, v16, v38
	v_div_fixup_f32 v16, v10, v37, v8
	v_fma_f32 v8, -v17, v39, 1.0
	v_fmac_f32_e32 v39, v8, v39
	v_div_scale_f32 v8, vcc, v2, v37, v2
	v_mul_f32_e32 v10, v8, v39
	v_fma_f32 v38, -v17, v10, v8
	v_fmac_f32_e32 v10, v38, v39
	v_fma_f32 v8, -v17, v10, v8
	v_div_fmas_f32 v8, v8, v39, v10
	v_div_fixup_f32 v17, v8, v37, v2
                                        ; implicit-def: $vgpr37
.LBB163_58:                             ;   in Loop: Header=BB163_4 Depth=1
	s_andn2_saveexec_b64 s[34:35], s[34:35]
	s_cbranch_execz .LBB163_68
; %bb.59:                               ;   in Loop: Header=BB163_4 Depth=1
	v_lshrrev_b32_e32 v2, 23, v37
	v_and_b32_e32 v8, 0x7fffff, v37
	v_cmp_nlt_f32_e64 s[36:37], |v17|, s49
	v_add_u32_e32 v39, 0xffffff88, v2
	v_or_b32_e32 v38, 0x800000, v8
                                        ; implicit-def: $vgpr8
                                        ; implicit-def: $vgpr10
	s_and_saveexec_b64 s[10:11], s[36:37]
	s_xor_b64 s[38:39], exec, s[10:11]
	s_cbranch_execz .LBB163_61
; %bb.60:                               ;   in Loop: Header=BB163_4 Depth=1
	v_cmp_lt_u32_e32 vcc, 63, v39
	v_cndmask_b32_e32 v2, 0, v33, vcc
	v_add_u32_e32 v2, v2, v39
	v_cmp_lt_u32_e64 s[10:11], 31, v2
	v_cndmask_b32_e64 v8, 0, v34, s[10:11]
	v_add_u32_e32 v2, v8, v2
	v_cmp_lt_u32_e64 s[12:13], 31, v2
	v_cndmask_b32_e64 v8, 0, v34, s[12:13]
	v_mad_u64_u32 v[40:41], s[14:15], v38, s50, 0
	v_add_u32_e32 v8, v8, v2
	v_mov_b32_e32 v2, v41
	v_mad_u64_u32 v[42:43], s[14:15], v38, s51, v[2:3]
	v_mov_b32_e32 v2, v43
	v_mad_u64_u32 v[44:45], s[14:15], v38, s52, v[2:3]
	v_mov_b32_e32 v2, v45
	v_mad_u64_u32 v[46:47], s[14:15], v38, s53, v[2:3]
	v_mov_b32_e32 v2, v47
	v_mad_u64_u32 v[48:49], s[14:15], v38, s54, v[2:3]
	v_mov_b32_e32 v2, v49
	v_mad_u64_u32 v[50:51], s[14:15], v38, s55, v[2:3]
	v_mov_b32_e32 v2, v51
	v_mad_u64_u32 v[52:53], s[14:15], v38, s56, v[2:3]
	v_cndmask_b32_e32 v10, v50, v46, vcc
	v_cndmask_b32_e32 v2, v52, v48, vcc
	;; [unrolled: 1-line block ×3, first 2 shown]
	v_cndmask_b32_e64 v41, v2, v10, s[10:11]
	v_cndmask_b32_e64 v2, v43, v2, s[10:11]
	v_cndmask_b32_e32 v43, v48, v44, vcc
	v_cndmask_b32_e64 v10, v10, v43, s[10:11]
	v_sub_u32_e32 v45, 32, v8
	v_cmp_eq_u32_e64 s[14:15], 0, v8
	v_cndmask_b32_e32 v8, v46, v42, vcc
	v_cndmask_b32_e64 v2, v2, v41, s[12:13]
	v_cndmask_b32_e64 v41, v41, v10, s[12:13]
	;; [unrolled: 1-line block ×3, first 2 shown]
	v_alignbit_b32 v47, v2, v41, v45
	v_cndmask_b32_e64 v10, v10, v42, s[12:13]
	v_cndmask_b32_e32 v40, v44, v40, vcc
	v_cndmask_b32_e64 v2, v47, v2, s[14:15]
	v_alignbit_b32 v43, v41, v10, v45
	v_cndmask_b32_e64 v8, v8, v40, s[10:11]
	v_cndmask_b32_e64 v41, v43, v41, s[14:15]
	v_bfe_u32 v47, v2, 29, 1
	v_cndmask_b32_e64 v8, v42, v8, s[12:13]
	v_alignbit_b32 v43, v2, v41, 30
	v_sub_u32_e32 v48, 0, v47
	v_alignbit_b32 v40, v10, v8, v45
	v_xor_b32_e32 v49, v43, v48
	v_cndmask_b32_e64 v10, v40, v10, s[14:15]
	v_alignbit_b32 v40, v41, v10, 30
	v_ffbh_u32_e32 v41, v49
	v_add_u32_e32 v41, 1, v41
	v_cmp_ne_u32_e32 vcc, v43, v48
	v_cndmask_b32_e32 v41, 33, v41, vcc
	v_alignbit_b32 v8, v10, v8, 30
	v_xor_b32_e32 v40, v40, v48
	v_sub_u32_e32 v42, 32, v41
	v_xor_b32_e32 v8, v8, v48
	v_alignbit_b32 v43, v49, v40, v42
	v_alignbit_b32 v8, v40, v8, v42
	;; [unrolled: 1-line block ×3, first 2 shown]
	v_ffbh_u32_e32 v40, v10
	v_min_u32_e32 v40, 32, v40
	v_lshrrev_b32_e32 v46, 29, v2
	v_sub_u32_e32 v42, 31, v40
	v_alignbit_b32 v8, v10, v8, v42
	v_lshlrev_b32_e32 v10, 31, v46
	v_or_b32_e32 v42, 0x33800000, v10
	v_add_lshl_u32 v40, v40, v41, 23
	v_lshrrev_b32_e32 v8, 9, v8
	v_sub_u32_e32 v40, v42, v40
	v_or_b32_e32 v8, v40, v8
	v_alignbit_b32 v40, v41, v43, 9
	v_or_b32_e32 v10, v40, v10
	v_xor_b32_e32 v10, 1.0, v10
	v_mul_f32_e32 v40, 0x3fc90fda, v10
	v_fma_f32 v41, v10, s57, -v40
	v_fmac_f32_e32 v41, 0x33a22168, v10
	v_fmac_f32_e32 v41, 0x3fc90fda, v8
	v_lshrrev_b32_e32 v2, 30, v2
	v_add_f32_e32 v10, v40, v41
	v_add_u32_e32 v8, v47, v2
	s_andn2_saveexec_b64 s[10:11], s[38:39]
	s_branch .LBB163_62
.LBB163_61:                             ;   in Loop: Header=BB163_4 Depth=1
	s_andn2_saveexec_b64 s[10:11], s[38:39]
.LBB163_62:                             ;   in Loop: Header=BB163_4 Depth=1
	v_mul_f32_e64 v2, |v17|, s58
	v_rndne_f32_e32 v2, v2
	v_cvt_i32_f32_e32 v8, v2
	v_fma_f32 v10, v2, s59, |v17|
	v_fmac_f32_e32 v10, 0xb3a22168, v2
	v_fmac_f32_e32 v10, 0xa7c234c4, v2
; %bb.63:                               ;   in Loop: Header=BB163_4 Depth=1
	s_or_b64 exec, exec, s[10:11]
                                        ; implicit-def: $vgpr2
                                        ; implicit-def: $vgpr40
	s_and_saveexec_b64 s[10:11], s[36:37]
	s_xor_b64 s[36:37], exec, s[10:11]
	s_cbranch_execz .LBB163_65
; %bb.64:                               ;   in Loop: Header=BB163_4 Depth=1
	v_cmp_lt_u32_e32 vcc, 63, v39
	v_cndmask_b32_e32 v2, 0, v33, vcc
	v_add_u32_e32 v2, v2, v39
	v_cmp_lt_u32_e64 s[10:11], 31, v2
	v_cndmask_b32_e64 v39, 0, v34, s[10:11]
	v_add_u32_e32 v2, v39, v2
	v_cmp_lt_u32_e64 s[12:13], 31, v2
	v_cndmask_b32_e64 v39, 0, v34, s[12:13]
	v_mad_u64_u32 v[40:41], s[14:15], v38, s50, 0
	v_add_u32_e32 v52, v39, v2
	v_mov_b32_e32 v2, v41
	v_mad_u64_u32 v[42:43], s[14:15], v38, s51, v[2:3]
	v_mov_b32_e32 v2, v43
	v_mad_u64_u32 v[44:45], s[14:15], v38, s52, v[2:3]
	;; [unrolled: 2-line block ×6, first 2 shown]
	v_cndmask_b32_e32 v41, v50, v46, vcc
	v_cndmask_b32_e32 v2, v38, v48, vcc
	;; [unrolled: 1-line block ×3, first 2 shown]
	v_cndmask_b32_e64 v38, v2, v41, s[10:11]
	v_cndmask_b32_e64 v2, v39, v2, s[10:11]
	v_cndmask_b32_e32 v39, v48, v44, vcc
	v_cndmask_b32_e64 v41, v41, v39, s[10:11]
	v_cndmask_b32_e32 v42, v46, v42, vcc
	v_cndmask_b32_e64 v2, v2, v38, s[12:13]
	v_cndmask_b32_e64 v38, v38, v41, s[12:13]
	v_sub_u32_e32 v43, 32, v52
	v_cndmask_b32_e64 v39, v39, v42, s[10:11]
	v_alignbit_b32 v45, v2, v38, v43
	v_cmp_eq_u32_e64 s[14:15], 0, v52
	v_cndmask_b32_e64 v41, v41, v39, s[12:13]
	v_cndmask_b32_e64 v2, v45, v2, s[14:15]
	v_alignbit_b32 v45, v38, v41, v43
	v_cndmask_b32_e32 v40, v44, v40, vcc
	v_cndmask_b32_e64 v38, v45, v38, s[14:15]
	v_bfe_u32 v47, v2, 29, 1
	v_cndmask_b32_e64 v40, v42, v40, s[10:11]
	v_alignbit_b32 v45, v2, v38, 30
	v_sub_u32_e32 v48, 0, v47
	v_cndmask_b32_e64 v39, v39, v40, s[12:13]
	v_xor_b32_e32 v49, v45, v48
	v_alignbit_b32 v40, v41, v39, v43
	v_cndmask_b32_e64 v40, v40, v41, s[14:15]
	v_ffbh_u32_e32 v41, v49
	v_add_u32_e32 v41, 1, v41
	v_cmp_ne_u32_e32 vcc, v45, v48
	v_alignbit_b32 v38, v38, v40, 30
	v_cndmask_b32_e32 v41, 33, v41, vcc
	v_alignbit_b32 v39, v40, v39, 30
	v_xor_b32_e32 v38, v38, v48
	v_sub_u32_e32 v42, 32, v41
	v_xor_b32_e32 v39, v39, v48
	v_alignbit_b32 v43, v49, v38, v42
	v_alignbit_b32 v38, v38, v39, v42
	;; [unrolled: 1-line block ×3, first 2 shown]
	v_ffbh_u32_e32 v40, v39
	v_min_u32_e32 v40, 32, v40
	v_lshrrev_b32_e32 v46, 29, v2
	v_sub_u32_e32 v42, 31, v40
	v_alignbit_b32 v38, v39, v38, v42
	v_lshlrev_b32_e32 v39, 31, v46
	v_or_b32_e32 v42, 0x33800000, v39
	v_add_lshl_u32 v40, v40, v41, 23
	v_lshrrev_b32_e32 v38, 9, v38
	v_sub_u32_e32 v40, v42, v40
	v_or_b32_e32 v38, v40, v38
	v_alignbit_b32 v40, v41, v43, 9
	v_or_b32_e32 v39, v40, v39
	v_xor_b32_e32 v39, 1.0, v39
	v_mul_f32_e32 v40, 0x3fc90fda, v39
	v_fma_f32 v41, v39, s57, -v40
	v_fmac_f32_e32 v41, 0x33a22168, v39
	v_fmac_f32_e32 v41, 0x3fc90fda, v38
	v_lshrrev_b32_e32 v2, 30, v2
	v_add_f32_e32 v40, v40, v41
	v_add_u32_e32 v2, v47, v2
	s_andn2_saveexec_b64 s[10:11], s[36:37]
	s_cbranch_execnz .LBB163_66
	s_branch .LBB163_67
.LBB163_65:                             ;   in Loop: Header=BB163_4 Depth=1
	s_andn2_saveexec_b64 s[10:11], s[36:37]
.LBB163_66:                             ;   in Loop: Header=BB163_4 Depth=1
	v_mul_f32_e64 v2, |v17|, s58
	v_rndne_f32_e32 v38, v2
	v_cvt_i32_f32_e32 v2, v38
	v_fma_f32 v40, v38, s59, |v17|
	v_fmac_f32_e32 v40, 0xb3a22168, v38
	v_fmac_f32_e32 v40, 0xa7c234c4, v38
.LBB163_67:                             ;   in Loop: Header=BB163_4 Depth=1
	s_or_b64 exec, exec, s[10:11]
	v_mul_f32_e32 v38, v10, v10
	v_mov_b32_e32 v39, 0x3c0881c4
	v_fmac_f32_e32 v39, 0xb94c1982, v38
	v_fma_f32 v39, v38, v39, v30
	v_mul_f32_e32 v39, v38, v39
	v_fmac_f32_e32 v10, v10, v39
	v_mov_b32_e32 v39, 0xbab64f3b
	v_fmac_f32_e32 v39, 0x37d75334, v38
	v_fma_f32 v39, v38, v39, v31
	v_fma_f32 v39, v38, v39, v32
	v_fma_f32 v38, v38, v39, 1.0
	v_and_b32_e32 v39, 1, v8
	v_lshlrev_b32_e32 v8, 30, v8
	v_and_b32_e32 v8, 0x80000000, v8
	v_cmp_eq_u32_e32 vcc, 0, v39
	v_xor_b32_e32 v8, v37, v8
	v_mul_f32_e64 v37, |v16|, s64
	v_cndmask_b32_e32 v10, v38, v10, vcc
	v_rndne_f32_e32 v38, v37
	v_sub_f32_e32 v39, v37, v38
	v_fma_f32 v37, |v16|, s64, -v37
	v_fma_f32 v37, |v16|, s65, v37
	v_add_f32_e32 v37, v39, v37
	v_exp_f32_e32 v37, v37
	v_cvt_i32_f32_e32 v38, v38
	v_xor_b32_e32 v8, v8, v10
	v_xor_b32_e32 v8, v8, v17
	v_mul_f32_e32 v17, v40, v40
	v_ldexp_f32 v10, v37, v38
	v_mov_b32_e32 v37, 0x3c0881c4
	v_fmac_f32_e32 v37, 0xb94c1982, v17
	v_fma_f32 v37, v17, v37, v30
	v_mul_f32_e32 v37, v17, v37
	v_fmac_f32_e32 v40, v40, v37
	v_mov_b32_e32 v37, 0xbab64f3b
	v_fmac_f32_e32 v37, 0x37d75334, v17
	v_fma_f32 v37, v17, v37, v31
	v_cmp_ngt_f32_e64 vcc, |v16|, s66
	v_fma_f32 v37, v17, v37, v32
	v_cndmask_b32_e32 v10, 0, v10, vcc
	v_cmp_nlt_f32_e64 vcc, |v16|, s67
	v_fma_f32 v17, v17, v37, 1.0
	v_and_b32_e32 v37, 1, v2
	v_cndmask_b32_e32 v10, v35, v10, vcc
	v_cmp_eq_u32_e32 vcc, 0, v37
	v_lshlrev_b32_e32 v2, 30, v2
	v_cndmask_b32_e64 v17, -v40, v17, vcc
	v_and_b32_e32 v2, 0x80000000, v2
	v_mul_f32_e32 v8, 4.0, v8
	v_xor_b32_e32 v2, v2, v17
	v_mul_f32_e32 v2, v8, v2
	v_mul_f32_e32 v2, v10, v2
	v_bfi_b32 v16, s45, 1.0, v16
	v_mul_f32_e32 v17, v10, v2
.LBB163_68:                             ;   in Loop: Header=BB163_4 Depth=1
	s_or_b64 exec, exec, s[34:35]
.LBB163_69:                             ;   in Loop: Header=BB163_4 Depth=1
	s_andn2_saveexec_b64 s[10:11], s[30:31]
; %bb.70:                               ;   in Loop: Header=BB163_4 Depth=1
	v_sub_f32_e32 v17, v17, v17
	v_mov_b32_e32 v16, v17
; %bb.71:                               ;   in Loop: Header=BB163_4 Depth=1
	s_or_b64 exec, exec, s[10:11]
.LBB163_72:                             ;   in Loop: Header=BB163_4 Depth=1
	s_andn2_saveexec_b64 s[28:29], s[28:29]
	s_cbranch_execz .LBB163_88
; %bb.73:                               ;   in Loop: Header=BB163_4 Depth=1
	v_and_b32_e32 v2, 0x7fffff, v16
	v_cmp_ne_u32_e32 vcc, 0, v2
	s_and_saveexec_b64 s[10:11], vcc
	s_xor_b64 s[10:11], exec, s[10:11]
; %bb.74:                               ;   in Loop: Header=BB163_4 Depth=1
	v_mul_f32_e32 v2, v17, v16
	v_cmp_eq_f32_e32 vcc, 0, v17
	v_cndmask_b32_e32 v17, v2, v17, vcc
; %bb.75:                               ;   in Loop: Header=BB163_4 Depth=1
	s_andn2_saveexec_b64 s[30:31], s[10:11]
	s_cbranch_execz .LBB163_87
; %bb.76:                               ;   in Loop: Header=BB163_4 Depth=1
	v_cmp_neq_f32_e64 s[10:11], |v17|, s46
	s_and_saveexec_b64 s[34:35], s[10:11]
	s_cbranch_execz .LBB163_86
; %bb.77:                               ;   in Loop: Header=BB163_4 Depth=1
	v_and_b32_e32 v8, 0x7fffffff, v17
	v_lshrrev_b32_e32 v2, 23, v8
	v_and_b32_e32 v10, 0x7fffff, v8
	v_cmp_nlt_f32_e64 s[36:37], |v17|, s49
	v_add_u32_e32 v39, 0xffffff88, v2
	v_or_b32_e32 v38, 0x800000, v10
                                        ; implicit-def: $vgpr10
                                        ; implicit-def: $vgpr37
	s_and_saveexec_b64 s[10:11], s[36:37]
	s_xor_b64 s[38:39], exec, s[10:11]
	s_cbranch_execz .LBB163_79
; %bb.78:                               ;   in Loop: Header=BB163_4 Depth=1
	v_cmp_lt_u32_e32 vcc, 63, v39
	v_cndmask_b32_e32 v2, 0, v33, vcc
	v_add_u32_e32 v2, v2, v39
	v_cmp_lt_u32_e64 s[10:11], 31, v2
	v_cndmask_b32_e64 v10, 0, v34, s[10:11]
	v_add_u32_e32 v2, v10, v2
	v_cmp_lt_u32_e64 s[12:13], 31, v2
	v_cndmask_b32_e64 v10, 0, v34, s[12:13]
	v_mad_u64_u32 v[40:41], s[14:15], v38, s50, 0
	v_add_u32_e32 v10, v10, v2
	v_mov_b32_e32 v2, v41
	v_mad_u64_u32 v[42:43], s[14:15], v38, s51, v[2:3]
	v_mov_b32_e32 v2, v43
	v_mad_u64_u32 v[44:45], s[14:15], v38, s52, v[2:3]
	;; [unrolled: 2-line block ×6, first 2 shown]
	v_cndmask_b32_e32 v37, v50, v46, vcc
	v_cndmask_b32_e32 v2, v52, v48, vcc
	v_cndmask_b32_e32 v43, v53, v50, vcc
	v_cndmask_b32_e64 v41, v2, v37, s[10:11]
	v_cndmask_b32_e64 v2, v43, v2, s[10:11]
	v_cndmask_b32_e32 v43, v48, v44, vcc
	v_cndmask_b32_e64 v37, v37, v43, s[10:11]
	v_sub_u32_e32 v45, 32, v10
	v_cmp_eq_u32_e64 s[14:15], 0, v10
	v_cndmask_b32_e32 v10, v46, v42, vcc
	v_cndmask_b32_e64 v2, v2, v41, s[12:13]
	v_cndmask_b32_e64 v41, v41, v37, s[12:13]
	;; [unrolled: 1-line block ×3, first 2 shown]
	v_alignbit_b32 v47, v2, v41, v45
	v_cndmask_b32_e64 v37, v37, v42, s[12:13]
	v_cndmask_b32_e32 v40, v44, v40, vcc
	v_cndmask_b32_e64 v2, v47, v2, s[14:15]
	v_alignbit_b32 v43, v41, v37, v45
	v_cndmask_b32_e64 v10, v10, v40, s[10:11]
	v_cndmask_b32_e64 v41, v43, v41, s[14:15]
	v_bfe_u32 v47, v2, 29, 1
	v_cndmask_b32_e64 v10, v42, v10, s[12:13]
	v_alignbit_b32 v43, v2, v41, 30
	v_sub_u32_e32 v48, 0, v47
	v_alignbit_b32 v40, v37, v10, v45
	v_xor_b32_e32 v49, v43, v48
	v_cndmask_b32_e64 v37, v40, v37, s[14:15]
	v_alignbit_b32 v40, v41, v37, 30
	v_ffbh_u32_e32 v41, v49
	v_add_u32_e32 v41, 1, v41
	v_cmp_ne_u32_e32 vcc, v43, v48
	v_cndmask_b32_e32 v41, 33, v41, vcc
	v_alignbit_b32 v10, v37, v10, 30
	v_xor_b32_e32 v40, v40, v48
	v_sub_u32_e32 v42, 32, v41
	v_xor_b32_e32 v10, v10, v48
	v_alignbit_b32 v43, v49, v40, v42
	v_alignbit_b32 v10, v40, v10, v42
	;; [unrolled: 1-line block ×3, first 2 shown]
	v_ffbh_u32_e32 v40, v37
	v_min_u32_e32 v40, 32, v40
	v_lshrrev_b32_e32 v46, 29, v2
	v_sub_u32_e32 v42, 31, v40
	v_alignbit_b32 v10, v37, v10, v42
	v_lshlrev_b32_e32 v37, 31, v46
	v_or_b32_e32 v42, 0x33800000, v37
	v_add_lshl_u32 v40, v40, v41, 23
	v_lshrrev_b32_e32 v10, 9, v10
	v_sub_u32_e32 v40, v42, v40
	v_or_b32_e32 v10, v40, v10
	v_alignbit_b32 v40, v41, v43, 9
	v_or_b32_e32 v37, v40, v37
	v_xor_b32_e32 v37, 1.0, v37
	v_mul_f32_e32 v40, 0x3fc90fda, v37
	v_fma_f32 v41, v37, s57, -v40
	v_fmac_f32_e32 v41, 0x33a22168, v37
	v_fmac_f32_e32 v41, 0x3fc90fda, v10
	v_lshrrev_b32_e32 v2, 30, v2
	v_add_f32_e32 v37, v40, v41
	v_add_u32_e32 v10, v47, v2
.LBB163_79:                             ;   in Loop: Header=BB163_4 Depth=1
	s_or_saveexec_b64 s[10:11], s[38:39]
	v_mul_f32_e64 v2, |v17|, s58
	v_rndne_f32_e32 v41, v2
	s_xor_b64 exec, exec, s[10:11]
; %bb.80:                               ;   in Loop: Header=BB163_4 Depth=1
	v_cvt_i32_f32_e32 v10, v41
	v_fma_f32 v37, v41, s59, |v17|
	v_fmac_f32_e32 v37, 0xb3a22168, v41
	v_fmac_f32_e32 v37, 0xa7c234c4, v41
; %bb.81:                               ;   in Loop: Header=BB163_4 Depth=1
	s_or_b64 exec, exec, s[10:11]
                                        ; implicit-def: $vgpr2
                                        ; implicit-def: $vgpr40
	s_and_saveexec_b64 s[10:11], s[36:37]
	s_xor_b64 s[36:37], exec, s[10:11]
	s_cbranch_execz .LBB163_83
; %bb.82:                               ;   in Loop: Header=BB163_4 Depth=1
	v_cmp_lt_u32_e32 vcc, 63, v39
	v_cndmask_b32_e32 v2, 0, v33, vcc
	v_add_u32_e32 v2, v2, v39
	v_cmp_lt_u32_e64 s[10:11], 31, v2
	v_cndmask_b32_e64 v39, 0, v34, s[10:11]
	v_add_u32_e32 v2, v39, v2
	v_cmp_lt_u32_e64 s[12:13], 31, v2
	v_cndmask_b32_e64 v39, 0, v34, s[12:13]
	v_mad_u64_u32 v[40:41], s[14:15], v38, s50, 0
	v_add_u32_e32 v52, v39, v2
	v_mov_b32_e32 v2, v41
	v_mad_u64_u32 v[42:43], s[14:15], v38, s51, v[2:3]
	v_mov_b32_e32 v2, v43
	v_mad_u64_u32 v[44:45], s[14:15], v38, s52, v[2:3]
	v_mov_b32_e32 v2, v45
	v_mad_u64_u32 v[46:47], s[14:15], v38, s53, v[2:3]
	v_mov_b32_e32 v2, v47
	v_mad_u64_u32 v[48:49], s[14:15], v38, s54, v[2:3]
	v_mov_b32_e32 v2, v49
	v_mad_u64_u32 v[50:51], s[14:15], v38, s55, v[2:3]
	v_mov_b32_e32 v2, v51
	v_mad_u64_u32 v[38:39], s[14:15], v38, s56, v[2:3]
	v_cndmask_b32_e32 v41, v50, v46, vcc
	v_cndmask_b32_e32 v2, v38, v48, vcc
	;; [unrolled: 1-line block ×3, first 2 shown]
	v_cndmask_b32_e64 v38, v2, v41, s[10:11]
	v_cndmask_b32_e64 v2, v39, v2, s[10:11]
	v_cndmask_b32_e32 v39, v48, v44, vcc
	v_cndmask_b32_e64 v41, v41, v39, s[10:11]
	v_cndmask_b32_e32 v42, v46, v42, vcc
	v_cndmask_b32_e64 v2, v2, v38, s[12:13]
	v_cndmask_b32_e64 v38, v38, v41, s[12:13]
	v_sub_u32_e32 v43, 32, v52
	v_cndmask_b32_e64 v39, v39, v42, s[10:11]
	v_alignbit_b32 v45, v2, v38, v43
	v_cmp_eq_u32_e64 s[14:15], 0, v52
	v_cndmask_b32_e64 v41, v41, v39, s[12:13]
	v_cndmask_b32_e64 v2, v45, v2, s[14:15]
	v_alignbit_b32 v45, v38, v41, v43
	v_cndmask_b32_e32 v40, v44, v40, vcc
	v_cndmask_b32_e64 v38, v45, v38, s[14:15]
	v_bfe_u32 v47, v2, 29, 1
	v_cndmask_b32_e64 v40, v42, v40, s[10:11]
	v_alignbit_b32 v45, v2, v38, 30
	v_sub_u32_e32 v48, 0, v47
	v_cndmask_b32_e64 v39, v39, v40, s[12:13]
	v_xor_b32_e32 v49, v45, v48
	v_alignbit_b32 v40, v41, v39, v43
	v_cndmask_b32_e64 v40, v40, v41, s[14:15]
	v_ffbh_u32_e32 v41, v49
	v_add_u32_e32 v41, 1, v41
	v_cmp_ne_u32_e32 vcc, v45, v48
	v_alignbit_b32 v38, v38, v40, 30
	v_cndmask_b32_e32 v41, 33, v41, vcc
	v_alignbit_b32 v39, v40, v39, 30
	v_xor_b32_e32 v38, v38, v48
	v_sub_u32_e32 v42, 32, v41
	v_xor_b32_e32 v39, v39, v48
	v_alignbit_b32 v43, v49, v38, v42
	v_alignbit_b32 v38, v38, v39, v42
	;; [unrolled: 1-line block ×3, first 2 shown]
	v_ffbh_u32_e32 v40, v39
	v_min_u32_e32 v40, 32, v40
	v_lshrrev_b32_e32 v46, 29, v2
	v_sub_u32_e32 v42, 31, v40
	v_alignbit_b32 v38, v39, v38, v42
	v_lshlrev_b32_e32 v39, 31, v46
	v_or_b32_e32 v42, 0x33800000, v39
	v_add_lshl_u32 v40, v40, v41, 23
	v_lshrrev_b32_e32 v38, 9, v38
	v_sub_u32_e32 v40, v42, v40
	v_or_b32_e32 v38, v40, v38
	v_alignbit_b32 v40, v41, v43, 9
	v_or_b32_e32 v39, v40, v39
	v_xor_b32_e32 v39, 1.0, v39
	v_mul_f32_e32 v40, 0x3fc90fda, v39
	v_fma_f32 v41, v39, s57, -v40
	v_fmac_f32_e32 v41, 0x33a22168, v39
	v_fmac_f32_e32 v41, 0x3fc90fda, v38
	v_lshrrev_b32_e32 v2, 30, v2
	v_add_f32_e32 v40, v40, v41
	v_add_u32_e32 v2, v47, v2
                                        ; implicit-def: $vgpr41
	s_andn2_saveexec_b64 s[10:11], s[36:37]
	s_cbranch_execnz .LBB163_84
	s_branch .LBB163_85
.LBB163_83:                             ;   in Loop: Header=BB163_4 Depth=1
	s_andn2_saveexec_b64 s[10:11], s[36:37]
.LBB163_84:                             ;   in Loop: Header=BB163_4 Depth=1
	v_cvt_i32_f32_e32 v2, v41
	v_fma_f32 v40, v41, s59, |v17|
	v_fmac_f32_e32 v40, 0xb3a22168, v41
	v_fmac_f32_e32 v40, 0xa7c234c4, v41
.LBB163_85:                             ;   in Loop: Header=BB163_4 Depth=1
	s_or_b64 exec, exec, s[10:11]
	v_mul_f32_e32 v38, v37, v37
	v_mov_b32_e32 v39, 0x3c0881c4
	v_fmac_f32_e32 v39, 0xb94c1982, v38
	v_fma_f32 v39, v38, v39, v30
	v_mul_f32_e32 v39, v38, v39
	v_fmac_f32_e32 v37, v37, v39
	v_mov_b32_e32 v39, 0xbab64f3b
	v_fmac_f32_e32 v39, 0x37d75334, v38
	v_fma_f32 v39, v38, v39, v31
	v_fma_f32 v39, v38, v39, v32
	v_fma_f32 v38, v38, v39, 1.0
	v_and_b32_e32 v39, 1, v10
	v_lshlrev_b32_e32 v10, 30, v10
	v_cmp_eq_u32_e32 vcc, 0, v39
	v_and_b32_e32 v10, 0x80000000, v10
	v_cndmask_b32_e32 v37, v38, v37, vcc
	v_xor_b32_e32 v8, v8, v10
	v_xor_b32_e32 v8, v8, v37
	v_mul_f32_e32 v10, v40, v40
	v_mov_b32_e32 v37, 0x3c0881c4
	v_fmac_f32_e32 v37, 0xb94c1982, v10
	v_fma_f32 v37, v10, v37, v30
	v_mul_f32_e32 v37, v10, v37
	v_fmac_f32_e32 v40, v40, v37
	v_mov_b32_e32 v37, 0xbab64f3b
	v_fmac_f32_e32 v37, 0x37d75334, v10
	v_fma_f32 v37, v10, v37, v31
	v_fma_f32 v37, v10, v37, v32
	v_fma_f32 v10, v10, v37, 1.0
	v_and_b32_e32 v37, 1, v2
	v_cmp_eq_u32_e32 vcc, 0, v37
	v_lshlrev_b32_e32 v2, 30, v2
	v_cndmask_b32_e64 v10, -v40, v10, vcc
	v_and_b32_e32 v2, 0x80000000, v2
	v_xor_b32_e32 v8, v8, v17
	v_xor_b32_e32 v2, v2, v10
	v_mul_f32_e32 v2, v8, v2
	v_cmp_class_f32_e64 vcc, v17, s47
	v_cndmask_b32_e32 v17, v36, v2, vcc
.LBB163_86:                             ;   in Loop: Header=BB163_4 Depth=1
	s_or_b64 exec, exec, s[34:35]
	v_add_u32_e32 v16, -2.0, v16
	v_bfi_b32 v17, s45, 0, v17
.LBB163_87:                             ;   in Loop: Header=BB163_4 Depth=1
	s_or_b64 exec, exec, s[30:31]
.LBB163_88:                             ;   in Loop: Header=BB163_4 Depth=1
	s_or_b64 exec, exec, s[28:29]
	v_and_b32_e32 v8, 0x7fffffff, v14
	v_cmp_gt_u32_e32 vcc, s46, v8
	s_and_saveexec_b64 s[10:11], vcc
	s_xor_b64 s[28:29], exec, s[10:11]
	s_cbranch_execz .LBB163_110
; %bb.89:                               ;   in Loop: Header=BB163_4 Depth=1
	v_cmp_class_f32_e64 s[10:11], v15, s47
	s_and_saveexec_b64 s[12:13], s[10:11]
	s_xor_b64 s[30:31], exec, s[12:13]
	s_cbranch_execz .LBB163_107
; %bb.90:                               ;   in Loop: Header=BB163_4 Depth=1
	v_and_b32_e32 v37, 0x7fffffff, v15
	v_cmp_gt_u32_e32 vcc, s48, v8
	s_and_saveexec_b64 s[10:11], vcc
	s_xor_b64 s[34:35], exec, s[10:11]
	s_cbranch_execz .LBB163_96
; %bb.91:                               ;   in Loop: Header=BB163_4 Depth=1
	v_cmp_nlt_f32_e64 s[10:11], |v15|, s49
                                        ; implicit-def: $vgpr10
                                        ; implicit-def: $vgpr2
	s_and_saveexec_b64 s[12:13], s[10:11]
	s_xor_b64 s[36:37], exec, s[12:13]
	s_cbranch_execz .LBB163_93
; %bb.92:                               ;   in Loop: Header=BB163_4 Depth=1
	v_lshrrev_b32_e32 v2, 23, v37
	v_add_u32_e32 v2, 0xffffff88, v2
	v_cmp_lt_u32_e32 vcc, 63, v2
	v_cndmask_b32_e32 v10, 0, v33, vcc
	v_add_u32_e32 v2, v10, v2
	v_cmp_lt_u32_e64 s[10:11], 31, v2
	v_cndmask_b32_e64 v10, 0, v34, s[10:11]
	v_add_u32_e32 v2, v10, v2
	v_cmp_lt_u32_e64 s[12:13], 31, v2
	v_cndmask_b32_e64 v10, 0, v34, s[12:13]
	v_add_u32_e32 v10, v10, v2
	v_and_b32_e32 v2, 0x7fffff, v37
	v_or_b32_e32 v50, 0x800000, v2
	v_mad_u64_u32 v[38:39], s[14:15], v50, s50, 0
	v_mov_b32_e32 v2, v39
	v_mad_u64_u32 v[40:41], s[14:15], v50, s51, v[2:3]
	v_mov_b32_e32 v2, v41
	;; [unrolled: 2-line block ×6, first 2 shown]
	v_mad_u64_u32 v[50:51], s[14:15], v50, s56, v[2:3]
	v_cndmask_b32_e32 v39, v48, v44, vcc
	v_cndmask_b32_e32 v2, v50, v46, vcc
	;; [unrolled: 1-line block ×3, first 2 shown]
	v_cndmask_b32_e64 v41, v2, v39, s[10:11]
	v_cndmask_b32_e64 v2, v43, v2, s[10:11]
	v_cndmask_b32_e32 v43, v46, v42, vcc
	v_cndmask_b32_e64 v39, v39, v43, s[10:11]
	v_cndmask_b32_e64 v2, v2, v41, s[12:13]
	v_cndmask_b32_e64 v41, v41, v39, s[12:13]
	v_sub_u32_e32 v45, 32, v10
	v_alignbit_b32 v46, v2, v41, v45
	v_cmp_eq_u32_e64 s[14:15], 0, v10
	v_cndmask_b32_e64 v10, v46, v2, s[14:15]
	v_cndmask_b32_e32 v2, v44, v40, vcc
	v_cndmask_b32_e64 v40, v43, v2, s[10:11]
	v_cndmask_b32_e64 v39, v39, v40, s[12:13]
	v_alignbit_b32 v43, v41, v39, v45
	v_cndmask_b32_e64 v41, v43, v41, s[14:15]
	v_bfe_u32 v46, v10, 29, 1
	v_cndmask_b32_e32 v38, v42, v38, vcc
	v_alignbit_b32 v43, v10, v41, 30
	v_sub_u32_e32 v47, 0, v46
	v_cndmask_b32_e64 v2, v2, v38, s[10:11]
	v_xor_b32_e32 v48, v43, v47
	v_cndmask_b32_e64 v2, v40, v2, s[12:13]
	v_alignbit_b32 v38, v39, v2, v45
	v_ffbh_u32_e32 v40, v48
	v_cndmask_b32_e64 v38, v38, v39, s[14:15]
	v_add_u32_e32 v40, 1, v40
	v_cmp_ne_u32_e32 vcc, v43, v47
	v_alignbit_b32 v39, v41, v38, 30
	v_cndmask_b32_e32 v40, 33, v40, vcc
	v_alignbit_b32 v2, v38, v2, 30
	v_xor_b32_e32 v39, v39, v47
	v_sub_u32_e32 v41, 32, v40
	v_xor_b32_e32 v2, v2, v47
	v_alignbit_b32 v42, v48, v39, v41
	v_alignbit_b32 v2, v39, v2, v41
	;; [unrolled: 1-line block ×3, first 2 shown]
	v_ffbh_u32_e32 v39, v38
	v_min_u32_e32 v39, 32, v39
	v_lshrrev_b32_e32 v44, 29, v10
	v_sub_u32_e32 v41, 31, v39
	v_alignbit_b32 v2, v38, v2, v41
	v_lshlrev_b32_e32 v38, 31, v44
	v_or_b32_e32 v41, 0x33800000, v38
	v_add_lshl_u32 v39, v39, v40, 23
	v_lshrrev_b32_e32 v2, 9, v2
	v_sub_u32_e32 v39, v41, v39
	v_or_b32_e32 v2, v39, v2
	v_alignbit_b32 v39, v40, v42, 9
	v_or_b32_e32 v38, v39, v38
	v_xor_b32_e32 v38, 1.0, v38
	v_mul_f32_e32 v39, 0x3fc90fda, v38
	v_fma_f32 v40, v38, s57, -v39
	v_fmac_f32_e32 v40, 0x33a22168, v38
	v_fmac_f32_e32 v40, 0x3fc90fda, v2
	v_lshrrev_b32_e32 v10, 30, v10
	v_add_f32_e32 v2, v39, v40
	v_add_u32_e32 v10, v46, v10
.LBB163_93:                             ;   in Loop: Header=BB163_4 Depth=1
	s_andn2_saveexec_b64 s[10:11], s[36:37]
; %bb.94:                               ;   in Loop: Header=BB163_4 Depth=1
	v_mul_f32_e64 v2, |v15|, s58
	v_rndne_f32_e32 v38, v2
	v_cvt_i32_f32_e32 v10, v38
	v_fma_f32 v2, v38, s59, |v15|
	v_fmac_f32_e32 v2, 0xb3a22168, v38
	v_fmac_f32_e32 v2, 0xa7c234c4, v38
; %bb.95:                               ;   in Loop: Header=BB163_4 Depth=1
	s_or_b64 exec, exec, s[10:11]
	v_mul_f32_e32 v38, v2, v2
	v_mov_b32_e32 v39, 0xbf039337
	v_fmac_f32_e32 v39, 0x3c971480, v38
	v_fma_f32 v39, v38, v39, v25
	v_rcp_f32_e32 v39, v39
	v_mov_b32_e32 v40, 0x3ec54587
	v_fmac_f32_e32 v40, 0xbc8cedd3, v38
	v_and_b32_e32 v10, 1, v10
	v_mul_f32_e32 v39, v40, v39
	v_mul_f32_e32 v38, v38, v39
	v_fma_f32 v39, v38, v2, v2
	v_rcp_f32_e32 v40, v39
	v_sub_f32_e32 v41, v39, v2
	v_fma_f32 v2, v38, v2, -v41
	v_cmp_eq_u32_e32 vcc, 0, v10
	v_fma_f32 v38, v39, -v40, 1.0
	v_fma_f32 v2, v2, -v40, v38
	v_fma_f32 v2, v2, -v40, -v40
	v_add_f32_e64 v10, |v14|, s60
	v_cndmask_b32_e32 v2, v2, v39, vcc
	v_sub_f32_e64 v39, v10, |v14|
	v_sub_f32_e32 v38, v39, v10
	v_pk_add_f32 v[38:39], v[8:9], v[38:39]
	v_sub_f32_e32 v8, v38, v39
	v_add_f32_e32 v8, 0x3102e308, v8
	v_add_f32_e32 v38, v10, v8
	v_sub_f32_e32 v10, v10, v38
	v_add_f32_e32 v8, v8, v10
	v_mul_f32_e32 v10, 0x3fb8aa3b, v38
	v_rndne_f32_e32 v46, v10
	v_fmac_f32_e32 v38, 0xbf317200, v46
	v_add_f32_e32 v10, v8, v38
	v_sub_f32_e32 v38, v38, v10
	v_add_f32_e32 v8, v8, v38
	v_mul_f32_e32 v38, 0x35bfbc00, v46
	v_sub_f32_e32 v40, v10, v38
	v_sub_f32_e32 v10, v10, v40
	;; [unrolled: 1-line block ×3, first 2 shown]
	v_add_f32_e32 v8, v8, v10
	v_add_f32_e32 v41, v40, v8
	v_mul_f32_e32 v39, 0x2ea39ef3, v46
	v_mov_b32_e32 v38, v41
	v_pk_add_f32 v[42:43], v[40:41], v[38:39] neg_lo:[0,1] neg_hi:[0,1]
	v_sub_f32_e32 v10, v41, v43
	v_sub_f32_e32 v10, v10, v39
	v_add_f32_e32 v8, v8, v42
	v_add_f32_e32 v8, v8, v10
	;; [unrolled: 1-line block ×3, first 2 shown]
	v_sub_f32_e32 v39, v43, v38
	v_mov_b32_e32 v10, 0x3c091de6
	v_add_f32_e32 v8, v8, v39
	v_mul_f32_e32 v40, v38, v38
	v_fmac_f32_e32 v10, 0x3ab42872, v38
	v_add_f32_e32 v39, v8, v8
	v_fma_f32 v41, v38, v38, -v40
	v_fma_f32 v10, v38, v10, v26
	v_fmac_f32_e32 v41, v38, v39
	v_fma_f32 v10, v38, v10, v27
	v_add_f32_e32 v39, v40, v41
	v_fma_f32 v10, v38, v10, v28
	v_sub_f32_e32 v40, v39, v40
	v_sub_f32_e32 v40, v41, v40
	v_mul_f32_e32 v41, v10, v39
	v_fma_f32 v39, v39, v10, -v41
	v_fmac_f32_e32 v39, v40, v10
	v_add_f32_e32 v40, v41, v39
	v_sub_f32_e32 v10, v40, v41
	v_sub_f32_e32 v39, v39, v10
	v_add_f32_e32 v10, v38, v40
	v_sub_f32_e32 v38, v10, v38
	v_sub_f32_e32 v38, v40, v38
	v_add_f32_e32 v8, v8, v39
	v_add_f32_e32 v38, v8, v38
	;; [unrolled: 1-line block ×3, first 2 shown]
	v_add_f32_e32 v41, 1.0, v40
	v_pk_add_f32 v[42:43], v[40:41], v[10:11] neg_lo:[0,1] neg_hi:[0,1]
	v_pk_add_f32 v[44:45], v[40:41], s[26:27]
	v_mov_b32_e32 v43, v45
	v_mov_b32_e32 v39, v40
	v_cvt_i32_f32_e32 v8, v46
	v_pk_add_f32 v[38:39], v[38:39], v[42:43] neg_lo:[0,1] neg_hi:[0,1]
	v_add_f32_e32 v10, v38, v39
	v_add_f32_e32 v38, v41, v10
	v_ldexp_f32 v39, v38, v8
	v_rcp_f32_e32 v40, v39
	v_sub_f32_e32 v38, v38, v41
	v_sub_f32_e32 v10, v10, v38
	v_ldexp_f32 v8, v10, v8
	v_mul_f32_e32 v10, v39, v40
	v_fma_f32 v38, v40, v39, -v10
	v_fmac_f32_e32 v38, v40, v8
	v_add_f32_e32 v41, v10, v38
	v_sub_f32_e32 v42, 1.0, v41
	v_sub_f32_e32 v43, 1.0, v42
	v_sub_f32_e32 v10, v41, v10
	v_sub_f32_e32 v43, v43, v41
	;; [unrolled: 1-line block ×3, first 2 shown]
	v_add_f32_e32 v10, v10, v43
	v_add_f32_e32 v38, v42, v10
	v_mul_f32_e32 v41, v40, v38
	v_mul_f32_e32 v43, v39, v41
	v_fma_f32 v44, v41, v39, -v43
	v_fmac_f32_e32 v44, v41, v8
	v_sub_f32_e32 v42, v42, v38
	v_add_f32_e32 v10, v10, v42
	v_add_f32_e32 v42, v43, v44
	v_sub_f32_e32 v45, v38, v42
	v_sub_f32_e32 v38, v38, v45
	;; [unrolled: 1-line block ×4, first 2 shown]
	v_add_f32_e32 v10, v10, v38
	v_sub_f32_e32 v38, v43, v44
	v_add_f32_e32 v10, v38, v10
	v_add_f32_e32 v10, v45, v10
	;; [unrolled: 1-line block ×3, first 2 shown]
	v_mul_f32_e32 v10, v40, v10
	v_sub_f32_e32 v40, v38, v40
	v_sub_f32_e32 v40, v41, v40
	v_add_f32_e32 v10, v40, v10
	v_add_f32_e32 v40, v38, v10
	v_sub_f32_e32 v38, v40, v38
	v_sub_f32_e32 v10, v10, v38
	v_ldexp_f32 v38, v40, -2
	v_sub_f32_e32 v40, v39, v38
	v_sub_f32_e32 v39, v39, v40
	;; [unrolled: 1-line block ×3, first 2 shown]
	v_ldexp_f32 v10, v10, -2
	v_add_f32_e32 v8, v8, v38
	v_sub_f32_e32 v8, v8, v10
	v_add_f32_e32 v8, v40, v8
	v_cmp_ngt_f32_e64 vcc, |v14|, s61
	v_cndmask_b32_e32 v8, v35, v8, vcc
	v_cmp_lt_f32_e64 s[10:11], |v14|, s62
	v_cndmask_b32_e64 v8, v8, |v14|, s[10:11]
	v_bfi_b32 v8, s45, v8, v14
	v_fma_f32 v10, v8, v8, 1.0
	v_mul_f32_e32 v14, 0x4f800000, v10
	v_cmp_gt_f32_e32 vcc, s63, v10
	v_cndmask_b32_e32 v10, v10, v14, vcc
	v_sqrt_f32_e32 v14, v10
	v_xor_b32_e32 v2, v37, v2
	v_xor_b32_e32 v2, v2, v15
	v_fma_f32 v15, v2, v2, 1.0
	v_add_u32_e32 v37, -1, v14
	v_fma_f32 v38, -v37, v14, v10
	v_cmp_ge_f32_e64 s[10:11], 0, v38
	v_add_u32_e32 v38, 1, v14
	v_cndmask_b32_e64 v37, v14, v37, s[10:11]
	v_fma_f32 v14, -v38, v14, v10
	v_cmp_lt_f32_e64 s[10:11], 0, v14
	v_cndmask_b32_e64 v14, v37, v38, s[10:11]
	v_mul_f32_e32 v37, 0x37800000, v14
	v_cndmask_b32_e32 v14, v14, v37, vcc
	v_cmp_class_f32_e32 vcc, v10, v29
	v_cndmask_b32_e32 v10, v14, v10, vcc
	v_mul_f32_e32 v14, v8, v15
	v_mul_f32_e32 v10, v10, v15
	v_fma_f32 v37, v8, v14, 1.0
	v_mul_f32_e32 v8, v8, v10
	v_div_scale_f32 v10, s[10:11], v37, v37, v8
	v_rcp_f32_e32 v14, v10
	v_fma_f32 v15, -v10, v14, 1.0
	v_fmac_f32_e32 v14, v15, v14
	v_div_scale_f32 v15, vcc, v8, v37, v8
	v_mul_f32_e32 v38, v15, v14
	v_fma_f32 v39, -v10, v38, v15
	v_fmac_f32_e32 v38, v39, v14
	v_fma_f32 v10, -v10, v38, v15
	v_div_scale_f32 v15, s[10:11], v37, v37, v2
	v_rcp_f32_e32 v39, v15
	v_div_fmas_f32 v10, v10, v14, v38
	v_div_fixup_f32 v14, v10, v37, v8
	v_fma_f32 v8, -v15, v39, 1.0
	v_fmac_f32_e32 v39, v8, v39
	v_div_scale_f32 v8, vcc, v2, v37, v2
	v_mul_f32_e32 v10, v8, v39
	v_fma_f32 v38, -v15, v10, v8
	v_fmac_f32_e32 v10, v38, v39
	v_fma_f32 v8, -v15, v10, v8
	v_div_fmas_f32 v8, v8, v39, v10
	v_div_fixup_f32 v15, v8, v37, v2
                                        ; implicit-def: $vgpr37
.LBB163_96:                             ;   in Loop: Header=BB163_4 Depth=1
	s_andn2_saveexec_b64 s[34:35], s[34:35]
	s_cbranch_execz .LBB163_106
; %bb.97:                               ;   in Loop: Header=BB163_4 Depth=1
	v_lshrrev_b32_e32 v2, 23, v37
	v_and_b32_e32 v8, 0x7fffff, v37
	v_cmp_nlt_f32_e64 s[36:37], |v15|, s49
	v_add_u32_e32 v39, 0xffffff88, v2
	v_or_b32_e32 v38, 0x800000, v8
                                        ; implicit-def: $vgpr8
                                        ; implicit-def: $vgpr10
	s_and_saveexec_b64 s[10:11], s[36:37]
	s_xor_b64 s[38:39], exec, s[10:11]
	s_cbranch_execz .LBB163_99
; %bb.98:                               ;   in Loop: Header=BB163_4 Depth=1
	v_cmp_lt_u32_e32 vcc, 63, v39
	v_cndmask_b32_e32 v2, 0, v33, vcc
	v_add_u32_e32 v2, v2, v39
	v_cmp_lt_u32_e64 s[10:11], 31, v2
	v_cndmask_b32_e64 v8, 0, v34, s[10:11]
	v_add_u32_e32 v2, v8, v2
	v_cmp_lt_u32_e64 s[12:13], 31, v2
	v_cndmask_b32_e64 v8, 0, v34, s[12:13]
	v_mad_u64_u32 v[40:41], s[14:15], v38, s50, 0
	v_add_u32_e32 v8, v8, v2
	v_mov_b32_e32 v2, v41
	v_mad_u64_u32 v[42:43], s[14:15], v38, s51, v[2:3]
	v_mov_b32_e32 v2, v43
	v_mad_u64_u32 v[44:45], s[14:15], v38, s52, v[2:3]
	;; [unrolled: 2-line block ×6, first 2 shown]
	v_cndmask_b32_e32 v10, v50, v46, vcc
	v_cndmask_b32_e32 v2, v52, v48, vcc
	;; [unrolled: 1-line block ×3, first 2 shown]
	v_cndmask_b32_e64 v41, v2, v10, s[10:11]
	v_cndmask_b32_e64 v2, v43, v2, s[10:11]
	v_cndmask_b32_e32 v43, v48, v44, vcc
	v_cndmask_b32_e64 v10, v10, v43, s[10:11]
	v_sub_u32_e32 v45, 32, v8
	v_cmp_eq_u32_e64 s[14:15], 0, v8
	v_cndmask_b32_e32 v8, v46, v42, vcc
	v_cndmask_b32_e64 v2, v2, v41, s[12:13]
	v_cndmask_b32_e64 v41, v41, v10, s[12:13]
	;; [unrolled: 1-line block ×3, first 2 shown]
	v_alignbit_b32 v47, v2, v41, v45
	v_cndmask_b32_e64 v10, v10, v42, s[12:13]
	v_cndmask_b32_e32 v40, v44, v40, vcc
	v_cndmask_b32_e64 v2, v47, v2, s[14:15]
	v_alignbit_b32 v43, v41, v10, v45
	v_cndmask_b32_e64 v8, v8, v40, s[10:11]
	v_cndmask_b32_e64 v41, v43, v41, s[14:15]
	v_bfe_u32 v47, v2, 29, 1
	v_cndmask_b32_e64 v8, v42, v8, s[12:13]
	v_alignbit_b32 v43, v2, v41, 30
	v_sub_u32_e32 v48, 0, v47
	v_alignbit_b32 v40, v10, v8, v45
	v_xor_b32_e32 v49, v43, v48
	v_cndmask_b32_e64 v10, v40, v10, s[14:15]
	v_alignbit_b32 v40, v41, v10, 30
	v_ffbh_u32_e32 v41, v49
	v_add_u32_e32 v41, 1, v41
	v_cmp_ne_u32_e32 vcc, v43, v48
	v_cndmask_b32_e32 v41, 33, v41, vcc
	v_alignbit_b32 v8, v10, v8, 30
	v_xor_b32_e32 v40, v40, v48
	v_sub_u32_e32 v42, 32, v41
	v_xor_b32_e32 v8, v8, v48
	v_alignbit_b32 v43, v49, v40, v42
	v_alignbit_b32 v8, v40, v8, v42
	;; [unrolled: 1-line block ×3, first 2 shown]
	v_ffbh_u32_e32 v40, v10
	v_min_u32_e32 v40, 32, v40
	v_lshrrev_b32_e32 v46, 29, v2
	v_sub_u32_e32 v42, 31, v40
	v_alignbit_b32 v8, v10, v8, v42
	v_lshlrev_b32_e32 v10, 31, v46
	v_or_b32_e32 v42, 0x33800000, v10
	v_add_lshl_u32 v40, v40, v41, 23
	v_lshrrev_b32_e32 v8, 9, v8
	v_sub_u32_e32 v40, v42, v40
	v_or_b32_e32 v8, v40, v8
	v_alignbit_b32 v40, v41, v43, 9
	v_or_b32_e32 v10, v40, v10
	v_xor_b32_e32 v10, 1.0, v10
	v_mul_f32_e32 v40, 0x3fc90fda, v10
	v_fma_f32 v41, v10, s57, -v40
	v_fmac_f32_e32 v41, 0x33a22168, v10
	v_fmac_f32_e32 v41, 0x3fc90fda, v8
	v_lshrrev_b32_e32 v2, 30, v2
	v_add_f32_e32 v10, v40, v41
	v_add_u32_e32 v8, v47, v2
	s_andn2_saveexec_b64 s[10:11], s[38:39]
	s_branch .LBB163_100
.LBB163_99:                             ;   in Loop: Header=BB163_4 Depth=1
	s_andn2_saveexec_b64 s[10:11], s[38:39]
.LBB163_100:                            ;   in Loop: Header=BB163_4 Depth=1
	v_mul_f32_e64 v2, |v15|, s58
	v_rndne_f32_e32 v2, v2
	v_cvt_i32_f32_e32 v8, v2
	v_fma_f32 v10, v2, s59, |v15|
	v_fmac_f32_e32 v10, 0xb3a22168, v2
	v_fmac_f32_e32 v10, 0xa7c234c4, v2
; %bb.101:                              ;   in Loop: Header=BB163_4 Depth=1
	s_or_b64 exec, exec, s[10:11]
                                        ; implicit-def: $vgpr2
                                        ; implicit-def: $vgpr40
	s_and_saveexec_b64 s[10:11], s[36:37]
	s_xor_b64 s[36:37], exec, s[10:11]
	s_cbranch_execz .LBB163_103
; %bb.102:                              ;   in Loop: Header=BB163_4 Depth=1
	v_cmp_lt_u32_e32 vcc, 63, v39
	v_cndmask_b32_e32 v2, 0, v33, vcc
	v_add_u32_e32 v2, v2, v39
	v_cmp_lt_u32_e64 s[10:11], 31, v2
	v_cndmask_b32_e64 v39, 0, v34, s[10:11]
	v_add_u32_e32 v2, v39, v2
	v_cmp_lt_u32_e64 s[12:13], 31, v2
	v_cndmask_b32_e64 v39, 0, v34, s[12:13]
	v_mad_u64_u32 v[40:41], s[14:15], v38, s50, 0
	v_add_u32_e32 v52, v39, v2
	v_mov_b32_e32 v2, v41
	v_mad_u64_u32 v[42:43], s[14:15], v38, s51, v[2:3]
	v_mov_b32_e32 v2, v43
	v_mad_u64_u32 v[44:45], s[14:15], v38, s52, v[2:3]
	;; [unrolled: 2-line block ×6, first 2 shown]
	v_cndmask_b32_e32 v41, v50, v46, vcc
	v_cndmask_b32_e32 v2, v38, v48, vcc
	;; [unrolled: 1-line block ×3, first 2 shown]
	v_cndmask_b32_e64 v38, v2, v41, s[10:11]
	v_cndmask_b32_e64 v2, v39, v2, s[10:11]
	v_cndmask_b32_e32 v39, v48, v44, vcc
	v_cndmask_b32_e64 v41, v41, v39, s[10:11]
	v_cndmask_b32_e32 v42, v46, v42, vcc
	v_cndmask_b32_e64 v2, v2, v38, s[12:13]
	v_cndmask_b32_e64 v38, v38, v41, s[12:13]
	v_sub_u32_e32 v43, 32, v52
	v_cndmask_b32_e64 v39, v39, v42, s[10:11]
	v_alignbit_b32 v45, v2, v38, v43
	v_cmp_eq_u32_e64 s[14:15], 0, v52
	v_cndmask_b32_e64 v41, v41, v39, s[12:13]
	v_cndmask_b32_e64 v2, v45, v2, s[14:15]
	v_alignbit_b32 v45, v38, v41, v43
	v_cndmask_b32_e32 v40, v44, v40, vcc
	v_cndmask_b32_e64 v38, v45, v38, s[14:15]
	v_bfe_u32 v47, v2, 29, 1
	v_cndmask_b32_e64 v40, v42, v40, s[10:11]
	v_alignbit_b32 v45, v2, v38, 30
	v_sub_u32_e32 v48, 0, v47
	v_cndmask_b32_e64 v39, v39, v40, s[12:13]
	v_xor_b32_e32 v49, v45, v48
	v_alignbit_b32 v40, v41, v39, v43
	v_cndmask_b32_e64 v40, v40, v41, s[14:15]
	v_ffbh_u32_e32 v41, v49
	v_add_u32_e32 v41, 1, v41
	v_cmp_ne_u32_e32 vcc, v45, v48
	v_alignbit_b32 v38, v38, v40, 30
	v_cndmask_b32_e32 v41, 33, v41, vcc
	v_alignbit_b32 v39, v40, v39, 30
	v_xor_b32_e32 v38, v38, v48
	v_sub_u32_e32 v42, 32, v41
	v_xor_b32_e32 v39, v39, v48
	v_alignbit_b32 v43, v49, v38, v42
	v_alignbit_b32 v38, v38, v39, v42
	;; [unrolled: 1-line block ×3, first 2 shown]
	v_ffbh_u32_e32 v40, v39
	v_min_u32_e32 v40, 32, v40
	v_lshrrev_b32_e32 v46, 29, v2
	v_sub_u32_e32 v42, 31, v40
	v_alignbit_b32 v38, v39, v38, v42
	v_lshlrev_b32_e32 v39, 31, v46
	v_or_b32_e32 v42, 0x33800000, v39
	v_add_lshl_u32 v40, v40, v41, 23
	v_lshrrev_b32_e32 v38, 9, v38
	v_sub_u32_e32 v40, v42, v40
	v_or_b32_e32 v38, v40, v38
	v_alignbit_b32 v40, v41, v43, 9
	v_or_b32_e32 v39, v40, v39
	v_xor_b32_e32 v39, 1.0, v39
	v_mul_f32_e32 v40, 0x3fc90fda, v39
	v_fma_f32 v41, v39, s57, -v40
	v_fmac_f32_e32 v41, 0x33a22168, v39
	v_fmac_f32_e32 v41, 0x3fc90fda, v38
	v_lshrrev_b32_e32 v2, 30, v2
	v_add_f32_e32 v40, v40, v41
	v_add_u32_e32 v2, v47, v2
	s_andn2_saveexec_b64 s[10:11], s[36:37]
	s_cbranch_execnz .LBB163_104
	s_branch .LBB163_105
.LBB163_103:                            ;   in Loop: Header=BB163_4 Depth=1
	s_andn2_saveexec_b64 s[10:11], s[36:37]
.LBB163_104:                            ;   in Loop: Header=BB163_4 Depth=1
	v_mul_f32_e64 v2, |v15|, s58
	v_rndne_f32_e32 v38, v2
	v_cvt_i32_f32_e32 v2, v38
	v_fma_f32 v40, v38, s59, |v15|
	v_fmac_f32_e32 v40, 0xb3a22168, v38
	v_fmac_f32_e32 v40, 0xa7c234c4, v38
.LBB163_105:                            ;   in Loop: Header=BB163_4 Depth=1
	s_or_b64 exec, exec, s[10:11]
	v_mul_f32_e32 v38, v10, v10
	v_mov_b32_e32 v39, 0x3c0881c4
	v_fmac_f32_e32 v39, 0xb94c1982, v38
	v_fma_f32 v39, v38, v39, v30
	v_mul_f32_e32 v39, v38, v39
	v_fmac_f32_e32 v10, v10, v39
	v_mov_b32_e32 v39, 0xbab64f3b
	v_fmac_f32_e32 v39, 0x37d75334, v38
	v_fma_f32 v39, v38, v39, v31
	v_fma_f32 v39, v38, v39, v32
	v_fma_f32 v38, v38, v39, 1.0
	v_and_b32_e32 v39, 1, v8
	v_lshlrev_b32_e32 v8, 30, v8
	v_and_b32_e32 v8, 0x80000000, v8
	v_cmp_eq_u32_e32 vcc, 0, v39
	v_xor_b32_e32 v8, v37, v8
	v_mul_f32_e64 v37, |v14|, s64
	v_cndmask_b32_e32 v10, v38, v10, vcc
	v_rndne_f32_e32 v38, v37
	v_sub_f32_e32 v39, v37, v38
	v_fma_f32 v37, |v14|, s64, -v37
	v_fma_f32 v37, |v14|, s65, v37
	v_add_f32_e32 v37, v39, v37
	v_exp_f32_e32 v37, v37
	v_cvt_i32_f32_e32 v38, v38
	v_xor_b32_e32 v8, v8, v10
	v_xor_b32_e32 v8, v8, v15
	v_mul_f32_e32 v15, v40, v40
	v_ldexp_f32 v10, v37, v38
	v_mov_b32_e32 v37, 0x3c0881c4
	v_fmac_f32_e32 v37, 0xb94c1982, v15
	v_fma_f32 v37, v15, v37, v30
	v_mul_f32_e32 v37, v15, v37
	v_fmac_f32_e32 v40, v40, v37
	v_mov_b32_e32 v37, 0xbab64f3b
	v_fmac_f32_e32 v37, 0x37d75334, v15
	v_fma_f32 v37, v15, v37, v31
	v_cmp_ngt_f32_e64 vcc, |v14|, s66
	v_fma_f32 v37, v15, v37, v32
	v_cndmask_b32_e32 v10, 0, v10, vcc
	v_cmp_nlt_f32_e64 vcc, |v14|, s67
	v_fma_f32 v15, v15, v37, 1.0
	v_and_b32_e32 v37, 1, v2
	v_cndmask_b32_e32 v10, v35, v10, vcc
	v_cmp_eq_u32_e32 vcc, 0, v37
	v_lshlrev_b32_e32 v2, 30, v2
	v_cndmask_b32_e64 v15, -v40, v15, vcc
	v_and_b32_e32 v2, 0x80000000, v2
	v_mul_f32_e32 v8, 4.0, v8
	v_xor_b32_e32 v2, v2, v15
	v_mul_f32_e32 v2, v8, v2
	v_mul_f32_e32 v2, v10, v2
	v_bfi_b32 v14, s45, 1.0, v14
	v_mul_f32_e32 v15, v10, v2
.LBB163_106:                            ;   in Loop: Header=BB163_4 Depth=1
	s_or_b64 exec, exec, s[34:35]
.LBB163_107:                            ;   in Loop: Header=BB163_4 Depth=1
	s_andn2_saveexec_b64 s[10:11], s[30:31]
; %bb.108:                              ;   in Loop: Header=BB163_4 Depth=1
	v_sub_f32_e32 v15, v15, v15
	v_mov_b32_e32 v14, v15
; %bb.109:                              ;   in Loop: Header=BB163_4 Depth=1
	s_or_b64 exec, exec, s[10:11]
.LBB163_110:                            ;   in Loop: Header=BB163_4 Depth=1
	s_andn2_saveexec_b64 s[28:29], s[28:29]
	s_cbranch_execz .LBB163_126
; %bb.111:                              ;   in Loop: Header=BB163_4 Depth=1
	v_and_b32_e32 v2, 0x7fffff, v14
	v_cmp_ne_u32_e32 vcc, 0, v2
	s_and_saveexec_b64 s[10:11], vcc
	s_xor_b64 s[10:11], exec, s[10:11]
; %bb.112:                              ;   in Loop: Header=BB163_4 Depth=1
	v_mul_f32_e32 v2, v15, v14
	v_cmp_eq_f32_e32 vcc, 0, v15
	v_cndmask_b32_e32 v15, v2, v15, vcc
; %bb.113:                              ;   in Loop: Header=BB163_4 Depth=1
	s_andn2_saveexec_b64 s[30:31], s[10:11]
	s_cbranch_execz .LBB163_125
; %bb.114:                              ;   in Loop: Header=BB163_4 Depth=1
	v_cmp_neq_f32_e64 s[10:11], |v15|, s46
	s_and_saveexec_b64 s[34:35], s[10:11]
	s_cbranch_execz .LBB163_124
; %bb.115:                              ;   in Loop: Header=BB163_4 Depth=1
	v_and_b32_e32 v8, 0x7fffffff, v15
	v_lshrrev_b32_e32 v2, 23, v8
	v_and_b32_e32 v10, 0x7fffff, v8
	v_cmp_nlt_f32_e64 s[36:37], |v15|, s49
	v_add_u32_e32 v39, 0xffffff88, v2
	v_or_b32_e32 v38, 0x800000, v10
                                        ; implicit-def: $vgpr10
                                        ; implicit-def: $vgpr37
	s_and_saveexec_b64 s[10:11], s[36:37]
	s_xor_b64 s[38:39], exec, s[10:11]
	s_cbranch_execz .LBB163_117
; %bb.116:                              ;   in Loop: Header=BB163_4 Depth=1
	v_cmp_lt_u32_e32 vcc, 63, v39
	v_cndmask_b32_e32 v2, 0, v33, vcc
	v_add_u32_e32 v2, v2, v39
	v_cmp_lt_u32_e64 s[10:11], 31, v2
	v_cndmask_b32_e64 v10, 0, v34, s[10:11]
	v_add_u32_e32 v2, v10, v2
	v_cmp_lt_u32_e64 s[12:13], 31, v2
	v_cndmask_b32_e64 v10, 0, v34, s[12:13]
	v_mad_u64_u32 v[40:41], s[14:15], v38, s50, 0
	v_add_u32_e32 v10, v10, v2
	v_mov_b32_e32 v2, v41
	v_mad_u64_u32 v[42:43], s[14:15], v38, s51, v[2:3]
	v_mov_b32_e32 v2, v43
	v_mad_u64_u32 v[44:45], s[14:15], v38, s52, v[2:3]
	;; [unrolled: 2-line block ×6, first 2 shown]
	v_cndmask_b32_e32 v37, v50, v46, vcc
	v_cndmask_b32_e32 v2, v52, v48, vcc
	;; [unrolled: 1-line block ×3, first 2 shown]
	v_cndmask_b32_e64 v41, v2, v37, s[10:11]
	v_cndmask_b32_e64 v2, v43, v2, s[10:11]
	v_cndmask_b32_e32 v43, v48, v44, vcc
	v_cndmask_b32_e64 v37, v37, v43, s[10:11]
	v_sub_u32_e32 v45, 32, v10
	v_cmp_eq_u32_e64 s[14:15], 0, v10
	v_cndmask_b32_e32 v10, v46, v42, vcc
	v_cndmask_b32_e64 v2, v2, v41, s[12:13]
	v_cndmask_b32_e64 v41, v41, v37, s[12:13]
	;; [unrolled: 1-line block ×3, first 2 shown]
	v_alignbit_b32 v47, v2, v41, v45
	v_cndmask_b32_e64 v37, v37, v42, s[12:13]
	v_cndmask_b32_e32 v40, v44, v40, vcc
	v_cndmask_b32_e64 v2, v47, v2, s[14:15]
	v_alignbit_b32 v43, v41, v37, v45
	v_cndmask_b32_e64 v10, v10, v40, s[10:11]
	v_cndmask_b32_e64 v41, v43, v41, s[14:15]
	v_bfe_u32 v47, v2, 29, 1
	v_cndmask_b32_e64 v10, v42, v10, s[12:13]
	v_alignbit_b32 v43, v2, v41, 30
	v_sub_u32_e32 v48, 0, v47
	v_alignbit_b32 v40, v37, v10, v45
	v_xor_b32_e32 v49, v43, v48
	v_cndmask_b32_e64 v37, v40, v37, s[14:15]
	v_alignbit_b32 v40, v41, v37, 30
	v_ffbh_u32_e32 v41, v49
	v_add_u32_e32 v41, 1, v41
	v_cmp_ne_u32_e32 vcc, v43, v48
	v_cndmask_b32_e32 v41, 33, v41, vcc
	v_alignbit_b32 v10, v37, v10, 30
	v_xor_b32_e32 v40, v40, v48
	v_sub_u32_e32 v42, 32, v41
	v_xor_b32_e32 v10, v10, v48
	v_alignbit_b32 v43, v49, v40, v42
	v_alignbit_b32 v10, v40, v10, v42
	v_alignbit_b32 v37, v43, v10, 9
	v_ffbh_u32_e32 v40, v37
	v_min_u32_e32 v40, 32, v40
	v_lshrrev_b32_e32 v46, 29, v2
	v_sub_u32_e32 v42, 31, v40
	v_alignbit_b32 v10, v37, v10, v42
	v_lshlrev_b32_e32 v37, 31, v46
	v_or_b32_e32 v42, 0x33800000, v37
	v_add_lshl_u32 v40, v40, v41, 23
	v_lshrrev_b32_e32 v10, 9, v10
	v_sub_u32_e32 v40, v42, v40
	v_or_b32_e32 v10, v40, v10
	v_alignbit_b32 v40, v41, v43, 9
	v_or_b32_e32 v37, v40, v37
	v_xor_b32_e32 v37, 1.0, v37
	v_mul_f32_e32 v40, 0x3fc90fda, v37
	v_fma_f32 v41, v37, s57, -v40
	v_fmac_f32_e32 v41, 0x33a22168, v37
	v_fmac_f32_e32 v41, 0x3fc90fda, v10
	v_lshrrev_b32_e32 v2, 30, v2
	v_add_f32_e32 v37, v40, v41
	v_add_u32_e32 v10, v47, v2
.LBB163_117:                            ;   in Loop: Header=BB163_4 Depth=1
	s_or_saveexec_b64 s[10:11], s[38:39]
	v_mul_f32_e64 v2, |v15|, s58
	v_rndne_f32_e32 v41, v2
	s_xor_b64 exec, exec, s[10:11]
; %bb.118:                              ;   in Loop: Header=BB163_4 Depth=1
	v_cvt_i32_f32_e32 v10, v41
	v_fma_f32 v37, v41, s59, |v15|
	v_fmac_f32_e32 v37, 0xb3a22168, v41
	v_fmac_f32_e32 v37, 0xa7c234c4, v41
; %bb.119:                              ;   in Loop: Header=BB163_4 Depth=1
	s_or_b64 exec, exec, s[10:11]
                                        ; implicit-def: $vgpr2
                                        ; implicit-def: $vgpr40
	s_and_saveexec_b64 s[10:11], s[36:37]
	s_xor_b64 s[36:37], exec, s[10:11]
	s_cbranch_execz .LBB163_121
; %bb.120:                              ;   in Loop: Header=BB163_4 Depth=1
	v_cmp_lt_u32_e32 vcc, 63, v39
	v_cndmask_b32_e32 v2, 0, v33, vcc
	v_add_u32_e32 v2, v2, v39
	v_cmp_lt_u32_e64 s[10:11], 31, v2
	v_cndmask_b32_e64 v39, 0, v34, s[10:11]
	v_add_u32_e32 v2, v39, v2
	v_cmp_lt_u32_e64 s[12:13], 31, v2
	v_cndmask_b32_e64 v39, 0, v34, s[12:13]
	v_mad_u64_u32 v[40:41], s[14:15], v38, s50, 0
	v_add_u32_e32 v52, v39, v2
	v_mov_b32_e32 v2, v41
	v_mad_u64_u32 v[42:43], s[14:15], v38, s51, v[2:3]
	v_mov_b32_e32 v2, v43
	v_mad_u64_u32 v[44:45], s[14:15], v38, s52, v[2:3]
	;; [unrolled: 2-line block ×6, first 2 shown]
	v_cndmask_b32_e32 v41, v50, v46, vcc
	v_cndmask_b32_e32 v2, v38, v48, vcc
	;; [unrolled: 1-line block ×3, first 2 shown]
	v_cndmask_b32_e64 v38, v2, v41, s[10:11]
	v_cndmask_b32_e64 v2, v39, v2, s[10:11]
	v_cndmask_b32_e32 v39, v48, v44, vcc
	v_cndmask_b32_e64 v41, v41, v39, s[10:11]
	v_cndmask_b32_e32 v42, v46, v42, vcc
	v_cndmask_b32_e64 v2, v2, v38, s[12:13]
	v_cndmask_b32_e64 v38, v38, v41, s[12:13]
	v_sub_u32_e32 v43, 32, v52
	v_cndmask_b32_e64 v39, v39, v42, s[10:11]
	v_alignbit_b32 v45, v2, v38, v43
	v_cmp_eq_u32_e64 s[14:15], 0, v52
	v_cndmask_b32_e64 v41, v41, v39, s[12:13]
	v_cndmask_b32_e64 v2, v45, v2, s[14:15]
	v_alignbit_b32 v45, v38, v41, v43
	v_cndmask_b32_e32 v40, v44, v40, vcc
	v_cndmask_b32_e64 v38, v45, v38, s[14:15]
	v_bfe_u32 v47, v2, 29, 1
	v_cndmask_b32_e64 v40, v42, v40, s[10:11]
	v_alignbit_b32 v45, v2, v38, 30
	v_sub_u32_e32 v48, 0, v47
	v_cndmask_b32_e64 v39, v39, v40, s[12:13]
	v_xor_b32_e32 v49, v45, v48
	v_alignbit_b32 v40, v41, v39, v43
	v_cndmask_b32_e64 v40, v40, v41, s[14:15]
	v_ffbh_u32_e32 v41, v49
	v_add_u32_e32 v41, 1, v41
	v_cmp_ne_u32_e32 vcc, v45, v48
	v_alignbit_b32 v38, v38, v40, 30
	v_cndmask_b32_e32 v41, 33, v41, vcc
	v_alignbit_b32 v39, v40, v39, 30
	v_xor_b32_e32 v38, v38, v48
	v_sub_u32_e32 v42, 32, v41
	v_xor_b32_e32 v39, v39, v48
	v_alignbit_b32 v43, v49, v38, v42
	v_alignbit_b32 v38, v38, v39, v42
	;; [unrolled: 1-line block ×3, first 2 shown]
	v_ffbh_u32_e32 v40, v39
	v_min_u32_e32 v40, 32, v40
	v_lshrrev_b32_e32 v46, 29, v2
	v_sub_u32_e32 v42, 31, v40
	v_alignbit_b32 v38, v39, v38, v42
	v_lshlrev_b32_e32 v39, 31, v46
	v_or_b32_e32 v42, 0x33800000, v39
	v_add_lshl_u32 v40, v40, v41, 23
	v_lshrrev_b32_e32 v38, 9, v38
	v_sub_u32_e32 v40, v42, v40
	v_or_b32_e32 v38, v40, v38
	v_alignbit_b32 v40, v41, v43, 9
	v_or_b32_e32 v39, v40, v39
	v_xor_b32_e32 v39, 1.0, v39
	v_mul_f32_e32 v40, 0x3fc90fda, v39
	v_fma_f32 v41, v39, s57, -v40
	v_fmac_f32_e32 v41, 0x33a22168, v39
	v_fmac_f32_e32 v41, 0x3fc90fda, v38
	v_lshrrev_b32_e32 v2, 30, v2
	v_add_f32_e32 v40, v40, v41
	v_add_u32_e32 v2, v47, v2
                                        ; implicit-def: $vgpr41
	s_andn2_saveexec_b64 s[10:11], s[36:37]
	s_cbranch_execnz .LBB163_122
	s_branch .LBB163_123
.LBB163_121:                            ;   in Loop: Header=BB163_4 Depth=1
	s_andn2_saveexec_b64 s[10:11], s[36:37]
.LBB163_122:                            ;   in Loop: Header=BB163_4 Depth=1
	v_cvt_i32_f32_e32 v2, v41
	v_fma_f32 v40, v41, s59, |v15|
	v_fmac_f32_e32 v40, 0xb3a22168, v41
	v_fmac_f32_e32 v40, 0xa7c234c4, v41
.LBB163_123:                            ;   in Loop: Header=BB163_4 Depth=1
	s_or_b64 exec, exec, s[10:11]
	v_mul_f32_e32 v38, v37, v37
	v_mov_b32_e32 v39, 0x3c0881c4
	v_fmac_f32_e32 v39, 0xb94c1982, v38
	v_fma_f32 v39, v38, v39, v30
	v_mul_f32_e32 v39, v38, v39
	v_fmac_f32_e32 v37, v37, v39
	v_mov_b32_e32 v39, 0xbab64f3b
	v_fmac_f32_e32 v39, 0x37d75334, v38
	v_fma_f32 v39, v38, v39, v31
	v_fma_f32 v39, v38, v39, v32
	v_fma_f32 v38, v38, v39, 1.0
	v_and_b32_e32 v39, 1, v10
	v_lshlrev_b32_e32 v10, 30, v10
	v_cmp_eq_u32_e32 vcc, 0, v39
	v_and_b32_e32 v10, 0x80000000, v10
	v_cndmask_b32_e32 v37, v38, v37, vcc
	v_xor_b32_e32 v8, v8, v10
	v_xor_b32_e32 v8, v8, v37
	v_mul_f32_e32 v10, v40, v40
	v_mov_b32_e32 v37, 0x3c0881c4
	v_fmac_f32_e32 v37, 0xb94c1982, v10
	v_fma_f32 v37, v10, v37, v30
	v_mul_f32_e32 v37, v10, v37
	v_fmac_f32_e32 v40, v40, v37
	v_mov_b32_e32 v37, 0xbab64f3b
	v_fmac_f32_e32 v37, 0x37d75334, v10
	v_fma_f32 v37, v10, v37, v31
	v_fma_f32 v37, v10, v37, v32
	v_fma_f32 v10, v10, v37, 1.0
	v_and_b32_e32 v37, 1, v2
	v_cmp_eq_u32_e32 vcc, 0, v37
	v_lshlrev_b32_e32 v2, 30, v2
	v_cndmask_b32_e64 v10, -v40, v10, vcc
	v_and_b32_e32 v2, 0x80000000, v2
	v_xor_b32_e32 v8, v8, v15
	v_xor_b32_e32 v2, v2, v10
	v_mul_f32_e32 v2, v8, v2
	v_cmp_class_f32_e64 vcc, v15, s47
	v_cndmask_b32_e32 v15, v36, v2, vcc
.LBB163_124:                            ;   in Loop: Header=BB163_4 Depth=1
	s_or_b64 exec, exec, s[34:35]
	v_add_u32_e32 v14, -2.0, v14
	v_bfi_b32 v15, s45, 0, v15
.LBB163_125:                            ;   in Loop: Header=BB163_4 Depth=1
	s_or_b64 exec, exec, s[30:31]
.LBB163_126:                            ;   in Loop: Header=BB163_4 Depth=1
	s_or_b64 exec, exec, s[28:29]
	v_and_b32_e32 v8, 0x7fffffff, v18
	v_cmp_gt_u32_e32 vcc, s46, v8
	s_and_saveexec_b64 s[10:11], vcc
	s_xor_b64 s[28:29], exec, s[10:11]
	s_cbranch_execz .LBB163_137
; %bb.127:                              ;   in Loop: Header=BB163_4 Depth=1
	v_cmp_class_f32_e64 s[10:11], v19, s47
	s_and_saveexec_b64 s[12:13], s[10:11]
	s_xor_b64 s[30:31], exec, s[12:13]
	s_cbranch_execz .LBB163_164
; %bb.128:                              ;   in Loop: Header=BB163_4 Depth=1
	v_and_b32_e32 v37, 0x7fffffff, v19
	v_cmp_gt_u32_e32 vcc, s48, v8
	s_and_saveexec_b64 s[10:11], vcc
	s_xor_b64 s[34:35], exec, s[10:11]
	s_cbranch_execz .LBB163_134
; %bb.129:                              ;   in Loop: Header=BB163_4 Depth=1
	v_cmp_nlt_f32_e64 s[10:11], |v19|, s49
                                        ; implicit-def: $vgpr10
                                        ; implicit-def: $vgpr2
	s_and_saveexec_b64 s[12:13], s[10:11]
	s_xor_b64 s[36:37], exec, s[12:13]
	s_cbranch_execz .LBB163_131
; %bb.130:                              ;   in Loop: Header=BB163_4 Depth=1
	v_lshrrev_b32_e32 v2, 23, v37
	v_add_u32_e32 v2, 0xffffff88, v2
	v_cmp_lt_u32_e32 vcc, 63, v2
	v_cndmask_b32_e32 v10, 0, v33, vcc
	v_add_u32_e32 v2, v10, v2
	v_cmp_lt_u32_e64 s[10:11], 31, v2
	v_cndmask_b32_e64 v10, 0, v34, s[10:11]
	v_add_u32_e32 v2, v10, v2
	v_cmp_lt_u32_e64 s[12:13], 31, v2
	v_cndmask_b32_e64 v10, 0, v34, s[12:13]
	v_add_u32_e32 v10, v10, v2
	v_and_b32_e32 v2, 0x7fffff, v37
	v_or_b32_e32 v50, 0x800000, v2
	v_mad_u64_u32 v[38:39], s[14:15], v50, s50, 0
	v_mov_b32_e32 v2, v39
	v_mad_u64_u32 v[40:41], s[14:15], v50, s51, v[2:3]
	v_mov_b32_e32 v2, v41
	;; [unrolled: 2-line block ×6, first 2 shown]
	v_mad_u64_u32 v[50:51], s[14:15], v50, s56, v[2:3]
	v_cndmask_b32_e32 v39, v48, v44, vcc
	v_cndmask_b32_e32 v2, v50, v46, vcc
	;; [unrolled: 1-line block ×3, first 2 shown]
	v_cndmask_b32_e64 v41, v2, v39, s[10:11]
	v_cndmask_b32_e64 v2, v43, v2, s[10:11]
	v_cndmask_b32_e32 v43, v46, v42, vcc
	v_cndmask_b32_e64 v39, v39, v43, s[10:11]
	v_cndmask_b32_e64 v2, v2, v41, s[12:13]
	;; [unrolled: 1-line block ×3, first 2 shown]
	v_sub_u32_e32 v45, 32, v10
	v_alignbit_b32 v46, v2, v41, v45
	v_cmp_eq_u32_e64 s[14:15], 0, v10
	v_cndmask_b32_e64 v10, v46, v2, s[14:15]
	v_cndmask_b32_e32 v2, v44, v40, vcc
	v_cndmask_b32_e64 v40, v43, v2, s[10:11]
	v_cndmask_b32_e64 v39, v39, v40, s[12:13]
	v_alignbit_b32 v43, v41, v39, v45
	v_cndmask_b32_e64 v41, v43, v41, s[14:15]
	v_bfe_u32 v46, v10, 29, 1
	v_cndmask_b32_e32 v38, v42, v38, vcc
	v_alignbit_b32 v43, v10, v41, 30
	v_sub_u32_e32 v47, 0, v46
	v_cndmask_b32_e64 v2, v2, v38, s[10:11]
	v_xor_b32_e32 v48, v43, v47
	v_cndmask_b32_e64 v2, v40, v2, s[12:13]
	v_alignbit_b32 v38, v39, v2, v45
	v_ffbh_u32_e32 v40, v48
	v_cndmask_b32_e64 v38, v38, v39, s[14:15]
	v_add_u32_e32 v40, 1, v40
	v_cmp_ne_u32_e32 vcc, v43, v47
	v_alignbit_b32 v39, v41, v38, 30
	v_cndmask_b32_e32 v40, 33, v40, vcc
	v_alignbit_b32 v2, v38, v2, 30
	v_xor_b32_e32 v39, v39, v47
	v_sub_u32_e32 v41, 32, v40
	v_xor_b32_e32 v2, v2, v47
	v_alignbit_b32 v42, v48, v39, v41
	v_alignbit_b32 v2, v39, v2, v41
	v_alignbit_b32 v38, v42, v2, 9
	v_ffbh_u32_e32 v39, v38
	v_min_u32_e32 v39, 32, v39
	v_lshrrev_b32_e32 v44, 29, v10
	v_sub_u32_e32 v41, 31, v39
	v_alignbit_b32 v2, v38, v2, v41
	v_lshlrev_b32_e32 v38, 31, v44
	v_or_b32_e32 v41, 0x33800000, v38
	v_add_lshl_u32 v39, v39, v40, 23
	v_lshrrev_b32_e32 v2, 9, v2
	v_sub_u32_e32 v39, v41, v39
	v_or_b32_e32 v2, v39, v2
	v_alignbit_b32 v39, v40, v42, 9
	v_or_b32_e32 v38, v39, v38
	v_xor_b32_e32 v38, 1.0, v38
	v_mul_f32_e32 v39, 0x3fc90fda, v38
	v_fma_f32 v40, v38, s57, -v39
	v_fmac_f32_e32 v40, 0x33a22168, v38
	v_fmac_f32_e32 v40, 0x3fc90fda, v2
	v_lshrrev_b32_e32 v10, 30, v10
	v_add_f32_e32 v2, v39, v40
	v_add_u32_e32 v10, v46, v10
.LBB163_131:                            ;   in Loop: Header=BB163_4 Depth=1
	s_andn2_saveexec_b64 s[10:11], s[36:37]
; %bb.132:                              ;   in Loop: Header=BB163_4 Depth=1
	v_mul_f32_e64 v2, |v19|, s58
	v_rndne_f32_e32 v38, v2
	v_cvt_i32_f32_e32 v10, v38
	v_fma_f32 v2, v38, s59, |v19|
	v_fmac_f32_e32 v2, 0xb3a22168, v38
	v_fmac_f32_e32 v2, 0xa7c234c4, v38
; %bb.133:                              ;   in Loop: Header=BB163_4 Depth=1
	s_or_b64 exec, exec, s[10:11]
	v_mul_f32_e32 v38, v2, v2
	v_mov_b32_e32 v39, 0xbf039337
	v_fmac_f32_e32 v39, 0x3c971480, v38
	v_fma_f32 v39, v38, v39, v25
	v_rcp_f32_e32 v39, v39
	v_mov_b32_e32 v40, 0x3ec54587
	v_fmac_f32_e32 v40, 0xbc8cedd3, v38
	v_and_b32_e32 v10, 1, v10
	v_mul_f32_e32 v39, v40, v39
	v_mul_f32_e32 v38, v38, v39
	v_fma_f32 v39, v38, v2, v2
	v_rcp_f32_e32 v40, v39
	v_sub_f32_e32 v41, v39, v2
	v_fma_f32 v2, v38, v2, -v41
	v_cmp_eq_u32_e32 vcc, 0, v10
	v_fma_f32 v38, v39, -v40, 1.0
	v_fma_f32 v2, v2, -v40, v38
	v_fma_f32 v2, v2, -v40, -v40
	v_add_f32_e64 v10, |v18|, s60
	v_cndmask_b32_e32 v2, v2, v39, vcc
	v_sub_f32_e64 v39, v10, |v18|
	v_sub_f32_e32 v38, v39, v10
	v_pk_add_f32 v[38:39], v[8:9], v[38:39]
	v_sub_f32_e32 v8, v38, v39
	v_add_f32_e32 v8, 0x3102e308, v8
	v_add_f32_e32 v38, v10, v8
	v_sub_f32_e32 v10, v10, v38
	v_add_f32_e32 v8, v8, v10
	v_mul_f32_e32 v10, 0x3fb8aa3b, v38
	v_rndne_f32_e32 v46, v10
	v_fmac_f32_e32 v38, 0xbf317200, v46
	v_add_f32_e32 v10, v8, v38
	v_sub_f32_e32 v38, v38, v10
	v_add_f32_e32 v8, v8, v38
	v_mul_f32_e32 v38, 0x35bfbc00, v46
	v_sub_f32_e32 v40, v10, v38
	v_sub_f32_e32 v10, v10, v40
	;; [unrolled: 1-line block ×3, first 2 shown]
	v_add_f32_e32 v8, v8, v10
	v_add_f32_e32 v41, v40, v8
	v_mul_f32_e32 v39, 0x2ea39ef3, v46
	v_mov_b32_e32 v38, v41
	v_pk_add_f32 v[42:43], v[40:41], v[38:39] neg_lo:[0,1] neg_hi:[0,1]
	v_sub_f32_e32 v10, v41, v43
	v_sub_f32_e32 v10, v10, v39
	v_add_f32_e32 v8, v8, v42
	v_add_f32_e32 v8, v8, v10
	;; [unrolled: 1-line block ×3, first 2 shown]
	v_sub_f32_e32 v39, v43, v38
	v_mov_b32_e32 v10, 0x3c091de6
	v_add_f32_e32 v8, v8, v39
	v_mul_f32_e32 v40, v38, v38
	v_fmac_f32_e32 v10, 0x3ab42872, v38
	v_add_f32_e32 v39, v8, v8
	v_fma_f32 v41, v38, v38, -v40
	v_fma_f32 v10, v38, v10, v26
	v_fmac_f32_e32 v41, v38, v39
	v_fma_f32 v10, v38, v10, v27
	v_add_f32_e32 v39, v40, v41
	v_fma_f32 v10, v38, v10, v28
	v_sub_f32_e32 v40, v39, v40
	v_sub_f32_e32 v40, v41, v40
	v_mul_f32_e32 v41, v10, v39
	v_fma_f32 v39, v39, v10, -v41
	v_fmac_f32_e32 v39, v40, v10
	v_add_f32_e32 v40, v41, v39
	v_sub_f32_e32 v10, v40, v41
	v_sub_f32_e32 v39, v39, v10
	v_add_f32_e32 v10, v38, v40
	v_sub_f32_e32 v38, v10, v38
	v_sub_f32_e32 v38, v40, v38
	v_add_f32_e32 v8, v8, v39
	v_add_f32_e32 v38, v8, v38
	;; [unrolled: 1-line block ×3, first 2 shown]
	v_add_f32_e32 v41, 1.0, v40
	v_pk_add_f32 v[42:43], v[40:41], v[10:11] neg_lo:[0,1] neg_hi:[0,1]
	v_pk_add_f32 v[44:45], v[40:41], s[26:27]
	v_mov_b32_e32 v43, v45
	v_mov_b32_e32 v39, v40
	v_cvt_i32_f32_e32 v8, v46
	v_pk_add_f32 v[38:39], v[38:39], v[42:43] neg_lo:[0,1] neg_hi:[0,1]
	v_add_f32_e32 v10, v38, v39
	v_add_f32_e32 v38, v41, v10
	v_ldexp_f32 v39, v38, v8
	v_rcp_f32_e32 v40, v39
	v_sub_f32_e32 v38, v38, v41
	v_sub_f32_e32 v10, v10, v38
	v_ldexp_f32 v8, v10, v8
	v_mul_f32_e32 v10, v39, v40
	v_fma_f32 v38, v40, v39, -v10
	v_fmac_f32_e32 v38, v40, v8
	v_add_f32_e32 v41, v10, v38
	v_sub_f32_e32 v42, 1.0, v41
	v_sub_f32_e32 v43, 1.0, v42
	v_sub_f32_e32 v10, v41, v10
	v_sub_f32_e32 v43, v43, v41
	;; [unrolled: 1-line block ×3, first 2 shown]
	v_add_f32_e32 v10, v10, v43
	v_add_f32_e32 v38, v42, v10
	v_mul_f32_e32 v41, v40, v38
	v_mul_f32_e32 v43, v39, v41
	v_fma_f32 v44, v41, v39, -v43
	v_fmac_f32_e32 v44, v41, v8
	v_sub_f32_e32 v42, v42, v38
	v_add_f32_e32 v10, v10, v42
	v_add_f32_e32 v42, v43, v44
	v_sub_f32_e32 v45, v38, v42
	v_sub_f32_e32 v38, v38, v45
	;; [unrolled: 1-line block ×4, first 2 shown]
	v_add_f32_e32 v10, v10, v38
	v_sub_f32_e32 v38, v43, v44
	v_add_f32_e32 v10, v38, v10
	v_add_f32_e32 v10, v45, v10
	;; [unrolled: 1-line block ×3, first 2 shown]
	v_mul_f32_e32 v10, v40, v10
	v_sub_f32_e32 v40, v38, v40
	v_sub_f32_e32 v40, v41, v40
	v_add_f32_e32 v10, v40, v10
	v_add_f32_e32 v40, v38, v10
	v_sub_f32_e32 v38, v40, v38
	v_sub_f32_e32 v10, v10, v38
	v_ldexp_f32 v38, v40, -2
	v_sub_f32_e32 v40, v39, v38
	v_sub_f32_e32 v39, v39, v40
	;; [unrolled: 1-line block ×3, first 2 shown]
	v_ldexp_f32 v10, v10, -2
	v_add_f32_e32 v8, v8, v38
	v_sub_f32_e32 v8, v8, v10
	v_add_f32_e32 v8, v40, v8
	v_cmp_ngt_f32_e64 vcc, |v18|, s61
	v_cndmask_b32_e32 v8, v35, v8, vcc
	v_cmp_lt_f32_e64 s[10:11], |v18|, s62
	v_cndmask_b32_e64 v8, v8, |v18|, s[10:11]
	v_bfi_b32 v8, s45, v8, v18
	v_fma_f32 v10, v8, v8, 1.0
	v_mul_f32_e32 v18, 0x4f800000, v10
	v_cmp_gt_f32_e32 vcc, s63, v10
	v_cndmask_b32_e32 v10, v10, v18, vcc
	v_sqrt_f32_e32 v18, v10
	v_xor_b32_e32 v2, v37, v2
	v_xor_b32_e32 v2, v2, v19
	v_fma_f32 v19, v2, v2, 1.0
	v_add_u32_e32 v37, -1, v18
	v_fma_f32 v38, -v37, v18, v10
	v_cmp_ge_f32_e64 s[10:11], 0, v38
	v_add_u32_e32 v38, 1, v18
	v_cndmask_b32_e64 v37, v18, v37, s[10:11]
	v_fma_f32 v18, -v38, v18, v10
	v_cmp_lt_f32_e64 s[10:11], 0, v18
	v_cndmask_b32_e64 v18, v37, v38, s[10:11]
	v_mul_f32_e32 v37, 0x37800000, v18
	v_cndmask_b32_e32 v18, v18, v37, vcc
	v_cmp_class_f32_e32 vcc, v10, v29
	v_cndmask_b32_e32 v10, v18, v10, vcc
	v_mul_f32_e32 v18, v8, v19
	v_mul_f32_e32 v10, v10, v19
	v_fma_f32 v37, v8, v18, 1.0
	v_mul_f32_e32 v8, v8, v10
	v_div_scale_f32 v10, s[10:11], v37, v37, v8
	v_rcp_f32_e32 v18, v10
	v_fma_f32 v19, -v10, v18, 1.0
	v_fmac_f32_e32 v18, v19, v18
	v_div_scale_f32 v19, vcc, v8, v37, v8
	v_mul_f32_e32 v38, v19, v18
	v_fma_f32 v39, -v10, v38, v19
	v_fmac_f32_e32 v38, v39, v18
	v_fma_f32 v10, -v10, v38, v19
	v_div_scale_f32 v19, s[10:11], v37, v37, v2
	v_rcp_f32_e32 v39, v19
	v_div_fmas_f32 v10, v10, v18, v38
	v_div_fixup_f32 v18, v10, v37, v8
	v_fma_f32 v8, -v19, v39, 1.0
	v_fmac_f32_e32 v39, v8, v39
	v_div_scale_f32 v8, vcc, v2, v37, v2
	v_mul_f32_e32 v10, v8, v39
	v_fma_f32 v38, -v19, v10, v8
	v_fmac_f32_e32 v10, v38, v39
	v_fma_f32 v8, -v19, v10, v8
	v_div_fmas_f32 v8, v8, v39, v10
	v_div_fixup_f32 v19, v8, v37, v2
                                        ; implicit-def: $vgpr37
.LBB163_134:                            ;   in Loop: Header=BB163_4 Depth=1
	s_andn2_saveexec_b64 s[34:35], s[34:35]
	s_cbranch_execz .LBB163_163
; %bb.135:                              ;   in Loop: Header=BB163_4 Depth=1
	v_lshrrev_b32_e32 v2, 23, v37
	v_and_b32_e32 v8, 0x7fffff, v37
	v_cmp_nlt_f32_e64 s[36:37], |v19|, s49
	v_add_u32_e32 v39, 0xffffff88, v2
	v_or_b32_e32 v38, 0x800000, v8
                                        ; implicit-def: $vgpr8
                                        ; implicit-def: $vgpr10
	s_and_saveexec_b64 s[10:11], s[36:37]
	s_xor_b64 s[38:39], exec, s[10:11]
	s_cbranch_execz .LBB163_148
; %bb.136:                              ;   in Loop: Header=BB163_4 Depth=1
	v_cmp_lt_u32_e32 vcc, 63, v39
	v_cndmask_b32_e32 v2, 0, v33, vcc
	v_add_u32_e32 v2, v2, v39
	v_cmp_lt_u32_e64 s[10:11], 31, v2
	v_cndmask_b32_e64 v8, 0, v34, s[10:11]
	v_add_u32_e32 v2, v8, v2
	v_cmp_lt_u32_e64 s[12:13], 31, v2
	v_cndmask_b32_e64 v8, 0, v34, s[12:13]
	v_mad_u64_u32 v[40:41], s[14:15], v38, s50, 0
	v_add_u32_e32 v8, v8, v2
	v_mov_b32_e32 v2, v41
	v_mad_u64_u32 v[42:43], s[14:15], v38, s51, v[2:3]
	v_mov_b32_e32 v2, v43
	v_mad_u64_u32 v[44:45], s[14:15], v38, s52, v[2:3]
	;; [unrolled: 2-line block ×6, first 2 shown]
	v_cndmask_b32_e32 v10, v50, v46, vcc
	v_cndmask_b32_e32 v2, v52, v48, vcc
	;; [unrolled: 1-line block ×3, first 2 shown]
	v_cndmask_b32_e64 v41, v2, v10, s[10:11]
	v_cndmask_b32_e64 v2, v43, v2, s[10:11]
	v_cndmask_b32_e32 v43, v48, v44, vcc
	v_cndmask_b32_e64 v10, v10, v43, s[10:11]
	v_sub_u32_e32 v45, 32, v8
	v_cmp_eq_u32_e64 s[14:15], 0, v8
	v_cndmask_b32_e32 v8, v46, v42, vcc
	v_cndmask_b32_e64 v2, v2, v41, s[12:13]
	v_cndmask_b32_e64 v41, v41, v10, s[12:13]
	;; [unrolled: 1-line block ×3, first 2 shown]
	v_alignbit_b32 v47, v2, v41, v45
	v_cndmask_b32_e64 v10, v10, v42, s[12:13]
	v_cndmask_b32_e32 v40, v44, v40, vcc
	v_cndmask_b32_e64 v2, v47, v2, s[14:15]
	v_alignbit_b32 v43, v41, v10, v45
	v_cndmask_b32_e64 v8, v8, v40, s[10:11]
	v_cndmask_b32_e64 v41, v43, v41, s[14:15]
	v_bfe_u32 v47, v2, 29, 1
	v_cndmask_b32_e64 v8, v42, v8, s[12:13]
	v_alignbit_b32 v43, v2, v41, 30
	v_sub_u32_e32 v48, 0, v47
	v_alignbit_b32 v40, v10, v8, v45
	v_xor_b32_e32 v49, v43, v48
	v_cndmask_b32_e64 v10, v40, v10, s[14:15]
	v_alignbit_b32 v40, v41, v10, 30
	v_ffbh_u32_e32 v41, v49
	v_add_u32_e32 v41, 1, v41
	v_cmp_ne_u32_e32 vcc, v43, v48
	v_cndmask_b32_e32 v41, 33, v41, vcc
	v_alignbit_b32 v8, v10, v8, 30
	v_xor_b32_e32 v40, v40, v48
	v_sub_u32_e32 v42, 32, v41
	v_xor_b32_e32 v8, v8, v48
	v_alignbit_b32 v43, v49, v40, v42
	v_alignbit_b32 v8, v40, v8, v42
	;; [unrolled: 1-line block ×3, first 2 shown]
	v_ffbh_u32_e32 v40, v10
	v_min_u32_e32 v40, 32, v40
	v_lshrrev_b32_e32 v46, 29, v2
	v_sub_u32_e32 v42, 31, v40
	v_alignbit_b32 v8, v10, v8, v42
	v_lshlrev_b32_e32 v10, 31, v46
	v_or_b32_e32 v42, 0x33800000, v10
	v_add_lshl_u32 v40, v40, v41, 23
	v_lshrrev_b32_e32 v8, 9, v8
	v_sub_u32_e32 v40, v42, v40
	v_or_b32_e32 v8, v40, v8
	v_alignbit_b32 v40, v41, v43, 9
	v_or_b32_e32 v10, v40, v10
	v_xor_b32_e32 v10, 1.0, v10
	v_mul_f32_e32 v40, 0x3fc90fda, v10
	v_fma_f32 v41, v10, s57, -v40
	v_fmac_f32_e32 v41, 0x33a22168, v10
	v_fmac_f32_e32 v41, 0x3fc90fda, v8
	v_lshrrev_b32_e32 v2, 30, v2
	v_add_f32_e32 v10, v40, v41
	v_add_u32_e32 v8, v47, v2
	s_andn2_saveexec_b64 s[10:11], s[38:39]
	s_branch .LBB163_149
.LBB163_137:                            ;   in Loop: Header=BB163_4 Depth=1
	s_andn2_saveexec_b64 s[28:29], s[28:29]
	s_cbranch_execz .LBB163_167
.LBB163_138:                            ;   in Loop: Header=BB163_4 Depth=1
	v_and_b32_e32 v2, 0x7fffff, v18
	v_cmp_ne_u32_e32 vcc, 0, v2
	s_and_saveexec_b64 s[10:11], vcc
	s_xor_b64 s[10:11], exec, s[10:11]
; %bb.139:                              ;   in Loop: Header=BB163_4 Depth=1
	v_mul_f32_e32 v2, v19, v18
	v_cmp_eq_f32_e32 vcc, 0, v19
	v_cndmask_b32_e32 v19, v2, v19, vcc
; %bb.140:                              ;   in Loop: Header=BB163_4 Depth=1
	s_andn2_saveexec_b64 s[30:31], s[10:11]
	s_cbranch_execz .LBB163_156
; %bb.141:                              ;   in Loop: Header=BB163_4 Depth=1
	v_cmp_neq_f32_e64 s[10:11], |v19|, s46
	s_and_saveexec_b64 s[34:35], s[10:11]
	s_cbranch_execz .LBB163_155
; %bb.142:                              ;   in Loop: Header=BB163_4 Depth=1
	v_and_b32_e32 v8, 0x7fffffff, v19
	v_lshrrev_b32_e32 v2, 23, v8
	v_and_b32_e32 v10, 0x7fffff, v8
	v_cmp_nlt_f32_e64 s[36:37], |v19|, s49
	v_add_u32_e32 v39, 0xffffff88, v2
	v_or_b32_e32 v38, 0x800000, v10
                                        ; implicit-def: $vgpr10
                                        ; implicit-def: $vgpr37
	s_and_saveexec_b64 s[10:11], s[36:37]
	s_xor_b64 s[38:39], exec, s[10:11]
	s_cbranch_execz .LBB163_144
; %bb.143:                              ;   in Loop: Header=BB163_4 Depth=1
	v_cmp_lt_u32_e32 vcc, 63, v39
	v_cndmask_b32_e32 v2, 0, v33, vcc
	v_add_u32_e32 v2, v2, v39
	v_cmp_lt_u32_e64 s[10:11], 31, v2
	v_cndmask_b32_e64 v10, 0, v34, s[10:11]
	v_add_u32_e32 v2, v10, v2
	v_cmp_lt_u32_e64 s[12:13], 31, v2
	v_cndmask_b32_e64 v10, 0, v34, s[12:13]
	v_mad_u64_u32 v[40:41], s[14:15], v38, s50, 0
	v_add_u32_e32 v10, v10, v2
	v_mov_b32_e32 v2, v41
	v_mad_u64_u32 v[42:43], s[14:15], v38, s51, v[2:3]
	v_mov_b32_e32 v2, v43
	v_mad_u64_u32 v[44:45], s[14:15], v38, s52, v[2:3]
	;; [unrolled: 2-line block ×6, first 2 shown]
	v_cndmask_b32_e32 v37, v50, v46, vcc
	v_cndmask_b32_e32 v2, v52, v48, vcc
	;; [unrolled: 1-line block ×3, first 2 shown]
	v_cndmask_b32_e64 v41, v2, v37, s[10:11]
	v_cndmask_b32_e64 v2, v43, v2, s[10:11]
	v_cndmask_b32_e32 v43, v48, v44, vcc
	v_cndmask_b32_e64 v37, v37, v43, s[10:11]
	v_sub_u32_e32 v45, 32, v10
	v_cmp_eq_u32_e64 s[14:15], 0, v10
	v_cndmask_b32_e32 v10, v46, v42, vcc
	v_cndmask_b32_e64 v2, v2, v41, s[12:13]
	v_cndmask_b32_e64 v41, v41, v37, s[12:13]
	v_cndmask_b32_e64 v42, v43, v10, s[10:11]
	v_alignbit_b32 v47, v2, v41, v45
	v_cndmask_b32_e64 v37, v37, v42, s[12:13]
	v_cndmask_b32_e32 v40, v44, v40, vcc
	v_cndmask_b32_e64 v2, v47, v2, s[14:15]
	v_alignbit_b32 v43, v41, v37, v45
	v_cndmask_b32_e64 v10, v10, v40, s[10:11]
	v_cndmask_b32_e64 v41, v43, v41, s[14:15]
	v_bfe_u32 v47, v2, 29, 1
	v_cndmask_b32_e64 v10, v42, v10, s[12:13]
	v_alignbit_b32 v43, v2, v41, 30
	v_sub_u32_e32 v48, 0, v47
	v_alignbit_b32 v40, v37, v10, v45
	v_xor_b32_e32 v49, v43, v48
	v_cndmask_b32_e64 v37, v40, v37, s[14:15]
	v_alignbit_b32 v40, v41, v37, 30
	v_ffbh_u32_e32 v41, v49
	v_add_u32_e32 v41, 1, v41
	v_cmp_ne_u32_e32 vcc, v43, v48
	v_cndmask_b32_e32 v41, 33, v41, vcc
	v_alignbit_b32 v10, v37, v10, 30
	v_xor_b32_e32 v40, v40, v48
	v_sub_u32_e32 v42, 32, v41
	v_xor_b32_e32 v10, v10, v48
	v_alignbit_b32 v43, v49, v40, v42
	v_alignbit_b32 v10, v40, v10, v42
	;; [unrolled: 1-line block ×3, first 2 shown]
	v_ffbh_u32_e32 v40, v37
	v_min_u32_e32 v40, 32, v40
	v_lshrrev_b32_e32 v46, 29, v2
	v_sub_u32_e32 v42, 31, v40
	v_alignbit_b32 v10, v37, v10, v42
	v_lshlrev_b32_e32 v37, 31, v46
	v_or_b32_e32 v42, 0x33800000, v37
	v_add_lshl_u32 v40, v40, v41, 23
	v_lshrrev_b32_e32 v10, 9, v10
	v_sub_u32_e32 v40, v42, v40
	v_or_b32_e32 v10, v40, v10
	v_alignbit_b32 v40, v41, v43, 9
	v_or_b32_e32 v37, v40, v37
	v_xor_b32_e32 v37, 1.0, v37
	v_mul_f32_e32 v40, 0x3fc90fda, v37
	v_fma_f32 v41, v37, s57, -v40
	v_fmac_f32_e32 v41, 0x33a22168, v37
	v_fmac_f32_e32 v41, 0x3fc90fda, v10
	v_lshrrev_b32_e32 v2, 30, v2
	v_add_f32_e32 v37, v40, v41
	v_add_u32_e32 v10, v47, v2
.LBB163_144:                            ;   in Loop: Header=BB163_4 Depth=1
	s_or_saveexec_b64 s[10:11], s[38:39]
	v_mul_f32_e64 v2, |v19|, s58
	v_rndne_f32_e32 v41, v2
	s_xor_b64 exec, exec, s[10:11]
; %bb.145:                              ;   in Loop: Header=BB163_4 Depth=1
	v_cvt_i32_f32_e32 v10, v41
	v_fma_f32 v37, v41, s59, |v19|
	v_fmac_f32_e32 v37, 0xb3a22168, v41
	v_fmac_f32_e32 v37, 0xa7c234c4, v41
; %bb.146:                              ;   in Loop: Header=BB163_4 Depth=1
	s_or_b64 exec, exec, s[10:11]
                                        ; implicit-def: $vgpr2
                                        ; implicit-def: $vgpr40
	s_and_saveexec_b64 s[10:11], s[36:37]
	s_xor_b64 s[36:37], exec, s[10:11]
	s_cbranch_execz .LBB163_152
; %bb.147:                              ;   in Loop: Header=BB163_4 Depth=1
	v_cmp_lt_u32_e32 vcc, 63, v39
	v_cndmask_b32_e32 v2, 0, v33, vcc
	v_add_u32_e32 v2, v2, v39
	v_cmp_lt_u32_e64 s[10:11], 31, v2
	v_cndmask_b32_e64 v39, 0, v34, s[10:11]
	v_add_u32_e32 v2, v39, v2
	v_cmp_lt_u32_e64 s[12:13], 31, v2
	v_cndmask_b32_e64 v39, 0, v34, s[12:13]
	v_mad_u64_u32 v[40:41], s[14:15], v38, s50, 0
	v_add_u32_e32 v52, v39, v2
	v_mov_b32_e32 v2, v41
	v_mad_u64_u32 v[42:43], s[14:15], v38, s51, v[2:3]
	v_mov_b32_e32 v2, v43
	v_mad_u64_u32 v[44:45], s[14:15], v38, s52, v[2:3]
	;; [unrolled: 2-line block ×6, first 2 shown]
	v_cndmask_b32_e32 v41, v50, v46, vcc
	v_cndmask_b32_e32 v2, v38, v48, vcc
	v_cndmask_b32_e32 v39, v39, v50, vcc
	v_cndmask_b32_e64 v38, v2, v41, s[10:11]
	v_cndmask_b32_e64 v2, v39, v2, s[10:11]
	v_cndmask_b32_e32 v39, v48, v44, vcc
	v_cndmask_b32_e64 v41, v41, v39, s[10:11]
	v_cndmask_b32_e32 v42, v46, v42, vcc
	v_cndmask_b32_e64 v2, v2, v38, s[12:13]
	v_cndmask_b32_e64 v38, v38, v41, s[12:13]
	v_sub_u32_e32 v43, 32, v52
	v_cndmask_b32_e64 v39, v39, v42, s[10:11]
	v_alignbit_b32 v45, v2, v38, v43
	v_cmp_eq_u32_e64 s[14:15], 0, v52
	v_cndmask_b32_e64 v41, v41, v39, s[12:13]
	v_cndmask_b32_e64 v2, v45, v2, s[14:15]
	v_alignbit_b32 v45, v38, v41, v43
	v_cndmask_b32_e32 v40, v44, v40, vcc
	v_cndmask_b32_e64 v38, v45, v38, s[14:15]
	v_bfe_u32 v47, v2, 29, 1
	v_cndmask_b32_e64 v40, v42, v40, s[10:11]
	v_alignbit_b32 v45, v2, v38, 30
	v_sub_u32_e32 v48, 0, v47
	v_cndmask_b32_e64 v39, v39, v40, s[12:13]
	v_xor_b32_e32 v49, v45, v48
	v_alignbit_b32 v40, v41, v39, v43
	v_cndmask_b32_e64 v40, v40, v41, s[14:15]
	v_ffbh_u32_e32 v41, v49
	v_add_u32_e32 v41, 1, v41
	v_cmp_ne_u32_e32 vcc, v45, v48
	v_alignbit_b32 v38, v38, v40, 30
	v_cndmask_b32_e32 v41, 33, v41, vcc
	v_alignbit_b32 v39, v40, v39, 30
	v_xor_b32_e32 v38, v38, v48
	v_sub_u32_e32 v42, 32, v41
	v_xor_b32_e32 v39, v39, v48
	v_alignbit_b32 v43, v49, v38, v42
	v_alignbit_b32 v38, v38, v39, v42
	;; [unrolled: 1-line block ×3, first 2 shown]
	v_ffbh_u32_e32 v40, v39
	v_min_u32_e32 v40, 32, v40
	v_lshrrev_b32_e32 v46, 29, v2
	v_sub_u32_e32 v42, 31, v40
	v_alignbit_b32 v38, v39, v38, v42
	v_lshlrev_b32_e32 v39, 31, v46
	v_or_b32_e32 v42, 0x33800000, v39
	v_add_lshl_u32 v40, v40, v41, 23
	v_lshrrev_b32_e32 v38, 9, v38
	v_sub_u32_e32 v40, v42, v40
	v_or_b32_e32 v38, v40, v38
	v_alignbit_b32 v40, v41, v43, 9
	v_or_b32_e32 v39, v40, v39
	v_xor_b32_e32 v39, 1.0, v39
	v_mul_f32_e32 v40, 0x3fc90fda, v39
	v_fma_f32 v41, v39, s57, -v40
	v_fmac_f32_e32 v41, 0x33a22168, v39
	v_fmac_f32_e32 v41, 0x3fc90fda, v38
	v_lshrrev_b32_e32 v2, 30, v2
	v_add_f32_e32 v40, v40, v41
	v_add_u32_e32 v2, v47, v2
                                        ; implicit-def: $vgpr41
	s_andn2_saveexec_b64 s[10:11], s[36:37]
	s_cbranch_execnz .LBB163_153
	s_branch .LBB163_154
.LBB163_148:                            ;   in Loop: Header=BB163_4 Depth=1
	s_andn2_saveexec_b64 s[10:11], s[38:39]
.LBB163_149:                            ;   in Loop: Header=BB163_4 Depth=1
	v_mul_f32_e64 v2, |v19|, s58
	v_rndne_f32_e32 v2, v2
	v_cvt_i32_f32_e32 v8, v2
	v_fma_f32 v10, v2, s59, |v19|
	v_fmac_f32_e32 v10, 0xb3a22168, v2
	v_fmac_f32_e32 v10, 0xa7c234c4, v2
; %bb.150:                              ;   in Loop: Header=BB163_4 Depth=1
	s_or_b64 exec, exec, s[10:11]
                                        ; implicit-def: $vgpr2
                                        ; implicit-def: $vgpr40
	s_and_saveexec_b64 s[10:11], s[36:37]
	s_xor_b64 s[36:37], exec, s[10:11]
	s_cbranch_execz .LBB163_160
; %bb.151:                              ;   in Loop: Header=BB163_4 Depth=1
	v_cmp_lt_u32_e32 vcc, 63, v39
	v_cndmask_b32_e32 v2, 0, v33, vcc
	v_add_u32_e32 v2, v2, v39
	v_cmp_lt_u32_e64 s[10:11], 31, v2
	v_cndmask_b32_e64 v39, 0, v34, s[10:11]
	v_add_u32_e32 v2, v39, v2
	v_cmp_lt_u32_e64 s[12:13], 31, v2
	v_cndmask_b32_e64 v39, 0, v34, s[12:13]
	v_mad_u64_u32 v[40:41], s[14:15], v38, s50, 0
	v_add_u32_e32 v52, v39, v2
	v_mov_b32_e32 v2, v41
	v_mad_u64_u32 v[42:43], s[14:15], v38, s51, v[2:3]
	v_mov_b32_e32 v2, v43
	v_mad_u64_u32 v[44:45], s[14:15], v38, s52, v[2:3]
	;; [unrolled: 2-line block ×6, first 2 shown]
	v_cndmask_b32_e32 v41, v50, v46, vcc
	v_cndmask_b32_e32 v2, v38, v48, vcc
	;; [unrolled: 1-line block ×3, first 2 shown]
	v_cndmask_b32_e64 v38, v2, v41, s[10:11]
	v_cndmask_b32_e64 v2, v39, v2, s[10:11]
	v_cndmask_b32_e32 v39, v48, v44, vcc
	v_cndmask_b32_e64 v41, v41, v39, s[10:11]
	v_cndmask_b32_e32 v42, v46, v42, vcc
	v_cndmask_b32_e64 v2, v2, v38, s[12:13]
	v_cndmask_b32_e64 v38, v38, v41, s[12:13]
	v_sub_u32_e32 v43, 32, v52
	v_cndmask_b32_e64 v39, v39, v42, s[10:11]
	v_alignbit_b32 v45, v2, v38, v43
	v_cmp_eq_u32_e64 s[14:15], 0, v52
	v_cndmask_b32_e64 v41, v41, v39, s[12:13]
	v_cndmask_b32_e64 v2, v45, v2, s[14:15]
	v_alignbit_b32 v45, v38, v41, v43
	v_cndmask_b32_e32 v40, v44, v40, vcc
	v_cndmask_b32_e64 v38, v45, v38, s[14:15]
	v_bfe_u32 v47, v2, 29, 1
	v_cndmask_b32_e64 v40, v42, v40, s[10:11]
	v_alignbit_b32 v45, v2, v38, 30
	v_sub_u32_e32 v48, 0, v47
	v_cndmask_b32_e64 v39, v39, v40, s[12:13]
	v_xor_b32_e32 v49, v45, v48
	v_alignbit_b32 v40, v41, v39, v43
	v_cndmask_b32_e64 v40, v40, v41, s[14:15]
	v_ffbh_u32_e32 v41, v49
	v_add_u32_e32 v41, 1, v41
	v_cmp_ne_u32_e32 vcc, v45, v48
	v_alignbit_b32 v38, v38, v40, 30
	v_cndmask_b32_e32 v41, 33, v41, vcc
	v_alignbit_b32 v39, v40, v39, 30
	v_xor_b32_e32 v38, v38, v48
	v_sub_u32_e32 v42, 32, v41
	v_xor_b32_e32 v39, v39, v48
	v_alignbit_b32 v43, v49, v38, v42
	v_alignbit_b32 v38, v38, v39, v42
	;; [unrolled: 1-line block ×3, first 2 shown]
	v_ffbh_u32_e32 v40, v39
	v_min_u32_e32 v40, 32, v40
	v_lshrrev_b32_e32 v46, 29, v2
	v_sub_u32_e32 v42, 31, v40
	v_alignbit_b32 v38, v39, v38, v42
	v_lshlrev_b32_e32 v39, 31, v46
	v_or_b32_e32 v42, 0x33800000, v39
	v_add_lshl_u32 v40, v40, v41, 23
	v_lshrrev_b32_e32 v38, 9, v38
	v_sub_u32_e32 v40, v42, v40
	v_or_b32_e32 v38, v40, v38
	v_alignbit_b32 v40, v41, v43, 9
	v_or_b32_e32 v39, v40, v39
	v_xor_b32_e32 v39, 1.0, v39
	v_mul_f32_e32 v40, 0x3fc90fda, v39
	v_fma_f32 v41, v39, s57, -v40
	v_fmac_f32_e32 v41, 0x33a22168, v39
	v_fmac_f32_e32 v41, 0x3fc90fda, v38
	v_lshrrev_b32_e32 v2, 30, v2
	v_add_f32_e32 v40, v40, v41
	v_add_u32_e32 v2, v47, v2
	s_andn2_saveexec_b64 s[10:11], s[36:37]
	s_cbranch_execnz .LBB163_161
	s_branch .LBB163_162
.LBB163_152:                            ;   in Loop: Header=BB163_4 Depth=1
	s_andn2_saveexec_b64 s[10:11], s[36:37]
.LBB163_153:                            ;   in Loop: Header=BB163_4 Depth=1
	v_cvt_i32_f32_e32 v2, v41
	v_fma_f32 v40, v41, s59, |v19|
	v_fmac_f32_e32 v40, 0xb3a22168, v41
	v_fmac_f32_e32 v40, 0xa7c234c4, v41
.LBB163_154:                            ;   in Loop: Header=BB163_4 Depth=1
	s_or_b64 exec, exec, s[10:11]
	v_mul_f32_e32 v38, v37, v37
	v_mov_b32_e32 v39, 0x3c0881c4
	v_fmac_f32_e32 v39, 0xb94c1982, v38
	v_fma_f32 v39, v38, v39, v30
	v_mul_f32_e32 v39, v38, v39
	v_fmac_f32_e32 v37, v37, v39
	v_mov_b32_e32 v39, 0xbab64f3b
	v_fmac_f32_e32 v39, 0x37d75334, v38
	v_fma_f32 v39, v38, v39, v31
	v_fma_f32 v39, v38, v39, v32
	v_fma_f32 v38, v38, v39, 1.0
	v_and_b32_e32 v39, 1, v10
	v_lshlrev_b32_e32 v10, 30, v10
	v_cmp_eq_u32_e32 vcc, 0, v39
	v_and_b32_e32 v10, 0x80000000, v10
	v_cndmask_b32_e32 v37, v38, v37, vcc
	v_xor_b32_e32 v8, v8, v10
	v_xor_b32_e32 v8, v8, v37
	v_mul_f32_e32 v10, v40, v40
	v_mov_b32_e32 v37, 0x3c0881c4
	v_fmac_f32_e32 v37, 0xb94c1982, v10
	v_fma_f32 v37, v10, v37, v30
	v_mul_f32_e32 v37, v10, v37
	v_fmac_f32_e32 v40, v40, v37
	v_mov_b32_e32 v37, 0xbab64f3b
	v_fmac_f32_e32 v37, 0x37d75334, v10
	v_fma_f32 v37, v10, v37, v31
	v_fma_f32 v37, v10, v37, v32
	v_fma_f32 v10, v10, v37, 1.0
	v_and_b32_e32 v37, 1, v2
	v_cmp_eq_u32_e32 vcc, 0, v37
	v_lshlrev_b32_e32 v2, 30, v2
	v_cndmask_b32_e64 v10, -v40, v10, vcc
	v_and_b32_e32 v2, 0x80000000, v2
	v_xor_b32_e32 v8, v8, v19
	v_xor_b32_e32 v2, v2, v10
	v_mul_f32_e32 v2, v8, v2
	v_cmp_class_f32_e64 vcc, v19, s47
	v_cndmask_b32_e32 v19, v36, v2, vcc
.LBB163_155:                            ;   in Loop: Header=BB163_4 Depth=1
	s_or_b64 exec, exec, s[34:35]
	v_add_u32_e32 v18, -2.0, v18
	v_bfi_b32 v19, s45, 0, v19
.LBB163_156:                            ;   in Loop: Header=BB163_4 Depth=1
	s_or_b64 exec, exec, s[30:31]
	s_or_b64 exec, exec, s[28:29]
	s_and_saveexec_b64 s[10:11], s[0:1]
	s_xor_b64 s[0:1], exec, s[10:11]
	s_cbranch_execnz .LBB163_168
.LBB163_157:                            ;   in Loop: Header=BB163_4 Depth=1
	s_or_b64 exec, exec, s[0:1]
	s_and_saveexec_b64 s[0:1], s[2:3]
	s_cbranch_execz .LBB163_169
.LBB163_158:                            ;   in Loop: Header=BB163_4 Depth=1
	global_store_dwordx2 v[6:7], v[16:17], off
	s_or_b64 exec, exec, s[0:1]
	s_and_saveexec_b64 s[0:1], s[6:7]
	s_cbranch_execnz .LBB163_170
.LBB163_159:                            ;   in Loop: Header=BB163_4 Depth=1
	s_or_b64 exec, exec, s[0:1]
	s_and_saveexec_b64 s[0:1], s[8:9]
	s_cbranch_execz .LBB163_3
	s_branch .LBB163_171
.LBB163_160:                            ;   in Loop: Header=BB163_4 Depth=1
	s_andn2_saveexec_b64 s[10:11], s[36:37]
.LBB163_161:                            ;   in Loop: Header=BB163_4 Depth=1
	v_mul_f32_e64 v2, |v19|, s58
	v_rndne_f32_e32 v38, v2
	v_cvt_i32_f32_e32 v2, v38
	v_fma_f32 v40, v38, s59, |v19|
	v_fmac_f32_e32 v40, 0xb3a22168, v38
	v_fmac_f32_e32 v40, 0xa7c234c4, v38
.LBB163_162:                            ;   in Loop: Header=BB163_4 Depth=1
	s_or_b64 exec, exec, s[10:11]
	v_mul_f32_e32 v38, v10, v10
	v_mov_b32_e32 v39, 0x3c0881c4
	v_fmac_f32_e32 v39, 0xb94c1982, v38
	v_fma_f32 v39, v38, v39, v30
	v_mul_f32_e32 v39, v38, v39
	v_fmac_f32_e32 v10, v10, v39
	v_mov_b32_e32 v39, 0xbab64f3b
	v_fmac_f32_e32 v39, 0x37d75334, v38
	v_fma_f32 v39, v38, v39, v31
	v_fma_f32 v39, v38, v39, v32
	v_fma_f32 v38, v38, v39, 1.0
	v_and_b32_e32 v39, 1, v8
	v_lshlrev_b32_e32 v8, 30, v8
	v_and_b32_e32 v8, 0x80000000, v8
	v_cmp_eq_u32_e32 vcc, 0, v39
	v_xor_b32_e32 v8, v37, v8
	v_mul_f32_e64 v37, |v18|, s64
	v_cndmask_b32_e32 v10, v38, v10, vcc
	v_rndne_f32_e32 v38, v37
	v_sub_f32_e32 v39, v37, v38
	v_fma_f32 v37, |v18|, s64, -v37
	v_fma_f32 v37, |v18|, s65, v37
	v_add_f32_e32 v37, v39, v37
	v_exp_f32_e32 v37, v37
	v_cvt_i32_f32_e32 v38, v38
	v_xor_b32_e32 v8, v8, v10
	v_xor_b32_e32 v8, v8, v19
	v_mul_f32_e32 v19, v40, v40
	v_ldexp_f32 v10, v37, v38
	v_mov_b32_e32 v37, 0x3c0881c4
	v_fmac_f32_e32 v37, 0xb94c1982, v19
	v_fma_f32 v37, v19, v37, v30
	v_mul_f32_e32 v37, v19, v37
	v_fmac_f32_e32 v40, v40, v37
	v_mov_b32_e32 v37, 0xbab64f3b
	v_fmac_f32_e32 v37, 0x37d75334, v19
	v_fma_f32 v37, v19, v37, v31
	v_cmp_ngt_f32_e64 vcc, |v18|, s66
	v_fma_f32 v37, v19, v37, v32
	v_cndmask_b32_e32 v10, 0, v10, vcc
	v_cmp_nlt_f32_e64 vcc, |v18|, s67
	v_fma_f32 v19, v19, v37, 1.0
	v_and_b32_e32 v37, 1, v2
	v_cndmask_b32_e32 v10, v35, v10, vcc
	v_cmp_eq_u32_e32 vcc, 0, v37
	v_lshlrev_b32_e32 v2, 30, v2
	v_cndmask_b32_e64 v19, -v40, v19, vcc
	v_and_b32_e32 v2, 0x80000000, v2
	v_mul_f32_e32 v8, 4.0, v8
	v_xor_b32_e32 v2, v2, v19
	v_mul_f32_e32 v2, v8, v2
	v_mul_f32_e32 v2, v10, v2
	v_bfi_b32 v18, s45, 1.0, v18
	v_mul_f32_e32 v19, v10, v2
.LBB163_163:                            ;   in Loop: Header=BB163_4 Depth=1
	s_or_b64 exec, exec, s[34:35]
.LBB163_164:                            ;   in Loop: Header=BB163_4 Depth=1
	s_andn2_saveexec_b64 s[10:11], s[30:31]
; %bb.165:                              ;   in Loop: Header=BB163_4 Depth=1
	v_sub_f32_e32 v19, v19, v19
	v_mov_b32_e32 v18, v19
; %bb.166:                              ;   in Loop: Header=BB163_4 Depth=1
	s_or_b64 exec, exec, s[10:11]
	s_andn2_saveexec_b64 s[28:29], s[28:29]
	s_cbranch_execnz .LBB163_138
.LBB163_167:                            ;   in Loop: Header=BB163_4 Depth=1
	s_or_b64 exec, exec, s[28:29]
	s_and_saveexec_b64 s[10:11], s[0:1]
	s_xor_b64 s[0:1], exec, s[10:11]
	s_cbranch_execz .LBB163_157
.LBB163_168:                            ;   in Loop: Header=BB163_4 Depth=1
	global_store_dwordx2 v[4:5], v[12:13], off
	s_or_b64 exec, exec, s[0:1]
	s_and_saveexec_b64 s[0:1], s[2:3]
	s_cbranch_execnz .LBB163_158
.LBB163_169:                            ;   in Loop: Header=BB163_4 Depth=1
	s_or_b64 exec, exec, s[0:1]
	s_and_saveexec_b64 s[0:1], s[6:7]
	s_cbranch_execz .LBB163_159
.LBB163_170:                            ;   in Loop: Header=BB163_4 Depth=1
	v_mov_b32_e32 v2, s44
	v_add_co_u32_e32 v12, vcc, s43, v4
	v_addc_co_u32_e32 v13, vcc, v5, v2, vcc
	global_store_dwordx2 v[12:13], v[14:15], off
	s_or_b64 exec, exec, s[0:1]
	s_and_saveexec_b64 s[0:1], s[8:9]
	s_cbranch_execz .LBB163_3
.LBB163_171:                            ;   in Loop: Header=BB163_4 Depth=1
	v_mov_b32_e32 v2, s42
	v_add_co_u32_e32 v12, vcc, s41, v4
	v_addc_co_u32_e32 v13, vcc, v5, v2, vcc
	global_store_dwordx2 v[12:13], v[18:19], off
	s_branch .LBB163_3
.LBB163_172:
	s_cbranch_execz .LBB163_174
	s_branch .LBB163_329
.LBB163_173:
.LBB163_174:
	v_mov_b32_e32 v13, 0
	v_lshlrev_b32_e32 v12, 2, v0
	s_mov_b32 s8, 0
	v_cmp_gt_i64_e32 vcc, s[16:17], v[12:13]
	s_and_saveexec_b64 s[0:1], vcc
	s_cbranch_execz .LBB163_329
; %bb.175:
	s_load_dword s0, s[4:5], 0xd3c
	v_lshlrev_b32_e32 v1, 5, v0
	s_mov_b32 s26, s8
	s_mov_b64 s[6:7], 0
	s_brev_b32 s27, -2
	s_waitcnt lgkmcnt(0)
	s_and_b32 s0, s0, 0xffff
	s_lshl_b32 s24, s0, 2
	s_add_u32 s1, s18, s20
	s_addc_u32 s2, s19, s21
	v_add_lshl_u32 v12, v0, s0, 2
	v_mov_b32_e32 v0, s2
	v_add_co_u32_e32 v14, vcc, s1, v1
	v_addc_co_u32_e32 v15, vcc, 0, v0, vcc
	s_lshl_b32 s25, s0, 5
	s_mov_b32 s28, 0x7f800000
	s_movk_i32 s29, 0x1f8
	s_mov_b32 s30, 0x41300000
	s_brev_b32 s31, 18
	s_mov_b32 s33, 0xfe5163ab
	s_mov_b32 s34, 0x3c439041
	;; [unrolled: 1-line block ×10, first 2 shown]
	v_mov_b32_e32 v22, 0x3f93f425
	s_mov_b32 s43, 0xbf317218
	v_mov_b32_e32 v17, 0x3f317218
	v_mov_b32_e32 v23, 0x3d2aadcc
	;; [unrolled: 1-line block ×4, first 2 shown]
	s_mov_b32 s9, -1.0
	s_mov_b32 s44, 0x42b2d4fc
	s_mov_b32 s45, 0x39800000
	;; [unrolled: 1-line block ×3, first 2 shown]
	v_mov_b32_e32 v26, 0x260
	v_mov_b32_e32 v27, 0xbe2aaa9d
	;; [unrolled: 1-line block ×4, first 2 shown]
	s_mov_b32 s47, 0xbfb8aa3b
	s_mov_b32 s48, 0xb2a5705f
	;; [unrolled: 1-line block ×4, first 2 shown]
	s_mov_b64 s[10:11], 0xffff
	v_not_b32_e32 v30, 63
	v_not_b32_e32 v31, 31
	v_mov_b32_e32 v19, -1.0
	v_mov_b32_e32 v32, 0x7f800000
	v_mov_b32_e32 v33, 0x7fc00000
	v_pk_mov_b32 v[20:21], v[12:13], v[12:13] op_sel:[0,1]
	s_branch .LBB163_180
.LBB163_176:                            ;   in Loop: Header=BB163_180 Depth=1
	s_or_b64 exec, exec, s[0:1]
	v_mul_f32_e32 v11, v10, v10
	v_mov_b32_e32 v16, 0x3c0881c4
	v_fmac_f32_e32 v16, 0xb94c1982, v11
	v_fma_f32 v16, v11, v16, v27
	v_mul_f32_e32 v16, v11, v16
	v_fmac_f32_e32 v10, v10, v16
	v_mov_b32_e32 v16, 0xbab64f3b
	v_fmac_f32_e32 v16, 0x37d75334, v11
	v_fma_f32 v16, v11, v16, v28
	v_fma_f32 v16, v11, v16, v29
	v_fma_f32 v11, v11, v16, 1.0
	v_and_b32_e32 v16, 1, v1
	v_lshlrev_b32_e32 v1, 30, v1
	v_cmp_eq_u32_e32 vcc, 0, v16
	v_and_b32_e32 v1, 0x80000000, v1
	v_cndmask_b32_e32 v10, v11, v10, vcc
	v_xor_b32_e32 v0, v0, v1
	v_xor_b32_e32 v0, v0, v10
	v_mul_f32_e32 v1, v18, v18
	v_mov_b32_e32 v10, 0x3c0881c4
	v_fmac_f32_e32 v10, 0xb94c1982, v1
	v_fma_f32 v10, v1, v10, v27
	v_mul_f32_e32 v10, v1, v10
	v_fmac_f32_e32 v18, v18, v10
	v_mov_b32_e32 v10, 0xbab64f3b
	v_fmac_f32_e32 v10, 0x37d75334, v1
	v_fma_f32 v10, v1, v10, v28
	v_fma_f32 v10, v1, v10, v29
	v_fma_f32 v1, v1, v10, 1.0
	v_and_b32_e32 v10, 1, v12
	v_cmp_eq_u32_e32 vcc, 0, v10
	v_lshlrev_b32_e32 v10, 30, v12
	v_cndmask_b32_e64 v1, -v18, v1, vcc
	v_and_b32_e32 v10, 0x80000000, v10
	v_xor_b32_e32 v0, v0, v3
	v_xor_b32_e32 v1, v10, v1
	v_mul_f32_e32 v0, v0, v1
	v_cmp_class_f32_e64 vcc, v3, s29
	v_cndmask_b32_e32 v3, v33, v0, vcc
.LBB163_177:                            ;   in Loop: Header=BB163_180 Depth=1
	s_or_b64 exec, exec, s[18:19]
	v_add_u32_e32 v2, -2.0, v2
	v_bfi_b32 v11, s27, 0, v3
.LBB163_178:                            ;   in Loop: Header=BB163_180 Depth=1
	s_or_b64 exec, exec, s[14:15]
	v_mov_b32_e32 v10, v2
.LBB163_179:                            ;   in Loop: Header=BB163_180 Depth=1
	s_or_b64 exec, exec, s[12:13]
	v_cmp_le_i64_e32 vcc, s[16:17], v[20:21]
	v_cmp_lt_u64_e64 s[0:1], s[10:11], v[20:21]
	s_or_b64 s[0:1], vcc, s[0:1]
	v_mov_b32_e32 v0, s8
	v_add_co_u32_e32 v20, vcc, s24, v20
	v_addc_co_u32_e32 v21, vcc, v21, v0, vcc
	global_store_dwordx4 v[14:15], v[4:7], off
	global_store_dwordx4 v[14:15], v[8:11], off offset:16
	v_mov_b32_e32 v0, s26
	s_and_b64 s[0:1], exec, s[0:1]
	v_add_co_u32_e32 v14, vcc, s25, v14
	s_or_b64 s[6:7], s[0:1], s[6:7]
	v_addc_co_u32_e32 v15, vcc, v15, v0, vcc
	s_andn2_b64 exec, exec, s[6:7]
	s_cbranch_execz .LBB163_329
.LBB163_180:                            ; =>This Inner Loop Header: Depth=1
	global_load_dwordx4 v[8:11], v[14:15], off
	global_load_dwordx4 v[0:3], v[14:15], off offset:16
                                        ; implicit-def: $vgpr5
	s_waitcnt vmcnt(1)
	v_and_b32_e32 v16, 0x7fffffff, v8
	v_cmp_gt_u32_e32 vcc, s28, v16
	s_and_saveexec_b64 s[0:1], vcc
	s_xor_b64 s[12:13], exec, s[0:1]
	s_cbranch_execz .LBB163_202
; %bb.181:                              ;   in Loop: Header=BB163_180 Depth=1
	v_cmp_class_f32_e64 s[0:1], v9, s29
                                        ; implicit-def: $vgpr5
	s_and_saveexec_b64 s[2:3], s[0:1]
	s_xor_b64 s[14:15], exec, s[2:3]
	s_cbranch_execz .LBB163_199
; %bb.182:                              ;   in Loop: Header=BB163_180 Depth=1
	v_and_b32_e32 v6, 0x7fffffff, v9
	v_cmp_gt_u32_e32 vcc, s30, v16
                                        ; implicit-def: $vgpr5
	s_and_saveexec_b64 s[0:1], vcc
	s_xor_b64 s[18:19], exec, s[0:1]
	s_cbranch_execz .LBB163_188
; %bb.183:                              ;   in Loop: Header=BB163_180 Depth=1
	v_cmp_nlt_f32_e64 s[0:1], |v9|, s31
                                        ; implicit-def: $vgpr5
                                        ; implicit-def: $vgpr4
	s_and_saveexec_b64 s[2:3], s[0:1]
	s_xor_b64 s[20:21], exec, s[2:3]
	s_cbranch_execz .LBB163_185
; %bb.184:                              ;   in Loop: Header=BB163_180 Depth=1
	v_lshrrev_b32_e32 v4, 23, v6
	v_add_u32_e32 v4, 0xffffff88, v4
	v_cmp_lt_u32_e32 vcc, 63, v4
	v_cndmask_b32_e32 v5, 0, v30, vcc
	v_add_u32_e32 v4, v5, v4
	v_cmp_lt_u32_e64 s[0:1], 31, v4
	v_cndmask_b32_e64 v5, 0, v31, s[0:1]
	v_add_u32_e32 v4, v5, v4
	v_cmp_lt_u32_e64 s[2:3], 31, v4
	v_cndmask_b32_e64 v5, 0, v31, s[2:3]
	v_add_u32_e32 v7, v5, v4
	v_and_b32_e32 v4, 0x7fffff, v6
	v_or_b32_e32 v18, 0x800000, v4
	v_mad_u64_u32 v[4:5], s[4:5], v18, s33, 0
	v_mov_b32_e32 v12, v5
	v_mad_u64_u32 v[34:35], s[4:5], v18, s34, v[12:13]
	v_mov_b32_e32 v12, v35
	;; [unrolled: 2-line block ×6, first 2 shown]
	v_mad_u64_u32 v[44:45], s[4:5], v18, s39, v[12:13]
	v_cndmask_b32_e32 v5, v42, v38, vcc
	v_cndmask_b32_e32 v12, v44, v40, vcc
	;; [unrolled: 1-line block ×3, first 2 shown]
	v_cndmask_b32_e64 v18, v12, v5, s[0:1]
	v_cndmask_b32_e64 v12, v35, v12, s[0:1]
	v_cndmask_b32_e32 v35, v40, v36, vcc
	v_cndmask_b32_e64 v5, v5, v35, s[0:1]
	v_cndmask_b32_e64 v12, v12, v18, s[2:3]
	;; [unrolled: 1-line block ×3, first 2 shown]
	v_sub_u32_e32 v37, 32, v7
	v_alignbit_b32 v39, v12, v18, v37
	v_cmp_eq_u32_e64 s[4:5], 0, v7
	v_cndmask_b32_e64 v7, v39, v12, s[4:5]
	v_cndmask_b32_e32 v12, v38, v34, vcc
	v_cndmask_b32_e64 v34, v35, v12, s[0:1]
	v_cndmask_b32_e64 v5, v5, v34, s[2:3]
	v_cndmask_b32_e32 v4, v36, v4, vcc
	v_alignbit_b32 v35, v18, v5, v37
	v_cndmask_b32_e64 v4, v12, v4, s[0:1]
	v_cndmask_b32_e64 v18, v35, v18, s[4:5]
	v_bfe_u32 v39, v7, 29, 1
	v_cndmask_b32_e64 v4, v34, v4, s[2:3]
	v_alignbit_b32 v35, v7, v18, 30
	v_sub_u32_e32 v40, 0, v39
	v_alignbit_b32 v12, v5, v4, v37
	v_xor_b32_e32 v41, v35, v40
	v_cndmask_b32_e64 v5, v12, v5, s[4:5]
	v_alignbit_b32 v12, v18, v5, 30
	v_ffbh_u32_e32 v18, v41
	v_add_u32_e32 v18, 1, v18
	v_cmp_ne_u32_e32 vcc, v35, v40
	v_cndmask_b32_e32 v18, 33, v18, vcc
	v_alignbit_b32 v4, v5, v4, 30
	v_xor_b32_e32 v12, v12, v40
	v_sub_u32_e32 v34, 32, v18
	v_xor_b32_e32 v4, v4, v40
	v_alignbit_b32 v35, v41, v12, v34
	v_alignbit_b32 v4, v12, v4, v34
	;; [unrolled: 1-line block ×3, first 2 shown]
	v_ffbh_u32_e32 v12, v5
	v_min_u32_e32 v12, 32, v12
	v_lshrrev_b32_e32 v38, 29, v7
	v_sub_u32_e32 v34, 31, v12
	v_alignbit_b32 v4, v5, v4, v34
	v_lshlrev_b32_e32 v5, 31, v38
	v_or_b32_e32 v34, 0x33800000, v5
	v_add_lshl_u32 v12, v12, v18, 23
	v_lshrrev_b32_e32 v4, 9, v4
	v_sub_u32_e32 v12, v34, v12
	v_or_b32_e32 v4, v12, v4
	v_alignbit_b32 v12, v18, v35, 9
	v_or_b32_e32 v5, v12, v5
	v_xor_b32_e32 v5, 1.0, v5
	v_mul_f32_e32 v12, 0x3fc90fda, v5
	v_fma_f32 v18, v5, s40, -v12
	v_fmac_f32_e32 v18, 0x33a22168, v5
	v_fmac_f32_e32 v18, 0x3fc90fda, v4
	v_lshrrev_b32_e32 v5, 30, v7
	v_add_f32_e32 v4, v12, v18
	v_add_u32_e32 v5, v39, v5
.LBB163_185:                            ;   in Loop: Header=BB163_180 Depth=1
	s_andn2_saveexec_b64 s[0:1], s[20:21]
; %bb.186:                              ;   in Loop: Header=BB163_180 Depth=1
	v_mul_f32_e64 v4, |v9|, s41
	v_rndne_f32_e32 v7, v4
	v_cvt_i32_f32_e32 v5, v7
	v_fma_f32 v4, v7, s42, |v9|
	v_fmac_f32_e32 v4, 0xb3a22168, v7
	v_fmac_f32_e32 v4, 0xa7c234c4, v7
; %bb.187:                              ;   in Loop: Header=BB163_180 Depth=1
	s_or_b64 exec, exec, s[0:1]
	v_mul_f32_e32 v7, v4, v4
	v_mov_b32_e32 v12, 0xbf039337
	v_fmac_f32_e32 v12, 0x3c971480, v7
	v_fma_f32 v12, v7, v12, v22
	v_rcp_f32_e32 v12, v12
	v_mov_b32_e32 v18, 0x3ec54587
	v_fmac_f32_e32 v18, 0xbc8cedd3, v7
	v_and_b32_e32 v5, 1, v5
	v_mul_f32_e32 v12, v18, v12
	v_mul_f32_e32 v7, v7, v12
	v_fma_f32 v12, v7, v4, v4
	v_rcp_f32_e32 v18, v12
	v_sub_f32_e32 v34, v12, v4
	v_fma_f32 v4, v7, v4, -v34
	v_cmp_eq_u32_e32 vcc, 0, v5
	v_fma_f32 v7, v12, -v18, 1.0
	v_fma_f32 v4, v4, -v18, v7
	v_fma_f32 v4, v4, -v18, -v18
	v_cndmask_b32_e32 v7, v4, v12, vcc
	v_add_f32_e64 v12, |v8|, s43
	v_sub_f32_e64 v5, v12, |v8|
	v_sub_f32_e32 v4, v5, v12
	v_pk_add_f32 v[4:5], v[16:17], v[4:5]
	v_sub_f32_e32 v4, v4, v5
	v_add_f32_e32 v4, 0x3102e308, v4
	v_add_f32_e32 v5, v12, v4
	v_sub_f32_e32 v12, v12, v5
	v_add_f32_e32 v4, v4, v12
	v_mul_f32_e32 v12, 0x3fb8aa3b, v5
	v_rndne_f32_e32 v12, v12
	v_fmac_f32_e32 v5, 0xbf317200, v12
	v_add_f32_e32 v16, v4, v5
	v_mul_f32_e32 v18, 0x35bfbc00, v12
	v_sub_f32_e32 v34, v16, v18
	v_sub_f32_e32 v5, v5, v16
	;; [unrolled: 1-line block ×3, first 2 shown]
	v_add_f32_e32 v4, v4, v5
	v_sub_f32_e32 v16, v16, v18
	v_add_f32_e32 v16, v4, v16
	v_add_f32_e32 v35, v34, v16
	v_mul_f32_e32 v5, 0x2ea39ef3, v12
	v_mov_b32_e32 v4, v35
	v_pk_add_f32 v[36:37], v[34:35], v[4:5] neg_lo:[0,1] neg_hi:[0,1]
	v_sub_f32_e32 v4, v35, v37
	v_sub_f32_e32 v4, v4, v5
	v_add_f32_e32 v5, v16, v36
	v_add_f32_e32 v4, v5, v4
	;; [unrolled: 1-line block ×3, first 2 shown]
	v_sub_f32_e32 v18, v37, v5
	v_mov_b32_e32 v16, 0x3c091de6
	v_add_f32_e32 v4, v4, v18
	v_mul_f32_e32 v34, v5, v5
	v_fmac_f32_e32 v16, 0x3ab42872, v5
	v_add_f32_e32 v18, v4, v4
	v_fma_f32 v35, v5, v5, -v34
	v_fma_f32 v16, v5, v16, v23
	v_fmac_f32_e32 v35, v5, v18
	v_fma_f32 v16, v5, v16, v24
	v_add_f32_e32 v18, v34, v35
	v_fma_f32 v16, v5, v16, v25
	v_sub_f32_e32 v34, v18, v34
	v_sub_f32_e32 v34, v35, v34
	v_mul_f32_e32 v35, v16, v18
	v_fma_f32 v18, v18, v16, -v35
	v_fmac_f32_e32 v18, v34, v16
	v_add_f32_e32 v16, v35, v18
	v_sub_f32_e32 v34, v16, v35
	v_sub_f32_e32 v34, v18, v34
	v_add_f32_e32 v18, v5, v16
	v_sub_f32_e32 v5, v18, v5
	v_sub_f32_e32 v5, v16, v5
	v_add_f32_e32 v4, v4, v34
	v_add_f32_e32 v4, v4, v5
	;; [unrolled: 1-line block ×3, first 2 shown]
	v_add_f32_e32 v35, 1.0, v34
	v_pk_add_f32 v[36:37], v[34:35], v[18:19] neg_lo:[0,1] neg_hi:[0,1]
	v_pk_add_f32 v[38:39], v[34:35], s[8:9]
	v_mov_b32_e32 v37, v39
	v_mov_b32_e32 v5, v34
	v_cvt_i32_f32_e32 v12, v12
	v_pk_add_f32 v[4:5], v[4:5], v[36:37] neg_lo:[0,1] neg_hi:[0,1]
	v_add_f32_e32 v4, v4, v5
	v_add_f32_e32 v5, v35, v4
	v_ldexp_f32 v16, v5, v12
	v_rcp_f32_e32 v18, v16
	v_sub_f32_e32 v5, v5, v35
	v_sub_f32_e32 v4, v4, v5
	v_ldexp_f32 v4, v4, v12
	v_mul_f32_e32 v5, v16, v18
	v_fma_f32 v12, v18, v16, -v5
	v_fmac_f32_e32 v12, v18, v4
	v_add_f32_e32 v34, v5, v12
	v_sub_f32_e32 v35, 1.0, v34
	v_sub_f32_e32 v36, 1.0, v35
	v_sub_f32_e32 v5, v34, v5
	v_sub_f32_e32 v36, v36, v34
	;; [unrolled: 1-line block ×3, first 2 shown]
	v_add_f32_e32 v5, v5, v36
	v_add_f32_e32 v12, v35, v5
	v_mul_f32_e32 v34, v18, v12
	v_mul_f32_e32 v36, v16, v34
	v_fma_f32 v37, v34, v16, -v36
	v_fmac_f32_e32 v37, v34, v4
	v_sub_f32_e32 v35, v35, v12
	v_add_f32_e32 v5, v5, v35
	v_add_f32_e32 v35, v36, v37
	v_sub_f32_e32 v38, v12, v35
	v_sub_f32_e32 v12, v12, v38
	;; [unrolled: 1-line block ×4, first 2 shown]
	v_add_f32_e32 v5, v5, v12
	v_sub_f32_e32 v12, v36, v37
	v_add_f32_e32 v5, v12, v5
	v_add_f32_e32 v5, v38, v5
	;; [unrolled: 1-line block ×3, first 2 shown]
	v_mul_f32_e32 v5, v18, v5
	v_sub_f32_e32 v18, v12, v18
	v_sub_f32_e32 v18, v34, v18
	v_add_f32_e32 v5, v18, v5
	v_add_f32_e32 v18, v12, v5
	v_sub_f32_e32 v12, v18, v12
	v_sub_f32_e32 v5, v5, v12
	v_ldexp_f32 v12, v18, -2
	v_sub_f32_e32 v18, v16, v12
	v_sub_f32_e32 v16, v16, v18
	;; [unrolled: 1-line block ×3, first 2 shown]
	v_ldexp_f32 v5, v5, -2
	v_add_f32_e32 v4, v4, v12
	v_sub_f32_e32 v4, v4, v5
	v_add_f32_e32 v4, v18, v4
	v_cmp_ngt_f32_e64 vcc, |v8|, s44
	v_cndmask_b32_e32 v4, v32, v4, vcc
	v_cmp_lt_f32_e64 s[0:1], |v8|, s45
	v_cndmask_b32_e64 v4, v4, |v8|, s[0:1]
	v_bfi_b32 v4, s27, v4, v8
	v_fma_f32 v5, v4, v4, 1.0
	v_mul_f32_e32 v12, 0x4f800000, v5
	v_cmp_gt_f32_e32 vcc, s46, v5
	v_cndmask_b32_e32 v5, v5, v12, vcc
	v_sqrt_f32_e32 v12, v5
	v_xor_b32_e32 v6, v6, v7
	v_xor_b32_e32 v6, v6, v9
	v_fma_f32 v7, v6, v6, 1.0
	v_add_u32_e32 v16, -1, v12
	v_fma_f32 v18, -v16, v12, v5
	v_cmp_ge_f32_e64 s[0:1], 0, v18
	v_add_u32_e32 v18, 1, v12
	v_cndmask_b32_e64 v16, v12, v16, s[0:1]
	v_fma_f32 v12, -v18, v12, v5
	v_cmp_lt_f32_e64 s[0:1], 0, v12
	v_cndmask_b32_e64 v12, v16, v18, s[0:1]
	v_mul_f32_e32 v16, 0x37800000, v12
	v_cndmask_b32_e32 v12, v12, v16, vcc
	v_cmp_class_f32_e32 vcc, v5, v26
	v_cndmask_b32_e32 v5, v12, v5, vcc
	v_mul_f32_e32 v12, v4, v7
	v_mul_f32_e32 v5, v5, v7
	v_fma_f32 v12, v4, v12, 1.0
	v_mul_f32_e32 v4, v4, v5
	v_div_scale_f32 v5, s[0:1], v12, v12, v4
	v_rcp_f32_e32 v7, v5
	v_fma_f32 v16, -v5, v7, 1.0
	v_fmac_f32_e32 v7, v16, v7
	v_div_scale_f32 v16, vcc, v4, v12, v4
	v_mul_f32_e32 v18, v16, v7
	v_fma_f32 v34, -v5, v18, v16
	v_fmac_f32_e32 v18, v34, v7
	v_fma_f32 v5, -v5, v18, v16
	v_div_scale_f32 v16, s[0:1], v12, v12, v6
	v_rcp_f32_e32 v34, v16
	v_div_fmas_f32 v5, v5, v7, v18
	v_div_fixup_f32 v4, v5, v12, v4
	v_fma_f32 v5, -v16, v34, 1.0
	v_fmac_f32_e32 v34, v5, v34
	v_div_scale_f32 v5, vcc, v6, v12, v6
	v_mul_f32_e32 v7, v5, v34
	v_fma_f32 v18, -v16, v7, v5
	v_fmac_f32_e32 v7, v18, v34
	v_fma_f32 v5, -v16, v7, v5
	v_div_fmas_f32 v5, v5, v34, v7
	v_div_fixup_f32 v5, v5, v12, v6
                                        ; implicit-def: $vgpr6
.LBB163_188:                            ;   in Loop: Header=BB163_180 Depth=1
	s_andn2_saveexec_b64 s[18:19], s[18:19]
	s_cbranch_execz .LBB163_191
; %bb.189:                              ;   in Loop: Header=BB163_180 Depth=1
	v_lshrrev_b32_e32 v4, 23, v6
	v_and_b32_e32 v5, 0x7fffff, v6
	v_cmp_nlt_f32_e64 s[20:21], |v9|, s31
	v_add_u32_e32 v16, 0xffffff88, v4
	v_or_b32_e32 v7, 0x800000, v5
                                        ; implicit-def: $vgpr4
                                        ; implicit-def: $vgpr5
	s_and_saveexec_b64 s[0:1], s[20:21]
	s_xor_b64 s[22:23], exec, s[0:1]
	s_cbranch_execz .LBB163_192
; %bb.190:                              ;   in Loop: Header=BB163_180 Depth=1
	v_cmp_lt_u32_e32 vcc, 63, v16
	v_cndmask_b32_e32 v4, 0, v30, vcc
	v_add_u32_e32 v4, v4, v16
	v_cmp_lt_u32_e64 s[0:1], 31, v4
	v_cndmask_b32_e64 v5, 0, v31, s[0:1]
	v_add_u32_e32 v4, v5, v4
	v_cmp_lt_u32_e64 s[2:3], 31, v4
	v_cndmask_b32_e64 v5, 0, v31, s[2:3]
	v_add_u32_e32 v18, v5, v4
	v_mad_u64_u32 v[4:5], s[4:5], v7, s33, 0
	v_mov_b32_e32 v12, v5
	v_mad_u64_u32 v[34:35], s[4:5], v7, s34, v[12:13]
	v_mov_b32_e32 v12, v35
	;; [unrolled: 2-line block ×6, first 2 shown]
	v_mad_u64_u32 v[44:45], s[4:5], v7, s39, v[12:13]
	v_cndmask_b32_e32 v5, v42, v38, vcc
	v_cndmask_b32_e32 v12, v44, v40, vcc
	;; [unrolled: 1-line block ×3, first 2 shown]
	v_cndmask_b32_e64 v35, v12, v5, s[0:1]
	v_cndmask_b32_e64 v12, v37, v12, s[0:1]
	v_cndmask_b32_e32 v37, v40, v36, vcc
	v_cndmask_b32_e64 v5, v5, v37, s[0:1]
	v_sub_u32_e32 v39, 32, v18
	v_cmp_eq_u32_e64 s[4:5], 0, v18
	v_cndmask_b32_e32 v18, v38, v34, vcc
	v_cndmask_b32_e64 v12, v12, v35, s[2:3]
	v_cndmask_b32_e64 v35, v35, v5, s[2:3]
	;; [unrolled: 1-line block ×3, first 2 shown]
	v_alignbit_b32 v40, v12, v35, v39
	v_cndmask_b32_e64 v5, v5, v34, s[2:3]
	v_cndmask_b32_e64 v12, v40, v12, s[4:5]
	v_alignbit_b32 v37, v35, v5, v39
	v_cndmask_b32_e64 v35, v37, v35, s[4:5]
	v_bfe_u32 v40, v12, 29, 1
	v_cndmask_b32_e32 v4, v36, v4, vcc
	v_alignbit_b32 v37, v12, v35, 30
	v_sub_u32_e32 v41, 0, v40
	v_cndmask_b32_e64 v4, v18, v4, s[0:1]
	v_xor_b32_e32 v42, v37, v41
	v_cndmask_b32_e64 v4, v34, v4, s[2:3]
	v_alignbit_b32 v18, v5, v4, v39
	v_ffbh_u32_e32 v34, v42
	v_cndmask_b32_e64 v5, v18, v5, s[4:5]
	v_add_u32_e32 v34, 1, v34
	v_cmp_ne_u32_e32 vcc, v37, v41
	v_alignbit_b32 v18, v35, v5, 30
	v_cndmask_b32_e32 v34, 33, v34, vcc
	v_alignbit_b32 v4, v5, v4, 30
	v_xor_b32_e32 v18, v18, v41
	v_sub_u32_e32 v35, 32, v34
	v_xor_b32_e32 v4, v4, v41
	v_alignbit_b32 v36, v42, v18, v35
	v_alignbit_b32 v4, v18, v4, v35
	;; [unrolled: 1-line block ×3, first 2 shown]
	v_ffbh_u32_e32 v18, v5
	v_min_u32_e32 v18, 32, v18
	v_lshrrev_b32_e32 v38, 29, v12
	v_sub_u32_e32 v35, 31, v18
	v_alignbit_b32 v4, v5, v4, v35
	v_lshlrev_b32_e32 v5, 31, v38
	v_or_b32_e32 v35, 0x33800000, v5
	v_add_lshl_u32 v18, v18, v34, 23
	v_lshrrev_b32_e32 v4, 9, v4
	v_sub_u32_e32 v18, v35, v18
	v_or_b32_e32 v4, v18, v4
	v_alignbit_b32 v18, v34, v36, 9
	v_or_b32_e32 v5, v18, v5
	v_xor_b32_e32 v5, 1.0, v5
	v_mul_f32_e32 v18, 0x3fc90fda, v5
	v_fma_f32 v34, v5, s40, -v18
	v_fmac_f32_e32 v34, 0x33a22168, v5
	v_fmac_f32_e32 v34, 0x3fc90fda, v4
	v_lshrrev_b32_e32 v4, 30, v12
	v_add_f32_e32 v5, v18, v34
	v_add_u32_e32 v4, v40, v4
	s_andn2_saveexec_b64 s[0:1], s[22:23]
	s_branch .LBB163_193
.LBB163_191:                            ;   in Loop: Header=BB163_180 Depth=1
	s_or_b64 exec, exec, s[18:19]
	s_andn2_saveexec_b64 s[0:1], s[14:15]
	s_cbranch_execnz .LBB163_200
	s_branch .LBB163_201
.LBB163_192:                            ;   in Loop: Header=BB163_180 Depth=1
	s_andn2_saveexec_b64 s[0:1], s[22:23]
.LBB163_193:                            ;   in Loop: Header=BB163_180 Depth=1
	v_mul_f32_e64 v4, |v9|, s41
	v_rndne_f32_e32 v12, v4
	v_cvt_i32_f32_e32 v4, v12
	v_fma_f32 v5, v12, s42, |v9|
	v_fmac_f32_e32 v5, 0xb3a22168, v12
	v_fmac_f32_e32 v5, 0xa7c234c4, v12
; %bb.194:                              ;   in Loop: Header=BB163_180 Depth=1
	s_or_b64 exec, exec, s[0:1]
                                        ; implicit-def: $vgpr12
                                        ; implicit-def: $vgpr18
	s_and_saveexec_b64 s[0:1], s[20:21]
	s_xor_b64 s[20:21], exec, s[0:1]
	s_cbranch_execz .LBB163_196
; %bb.195:                              ;   in Loop: Header=BB163_180 Depth=1
	v_cmp_lt_u32_e32 vcc, 63, v16
	v_cndmask_b32_e32 v12, 0, v30, vcc
	v_add_u32_e32 v12, v12, v16
	v_cmp_lt_u32_e64 s[0:1], 31, v12
	v_cndmask_b32_e64 v16, 0, v31, s[0:1]
	v_add_u32_e32 v12, v16, v12
	v_cmp_lt_u32_e64 s[2:3], 31, v12
	v_cndmask_b32_e64 v16, 0, v31, s[2:3]
	v_mad_u64_u32 v[34:35], s[4:5], v7, s33, 0
	v_add_u32_e32 v16, v16, v12
	v_mov_b32_e32 v12, v35
	v_mad_u64_u32 v[36:37], s[4:5], v7, s34, v[12:13]
	v_mov_b32_e32 v12, v37
	v_mad_u64_u32 v[38:39], s[4:5], v7, s35, v[12:13]
	;; [unrolled: 2-line block ×6, first 2 shown]
	v_cndmask_b32_e32 v18, v44, v40, vcc
	v_cndmask_b32_e32 v7, v46, v42, vcc
	;; [unrolled: 1-line block ×3, first 2 shown]
	v_cndmask_b32_e64 v12, v7, v18, s[0:1]
	v_cndmask_b32_e64 v7, v35, v7, s[0:1]
	v_cndmask_b32_e32 v35, v42, v38, vcc
	v_cndmask_b32_e64 v18, v18, v35, s[0:1]
	v_sub_u32_e32 v37, 32, v16
	v_cmp_eq_u32_e64 s[4:5], 0, v16
	v_cndmask_b32_e32 v16, v40, v36, vcc
	v_cndmask_b32_e64 v7, v7, v12, s[2:3]
	v_cndmask_b32_e64 v12, v12, v18, s[2:3]
	;; [unrolled: 1-line block ×3, first 2 shown]
	v_alignbit_b32 v39, v7, v12, v37
	v_cndmask_b32_e64 v18, v18, v35, s[2:3]
	v_cndmask_b32_e64 v7, v39, v7, s[4:5]
	v_alignbit_b32 v36, v12, v18, v37
	v_cndmask_b32_e32 v34, v38, v34, vcc
	v_cndmask_b32_e64 v12, v36, v12, s[4:5]
	v_bfe_u32 v40, v7, 29, 1
	v_cndmask_b32_e64 v16, v16, v34, s[0:1]
	v_alignbit_b32 v36, v7, v12, 30
	v_sub_u32_e32 v41, 0, v40
	v_cndmask_b32_e64 v16, v35, v16, s[2:3]
	v_xor_b32_e32 v42, v36, v41
	v_alignbit_b32 v34, v18, v16, v37
	v_cndmask_b32_e64 v18, v34, v18, s[4:5]
	v_ffbh_u32_e32 v34, v42
	v_add_u32_e32 v34, 1, v34
	v_cmp_ne_u32_e32 vcc, v36, v41
	v_alignbit_b32 v12, v12, v18, 30
	v_cndmask_b32_e32 v34, 33, v34, vcc
	v_alignbit_b32 v16, v18, v16, 30
	v_xor_b32_e32 v12, v12, v41
	v_sub_u32_e32 v35, 32, v34
	v_xor_b32_e32 v16, v16, v41
	v_alignbit_b32 v36, v42, v12, v35
	v_alignbit_b32 v12, v12, v16, v35
	;; [unrolled: 1-line block ×3, first 2 shown]
	v_ffbh_u32_e32 v18, v16
	v_min_u32_e32 v18, 32, v18
	v_lshrrev_b32_e32 v39, 29, v7
	v_sub_u32_e32 v35, 31, v18
	v_alignbit_b32 v12, v16, v12, v35
	v_lshlrev_b32_e32 v16, 31, v39
	v_or_b32_e32 v35, 0x33800000, v16
	v_add_lshl_u32 v18, v18, v34, 23
	v_lshrrev_b32_e32 v12, 9, v12
	v_sub_u32_e32 v18, v35, v18
	v_or_b32_e32 v12, v18, v12
	v_alignbit_b32 v18, v34, v36, 9
	v_or_b32_e32 v16, v18, v16
	v_xor_b32_e32 v16, 1.0, v16
	v_mul_f32_e32 v18, 0x3fc90fda, v16
	v_fma_f32 v34, v16, s40, -v18
	v_fmac_f32_e32 v34, 0x33a22168, v16
	v_fmac_f32_e32 v34, 0x3fc90fda, v12
	v_lshrrev_b32_e32 v7, 30, v7
	v_add_f32_e32 v18, v18, v34
	v_add_u32_e32 v12, v40, v7
	s_andn2_saveexec_b64 s[0:1], s[20:21]
	s_cbranch_execnz .LBB163_197
	s_branch .LBB163_198
.LBB163_196:                            ;   in Loop: Header=BB163_180 Depth=1
	s_andn2_saveexec_b64 s[0:1], s[20:21]
.LBB163_197:                            ;   in Loop: Header=BB163_180 Depth=1
	v_mul_f32_e64 v7, |v9|, s41
	v_rndne_f32_e32 v7, v7
	v_cvt_i32_f32_e32 v12, v7
	v_fma_f32 v18, v7, s42, |v9|
	v_fmac_f32_e32 v18, 0xb3a22168, v7
	v_fmac_f32_e32 v18, 0xa7c234c4, v7
.LBB163_198:                            ;   in Loop: Header=BB163_180 Depth=1
	s_or_b64 exec, exec, s[0:1]
	v_mul_f32_e32 v7, v5, v5
	v_mov_b32_e32 v16, 0x3c0881c4
	v_fmac_f32_e32 v16, 0xb94c1982, v7
	v_fma_f32 v16, v7, v16, v27
	v_mul_f32_e32 v16, v7, v16
	v_fmac_f32_e32 v5, v5, v16
	v_mov_b32_e32 v16, 0xbab64f3b
	v_fmac_f32_e32 v16, 0x37d75334, v7
	v_fma_f32 v16, v7, v16, v28
	v_fma_f32 v16, v7, v16, v29
	v_fma_f32 v7, v7, v16, 1.0
	v_and_b32_e32 v16, 1, v4
	v_lshlrev_b32_e32 v4, 30, v4
	v_and_b32_e32 v4, 0x80000000, v4
	v_cmp_eq_u32_e32 vcc, 0, v16
	v_xor_b32_e32 v4, v6, v4
	v_mul_f32_e64 v6, |v8|, s47
	v_cndmask_b32_e32 v5, v7, v5, vcc
	v_rndne_f32_e32 v7, v6
	v_sub_f32_e32 v16, v6, v7
	v_fma_f32 v6, |v8|, s47, -v6
	v_fma_f32 v6, |v8|, s48, v6
	v_add_f32_e32 v6, v16, v6
	v_exp_f32_e32 v6, v6
	v_cvt_i32_f32_e32 v7, v7
	v_xor_b32_e32 v4, v4, v5
	v_xor_b32_e32 v4, v4, v9
	v_mul_f32_e32 v5, 4.0, v4
	v_ldexp_f32 v4, v6, v7
	v_mul_f32_e32 v7, v18, v18
	v_mov_b32_e32 v16, 0x3c0881c4
	v_fmac_f32_e32 v16, 0xb94c1982, v7
	v_fma_f32 v16, v7, v16, v27
	v_mul_f32_e32 v16, v7, v16
	v_fmac_f32_e32 v18, v18, v16
	v_mov_b32_e32 v16, 0xbab64f3b
	v_fmac_f32_e32 v16, 0x37d75334, v7
	v_fma_f32 v16, v7, v16, v28
	v_cmp_ngt_f32_e64 vcc, |v8|, s49
	v_fma_f32 v16, v7, v16, v29
	v_cndmask_b32_e32 v4, 0, v4, vcc
	v_cmp_nlt_f32_e64 vcc, |v8|, s50
	v_fma_f32 v7, v7, v16, 1.0
	v_and_b32_e32 v16, 1, v12
	v_cndmask_b32_e32 v6, v32, v4, vcc
	v_cmp_eq_u32_e32 vcc, 0, v16
	v_lshlrev_b32_e32 v12, 30, v12
	v_cndmask_b32_e64 v7, -v18, v7, vcc
	v_and_b32_e32 v12, 0x80000000, v12
	v_xor_b32_e32 v7, v12, v7
	v_mul_f32_e32 v5, v5, v7
	v_mul_f32_e32 v5, v6, v5
	v_bfi_b32 v4, s27, 1.0, v8
	v_mul_f32_e32 v5, v6, v5
	s_or_b64 exec, exec, s[18:19]
.LBB163_199:                            ;   in Loop: Header=BB163_180 Depth=1
	s_andn2_saveexec_b64 s[0:1], s[14:15]
.LBB163_200:                            ;   in Loop: Header=BB163_180 Depth=1
	v_sub_f32_e32 v5, v9, v9
	v_mov_b32_e32 v4, v5
.LBB163_201:                            ;   in Loop: Header=BB163_180 Depth=1
	s_or_b64 exec, exec, s[0:1]
.LBB163_202:                            ;   in Loop: Header=BB163_180 Depth=1
	s_andn2_saveexec_b64 s[12:13], s[12:13]
	s_cbranch_execz .LBB163_218
; %bb.203:                              ;   in Loop: Header=BB163_180 Depth=1
	v_and_b32_e32 v4, 0x7fffff, v8
	v_cmp_ne_u32_e32 vcc, 0, v4
                                        ; implicit-def: $vgpr5
	s_and_saveexec_b64 s[0:1], vcc
	s_xor_b64 s[0:1], exec, s[0:1]
; %bb.204:                              ;   in Loop: Header=BB163_180 Depth=1
	v_mul_f32_e32 v4, v8, v9
	v_cmp_eq_f32_e32 vcc, 0, v9
	v_cndmask_b32_e32 v5, v4, v9, vcc
; %bb.205:                              ;   in Loop: Header=BB163_180 Depth=1
	s_andn2_saveexec_b64 s[14:15], s[0:1]
	s_cbranch_execz .LBB163_217
; %bb.206:                              ;   in Loop: Header=BB163_180 Depth=1
	v_cmp_neq_f32_e64 s[0:1], |v9|, s28
	s_and_saveexec_b64 s[18:19], s[0:1]
	s_cbranch_execz .LBB163_216
; %bb.207:                              ;   in Loop: Header=BB163_180 Depth=1
	v_and_b32_e32 v4, 0x7fffffff, v9
	v_lshrrev_b32_e32 v5, 23, v4
	v_and_b32_e32 v6, 0x7fffff, v4
	v_cmp_nlt_f32_e64 s[20:21], |v9|, s31
	v_add_u32_e32 v16, 0xffffff88, v5
	v_or_b32_e32 v7, 0x800000, v6
                                        ; implicit-def: $vgpr5
                                        ; implicit-def: $vgpr6
	s_and_saveexec_b64 s[0:1], s[20:21]
	s_xor_b64 s[22:23], exec, s[0:1]
	s_cbranch_execz .LBB163_209
; %bb.208:                              ;   in Loop: Header=BB163_180 Depth=1
	v_mad_u64_u32 v[34:35], s[4:5], v7, s33, 0
	v_mov_b32_e32 v12, v35
	v_mad_u64_u32 v[36:37], s[4:5], v7, s34, v[12:13]
	v_mov_b32_e32 v12, v37
	v_mad_u64_u32 v[38:39], s[4:5], v7, s35, v[12:13]
	v_cmp_lt_u32_e32 vcc, 63, v16
	v_mov_b32_e32 v12, v39
	v_cndmask_b32_e32 v5, 0, v30, vcc
	v_mad_u64_u32 v[40:41], s[4:5], v7, s36, v[12:13]
	v_add_u32_e32 v5, v5, v16
	v_mov_b32_e32 v12, v41
	v_cmp_lt_u32_e64 s[0:1], 31, v5
	v_mad_u64_u32 v[42:43], s[4:5], v7, s37, v[12:13]
	v_cndmask_b32_e64 v6, 0, v31, s[0:1]
	v_mov_b32_e32 v12, v43
	v_add_u32_e32 v5, v6, v5
	v_mad_u64_u32 v[44:45], s[4:5], v7, s38, v[12:13]
	v_cmp_lt_u32_e64 s[2:3], 31, v5
	v_mov_b32_e32 v12, v45
	v_cndmask_b32_e64 v6, 0, v31, s[2:3]
	v_mad_u64_u32 v[46:47], s[4:5], v7, s39, v[12:13]
	v_add_u32_e32 v5, v6, v5
	v_cndmask_b32_e32 v6, v44, v40, vcc
	v_cndmask_b32_e32 v12, v46, v42, vcc
	;; [unrolled: 1-line block ×3, first 2 shown]
	v_cndmask_b32_e64 v18, v12, v6, s[0:1]
	v_cndmask_b32_e64 v12, v35, v12, s[0:1]
	v_cndmask_b32_e32 v35, v42, v38, vcc
	v_cndmask_b32_e64 v6, v6, v35, s[0:1]
	v_cndmask_b32_e64 v12, v12, v18, s[2:3]
	;; [unrolled: 1-line block ×3, first 2 shown]
	v_sub_u32_e32 v37, 32, v5
	v_alignbit_b32 v39, v12, v18, v37
	v_cmp_eq_u32_e64 s[4:5], 0, v5
	v_cndmask_b32_e64 v5, v39, v12, s[4:5]
	v_cndmask_b32_e32 v12, v40, v36, vcc
	v_cndmask_b32_e64 v35, v35, v12, s[0:1]
	v_cndmask_b32_e64 v6, v6, v35, s[2:3]
	v_alignbit_b32 v36, v18, v6, v37
	v_cndmask_b32_e32 v34, v38, v34, vcc
	v_cndmask_b32_e64 v18, v36, v18, s[4:5]
	v_bfe_u32 v40, v5, 29, 1
	v_cndmask_b32_e64 v12, v12, v34, s[0:1]
	v_alignbit_b32 v36, v5, v18, 30
	v_sub_u32_e32 v41, 0, v40
	v_cndmask_b32_e64 v12, v35, v12, s[2:3]
	v_xor_b32_e32 v42, v36, v41
	v_alignbit_b32 v34, v6, v12, v37
	v_cndmask_b32_e64 v6, v34, v6, s[4:5]
	v_ffbh_u32_e32 v34, v42
	v_add_u32_e32 v34, 1, v34
	v_cmp_ne_u32_e32 vcc, v36, v41
	v_alignbit_b32 v18, v18, v6, 30
	v_cndmask_b32_e32 v34, 33, v34, vcc
	v_alignbit_b32 v6, v6, v12, 30
	v_xor_b32_e32 v18, v18, v41
	v_sub_u32_e32 v35, 32, v34
	v_xor_b32_e32 v6, v6, v41
	v_alignbit_b32 v36, v42, v18, v35
	v_alignbit_b32 v6, v18, v6, v35
	;; [unrolled: 1-line block ×3, first 2 shown]
	v_ffbh_u32_e32 v18, v12
	v_min_u32_e32 v18, 32, v18
	v_lshrrev_b32_e32 v39, 29, v5
	v_sub_u32_e32 v35, 31, v18
	v_alignbit_b32 v6, v12, v6, v35
	v_lshlrev_b32_e32 v12, 31, v39
	v_or_b32_e32 v35, 0x33800000, v12
	v_add_lshl_u32 v18, v18, v34, 23
	v_lshrrev_b32_e32 v6, 9, v6
	v_sub_u32_e32 v18, v35, v18
	v_or_b32_e32 v6, v18, v6
	v_alignbit_b32 v18, v34, v36, 9
	v_or_b32_e32 v12, v18, v12
	v_xor_b32_e32 v12, 1.0, v12
	v_mul_f32_e32 v18, 0x3fc90fda, v12
	v_fma_f32 v34, v12, s40, -v18
	v_fmac_f32_e32 v34, 0x33a22168, v12
	v_fmac_f32_e32 v34, 0x3fc90fda, v6
	v_lshrrev_b32_e32 v5, 30, v5
	v_add_f32_e32 v6, v18, v34
	v_add_u32_e32 v5, v40, v5
.LBB163_209:                            ;   in Loop: Header=BB163_180 Depth=1
	s_or_saveexec_b64 s[0:1], s[22:23]
	v_mul_f32_e64 v12, |v9|, s41
	v_rndne_f32_e32 v34, v12
	s_xor_b64 exec, exec, s[0:1]
; %bb.210:                              ;   in Loop: Header=BB163_180 Depth=1
	v_cvt_i32_f32_e32 v5, v34
	v_fma_f32 v6, v34, s42, |v9|
	v_fmac_f32_e32 v6, 0xb3a22168, v34
	v_fmac_f32_e32 v6, 0xa7c234c4, v34
; %bb.211:                              ;   in Loop: Header=BB163_180 Depth=1
	s_or_b64 exec, exec, s[0:1]
                                        ; implicit-def: $vgpr12
                                        ; implicit-def: $vgpr18
	s_and_saveexec_b64 s[0:1], s[20:21]
	s_xor_b64 s[20:21], exec, s[0:1]
	s_cbranch_execz .LBB163_213
; %bb.212:                              ;   in Loop: Header=BB163_180 Depth=1
	v_cmp_lt_u32_e32 vcc, 63, v16
	v_cndmask_b32_e32 v12, 0, v30, vcc
	v_add_u32_e32 v12, v12, v16
	v_cmp_lt_u32_e64 s[0:1], 31, v12
	v_cndmask_b32_e64 v16, 0, v31, s[0:1]
	v_add_u32_e32 v12, v16, v12
	v_cmp_lt_u32_e64 s[2:3], 31, v12
	v_cndmask_b32_e64 v16, 0, v31, s[2:3]
	v_mad_u64_u32 v[34:35], s[4:5], v7, s33, 0
	v_add_u32_e32 v16, v16, v12
	v_mov_b32_e32 v12, v35
	v_mad_u64_u32 v[36:37], s[4:5], v7, s34, v[12:13]
	v_mov_b32_e32 v12, v37
	v_mad_u64_u32 v[38:39], s[4:5], v7, s35, v[12:13]
	;; [unrolled: 2-line block ×6, first 2 shown]
	v_cndmask_b32_e32 v18, v44, v40, vcc
	v_cndmask_b32_e32 v7, v46, v42, vcc
	v_cndmask_b32_e32 v35, v47, v44, vcc
	v_cndmask_b32_e64 v12, v7, v18, s[0:1]
	v_cndmask_b32_e64 v7, v35, v7, s[0:1]
	v_cndmask_b32_e32 v35, v42, v38, vcc
	v_cndmask_b32_e64 v18, v18, v35, s[0:1]
	v_sub_u32_e32 v37, 32, v16
	v_cmp_eq_u32_e64 s[4:5], 0, v16
	v_cndmask_b32_e32 v16, v40, v36, vcc
	v_cndmask_b32_e64 v7, v7, v12, s[2:3]
	v_cndmask_b32_e64 v12, v12, v18, s[2:3]
	v_cndmask_b32_e64 v35, v35, v16, s[0:1]
	v_alignbit_b32 v39, v7, v12, v37
	v_cndmask_b32_e64 v18, v18, v35, s[2:3]
	v_cndmask_b32_e64 v7, v39, v7, s[4:5]
	v_alignbit_b32 v36, v12, v18, v37
	v_cndmask_b32_e32 v34, v38, v34, vcc
	v_cndmask_b32_e64 v12, v36, v12, s[4:5]
	v_bfe_u32 v40, v7, 29, 1
	v_cndmask_b32_e64 v16, v16, v34, s[0:1]
	v_alignbit_b32 v36, v7, v12, 30
	v_sub_u32_e32 v41, 0, v40
	v_cndmask_b32_e64 v16, v35, v16, s[2:3]
	v_xor_b32_e32 v42, v36, v41
	v_alignbit_b32 v34, v18, v16, v37
	v_cndmask_b32_e64 v18, v34, v18, s[4:5]
	v_ffbh_u32_e32 v34, v42
	v_add_u32_e32 v34, 1, v34
	v_cmp_ne_u32_e32 vcc, v36, v41
	v_alignbit_b32 v12, v12, v18, 30
	v_cndmask_b32_e32 v34, 33, v34, vcc
	v_alignbit_b32 v16, v18, v16, 30
	v_xor_b32_e32 v12, v12, v41
	v_sub_u32_e32 v35, 32, v34
	v_xor_b32_e32 v16, v16, v41
	v_alignbit_b32 v36, v42, v12, v35
	v_alignbit_b32 v12, v12, v16, v35
	v_alignbit_b32 v16, v36, v12, 9
	v_ffbh_u32_e32 v18, v16
	v_min_u32_e32 v18, 32, v18
	v_lshrrev_b32_e32 v39, 29, v7
	v_sub_u32_e32 v35, 31, v18
	v_alignbit_b32 v12, v16, v12, v35
	v_lshlrev_b32_e32 v16, 31, v39
	v_or_b32_e32 v35, 0x33800000, v16
	v_add_lshl_u32 v18, v18, v34, 23
	v_lshrrev_b32_e32 v12, 9, v12
	v_sub_u32_e32 v18, v35, v18
	v_or_b32_e32 v12, v18, v12
	v_alignbit_b32 v18, v34, v36, 9
	v_or_b32_e32 v16, v18, v16
	v_xor_b32_e32 v16, 1.0, v16
	v_mul_f32_e32 v18, 0x3fc90fda, v16
	v_fma_f32 v34, v16, s40, -v18
	v_fmac_f32_e32 v34, 0x33a22168, v16
	v_fmac_f32_e32 v34, 0x3fc90fda, v12
	v_lshrrev_b32_e32 v7, 30, v7
	v_add_f32_e32 v18, v18, v34
	v_add_u32_e32 v12, v40, v7
                                        ; implicit-def: $vgpr34
	s_andn2_saveexec_b64 s[0:1], s[20:21]
	s_cbranch_execnz .LBB163_214
	s_branch .LBB163_215
.LBB163_213:                            ;   in Loop: Header=BB163_180 Depth=1
	s_andn2_saveexec_b64 s[0:1], s[20:21]
.LBB163_214:                            ;   in Loop: Header=BB163_180 Depth=1
	v_cvt_i32_f32_e32 v12, v34
	v_fma_f32 v18, v34, s42, |v9|
	v_fmac_f32_e32 v18, 0xb3a22168, v34
	v_fmac_f32_e32 v18, 0xa7c234c4, v34
.LBB163_215:                            ;   in Loop: Header=BB163_180 Depth=1
	s_or_b64 exec, exec, s[0:1]
	v_mul_f32_e32 v7, v6, v6
	v_mov_b32_e32 v16, 0x3c0881c4
	v_fmac_f32_e32 v16, 0xb94c1982, v7
	v_fma_f32 v16, v7, v16, v27
	v_mul_f32_e32 v16, v7, v16
	v_fmac_f32_e32 v6, v6, v16
	v_mov_b32_e32 v16, 0xbab64f3b
	v_fmac_f32_e32 v16, 0x37d75334, v7
	v_fma_f32 v16, v7, v16, v28
	v_fma_f32 v16, v7, v16, v29
	v_fma_f32 v7, v7, v16, 1.0
	v_and_b32_e32 v16, 1, v5
	v_lshlrev_b32_e32 v5, 30, v5
	v_cmp_eq_u32_e32 vcc, 0, v16
	v_and_b32_e32 v5, 0x80000000, v5
	v_cndmask_b32_e32 v6, v7, v6, vcc
	v_xor_b32_e32 v4, v4, v5
	v_xor_b32_e32 v4, v4, v6
	v_mul_f32_e32 v5, v18, v18
	v_mov_b32_e32 v6, 0x3c0881c4
	v_fmac_f32_e32 v6, 0xb94c1982, v5
	v_fma_f32 v6, v5, v6, v27
	v_mul_f32_e32 v6, v5, v6
	v_fmac_f32_e32 v18, v18, v6
	v_mov_b32_e32 v6, 0xbab64f3b
	v_fmac_f32_e32 v6, 0x37d75334, v5
	v_fma_f32 v6, v5, v6, v28
	v_fma_f32 v6, v5, v6, v29
	v_fma_f32 v5, v5, v6, 1.0
	v_and_b32_e32 v6, 1, v12
	v_cmp_eq_u32_e32 vcc, 0, v6
	v_lshlrev_b32_e32 v6, 30, v12
	v_cndmask_b32_e64 v5, -v18, v5, vcc
	v_and_b32_e32 v6, 0x80000000, v6
	v_xor_b32_e32 v4, v4, v9
	v_xor_b32_e32 v5, v6, v5
	v_mul_f32_e32 v4, v4, v5
	v_cmp_class_f32_e64 vcc, v9, s29
	v_cndmask_b32_e32 v9, v33, v4, vcc
.LBB163_216:                            ;   in Loop: Header=BB163_180 Depth=1
	s_or_b64 exec, exec, s[18:19]
	v_add_u32_e32 v8, -2.0, v8
	v_bfi_b32 v5, s27, 0, v9
.LBB163_217:                            ;   in Loop: Header=BB163_180 Depth=1
	s_or_b64 exec, exec, s[14:15]
	v_mov_b32_e32 v4, v8
.LBB163_218:                            ;   in Loop: Header=BB163_180 Depth=1
	s_or_b64 exec, exec, s[12:13]
	v_and_b32_e32 v16, 0x7fffffff, v10
	v_cmp_gt_u32_e32 vcc, s28, v16
	s_and_saveexec_b64 s[0:1], vcc
	s_xor_b64 s[12:13], exec, s[0:1]
	s_cbranch_execz .LBB163_240
; %bb.219:                              ;   in Loop: Header=BB163_180 Depth=1
	v_cmp_class_f32_e64 s[0:1], v11, s29
	s_and_saveexec_b64 s[2:3], s[0:1]
	s_xor_b64 s[14:15], exec, s[2:3]
	s_cbranch_execz .LBB163_237
; %bb.220:                              ;   in Loop: Header=BB163_180 Depth=1
	v_and_b32_e32 v8, 0x7fffffff, v11
	v_cmp_gt_u32_e32 vcc, s30, v16
	s_and_saveexec_b64 s[0:1], vcc
	s_xor_b64 s[18:19], exec, s[0:1]
	s_cbranch_execz .LBB163_226
; %bb.221:                              ;   in Loop: Header=BB163_180 Depth=1
	v_cmp_nlt_f32_e64 s[0:1], |v11|, s31
                                        ; implicit-def: $vgpr7
                                        ; implicit-def: $vgpr6
	s_and_saveexec_b64 s[2:3], s[0:1]
	s_xor_b64 s[20:21], exec, s[2:3]
	s_cbranch_execz .LBB163_223
; %bb.222:                              ;   in Loop: Header=BB163_180 Depth=1
	v_lshrrev_b32_e32 v6, 23, v8
	v_add_u32_e32 v6, 0xffffff88, v6
	v_cmp_lt_u32_e32 vcc, 63, v6
	v_cndmask_b32_e32 v7, 0, v30, vcc
	v_add_u32_e32 v6, v7, v6
	v_cmp_lt_u32_e64 s[0:1], 31, v6
	v_cndmask_b32_e64 v7, 0, v31, s[0:1]
	v_add_u32_e32 v6, v7, v6
	v_cmp_lt_u32_e64 s[2:3], 31, v6
	v_cndmask_b32_e64 v7, 0, v31, s[2:3]
	v_add_u32_e32 v9, v7, v6
	v_and_b32_e32 v6, 0x7fffff, v8
	v_or_b32_e32 v18, 0x800000, v6
	v_mad_u64_u32 v[6:7], s[4:5], v18, s33, 0
	v_mov_b32_e32 v12, v7
	v_mad_u64_u32 v[34:35], s[4:5], v18, s34, v[12:13]
	v_mov_b32_e32 v12, v35
	;; [unrolled: 2-line block ×6, first 2 shown]
	v_mad_u64_u32 v[44:45], s[4:5], v18, s39, v[12:13]
	v_cndmask_b32_e32 v7, v42, v38, vcc
	v_cndmask_b32_e32 v12, v44, v40, vcc
	;; [unrolled: 1-line block ×3, first 2 shown]
	v_cndmask_b32_e64 v18, v12, v7, s[0:1]
	v_cndmask_b32_e64 v12, v35, v12, s[0:1]
	v_cndmask_b32_e32 v35, v40, v36, vcc
	v_cndmask_b32_e64 v7, v7, v35, s[0:1]
	v_cndmask_b32_e64 v12, v12, v18, s[2:3]
	;; [unrolled: 1-line block ×3, first 2 shown]
	v_sub_u32_e32 v37, 32, v9
	v_alignbit_b32 v39, v12, v18, v37
	v_cmp_eq_u32_e64 s[4:5], 0, v9
	v_cndmask_b32_e64 v9, v39, v12, s[4:5]
	v_cndmask_b32_e32 v12, v38, v34, vcc
	v_cndmask_b32_e64 v34, v35, v12, s[0:1]
	v_cndmask_b32_e64 v7, v7, v34, s[2:3]
	v_cndmask_b32_e32 v6, v36, v6, vcc
	v_alignbit_b32 v35, v18, v7, v37
	v_cndmask_b32_e64 v6, v12, v6, s[0:1]
	v_cndmask_b32_e64 v18, v35, v18, s[4:5]
	v_bfe_u32 v39, v9, 29, 1
	v_cndmask_b32_e64 v6, v34, v6, s[2:3]
	v_alignbit_b32 v35, v9, v18, 30
	v_sub_u32_e32 v40, 0, v39
	v_alignbit_b32 v12, v7, v6, v37
	v_xor_b32_e32 v41, v35, v40
	v_cndmask_b32_e64 v7, v12, v7, s[4:5]
	v_alignbit_b32 v12, v18, v7, 30
	v_ffbh_u32_e32 v18, v41
	v_add_u32_e32 v18, 1, v18
	v_cmp_ne_u32_e32 vcc, v35, v40
	v_cndmask_b32_e32 v18, 33, v18, vcc
	v_alignbit_b32 v6, v7, v6, 30
	v_xor_b32_e32 v12, v12, v40
	v_sub_u32_e32 v34, 32, v18
	v_xor_b32_e32 v6, v6, v40
	v_alignbit_b32 v35, v41, v12, v34
	v_alignbit_b32 v6, v12, v6, v34
	;; [unrolled: 1-line block ×3, first 2 shown]
	v_ffbh_u32_e32 v12, v7
	v_min_u32_e32 v12, 32, v12
	v_lshrrev_b32_e32 v38, 29, v9
	v_sub_u32_e32 v34, 31, v12
	v_alignbit_b32 v6, v7, v6, v34
	v_lshlrev_b32_e32 v7, 31, v38
	v_or_b32_e32 v34, 0x33800000, v7
	v_add_lshl_u32 v12, v12, v18, 23
	v_lshrrev_b32_e32 v6, 9, v6
	v_sub_u32_e32 v12, v34, v12
	v_or_b32_e32 v6, v12, v6
	v_alignbit_b32 v12, v18, v35, 9
	v_or_b32_e32 v7, v12, v7
	v_xor_b32_e32 v7, 1.0, v7
	v_mul_f32_e32 v12, 0x3fc90fda, v7
	v_fma_f32 v18, v7, s40, -v12
	v_fmac_f32_e32 v18, 0x33a22168, v7
	v_fmac_f32_e32 v18, 0x3fc90fda, v6
	v_lshrrev_b32_e32 v7, 30, v9
	v_add_f32_e32 v6, v12, v18
	v_add_u32_e32 v7, v39, v7
.LBB163_223:                            ;   in Loop: Header=BB163_180 Depth=1
	s_andn2_saveexec_b64 s[0:1], s[20:21]
; %bb.224:                              ;   in Loop: Header=BB163_180 Depth=1
	v_mul_f32_e64 v6, |v11|, s41
	v_rndne_f32_e32 v9, v6
	v_cvt_i32_f32_e32 v7, v9
	v_fma_f32 v6, v9, s42, |v11|
	v_fmac_f32_e32 v6, 0xb3a22168, v9
	v_fmac_f32_e32 v6, 0xa7c234c4, v9
; %bb.225:                              ;   in Loop: Header=BB163_180 Depth=1
	s_or_b64 exec, exec, s[0:1]
	v_mul_f32_e32 v9, v6, v6
	v_mov_b32_e32 v12, 0xbf039337
	v_fmac_f32_e32 v12, 0x3c971480, v9
	v_fma_f32 v12, v9, v12, v22
	v_rcp_f32_e32 v12, v12
	v_mov_b32_e32 v18, 0x3ec54587
	v_fmac_f32_e32 v18, 0xbc8cedd3, v9
	v_and_b32_e32 v7, 1, v7
	v_mul_f32_e32 v12, v18, v12
	v_mul_f32_e32 v9, v9, v12
	v_fma_f32 v12, v9, v6, v6
	v_rcp_f32_e32 v18, v12
	v_sub_f32_e32 v34, v12, v6
	v_fma_f32 v6, v9, v6, -v34
	v_cmp_eq_u32_e32 vcc, 0, v7
	v_fma_f32 v9, v12, -v18, 1.0
	v_fma_f32 v6, v6, -v18, v9
	v_fma_f32 v6, v6, -v18, -v18
	v_cndmask_b32_e32 v9, v6, v12, vcc
	v_add_f32_e64 v12, |v10|, s43
	v_sub_f32_e64 v7, v12, |v10|
	v_sub_f32_e32 v6, v7, v12
	v_pk_add_f32 v[6:7], v[16:17], v[6:7]
	v_sub_f32_e32 v6, v6, v7
	v_add_f32_e32 v6, 0x3102e308, v6
	v_add_f32_e32 v7, v12, v6
	v_sub_f32_e32 v12, v12, v7
	v_add_f32_e32 v6, v6, v12
	v_mul_f32_e32 v12, 0x3fb8aa3b, v7
	v_rndne_f32_e32 v12, v12
	v_fmac_f32_e32 v7, 0xbf317200, v12
	v_add_f32_e32 v16, v6, v7
	v_mul_f32_e32 v18, 0x35bfbc00, v12
	v_sub_f32_e32 v34, v16, v18
	v_sub_f32_e32 v7, v7, v16
	;; [unrolled: 1-line block ×3, first 2 shown]
	v_add_f32_e32 v6, v6, v7
	v_sub_f32_e32 v16, v16, v18
	v_add_f32_e32 v16, v6, v16
	v_add_f32_e32 v35, v34, v16
	v_mul_f32_e32 v7, 0x2ea39ef3, v12
	v_mov_b32_e32 v6, v35
	v_pk_add_f32 v[36:37], v[34:35], v[6:7] neg_lo:[0,1] neg_hi:[0,1]
	v_sub_f32_e32 v6, v35, v37
	v_sub_f32_e32 v6, v6, v7
	v_add_f32_e32 v7, v16, v36
	v_add_f32_e32 v6, v7, v6
	;; [unrolled: 1-line block ×3, first 2 shown]
	v_sub_f32_e32 v18, v37, v7
	v_mov_b32_e32 v16, 0x3c091de6
	v_add_f32_e32 v6, v6, v18
	v_mul_f32_e32 v34, v7, v7
	v_fmac_f32_e32 v16, 0x3ab42872, v7
	v_add_f32_e32 v18, v6, v6
	v_fma_f32 v35, v7, v7, -v34
	v_fma_f32 v16, v7, v16, v23
	v_fmac_f32_e32 v35, v7, v18
	v_fma_f32 v16, v7, v16, v24
	v_add_f32_e32 v18, v34, v35
	v_fma_f32 v16, v7, v16, v25
	v_sub_f32_e32 v34, v18, v34
	v_sub_f32_e32 v34, v35, v34
	v_mul_f32_e32 v35, v16, v18
	v_fma_f32 v18, v18, v16, -v35
	v_fmac_f32_e32 v18, v34, v16
	v_add_f32_e32 v16, v35, v18
	v_sub_f32_e32 v34, v16, v35
	v_sub_f32_e32 v34, v18, v34
	v_add_f32_e32 v18, v7, v16
	v_sub_f32_e32 v7, v18, v7
	v_sub_f32_e32 v7, v16, v7
	v_add_f32_e32 v6, v6, v34
	v_add_f32_e32 v6, v6, v7
	;; [unrolled: 1-line block ×3, first 2 shown]
	v_add_f32_e32 v35, 1.0, v34
	v_pk_add_f32 v[36:37], v[34:35], v[18:19] neg_lo:[0,1] neg_hi:[0,1]
	v_pk_add_f32 v[38:39], v[34:35], s[8:9]
	v_mov_b32_e32 v37, v39
	v_mov_b32_e32 v7, v34
	v_cvt_i32_f32_e32 v12, v12
	v_pk_add_f32 v[6:7], v[6:7], v[36:37] neg_lo:[0,1] neg_hi:[0,1]
	v_add_f32_e32 v6, v6, v7
	v_add_f32_e32 v7, v35, v6
	v_ldexp_f32 v16, v7, v12
	v_rcp_f32_e32 v18, v16
	v_sub_f32_e32 v7, v7, v35
	v_sub_f32_e32 v6, v6, v7
	v_ldexp_f32 v6, v6, v12
	v_mul_f32_e32 v7, v16, v18
	v_fma_f32 v12, v18, v16, -v7
	v_fmac_f32_e32 v12, v18, v6
	v_add_f32_e32 v34, v7, v12
	v_sub_f32_e32 v35, 1.0, v34
	v_sub_f32_e32 v36, 1.0, v35
	v_sub_f32_e32 v7, v34, v7
	v_sub_f32_e32 v36, v36, v34
	;; [unrolled: 1-line block ×3, first 2 shown]
	v_add_f32_e32 v7, v7, v36
	v_add_f32_e32 v12, v35, v7
	v_mul_f32_e32 v34, v18, v12
	v_mul_f32_e32 v36, v16, v34
	v_fma_f32 v37, v34, v16, -v36
	v_fmac_f32_e32 v37, v34, v6
	v_sub_f32_e32 v35, v35, v12
	v_add_f32_e32 v7, v7, v35
	v_add_f32_e32 v35, v36, v37
	v_sub_f32_e32 v38, v12, v35
	v_sub_f32_e32 v12, v12, v38
	;; [unrolled: 1-line block ×4, first 2 shown]
	v_add_f32_e32 v7, v7, v12
	v_sub_f32_e32 v12, v36, v37
	v_add_f32_e32 v7, v12, v7
	v_add_f32_e32 v7, v38, v7
	;; [unrolled: 1-line block ×3, first 2 shown]
	v_mul_f32_e32 v7, v18, v7
	v_sub_f32_e32 v18, v12, v18
	v_sub_f32_e32 v18, v34, v18
	v_add_f32_e32 v7, v18, v7
	v_add_f32_e32 v18, v12, v7
	v_sub_f32_e32 v12, v18, v12
	v_sub_f32_e32 v7, v7, v12
	v_ldexp_f32 v12, v18, -2
	v_sub_f32_e32 v18, v16, v12
	v_sub_f32_e32 v16, v16, v18
	;; [unrolled: 1-line block ×3, first 2 shown]
	v_ldexp_f32 v7, v7, -2
	v_add_f32_e32 v6, v6, v12
	v_sub_f32_e32 v6, v6, v7
	v_add_f32_e32 v6, v18, v6
	v_cmp_ngt_f32_e64 vcc, |v10|, s44
	v_cndmask_b32_e32 v6, v32, v6, vcc
	v_cmp_lt_f32_e64 s[0:1], |v10|, s45
	v_cndmask_b32_e64 v6, v6, |v10|, s[0:1]
	v_bfi_b32 v6, s27, v6, v10
	v_fma_f32 v7, v6, v6, 1.0
	v_mul_f32_e32 v10, 0x4f800000, v7
	v_cmp_gt_f32_e32 vcc, s46, v7
	v_cndmask_b32_e32 v7, v7, v10, vcc
	v_sqrt_f32_e32 v10, v7
	v_xor_b32_e32 v8, v8, v9
	v_xor_b32_e32 v8, v8, v11
	v_fma_f32 v9, v8, v8, 1.0
	v_add_u32_e32 v11, -1, v10
	v_fma_f32 v12, -v11, v10, v7
	v_cmp_ge_f32_e64 s[0:1], 0, v12
	v_add_u32_e32 v12, 1, v10
	v_cndmask_b32_e64 v11, v10, v11, s[0:1]
	v_fma_f32 v10, -v12, v10, v7
	v_cmp_lt_f32_e64 s[0:1], 0, v10
	v_cndmask_b32_e64 v10, v11, v12, s[0:1]
	v_mul_f32_e32 v11, 0x37800000, v10
	v_cndmask_b32_e32 v10, v10, v11, vcc
	v_cmp_class_f32_e32 vcc, v7, v26
	v_cndmask_b32_e32 v7, v10, v7, vcc
	v_mul_f32_e32 v10, v6, v9
	v_mul_f32_e32 v7, v7, v9
	v_fma_f32 v10, v6, v10, 1.0
	v_mul_f32_e32 v6, v6, v7
	v_div_scale_f32 v7, s[0:1], v10, v10, v6
	v_rcp_f32_e32 v9, v7
	v_fma_f32 v11, -v7, v9, 1.0
	v_fmac_f32_e32 v9, v11, v9
	v_div_scale_f32 v11, vcc, v6, v10, v6
	v_mul_f32_e32 v12, v11, v9
	v_fma_f32 v16, -v7, v12, v11
	v_fmac_f32_e32 v12, v16, v9
	v_fma_f32 v7, -v7, v12, v11
	v_div_scale_f32 v11, s[0:1], v10, v10, v8
	v_rcp_f32_e32 v16, v11
	v_div_fmas_f32 v7, v7, v9, v12
	v_div_fixup_f32 v6, v7, v10, v6
	v_fma_f32 v7, -v11, v16, 1.0
	v_fmac_f32_e32 v16, v7, v16
	v_div_scale_f32 v7, vcc, v8, v10, v8
	v_mul_f32_e32 v9, v7, v16
	v_fma_f32 v12, -v11, v9, v7
	v_fmac_f32_e32 v9, v12, v16
	v_fma_f32 v7, -v11, v9, v7
	v_div_fmas_f32 v7, v7, v16, v9
	v_div_fixup_f32 v7, v7, v10, v8
                                        ; implicit-def: $vgpr8_vgpr9_vgpr10_vgpr11
                                        ; implicit-def: $vgpr8
.LBB163_226:                            ;   in Loop: Header=BB163_180 Depth=1
	s_andn2_saveexec_b64 s[18:19], s[18:19]
	s_cbranch_execz .LBB163_236
; %bb.227:                              ;   in Loop: Header=BB163_180 Depth=1
	v_lshrrev_b32_e32 v6, 23, v8
	v_and_b32_e32 v7, 0x7fffff, v8
	v_cmp_nlt_f32_e64 s[20:21], |v11|, s31
	v_add_u32_e32 v16, 0xffffff88, v6
	v_or_b32_e32 v9, 0x800000, v7
                                        ; implicit-def: $vgpr6
                                        ; implicit-def: $vgpr7
	s_and_saveexec_b64 s[0:1], s[20:21]
	s_xor_b64 s[22:23], exec, s[0:1]
	s_cbranch_execz .LBB163_229
; %bb.228:                              ;   in Loop: Header=BB163_180 Depth=1
	v_cmp_lt_u32_e32 vcc, 63, v16
	v_cndmask_b32_e32 v6, 0, v30, vcc
	v_add_u32_e32 v6, v6, v16
	v_cmp_lt_u32_e64 s[0:1], 31, v6
	v_cndmask_b32_e64 v7, 0, v31, s[0:1]
	v_add_u32_e32 v6, v7, v6
	v_cmp_lt_u32_e64 s[2:3], 31, v6
	v_cndmask_b32_e64 v7, 0, v31, s[2:3]
	v_add_u32_e32 v18, v7, v6
	v_mad_u64_u32 v[6:7], s[4:5], v9, s33, 0
	v_mov_b32_e32 v12, v7
	v_mad_u64_u32 v[34:35], s[4:5], v9, s34, v[12:13]
	v_mov_b32_e32 v12, v35
	;; [unrolled: 2-line block ×6, first 2 shown]
	v_mad_u64_u32 v[44:45], s[4:5], v9, s39, v[12:13]
	v_cndmask_b32_e32 v7, v42, v38, vcc
	v_cndmask_b32_e32 v12, v44, v40, vcc
	;; [unrolled: 1-line block ×3, first 2 shown]
	v_cndmask_b32_e64 v35, v12, v7, s[0:1]
	v_cndmask_b32_e64 v12, v37, v12, s[0:1]
	v_cndmask_b32_e32 v37, v40, v36, vcc
	v_cndmask_b32_e64 v7, v7, v37, s[0:1]
	v_sub_u32_e32 v39, 32, v18
	v_cmp_eq_u32_e64 s[4:5], 0, v18
	v_cndmask_b32_e32 v18, v38, v34, vcc
	v_cndmask_b32_e64 v12, v12, v35, s[2:3]
	v_cndmask_b32_e64 v35, v35, v7, s[2:3]
	v_cndmask_b32_e64 v34, v37, v18, s[0:1]
	v_alignbit_b32 v40, v12, v35, v39
	v_cndmask_b32_e64 v7, v7, v34, s[2:3]
	v_cndmask_b32_e64 v12, v40, v12, s[4:5]
	v_alignbit_b32 v37, v35, v7, v39
	v_cndmask_b32_e64 v35, v37, v35, s[4:5]
	v_bfe_u32 v40, v12, 29, 1
	v_cndmask_b32_e32 v6, v36, v6, vcc
	v_alignbit_b32 v37, v12, v35, 30
	v_sub_u32_e32 v41, 0, v40
	v_cndmask_b32_e64 v6, v18, v6, s[0:1]
	v_xor_b32_e32 v42, v37, v41
	v_cndmask_b32_e64 v6, v34, v6, s[2:3]
	v_alignbit_b32 v18, v7, v6, v39
	v_ffbh_u32_e32 v34, v42
	v_cndmask_b32_e64 v7, v18, v7, s[4:5]
	v_add_u32_e32 v34, 1, v34
	v_cmp_ne_u32_e32 vcc, v37, v41
	v_alignbit_b32 v18, v35, v7, 30
	v_cndmask_b32_e32 v34, 33, v34, vcc
	v_alignbit_b32 v6, v7, v6, 30
	v_xor_b32_e32 v18, v18, v41
	v_sub_u32_e32 v35, 32, v34
	v_xor_b32_e32 v6, v6, v41
	v_alignbit_b32 v36, v42, v18, v35
	v_alignbit_b32 v6, v18, v6, v35
	;; [unrolled: 1-line block ×3, first 2 shown]
	v_ffbh_u32_e32 v18, v7
	v_min_u32_e32 v18, 32, v18
	v_lshrrev_b32_e32 v38, 29, v12
	v_sub_u32_e32 v35, 31, v18
	v_alignbit_b32 v6, v7, v6, v35
	v_lshlrev_b32_e32 v7, 31, v38
	v_or_b32_e32 v35, 0x33800000, v7
	v_add_lshl_u32 v18, v18, v34, 23
	v_lshrrev_b32_e32 v6, 9, v6
	v_sub_u32_e32 v18, v35, v18
	v_or_b32_e32 v6, v18, v6
	v_alignbit_b32 v18, v34, v36, 9
	v_or_b32_e32 v7, v18, v7
	v_xor_b32_e32 v7, 1.0, v7
	v_mul_f32_e32 v18, 0x3fc90fda, v7
	v_fma_f32 v34, v7, s40, -v18
	v_fmac_f32_e32 v34, 0x33a22168, v7
	v_fmac_f32_e32 v34, 0x3fc90fda, v6
	v_lshrrev_b32_e32 v6, 30, v12
	v_add_f32_e32 v7, v18, v34
	v_add_u32_e32 v6, v40, v6
	s_andn2_saveexec_b64 s[0:1], s[22:23]
	s_branch .LBB163_230
.LBB163_229:                            ;   in Loop: Header=BB163_180 Depth=1
	s_andn2_saveexec_b64 s[0:1], s[22:23]
.LBB163_230:                            ;   in Loop: Header=BB163_180 Depth=1
	v_mul_f32_e64 v6, |v11|, s41
	v_rndne_f32_e32 v12, v6
	v_cvt_i32_f32_e32 v6, v12
	v_fma_f32 v7, v12, s42, |v11|
	v_fmac_f32_e32 v7, 0xb3a22168, v12
	v_fmac_f32_e32 v7, 0xa7c234c4, v12
; %bb.231:                              ;   in Loop: Header=BB163_180 Depth=1
	s_or_b64 exec, exec, s[0:1]
                                        ; implicit-def: $vgpr12
                                        ; implicit-def: $vgpr18
	s_and_saveexec_b64 s[0:1], s[20:21]
	s_xor_b64 s[20:21], exec, s[0:1]
	s_cbranch_execz .LBB163_233
; %bb.232:                              ;   in Loop: Header=BB163_180 Depth=1
	v_cmp_lt_u32_e32 vcc, 63, v16
	v_cndmask_b32_e32 v12, 0, v30, vcc
	v_add_u32_e32 v12, v12, v16
	v_cmp_lt_u32_e64 s[0:1], 31, v12
	v_cndmask_b32_e64 v16, 0, v31, s[0:1]
	v_add_u32_e32 v12, v16, v12
	v_cmp_lt_u32_e64 s[2:3], 31, v12
	v_cndmask_b32_e64 v16, 0, v31, s[2:3]
	v_mad_u64_u32 v[34:35], s[4:5], v9, s33, 0
	v_add_u32_e32 v16, v16, v12
	v_mov_b32_e32 v12, v35
	v_mad_u64_u32 v[36:37], s[4:5], v9, s34, v[12:13]
	v_mov_b32_e32 v12, v37
	v_mad_u64_u32 v[38:39], s[4:5], v9, s35, v[12:13]
	;; [unrolled: 2-line block ×6, first 2 shown]
	v_cndmask_b32_e32 v18, v44, v40, vcc
	v_cndmask_b32_e32 v9, v46, v42, vcc
	v_cndmask_b32_e32 v35, v47, v44, vcc
	v_cndmask_b32_e64 v12, v9, v18, s[0:1]
	v_cndmask_b32_e64 v9, v35, v9, s[0:1]
	v_cndmask_b32_e32 v35, v42, v38, vcc
	v_cndmask_b32_e64 v18, v18, v35, s[0:1]
	v_sub_u32_e32 v37, 32, v16
	v_cmp_eq_u32_e64 s[4:5], 0, v16
	v_cndmask_b32_e32 v16, v40, v36, vcc
	v_cndmask_b32_e64 v9, v9, v12, s[2:3]
	v_cndmask_b32_e64 v12, v12, v18, s[2:3]
	v_cndmask_b32_e64 v35, v35, v16, s[0:1]
	v_alignbit_b32 v39, v9, v12, v37
	v_cndmask_b32_e64 v18, v18, v35, s[2:3]
	v_cndmask_b32_e64 v9, v39, v9, s[4:5]
	v_alignbit_b32 v36, v12, v18, v37
	v_cndmask_b32_e32 v34, v38, v34, vcc
	v_cndmask_b32_e64 v12, v36, v12, s[4:5]
	v_bfe_u32 v40, v9, 29, 1
	v_cndmask_b32_e64 v16, v16, v34, s[0:1]
	v_alignbit_b32 v36, v9, v12, 30
	v_sub_u32_e32 v41, 0, v40
	v_cndmask_b32_e64 v16, v35, v16, s[2:3]
	v_xor_b32_e32 v42, v36, v41
	v_alignbit_b32 v34, v18, v16, v37
	v_cndmask_b32_e64 v18, v34, v18, s[4:5]
	v_ffbh_u32_e32 v34, v42
	v_add_u32_e32 v34, 1, v34
	v_cmp_ne_u32_e32 vcc, v36, v41
	v_alignbit_b32 v12, v12, v18, 30
	v_cndmask_b32_e32 v34, 33, v34, vcc
	v_alignbit_b32 v16, v18, v16, 30
	v_xor_b32_e32 v12, v12, v41
	v_sub_u32_e32 v35, 32, v34
	v_xor_b32_e32 v16, v16, v41
	v_alignbit_b32 v36, v42, v12, v35
	v_alignbit_b32 v12, v12, v16, v35
	;; [unrolled: 1-line block ×3, first 2 shown]
	v_ffbh_u32_e32 v18, v16
	v_min_u32_e32 v18, 32, v18
	v_lshrrev_b32_e32 v39, 29, v9
	v_sub_u32_e32 v35, 31, v18
	v_alignbit_b32 v12, v16, v12, v35
	v_lshlrev_b32_e32 v16, 31, v39
	v_or_b32_e32 v35, 0x33800000, v16
	v_add_lshl_u32 v18, v18, v34, 23
	v_lshrrev_b32_e32 v12, 9, v12
	v_sub_u32_e32 v18, v35, v18
	v_or_b32_e32 v12, v18, v12
	v_alignbit_b32 v18, v34, v36, 9
	v_or_b32_e32 v16, v18, v16
	v_xor_b32_e32 v16, 1.0, v16
	v_mul_f32_e32 v18, 0x3fc90fda, v16
	v_fma_f32 v34, v16, s40, -v18
	v_fmac_f32_e32 v34, 0x33a22168, v16
	v_fmac_f32_e32 v34, 0x3fc90fda, v12
	v_lshrrev_b32_e32 v9, 30, v9
	v_add_f32_e32 v18, v18, v34
	v_add_u32_e32 v12, v40, v9
	s_andn2_saveexec_b64 s[0:1], s[20:21]
	s_cbranch_execnz .LBB163_234
	s_branch .LBB163_235
.LBB163_233:                            ;   in Loop: Header=BB163_180 Depth=1
	s_andn2_saveexec_b64 s[0:1], s[20:21]
.LBB163_234:                            ;   in Loop: Header=BB163_180 Depth=1
	v_mul_f32_e64 v9, |v11|, s41
	v_rndne_f32_e32 v9, v9
	v_cvt_i32_f32_e32 v12, v9
	v_fma_f32 v18, v9, s42, |v11|
	v_fmac_f32_e32 v18, 0xb3a22168, v9
	v_fmac_f32_e32 v18, 0xa7c234c4, v9
.LBB163_235:                            ;   in Loop: Header=BB163_180 Depth=1
	s_or_b64 exec, exec, s[0:1]
	v_mul_f32_e32 v9, v7, v7
	v_mov_b32_e32 v16, 0x3c0881c4
	v_fmac_f32_e32 v16, 0xb94c1982, v9
	v_fma_f32 v16, v9, v16, v27
	v_mul_f32_e32 v16, v9, v16
	v_fmac_f32_e32 v7, v7, v16
	v_mov_b32_e32 v16, 0xbab64f3b
	v_fmac_f32_e32 v16, 0x37d75334, v9
	v_fma_f32 v16, v9, v16, v28
	v_fma_f32 v16, v9, v16, v29
	v_fma_f32 v9, v9, v16, 1.0
	v_and_b32_e32 v16, 1, v6
	v_lshlrev_b32_e32 v6, 30, v6
	v_and_b32_e32 v6, 0x80000000, v6
	v_cmp_eq_u32_e32 vcc, 0, v16
	v_xor_b32_e32 v6, v8, v6
	v_mul_f32_e64 v8, |v10|, s47
	v_cndmask_b32_e32 v7, v9, v7, vcc
	v_rndne_f32_e32 v9, v8
	v_sub_f32_e32 v16, v8, v9
	v_fma_f32 v8, |v10|, s47, -v8
	v_fma_f32 v8, |v10|, s48, v8
	v_add_f32_e32 v8, v16, v8
	v_exp_f32_e32 v8, v8
	v_cvt_i32_f32_e32 v9, v9
	v_xor_b32_e32 v6, v6, v7
	v_xor_b32_e32 v6, v6, v11
	v_mul_f32_e32 v7, 4.0, v6
	v_ldexp_f32 v6, v8, v9
	v_cmp_ngt_f32_e64 vcc, |v10|, s49
	v_cndmask_b32_e32 v6, 0, v6, vcc
	v_cmp_nlt_f32_e64 vcc, |v10|, s50
	v_cndmask_b32_e32 v8, v32, v6, vcc
	v_bfi_b32 v6, s27, 1.0, v10
	v_mul_f32_e32 v9, v18, v18
	v_mov_b32_e32 v10, 0x3c0881c4
	v_fmac_f32_e32 v10, 0xb94c1982, v9
	v_fma_f32 v10, v9, v10, v27
	v_mul_f32_e32 v10, v9, v10
	v_fmac_f32_e32 v18, v18, v10
	v_mov_b32_e32 v10, 0xbab64f3b
	v_fmac_f32_e32 v10, 0x37d75334, v9
	v_fma_f32 v10, v9, v10, v28
	v_fma_f32 v10, v9, v10, v29
	v_fma_f32 v9, v9, v10, 1.0
	v_and_b32_e32 v10, 1, v12
	v_cmp_eq_u32_e32 vcc, 0, v10
	v_lshlrev_b32_e32 v10, 30, v12
	v_cndmask_b32_e64 v9, -v18, v9, vcc
	v_and_b32_e32 v10, 0x80000000, v10
	v_xor_b32_e32 v9, v10, v9
	v_mul_f32_e32 v7, v7, v9
	v_mul_f32_e32 v7, v8, v7
	;; [unrolled: 1-line block ×3, first 2 shown]
.LBB163_236:                            ;   in Loop: Header=BB163_180 Depth=1
	s_or_b64 exec, exec, s[18:19]
                                        ; implicit-def: $vgpr8_vgpr9_vgpr10_vgpr11
.LBB163_237:                            ;   in Loop: Header=BB163_180 Depth=1
	s_andn2_saveexec_b64 s[0:1], s[14:15]
; %bb.238:                              ;   in Loop: Header=BB163_180 Depth=1
	v_sub_f32_e32 v7, v11, v11
	v_mov_b32_e32 v6, v7
; %bb.239:                              ;   in Loop: Header=BB163_180 Depth=1
	s_or_b64 exec, exec, s[0:1]
                                        ; implicit-def: $vgpr10
.LBB163_240:                            ;   in Loop: Header=BB163_180 Depth=1
	s_andn2_saveexec_b64 s[12:13], s[12:13]
	s_cbranch_execz .LBB163_256
; %bb.241:                              ;   in Loop: Header=BB163_180 Depth=1
	v_and_b32_e32 v6, 0x7fffff, v10
	v_cmp_ne_u32_e32 vcc, 0, v6
	s_and_saveexec_b64 s[0:1], vcc
	s_xor_b64 s[0:1], exec, s[0:1]
; %bb.242:                              ;   in Loop: Header=BB163_180 Depth=1
	v_mul_f32_e32 v6, v10, v11
	v_cmp_eq_f32_e32 vcc, 0, v11
	v_cndmask_b32_e32 v7, v6, v11, vcc
; %bb.243:                              ;   in Loop: Header=BB163_180 Depth=1
	s_andn2_saveexec_b64 s[14:15], s[0:1]
	s_cbranch_execz .LBB163_255
; %bb.244:                              ;   in Loop: Header=BB163_180 Depth=1
	v_cmp_neq_f32_e64 s[0:1], |v11|, s28
	s_and_saveexec_b64 s[18:19], s[0:1]
	s_cbranch_execz .LBB163_254
; %bb.245:                              ;   in Loop: Header=BB163_180 Depth=1
	v_and_b32_e32 v6, 0x7fffffff, v11
	v_lshrrev_b32_e32 v7, 23, v6
	v_and_b32_e32 v8, 0x7fffff, v6
	v_cmp_nlt_f32_e64 s[20:21], |v11|, s31
	v_add_u32_e32 v16, 0xffffff88, v7
	v_or_b32_e32 v9, 0x800000, v8
                                        ; implicit-def: $vgpr7
                                        ; implicit-def: $vgpr8
	s_and_saveexec_b64 s[0:1], s[20:21]
	s_xor_b64 s[22:23], exec, s[0:1]
	s_cbranch_execz .LBB163_247
; %bb.246:                              ;   in Loop: Header=BB163_180 Depth=1
	v_mad_u64_u32 v[34:35], s[4:5], v9, s33, 0
	v_mov_b32_e32 v12, v35
	v_mad_u64_u32 v[36:37], s[4:5], v9, s34, v[12:13]
	v_mov_b32_e32 v12, v37
	v_mad_u64_u32 v[38:39], s[4:5], v9, s35, v[12:13]
	v_cmp_lt_u32_e32 vcc, 63, v16
	v_mov_b32_e32 v12, v39
	v_cndmask_b32_e32 v7, 0, v30, vcc
	v_mad_u64_u32 v[40:41], s[4:5], v9, s36, v[12:13]
	v_add_u32_e32 v7, v7, v16
	v_mov_b32_e32 v12, v41
	v_cmp_lt_u32_e64 s[0:1], 31, v7
	v_mad_u64_u32 v[42:43], s[4:5], v9, s37, v[12:13]
	v_cndmask_b32_e64 v8, 0, v31, s[0:1]
	v_mov_b32_e32 v12, v43
	v_add_u32_e32 v7, v8, v7
	v_mad_u64_u32 v[44:45], s[4:5], v9, s38, v[12:13]
	v_cmp_lt_u32_e64 s[2:3], 31, v7
	v_mov_b32_e32 v12, v45
	v_cndmask_b32_e64 v8, 0, v31, s[2:3]
	v_mad_u64_u32 v[46:47], s[4:5], v9, s39, v[12:13]
	v_add_u32_e32 v7, v8, v7
	v_cndmask_b32_e32 v8, v44, v40, vcc
	v_cndmask_b32_e32 v12, v46, v42, vcc
	;; [unrolled: 1-line block ×3, first 2 shown]
	v_cndmask_b32_e64 v18, v12, v8, s[0:1]
	v_cndmask_b32_e64 v12, v35, v12, s[0:1]
	v_cndmask_b32_e32 v35, v42, v38, vcc
	v_cndmask_b32_e64 v8, v8, v35, s[0:1]
	v_cndmask_b32_e64 v12, v12, v18, s[2:3]
	;; [unrolled: 1-line block ×3, first 2 shown]
	v_sub_u32_e32 v37, 32, v7
	v_alignbit_b32 v39, v12, v18, v37
	v_cmp_eq_u32_e64 s[4:5], 0, v7
	v_cndmask_b32_e64 v7, v39, v12, s[4:5]
	v_cndmask_b32_e32 v12, v40, v36, vcc
	v_cndmask_b32_e64 v35, v35, v12, s[0:1]
	v_cndmask_b32_e64 v8, v8, v35, s[2:3]
	v_alignbit_b32 v36, v18, v8, v37
	v_cndmask_b32_e32 v34, v38, v34, vcc
	v_cndmask_b32_e64 v18, v36, v18, s[4:5]
	v_bfe_u32 v40, v7, 29, 1
	v_cndmask_b32_e64 v12, v12, v34, s[0:1]
	v_alignbit_b32 v36, v7, v18, 30
	v_sub_u32_e32 v41, 0, v40
	v_cndmask_b32_e64 v12, v35, v12, s[2:3]
	v_xor_b32_e32 v42, v36, v41
	v_alignbit_b32 v34, v8, v12, v37
	v_cndmask_b32_e64 v8, v34, v8, s[4:5]
	v_ffbh_u32_e32 v34, v42
	v_add_u32_e32 v34, 1, v34
	v_cmp_ne_u32_e32 vcc, v36, v41
	v_alignbit_b32 v18, v18, v8, 30
	v_cndmask_b32_e32 v34, 33, v34, vcc
	v_alignbit_b32 v8, v8, v12, 30
	v_xor_b32_e32 v18, v18, v41
	v_sub_u32_e32 v35, 32, v34
	v_xor_b32_e32 v8, v8, v41
	v_alignbit_b32 v36, v42, v18, v35
	v_alignbit_b32 v8, v18, v8, v35
	;; [unrolled: 1-line block ×3, first 2 shown]
	v_ffbh_u32_e32 v18, v12
	v_min_u32_e32 v18, 32, v18
	v_lshrrev_b32_e32 v39, 29, v7
	v_sub_u32_e32 v35, 31, v18
	v_alignbit_b32 v8, v12, v8, v35
	v_lshlrev_b32_e32 v12, 31, v39
	v_or_b32_e32 v35, 0x33800000, v12
	v_add_lshl_u32 v18, v18, v34, 23
	v_lshrrev_b32_e32 v8, 9, v8
	v_sub_u32_e32 v18, v35, v18
	v_or_b32_e32 v8, v18, v8
	v_alignbit_b32 v18, v34, v36, 9
	v_or_b32_e32 v12, v18, v12
	v_xor_b32_e32 v12, 1.0, v12
	v_mul_f32_e32 v18, 0x3fc90fda, v12
	v_fma_f32 v34, v12, s40, -v18
	v_fmac_f32_e32 v34, 0x33a22168, v12
	v_fmac_f32_e32 v34, 0x3fc90fda, v8
	v_lshrrev_b32_e32 v7, 30, v7
	v_add_f32_e32 v8, v18, v34
	v_add_u32_e32 v7, v40, v7
.LBB163_247:                            ;   in Loop: Header=BB163_180 Depth=1
	s_or_saveexec_b64 s[0:1], s[22:23]
	v_mul_f32_e64 v12, |v11|, s41
	v_rndne_f32_e32 v34, v12
	s_xor_b64 exec, exec, s[0:1]
; %bb.248:                              ;   in Loop: Header=BB163_180 Depth=1
	v_cvt_i32_f32_e32 v7, v34
	v_fma_f32 v8, v34, s42, |v11|
	v_fmac_f32_e32 v8, 0xb3a22168, v34
	v_fmac_f32_e32 v8, 0xa7c234c4, v34
; %bb.249:                              ;   in Loop: Header=BB163_180 Depth=1
	s_or_b64 exec, exec, s[0:1]
                                        ; implicit-def: $vgpr12
                                        ; implicit-def: $vgpr18
	s_and_saveexec_b64 s[0:1], s[20:21]
	s_xor_b64 s[20:21], exec, s[0:1]
	s_cbranch_execz .LBB163_251
; %bb.250:                              ;   in Loop: Header=BB163_180 Depth=1
	v_cmp_lt_u32_e32 vcc, 63, v16
	v_cndmask_b32_e32 v12, 0, v30, vcc
	v_add_u32_e32 v12, v12, v16
	v_cmp_lt_u32_e64 s[0:1], 31, v12
	v_cndmask_b32_e64 v16, 0, v31, s[0:1]
	v_add_u32_e32 v12, v16, v12
	v_cmp_lt_u32_e64 s[2:3], 31, v12
	v_cndmask_b32_e64 v16, 0, v31, s[2:3]
	v_mad_u64_u32 v[34:35], s[4:5], v9, s33, 0
	v_add_u32_e32 v16, v16, v12
	v_mov_b32_e32 v12, v35
	v_mad_u64_u32 v[36:37], s[4:5], v9, s34, v[12:13]
	v_mov_b32_e32 v12, v37
	v_mad_u64_u32 v[38:39], s[4:5], v9, s35, v[12:13]
	;; [unrolled: 2-line block ×6, first 2 shown]
	v_cndmask_b32_e32 v18, v44, v40, vcc
	v_cndmask_b32_e32 v9, v46, v42, vcc
	;; [unrolled: 1-line block ×3, first 2 shown]
	v_cndmask_b32_e64 v12, v9, v18, s[0:1]
	v_cndmask_b32_e64 v9, v35, v9, s[0:1]
	v_cndmask_b32_e32 v35, v42, v38, vcc
	v_cndmask_b32_e64 v18, v18, v35, s[0:1]
	v_sub_u32_e32 v37, 32, v16
	v_cmp_eq_u32_e64 s[4:5], 0, v16
	v_cndmask_b32_e32 v16, v40, v36, vcc
	v_cndmask_b32_e64 v9, v9, v12, s[2:3]
	v_cndmask_b32_e64 v12, v12, v18, s[2:3]
	;; [unrolled: 1-line block ×3, first 2 shown]
	v_alignbit_b32 v39, v9, v12, v37
	v_cndmask_b32_e64 v18, v18, v35, s[2:3]
	v_cndmask_b32_e64 v9, v39, v9, s[4:5]
	v_alignbit_b32 v36, v12, v18, v37
	v_cndmask_b32_e32 v34, v38, v34, vcc
	v_cndmask_b32_e64 v12, v36, v12, s[4:5]
	v_bfe_u32 v40, v9, 29, 1
	v_cndmask_b32_e64 v16, v16, v34, s[0:1]
	v_alignbit_b32 v36, v9, v12, 30
	v_sub_u32_e32 v41, 0, v40
	v_cndmask_b32_e64 v16, v35, v16, s[2:3]
	v_xor_b32_e32 v42, v36, v41
	v_alignbit_b32 v34, v18, v16, v37
	v_cndmask_b32_e64 v18, v34, v18, s[4:5]
	v_ffbh_u32_e32 v34, v42
	v_add_u32_e32 v34, 1, v34
	v_cmp_ne_u32_e32 vcc, v36, v41
	v_alignbit_b32 v12, v12, v18, 30
	v_cndmask_b32_e32 v34, 33, v34, vcc
	v_alignbit_b32 v16, v18, v16, 30
	v_xor_b32_e32 v12, v12, v41
	v_sub_u32_e32 v35, 32, v34
	v_xor_b32_e32 v16, v16, v41
	v_alignbit_b32 v36, v42, v12, v35
	v_alignbit_b32 v12, v12, v16, v35
	;; [unrolled: 1-line block ×3, first 2 shown]
	v_ffbh_u32_e32 v18, v16
	v_min_u32_e32 v18, 32, v18
	v_lshrrev_b32_e32 v39, 29, v9
	v_sub_u32_e32 v35, 31, v18
	v_alignbit_b32 v12, v16, v12, v35
	v_lshlrev_b32_e32 v16, 31, v39
	v_or_b32_e32 v35, 0x33800000, v16
	v_add_lshl_u32 v18, v18, v34, 23
	v_lshrrev_b32_e32 v12, 9, v12
	v_sub_u32_e32 v18, v35, v18
	v_or_b32_e32 v12, v18, v12
	v_alignbit_b32 v18, v34, v36, 9
	v_or_b32_e32 v16, v18, v16
	v_xor_b32_e32 v16, 1.0, v16
	v_mul_f32_e32 v18, 0x3fc90fda, v16
	v_fma_f32 v34, v16, s40, -v18
	v_fmac_f32_e32 v34, 0x33a22168, v16
	v_fmac_f32_e32 v34, 0x3fc90fda, v12
	v_lshrrev_b32_e32 v9, 30, v9
	v_add_f32_e32 v18, v18, v34
	v_add_u32_e32 v12, v40, v9
                                        ; implicit-def: $vgpr34
	s_andn2_saveexec_b64 s[0:1], s[20:21]
	s_cbranch_execnz .LBB163_252
	s_branch .LBB163_253
.LBB163_251:                            ;   in Loop: Header=BB163_180 Depth=1
	s_andn2_saveexec_b64 s[0:1], s[20:21]
.LBB163_252:                            ;   in Loop: Header=BB163_180 Depth=1
	v_cvt_i32_f32_e32 v12, v34
	v_fma_f32 v18, v34, s42, |v11|
	v_fmac_f32_e32 v18, 0xb3a22168, v34
	v_fmac_f32_e32 v18, 0xa7c234c4, v34
.LBB163_253:                            ;   in Loop: Header=BB163_180 Depth=1
	s_or_b64 exec, exec, s[0:1]
	v_mul_f32_e32 v9, v8, v8
	v_mov_b32_e32 v16, 0x3c0881c4
	v_fmac_f32_e32 v16, 0xb94c1982, v9
	v_fma_f32 v16, v9, v16, v27
	v_mul_f32_e32 v16, v9, v16
	v_fmac_f32_e32 v8, v8, v16
	v_mov_b32_e32 v16, 0xbab64f3b
	v_fmac_f32_e32 v16, 0x37d75334, v9
	v_fma_f32 v16, v9, v16, v28
	v_fma_f32 v16, v9, v16, v29
	v_fma_f32 v9, v9, v16, 1.0
	v_and_b32_e32 v16, 1, v7
	v_lshlrev_b32_e32 v7, 30, v7
	v_cmp_eq_u32_e32 vcc, 0, v16
	v_and_b32_e32 v7, 0x80000000, v7
	v_cndmask_b32_e32 v8, v9, v8, vcc
	v_xor_b32_e32 v6, v6, v7
	v_xor_b32_e32 v6, v6, v8
	v_mul_f32_e32 v7, v18, v18
	v_mov_b32_e32 v8, 0x3c0881c4
	v_fmac_f32_e32 v8, 0xb94c1982, v7
	v_fma_f32 v8, v7, v8, v27
	v_mul_f32_e32 v8, v7, v8
	v_fmac_f32_e32 v18, v18, v8
	v_mov_b32_e32 v8, 0xbab64f3b
	v_fmac_f32_e32 v8, 0x37d75334, v7
	v_fma_f32 v8, v7, v8, v28
	v_fma_f32 v8, v7, v8, v29
	v_fma_f32 v7, v7, v8, 1.0
	v_and_b32_e32 v8, 1, v12
	v_cmp_eq_u32_e32 vcc, 0, v8
	v_lshlrev_b32_e32 v8, 30, v12
	v_cndmask_b32_e64 v7, -v18, v7, vcc
	v_and_b32_e32 v8, 0x80000000, v8
	v_xor_b32_e32 v6, v6, v11
	v_xor_b32_e32 v7, v8, v7
	v_mul_f32_e32 v6, v6, v7
	v_cmp_class_f32_e64 vcc, v11, s29
	v_cndmask_b32_e32 v11, v33, v6, vcc
.LBB163_254:                            ;   in Loop: Header=BB163_180 Depth=1
	s_or_b64 exec, exec, s[18:19]
	v_add_u32_e32 v10, -2.0, v10
	v_bfi_b32 v7, s27, 0, v11
.LBB163_255:                            ;   in Loop: Header=BB163_180 Depth=1
	s_or_b64 exec, exec, s[14:15]
	v_mov_b32_e32 v6, v10
.LBB163_256:                            ;   in Loop: Header=BB163_180 Depth=1
	s_or_b64 exec, exec, s[12:13]
	s_waitcnt vmcnt(0)
	v_and_b32_e32 v16, 0x7fffffff, v0
	v_cmp_gt_u32_e32 vcc, s28, v16
                                        ; implicit-def: $vgpr9
	s_and_saveexec_b64 s[0:1], vcc
	s_xor_b64 s[12:13], exec, s[0:1]
	s_cbranch_execz .LBB163_278
; %bb.257:                              ;   in Loop: Header=BB163_180 Depth=1
	v_cmp_class_f32_e64 s[0:1], v1, s29
                                        ; implicit-def: $vgpr9
	s_and_saveexec_b64 s[2:3], s[0:1]
	s_xor_b64 s[14:15], exec, s[2:3]
	s_cbranch_execz .LBB163_275
; %bb.258:                              ;   in Loop: Header=BB163_180 Depth=1
	v_and_b32_e32 v10, 0x7fffffff, v1
	v_cmp_gt_u32_e32 vcc, s30, v16
                                        ; implicit-def: $vgpr9
	s_and_saveexec_b64 s[0:1], vcc
	s_xor_b64 s[18:19], exec, s[0:1]
	s_cbranch_execz .LBB163_264
; %bb.259:                              ;   in Loop: Header=BB163_180 Depth=1
	v_cmp_nlt_f32_e64 s[0:1], |v1|, s31
                                        ; implicit-def: $vgpr9
                                        ; implicit-def: $vgpr8
	s_and_saveexec_b64 s[2:3], s[0:1]
	s_xor_b64 s[20:21], exec, s[2:3]
	s_cbranch_execz .LBB163_261
; %bb.260:                              ;   in Loop: Header=BB163_180 Depth=1
	v_lshrrev_b32_e32 v8, 23, v10
	v_add_u32_e32 v8, 0xffffff88, v8
	v_cmp_lt_u32_e32 vcc, 63, v8
	v_cndmask_b32_e32 v9, 0, v30, vcc
	v_add_u32_e32 v8, v9, v8
	v_cmp_lt_u32_e64 s[0:1], 31, v8
	v_cndmask_b32_e64 v9, 0, v31, s[0:1]
	v_add_u32_e32 v8, v9, v8
	v_cmp_lt_u32_e64 s[2:3], 31, v8
	v_cndmask_b32_e64 v9, 0, v31, s[2:3]
	v_add_u32_e32 v11, v9, v8
	v_and_b32_e32 v8, 0x7fffff, v10
	v_or_b32_e32 v18, 0x800000, v8
	v_mad_u64_u32 v[8:9], s[4:5], v18, s33, 0
	v_mov_b32_e32 v12, v9
	v_mad_u64_u32 v[34:35], s[4:5], v18, s34, v[12:13]
	v_mov_b32_e32 v12, v35
	;; [unrolled: 2-line block ×6, first 2 shown]
	v_mad_u64_u32 v[44:45], s[4:5], v18, s39, v[12:13]
	v_cndmask_b32_e32 v9, v42, v38, vcc
	v_cndmask_b32_e32 v12, v44, v40, vcc
	;; [unrolled: 1-line block ×3, first 2 shown]
	v_cndmask_b32_e64 v18, v12, v9, s[0:1]
	v_cndmask_b32_e64 v12, v35, v12, s[0:1]
	v_cndmask_b32_e32 v35, v40, v36, vcc
	v_cndmask_b32_e64 v9, v9, v35, s[0:1]
	v_cndmask_b32_e64 v12, v12, v18, s[2:3]
	v_cndmask_b32_e64 v18, v18, v9, s[2:3]
	v_sub_u32_e32 v37, 32, v11
	v_alignbit_b32 v39, v12, v18, v37
	v_cmp_eq_u32_e64 s[4:5], 0, v11
	v_cndmask_b32_e64 v11, v39, v12, s[4:5]
	v_cndmask_b32_e32 v12, v38, v34, vcc
	v_cndmask_b32_e64 v34, v35, v12, s[0:1]
	v_cndmask_b32_e64 v9, v9, v34, s[2:3]
	v_cndmask_b32_e32 v8, v36, v8, vcc
	v_alignbit_b32 v35, v18, v9, v37
	v_cndmask_b32_e64 v8, v12, v8, s[0:1]
	v_cndmask_b32_e64 v18, v35, v18, s[4:5]
	v_bfe_u32 v39, v11, 29, 1
	v_cndmask_b32_e64 v8, v34, v8, s[2:3]
	v_alignbit_b32 v35, v11, v18, 30
	v_sub_u32_e32 v40, 0, v39
	v_alignbit_b32 v12, v9, v8, v37
	v_xor_b32_e32 v41, v35, v40
	v_cndmask_b32_e64 v9, v12, v9, s[4:5]
	v_alignbit_b32 v12, v18, v9, 30
	v_ffbh_u32_e32 v18, v41
	v_add_u32_e32 v18, 1, v18
	v_cmp_ne_u32_e32 vcc, v35, v40
	v_cndmask_b32_e32 v18, 33, v18, vcc
	v_alignbit_b32 v8, v9, v8, 30
	v_xor_b32_e32 v12, v12, v40
	v_sub_u32_e32 v34, 32, v18
	v_xor_b32_e32 v8, v8, v40
	v_alignbit_b32 v35, v41, v12, v34
	v_alignbit_b32 v8, v12, v8, v34
	;; [unrolled: 1-line block ×3, first 2 shown]
	v_ffbh_u32_e32 v12, v9
	v_min_u32_e32 v12, 32, v12
	v_lshrrev_b32_e32 v38, 29, v11
	v_sub_u32_e32 v34, 31, v12
	v_alignbit_b32 v8, v9, v8, v34
	v_lshlrev_b32_e32 v9, 31, v38
	v_or_b32_e32 v34, 0x33800000, v9
	v_add_lshl_u32 v12, v12, v18, 23
	v_lshrrev_b32_e32 v8, 9, v8
	v_sub_u32_e32 v12, v34, v12
	v_or_b32_e32 v8, v12, v8
	v_alignbit_b32 v12, v18, v35, 9
	v_or_b32_e32 v9, v12, v9
	v_xor_b32_e32 v9, 1.0, v9
	v_mul_f32_e32 v12, 0x3fc90fda, v9
	v_fma_f32 v18, v9, s40, -v12
	v_fmac_f32_e32 v18, 0x33a22168, v9
	v_fmac_f32_e32 v18, 0x3fc90fda, v8
	v_lshrrev_b32_e32 v9, 30, v11
	v_add_f32_e32 v8, v12, v18
	v_add_u32_e32 v9, v39, v9
.LBB163_261:                            ;   in Loop: Header=BB163_180 Depth=1
	s_andn2_saveexec_b64 s[0:1], s[20:21]
; %bb.262:                              ;   in Loop: Header=BB163_180 Depth=1
	v_mul_f32_e64 v8, |v1|, s41
	v_rndne_f32_e32 v11, v8
	v_cvt_i32_f32_e32 v9, v11
	v_fma_f32 v8, v11, s42, |v1|
	v_fmac_f32_e32 v8, 0xb3a22168, v11
	v_fmac_f32_e32 v8, 0xa7c234c4, v11
; %bb.263:                              ;   in Loop: Header=BB163_180 Depth=1
	s_or_b64 exec, exec, s[0:1]
	v_mul_f32_e32 v11, v8, v8
	v_mov_b32_e32 v12, 0xbf039337
	v_fmac_f32_e32 v12, 0x3c971480, v11
	v_fma_f32 v12, v11, v12, v22
	v_rcp_f32_e32 v12, v12
	v_mov_b32_e32 v18, 0x3ec54587
	v_fmac_f32_e32 v18, 0xbc8cedd3, v11
	v_and_b32_e32 v9, 1, v9
	v_mul_f32_e32 v12, v18, v12
	v_mul_f32_e32 v11, v11, v12
	v_fma_f32 v12, v11, v8, v8
	v_rcp_f32_e32 v18, v12
	v_sub_f32_e32 v34, v12, v8
	v_fma_f32 v8, v11, v8, -v34
	v_cmp_eq_u32_e32 vcc, 0, v9
	v_fma_f32 v11, v12, -v18, 1.0
	v_fma_f32 v8, v8, -v18, v11
	v_fma_f32 v8, v8, -v18, -v18
	v_cndmask_b32_e32 v11, v8, v12, vcc
	v_add_f32_e64 v12, |v0|, s43
	v_sub_f32_e64 v9, v12, |v0|
	v_sub_f32_e32 v8, v9, v12
	v_pk_add_f32 v[8:9], v[16:17], v[8:9]
	v_sub_f32_e32 v8, v8, v9
	v_add_f32_e32 v8, 0x3102e308, v8
	v_add_f32_e32 v9, v12, v8
	v_sub_f32_e32 v12, v12, v9
	v_add_f32_e32 v8, v8, v12
	v_mul_f32_e32 v12, 0x3fb8aa3b, v9
	v_rndne_f32_e32 v12, v12
	v_fmac_f32_e32 v9, 0xbf317200, v12
	v_add_f32_e32 v16, v8, v9
	v_mul_f32_e32 v18, 0x35bfbc00, v12
	v_sub_f32_e32 v34, v16, v18
	v_sub_f32_e32 v9, v9, v16
	;; [unrolled: 1-line block ×3, first 2 shown]
	v_add_f32_e32 v8, v8, v9
	v_sub_f32_e32 v16, v16, v18
	v_add_f32_e32 v16, v8, v16
	v_add_f32_e32 v35, v34, v16
	v_mul_f32_e32 v9, 0x2ea39ef3, v12
	v_mov_b32_e32 v8, v35
	v_pk_add_f32 v[36:37], v[34:35], v[8:9] neg_lo:[0,1] neg_hi:[0,1]
	v_sub_f32_e32 v8, v35, v37
	v_sub_f32_e32 v8, v8, v9
	v_add_f32_e32 v9, v16, v36
	v_add_f32_e32 v8, v9, v8
	;; [unrolled: 1-line block ×3, first 2 shown]
	v_sub_f32_e32 v18, v37, v9
	v_mov_b32_e32 v16, 0x3c091de6
	v_add_f32_e32 v8, v8, v18
	v_mul_f32_e32 v34, v9, v9
	v_fmac_f32_e32 v16, 0x3ab42872, v9
	v_add_f32_e32 v18, v8, v8
	v_fma_f32 v35, v9, v9, -v34
	v_fma_f32 v16, v9, v16, v23
	v_fmac_f32_e32 v35, v9, v18
	v_fma_f32 v16, v9, v16, v24
	v_add_f32_e32 v18, v34, v35
	v_fma_f32 v16, v9, v16, v25
	v_sub_f32_e32 v34, v18, v34
	v_sub_f32_e32 v34, v35, v34
	v_mul_f32_e32 v35, v16, v18
	v_fma_f32 v18, v18, v16, -v35
	v_fmac_f32_e32 v18, v34, v16
	v_add_f32_e32 v16, v35, v18
	v_sub_f32_e32 v34, v16, v35
	v_sub_f32_e32 v34, v18, v34
	v_add_f32_e32 v18, v9, v16
	v_sub_f32_e32 v9, v18, v9
	v_sub_f32_e32 v9, v16, v9
	v_add_f32_e32 v8, v8, v34
	v_add_f32_e32 v8, v8, v9
	;; [unrolled: 1-line block ×3, first 2 shown]
	v_add_f32_e32 v35, 1.0, v34
	v_pk_add_f32 v[36:37], v[34:35], v[18:19] neg_lo:[0,1] neg_hi:[0,1]
	v_pk_add_f32 v[38:39], v[34:35], s[8:9]
	v_mov_b32_e32 v37, v39
	v_mov_b32_e32 v9, v34
	v_cvt_i32_f32_e32 v12, v12
	v_pk_add_f32 v[8:9], v[8:9], v[36:37] neg_lo:[0,1] neg_hi:[0,1]
	v_add_f32_e32 v8, v8, v9
	v_add_f32_e32 v9, v35, v8
	v_ldexp_f32 v16, v9, v12
	v_rcp_f32_e32 v18, v16
	v_sub_f32_e32 v9, v9, v35
	v_sub_f32_e32 v8, v8, v9
	v_ldexp_f32 v8, v8, v12
	v_mul_f32_e32 v9, v16, v18
	v_fma_f32 v12, v18, v16, -v9
	v_fmac_f32_e32 v12, v18, v8
	v_add_f32_e32 v34, v9, v12
	v_sub_f32_e32 v35, 1.0, v34
	v_sub_f32_e32 v36, 1.0, v35
	v_sub_f32_e32 v9, v34, v9
	v_sub_f32_e32 v36, v36, v34
	;; [unrolled: 1-line block ×3, first 2 shown]
	v_add_f32_e32 v9, v9, v36
	v_add_f32_e32 v12, v35, v9
	v_mul_f32_e32 v34, v18, v12
	v_mul_f32_e32 v36, v16, v34
	v_fma_f32 v37, v34, v16, -v36
	v_fmac_f32_e32 v37, v34, v8
	v_sub_f32_e32 v35, v35, v12
	v_add_f32_e32 v9, v9, v35
	v_add_f32_e32 v35, v36, v37
	v_sub_f32_e32 v38, v12, v35
	v_sub_f32_e32 v12, v12, v38
	;; [unrolled: 1-line block ×4, first 2 shown]
	v_add_f32_e32 v9, v9, v12
	v_sub_f32_e32 v12, v36, v37
	v_add_f32_e32 v9, v12, v9
	v_add_f32_e32 v9, v38, v9
	;; [unrolled: 1-line block ×3, first 2 shown]
	v_mul_f32_e32 v9, v18, v9
	v_sub_f32_e32 v18, v12, v18
	v_sub_f32_e32 v18, v34, v18
	v_add_f32_e32 v9, v18, v9
	v_add_f32_e32 v18, v12, v9
	v_sub_f32_e32 v12, v18, v12
	v_sub_f32_e32 v9, v9, v12
	v_ldexp_f32 v12, v18, -2
	v_sub_f32_e32 v18, v16, v12
	v_sub_f32_e32 v16, v16, v18
	;; [unrolled: 1-line block ×3, first 2 shown]
	v_ldexp_f32 v9, v9, -2
	v_add_f32_e32 v8, v8, v12
	v_sub_f32_e32 v8, v8, v9
	v_add_f32_e32 v8, v18, v8
	v_cmp_ngt_f32_e64 vcc, |v0|, s44
	v_cndmask_b32_e32 v8, v32, v8, vcc
	v_cmp_lt_f32_e64 s[0:1], |v0|, s45
	v_cndmask_b32_e64 v8, v8, |v0|, s[0:1]
	v_bfi_b32 v8, s27, v8, v0
	v_fma_f32 v9, v8, v8, 1.0
	v_mul_f32_e32 v12, 0x4f800000, v9
	v_cmp_gt_f32_e32 vcc, s46, v9
	v_cndmask_b32_e32 v9, v9, v12, vcc
	v_sqrt_f32_e32 v12, v9
	v_xor_b32_e32 v10, v10, v11
	v_xor_b32_e32 v10, v10, v1
	v_fma_f32 v11, v10, v10, 1.0
	v_add_u32_e32 v16, -1, v12
	v_fma_f32 v18, -v16, v12, v9
	v_cmp_ge_f32_e64 s[0:1], 0, v18
	v_add_u32_e32 v18, 1, v12
	v_cndmask_b32_e64 v16, v12, v16, s[0:1]
	v_fma_f32 v12, -v18, v12, v9
	v_cmp_lt_f32_e64 s[0:1], 0, v12
	v_cndmask_b32_e64 v12, v16, v18, s[0:1]
	v_mul_f32_e32 v16, 0x37800000, v12
	v_cndmask_b32_e32 v12, v12, v16, vcc
	v_cmp_class_f32_e32 vcc, v9, v26
	v_cndmask_b32_e32 v9, v12, v9, vcc
	v_mul_f32_e32 v12, v8, v11
	v_mul_f32_e32 v9, v9, v11
	v_fma_f32 v12, v8, v12, 1.0
	v_mul_f32_e32 v8, v8, v9
	v_div_scale_f32 v9, s[0:1], v12, v12, v8
	v_rcp_f32_e32 v11, v9
	v_fma_f32 v16, -v9, v11, 1.0
	v_fmac_f32_e32 v11, v16, v11
	v_div_scale_f32 v16, vcc, v8, v12, v8
	v_mul_f32_e32 v18, v16, v11
	v_fma_f32 v34, -v9, v18, v16
	v_fmac_f32_e32 v18, v34, v11
	v_fma_f32 v9, -v9, v18, v16
	v_div_scale_f32 v16, s[0:1], v12, v12, v10
	v_rcp_f32_e32 v34, v16
	v_div_fmas_f32 v9, v9, v11, v18
	v_div_fixup_f32 v8, v9, v12, v8
	v_fma_f32 v9, -v16, v34, 1.0
	v_fmac_f32_e32 v34, v9, v34
	v_div_scale_f32 v9, vcc, v10, v12, v10
	v_mul_f32_e32 v11, v9, v34
	v_fma_f32 v18, -v16, v11, v9
	v_fmac_f32_e32 v11, v18, v34
	v_fma_f32 v9, -v16, v11, v9
	v_div_fmas_f32 v9, v9, v34, v11
	v_div_fixup_f32 v9, v9, v12, v10
                                        ; implicit-def: $vgpr10
.LBB163_264:                            ;   in Loop: Header=BB163_180 Depth=1
	s_andn2_saveexec_b64 s[18:19], s[18:19]
	s_cbranch_execz .LBB163_274
; %bb.265:                              ;   in Loop: Header=BB163_180 Depth=1
	v_lshrrev_b32_e32 v8, 23, v10
	v_and_b32_e32 v9, 0x7fffff, v10
	v_cmp_nlt_f32_e64 s[20:21], |v1|, s31
	v_add_u32_e32 v16, 0xffffff88, v8
	v_or_b32_e32 v11, 0x800000, v9
                                        ; implicit-def: $vgpr8
                                        ; implicit-def: $vgpr9
	s_and_saveexec_b64 s[0:1], s[20:21]
	s_xor_b64 s[22:23], exec, s[0:1]
	s_cbranch_execz .LBB163_267
; %bb.266:                              ;   in Loop: Header=BB163_180 Depth=1
	v_cmp_lt_u32_e32 vcc, 63, v16
	v_cndmask_b32_e32 v8, 0, v30, vcc
	v_add_u32_e32 v8, v8, v16
	v_cmp_lt_u32_e64 s[0:1], 31, v8
	v_cndmask_b32_e64 v9, 0, v31, s[0:1]
	v_add_u32_e32 v8, v9, v8
	v_cmp_lt_u32_e64 s[2:3], 31, v8
	v_cndmask_b32_e64 v9, 0, v31, s[2:3]
	v_add_u32_e32 v18, v9, v8
	v_mad_u64_u32 v[8:9], s[4:5], v11, s33, 0
	v_mov_b32_e32 v12, v9
	v_mad_u64_u32 v[34:35], s[4:5], v11, s34, v[12:13]
	v_mov_b32_e32 v12, v35
	;; [unrolled: 2-line block ×6, first 2 shown]
	v_mad_u64_u32 v[44:45], s[4:5], v11, s39, v[12:13]
	v_cndmask_b32_e32 v9, v42, v38, vcc
	v_cndmask_b32_e32 v12, v44, v40, vcc
	;; [unrolled: 1-line block ×3, first 2 shown]
	v_cndmask_b32_e64 v35, v12, v9, s[0:1]
	v_cndmask_b32_e64 v12, v37, v12, s[0:1]
	v_cndmask_b32_e32 v37, v40, v36, vcc
	v_cndmask_b32_e64 v9, v9, v37, s[0:1]
	v_sub_u32_e32 v39, 32, v18
	v_cmp_eq_u32_e64 s[4:5], 0, v18
	v_cndmask_b32_e32 v18, v38, v34, vcc
	v_cndmask_b32_e64 v12, v12, v35, s[2:3]
	v_cndmask_b32_e64 v35, v35, v9, s[2:3]
	;; [unrolled: 1-line block ×3, first 2 shown]
	v_alignbit_b32 v40, v12, v35, v39
	v_cndmask_b32_e64 v9, v9, v34, s[2:3]
	v_cndmask_b32_e64 v12, v40, v12, s[4:5]
	v_alignbit_b32 v37, v35, v9, v39
	v_cndmask_b32_e64 v35, v37, v35, s[4:5]
	v_bfe_u32 v40, v12, 29, 1
	v_cndmask_b32_e32 v8, v36, v8, vcc
	v_alignbit_b32 v37, v12, v35, 30
	v_sub_u32_e32 v41, 0, v40
	v_cndmask_b32_e64 v8, v18, v8, s[0:1]
	v_xor_b32_e32 v42, v37, v41
	v_cndmask_b32_e64 v8, v34, v8, s[2:3]
	v_alignbit_b32 v18, v9, v8, v39
	v_ffbh_u32_e32 v34, v42
	v_cndmask_b32_e64 v9, v18, v9, s[4:5]
	v_add_u32_e32 v34, 1, v34
	v_cmp_ne_u32_e32 vcc, v37, v41
	v_alignbit_b32 v18, v35, v9, 30
	v_cndmask_b32_e32 v34, 33, v34, vcc
	v_alignbit_b32 v8, v9, v8, 30
	v_xor_b32_e32 v18, v18, v41
	v_sub_u32_e32 v35, 32, v34
	v_xor_b32_e32 v8, v8, v41
	v_alignbit_b32 v36, v42, v18, v35
	v_alignbit_b32 v8, v18, v8, v35
	;; [unrolled: 1-line block ×3, first 2 shown]
	v_ffbh_u32_e32 v18, v9
	v_min_u32_e32 v18, 32, v18
	v_lshrrev_b32_e32 v38, 29, v12
	v_sub_u32_e32 v35, 31, v18
	v_alignbit_b32 v8, v9, v8, v35
	v_lshlrev_b32_e32 v9, 31, v38
	v_or_b32_e32 v35, 0x33800000, v9
	v_add_lshl_u32 v18, v18, v34, 23
	v_lshrrev_b32_e32 v8, 9, v8
	v_sub_u32_e32 v18, v35, v18
	v_or_b32_e32 v8, v18, v8
	v_alignbit_b32 v18, v34, v36, 9
	v_or_b32_e32 v9, v18, v9
	v_xor_b32_e32 v9, 1.0, v9
	v_mul_f32_e32 v18, 0x3fc90fda, v9
	v_fma_f32 v34, v9, s40, -v18
	v_fmac_f32_e32 v34, 0x33a22168, v9
	v_fmac_f32_e32 v34, 0x3fc90fda, v8
	v_lshrrev_b32_e32 v8, 30, v12
	v_add_f32_e32 v9, v18, v34
	v_add_u32_e32 v8, v40, v8
	s_andn2_saveexec_b64 s[0:1], s[22:23]
	s_branch .LBB163_268
.LBB163_267:                            ;   in Loop: Header=BB163_180 Depth=1
	s_andn2_saveexec_b64 s[0:1], s[22:23]
.LBB163_268:                            ;   in Loop: Header=BB163_180 Depth=1
	v_mul_f32_e64 v8, |v1|, s41
	v_rndne_f32_e32 v12, v8
	v_cvt_i32_f32_e32 v8, v12
	v_fma_f32 v9, v12, s42, |v1|
	v_fmac_f32_e32 v9, 0xb3a22168, v12
	v_fmac_f32_e32 v9, 0xa7c234c4, v12
; %bb.269:                              ;   in Loop: Header=BB163_180 Depth=1
	s_or_b64 exec, exec, s[0:1]
                                        ; implicit-def: $vgpr12
                                        ; implicit-def: $vgpr18
	s_and_saveexec_b64 s[0:1], s[20:21]
	s_xor_b64 s[20:21], exec, s[0:1]
	s_cbranch_execz .LBB163_271
; %bb.270:                              ;   in Loop: Header=BB163_180 Depth=1
	v_cmp_lt_u32_e32 vcc, 63, v16
	v_cndmask_b32_e32 v12, 0, v30, vcc
	v_add_u32_e32 v12, v12, v16
	v_cmp_lt_u32_e64 s[0:1], 31, v12
	v_cndmask_b32_e64 v16, 0, v31, s[0:1]
	v_add_u32_e32 v12, v16, v12
	v_cmp_lt_u32_e64 s[2:3], 31, v12
	v_cndmask_b32_e64 v16, 0, v31, s[2:3]
	v_mad_u64_u32 v[34:35], s[4:5], v11, s33, 0
	v_add_u32_e32 v16, v16, v12
	v_mov_b32_e32 v12, v35
	v_mad_u64_u32 v[36:37], s[4:5], v11, s34, v[12:13]
	v_mov_b32_e32 v12, v37
	v_mad_u64_u32 v[38:39], s[4:5], v11, s35, v[12:13]
	;; [unrolled: 2-line block ×6, first 2 shown]
	v_cndmask_b32_e32 v18, v44, v40, vcc
	v_cndmask_b32_e32 v11, v46, v42, vcc
	;; [unrolled: 1-line block ×3, first 2 shown]
	v_cndmask_b32_e64 v12, v11, v18, s[0:1]
	v_cndmask_b32_e64 v11, v35, v11, s[0:1]
	v_cndmask_b32_e32 v35, v42, v38, vcc
	v_cndmask_b32_e64 v18, v18, v35, s[0:1]
	v_sub_u32_e32 v37, 32, v16
	v_cmp_eq_u32_e64 s[4:5], 0, v16
	v_cndmask_b32_e32 v16, v40, v36, vcc
	v_cndmask_b32_e64 v11, v11, v12, s[2:3]
	v_cndmask_b32_e64 v12, v12, v18, s[2:3]
	;; [unrolled: 1-line block ×3, first 2 shown]
	v_alignbit_b32 v39, v11, v12, v37
	v_cndmask_b32_e64 v18, v18, v35, s[2:3]
	v_cndmask_b32_e64 v11, v39, v11, s[4:5]
	v_alignbit_b32 v36, v12, v18, v37
	v_cndmask_b32_e32 v34, v38, v34, vcc
	v_cndmask_b32_e64 v12, v36, v12, s[4:5]
	v_bfe_u32 v40, v11, 29, 1
	v_cndmask_b32_e64 v16, v16, v34, s[0:1]
	v_alignbit_b32 v36, v11, v12, 30
	v_sub_u32_e32 v41, 0, v40
	v_cndmask_b32_e64 v16, v35, v16, s[2:3]
	v_xor_b32_e32 v42, v36, v41
	v_alignbit_b32 v34, v18, v16, v37
	v_cndmask_b32_e64 v18, v34, v18, s[4:5]
	v_ffbh_u32_e32 v34, v42
	v_add_u32_e32 v34, 1, v34
	v_cmp_ne_u32_e32 vcc, v36, v41
	v_alignbit_b32 v12, v12, v18, 30
	v_cndmask_b32_e32 v34, 33, v34, vcc
	v_alignbit_b32 v16, v18, v16, 30
	v_xor_b32_e32 v12, v12, v41
	v_sub_u32_e32 v35, 32, v34
	v_xor_b32_e32 v16, v16, v41
	v_alignbit_b32 v36, v42, v12, v35
	v_alignbit_b32 v12, v12, v16, v35
	;; [unrolled: 1-line block ×3, first 2 shown]
	v_ffbh_u32_e32 v18, v16
	v_min_u32_e32 v18, 32, v18
	v_lshrrev_b32_e32 v39, 29, v11
	v_sub_u32_e32 v35, 31, v18
	v_alignbit_b32 v12, v16, v12, v35
	v_lshlrev_b32_e32 v16, 31, v39
	v_or_b32_e32 v35, 0x33800000, v16
	v_add_lshl_u32 v18, v18, v34, 23
	v_lshrrev_b32_e32 v12, 9, v12
	v_sub_u32_e32 v18, v35, v18
	v_or_b32_e32 v12, v18, v12
	v_alignbit_b32 v18, v34, v36, 9
	v_or_b32_e32 v16, v18, v16
	v_xor_b32_e32 v16, 1.0, v16
	v_mul_f32_e32 v18, 0x3fc90fda, v16
	v_fma_f32 v34, v16, s40, -v18
	v_fmac_f32_e32 v34, 0x33a22168, v16
	v_fmac_f32_e32 v34, 0x3fc90fda, v12
	v_lshrrev_b32_e32 v11, 30, v11
	v_add_f32_e32 v18, v18, v34
	v_add_u32_e32 v12, v40, v11
	s_andn2_saveexec_b64 s[0:1], s[20:21]
	s_cbranch_execnz .LBB163_272
	s_branch .LBB163_273
.LBB163_271:                            ;   in Loop: Header=BB163_180 Depth=1
	s_andn2_saveexec_b64 s[0:1], s[20:21]
.LBB163_272:                            ;   in Loop: Header=BB163_180 Depth=1
	v_mul_f32_e64 v11, |v1|, s41
	v_rndne_f32_e32 v11, v11
	v_cvt_i32_f32_e32 v12, v11
	v_fma_f32 v18, v11, s42, |v1|
	v_fmac_f32_e32 v18, 0xb3a22168, v11
	v_fmac_f32_e32 v18, 0xa7c234c4, v11
.LBB163_273:                            ;   in Loop: Header=BB163_180 Depth=1
	s_or_b64 exec, exec, s[0:1]
	v_mul_f32_e32 v11, v9, v9
	v_mov_b32_e32 v16, 0x3c0881c4
	v_fmac_f32_e32 v16, 0xb94c1982, v11
	v_fma_f32 v16, v11, v16, v27
	v_mul_f32_e32 v16, v11, v16
	v_fmac_f32_e32 v9, v9, v16
	v_mov_b32_e32 v16, 0xbab64f3b
	v_fmac_f32_e32 v16, 0x37d75334, v11
	v_fma_f32 v16, v11, v16, v28
	v_fma_f32 v16, v11, v16, v29
	v_fma_f32 v11, v11, v16, 1.0
	v_and_b32_e32 v16, 1, v8
	v_lshlrev_b32_e32 v8, 30, v8
	v_and_b32_e32 v8, 0x80000000, v8
	v_cmp_eq_u32_e32 vcc, 0, v16
	v_xor_b32_e32 v8, v10, v8
	v_mul_f32_e64 v10, |v0|, s47
	v_cndmask_b32_e32 v9, v11, v9, vcc
	v_rndne_f32_e32 v11, v10
	v_sub_f32_e32 v16, v10, v11
	v_fma_f32 v10, |v0|, s47, -v10
	v_fma_f32 v10, |v0|, s48, v10
	v_add_f32_e32 v10, v16, v10
	v_exp_f32_e32 v10, v10
	v_cvt_i32_f32_e32 v11, v11
	v_xor_b32_e32 v8, v8, v9
	v_xor_b32_e32 v8, v8, v1
	v_mul_f32_e32 v9, 4.0, v8
	v_ldexp_f32 v8, v10, v11
	v_mul_f32_e32 v11, v18, v18
	v_mov_b32_e32 v16, 0x3c0881c4
	v_fmac_f32_e32 v16, 0xb94c1982, v11
	v_fma_f32 v16, v11, v16, v27
	v_mul_f32_e32 v16, v11, v16
	v_fmac_f32_e32 v18, v18, v16
	v_mov_b32_e32 v16, 0xbab64f3b
	v_fmac_f32_e32 v16, 0x37d75334, v11
	v_fma_f32 v16, v11, v16, v28
	v_cmp_ngt_f32_e64 vcc, |v0|, s49
	v_fma_f32 v16, v11, v16, v29
	v_cndmask_b32_e32 v8, 0, v8, vcc
	v_cmp_nlt_f32_e64 vcc, |v0|, s50
	v_fma_f32 v11, v11, v16, 1.0
	v_and_b32_e32 v16, 1, v12
	v_cndmask_b32_e32 v10, v32, v8, vcc
	v_cmp_eq_u32_e32 vcc, 0, v16
	v_lshlrev_b32_e32 v12, 30, v12
	v_cndmask_b32_e64 v11, -v18, v11, vcc
	v_and_b32_e32 v12, 0x80000000, v12
	v_xor_b32_e32 v11, v12, v11
	v_mul_f32_e32 v9, v9, v11
	v_mul_f32_e32 v9, v10, v9
	v_bfi_b32 v8, s27, 1.0, v0
	v_mul_f32_e32 v9, v10, v9
.LBB163_274:                            ;   in Loop: Header=BB163_180 Depth=1
	s_or_b64 exec, exec, s[18:19]
.LBB163_275:                            ;   in Loop: Header=BB163_180 Depth=1
	s_andn2_saveexec_b64 s[0:1], s[14:15]
; %bb.276:                              ;   in Loop: Header=BB163_180 Depth=1
	v_sub_f32_e32 v9, v1, v1
	v_mov_b32_e32 v8, v9
; %bb.277:                              ;   in Loop: Header=BB163_180 Depth=1
	s_or_b64 exec, exec, s[0:1]
.LBB163_278:                            ;   in Loop: Header=BB163_180 Depth=1
	s_andn2_saveexec_b64 s[12:13], s[12:13]
	s_cbranch_execz .LBB163_294
; %bb.279:                              ;   in Loop: Header=BB163_180 Depth=1
	v_and_b32_e32 v8, 0x7fffff, v0
	v_cmp_ne_u32_e32 vcc, 0, v8
                                        ; implicit-def: $vgpr9
	s_and_saveexec_b64 s[0:1], vcc
	s_xor_b64 s[0:1], exec, s[0:1]
; %bb.280:                              ;   in Loop: Header=BB163_180 Depth=1
	v_mul_f32_e32 v8, v0, v1
	v_cmp_eq_f32_e32 vcc, 0, v1
	v_cndmask_b32_e32 v9, v8, v1, vcc
; %bb.281:                              ;   in Loop: Header=BB163_180 Depth=1
	s_andn2_saveexec_b64 s[14:15], s[0:1]
	s_cbranch_execz .LBB163_293
; %bb.282:                              ;   in Loop: Header=BB163_180 Depth=1
	v_cmp_neq_f32_e64 s[0:1], |v1|, s28
	s_and_saveexec_b64 s[18:19], s[0:1]
	s_cbranch_execz .LBB163_292
; %bb.283:                              ;   in Loop: Header=BB163_180 Depth=1
	v_and_b32_e32 v8, 0x7fffffff, v1
	v_lshrrev_b32_e32 v9, 23, v8
	v_and_b32_e32 v10, 0x7fffff, v8
	v_cmp_nlt_f32_e64 s[20:21], |v1|, s31
	v_add_u32_e32 v16, 0xffffff88, v9
	v_or_b32_e32 v11, 0x800000, v10
                                        ; implicit-def: $vgpr9
                                        ; implicit-def: $vgpr10
	s_and_saveexec_b64 s[0:1], s[20:21]
	s_xor_b64 s[22:23], exec, s[0:1]
	s_cbranch_execz .LBB163_285
; %bb.284:                              ;   in Loop: Header=BB163_180 Depth=1
	v_mad_u64_u32 v[34:35], s[4:5], v11, s33, 0
	v_mov_b32_e32 v12, v35
	v_mad_u64_u32 v[36:37], s[4:5], v11, s34, v[12:13]
	v_mov_b32_e32 v12, v37
	v_mad_u64_u32 v[38:39], s[4:5], v11, s35, v[12:13]
	v_cmp_lt_u32_e32 vcc, 63, v16
	v_mov_b32_e32 v12, v39
	v_cndmask_b32_e32 v9, 0, v30, vcc
	v_mad_u64_u32 v[40:41], s[4:5], v11, s36, v[12:13]
	v_add_u32_e32 v9, v9, v16
	v_mov_b32_e32 v12, v41
	v_cmp_lt_u32_e64 s[0:1], 31, v9
	v_mad_u64_u32 v[42:43], s[4:5], v11, s37, v[12:13]
	v_cndmask_b32_e64 v10, 0, v31, s[0:1]
	v_mov_b32_e32 v12, v43
	v_add_u32_e32 v9, v10, v9
	v_mad_u64_u32 v[44:45], s[4:5], v11, s38, v[12:13]
	v_cmp_lt_u32_e64 s[2:3], 31, v9
	v_mov_b32_e32 v12, v45
	v_cndmask_b32_e64 v10, 0, v31, s[2:3]
	v_mad_u64_u32 v[46:47], s[4:5], v11, s39, v[12:13]
	v_add_u32_e32 v9, v10, v9
	v_cndmask_b32_e32 v10, v44, v40, vcc
	v_cndmask_b32_e32 v12, v46, v42, vcc
	;; [unrolled: 1-line block ×3, first 2 shown]
	v_cndmask_b32_e64 v18, v12, v10, s[0:1]
	v_cndmask_b32_e64 v12, v35, v12, s[0:1]
	v_cndmask_b32_e32 v35, v42, v38, vcc
	v_cndmask_b32_e64 v10, v10, v35, s[0:1]
	v_cndmask_b32_e64 v12, v12, v18, s[2:3]
	;; [unrolled: 1-line block ×3, first 2 shown]
	v_sub_u32_e32 v37, 32, v9
	v_alignbit_b32 v39, v12, v18, v37
	v_cmp_eq_u32_e64 s[4:5], 0, v9
	v_cndmask_b32_e64 v9, v39, v12, s[4:5]
	v_cndmask_b32_e32 v12, v40, v36, vcc
	v_cndmask_b32_e64 v35, v35, v12, s[0:1]
	v_cndmask_b32_e64 v10, v10, v35, s[2:3]
	v_alignbit_b32 v36, v18, v10, v37
	v_cndmask_b32_e32 v34, v38, v34, vcc
	v_cndmask_b32_e64 v18, v36, v18, s[4:5]
	v_bfe_u32 v40, v9, 29, 1
	v_cndmask_b32_e64 v12, v12, v34, s[0:1]
	v_alignbit_b32 v36, v9, v18, 30
	v_sub_u32_e32 v41, 0, v40
	v_cndmask_b32_e64 v12, v35, v12, s[2:3]
	v_xor_b32_e32 v42, v36, v41
	v_alignbit_b32 v34, v10, v12, v37
	v_cndmask_b32_e64 v10, v34, v10, s[4:5]
	v_ffbh_u32_e32 v34, v42
	v_add_u32_e32 v34, 1, v34
	v_cmp_ne_u32_e32 vcc, v36, v41
	v_alignbit_b32 v18, v18, v10, 30
	v_cndmask_b32_e32 v34, 33, v34, vcc
	v_alignbit_b32 v10, v10, v12, 30
	v_xor_b32_e32 v18, v18, v41
	v_sub_u32_e32 v35, 32, v34
	v_xor_b32_e32 v10, v10, v41
	v_alignbit_b32 v36, v42, v18, v35
	v_alignbit_b32 v10, v18, v10, v35
	;; [unrolled: 1-line block ×3, first 2 shown]
	v_ffbh_u32_e32 v18, v12
	v_min_u32_e32 v18, 32, v18
	v_lshrrev_b32_e32 v39, 29, v9
	v_sub_u32_e32 v35, 31, v18
	v_alignbit_b32 v10, v12, v10, v35
	v_lshlrev_b32_e32 v12, 31, v39
	v_or_b32_e32 v35, 0x33800000, v12
	v_add_lshl_u32 v18, v18, v34, 23
	v_lshrrev_b32_e32 v10, 9, v10
	v_sub_u32_e32 v18, v35, v18
	v_or_b32_e32 v10, v18, v10
	v_alignbit_b32 v18, v34, v36, 9
	v_or_b32_e32 v12, v18, v12
	v_xor_b32_e32 v12, 1.0, v12
	v_mul_f32_e32 v18, 0x3fc90fda, v12
	v_fma_f32 v34, v12, s40, -v18
	v_fmac_f32_e32 v34, 0x33a22168, v12
	v_fmac_f32_e32 v34, 0x3fc90fda, v10
	v_lshrrev_b32_e32 v9, 30, v9
	v_add_f32_e32 v10, v18, v34
	v_add_u32_e32 v9, v40, v9
.LBB163_285:                            ;   in Loop: Header=BB163_180 Depth=1
	s_or_saveexec_b64 s[0:1], s[22:23]
	v_mul_f32_e64 v12, |v1|, s41
	v_rndne_f32_e32 v34, v12
	s_xor_b64 exec, exec, s[0:1]
; %bb.286:                              ;   in Loop: Header=BB163_180 Depth=1
	v_cvt_i32_f32_e32 v9, v34
	v_fma_f32 v10, v34, s42, |v1|
	v_fmac_f32_e32 v10, 0xb3a22168, v34
	v_fmac_f32_e32 v10, 0xa7c234c4, v34
; %bb.287:                              ;   in Loop: Header=BB163_180 Depth=1
	s_or_b64 exec, exec, s[0:1]
                                        ; implicit-def: $vgpr12
                                        ; implicit-def: $vgpr18
	s_and_saveexec_b64 s[0:1], s[20:21]
	s_xor_b64 s[20:21], exec, s[0:1]
	s_cbranch_execz .LBB163_289
; %bb.288:                              ;   in Loop: Header=BB163_180 Depth=1
	v_cmp_lt_u32_e32 vcc, 63, v16
	v_cndmask_b32_e32 v12, 0, v30, vcc
	v_add_u32_e32 v12, v12, v16
	v_cmp_lt_u32_e64 s[0:1], 31, v12
	v_cndmask_b32_e64 v16, 0, v31, s[0:1]
	v_add_u32_e32 v12, v16, v12
	v_cmp_lt_u32_e64 s[2:3], 31, v12
	v_cndmask_b32_e64 v16, 0, v31, s[2:3]
	v_mad_u64_u32 v[34:35], s[4:5], v11, s33, 0
	v_add_u32_e32 v16, v16, v12
	v_mov_b32_e32 v12, v35
	v_mad_u64_u32 v[36:37], s[4:5], v11, s34, v[12:13]
	v_mov_b32_e32 v12, v37
	v_mad_u64_u32 v[38:39], s[4:5], v11, s35, v[12:13]
	;; [unrolled: 2-line block ×6, first 2 shown]
	v_cndmask_b32_e32 v18, v44, v40, vcc
	v_cndmask_b32_e32 v11, v46, v42, vcc
	;; [unrolled: 1-line block ×3, first 2 shown]
	v_cndmask_b32_e64 v12, v11, v18, s[0:1]
	v_cndmask_b32_e64 v11, v35, v11, s[0:1]
	v_cndmask_b32_e32 v35, v42, v38, vcc
	v_cndmask_b32_e64 v18, v18, v35, s[0:1]
	v_sub_u32_e32 v37, 32, v16
	v_cmp_eq_u32_e64 s[4:5], 0, v16
	v_cndmask_b32_e32 v16, v40, v36, vcc
	v_cndmask_b32_e64 v11, v11, v12, s[2:3]
	v_cndmask_b32_e64 v12, v12, v18, s[2:3]
	;; [unrolled: 1-line block ×3, first 2 shown]
	v_alignbit_b32 v39, v11, v12, v37
	v_cndmask_b32_e64 v18, v18, v35, s[2:3]
	v_cndmask_b32_e64 v11, v39, v11, s[4:5]
	v_alignbit_b32 v36, v12, v18, v37
	v_cndmask_b32_e32 v34, v38, v34, vcc
	v_cndmask_b32_e64 v12, v36, v12, s[4:5]
	v_bfe_u32 v40, v11, 29, 1
	v_cndmask_b32_e64 v16, v16, v34, s[0:1]
	v_alignbit_b32 v36, v11, v12, 30
	v_sub_u32_e32 v41, 0, v40
	v_cndmask_b32_e64 v16, v35, v16, s[2:3]
	v_xor_b32_e32 v42, v36, v41
	v_alignbit_b32 v34, v18, v16, v37
	v_cndmask_b32_e64 v18, v34, v18, s[4:5]
	v_ffbh_u32_e32 v34, v42
	v_add_u32_e32 v34, 1, v34
	v_cmp_ne_u32_e32 vcc, v36, v41
	v_alignbit_b32 v12, v12, v18, 30
	v_cndmask_b32_e32 v34, 33, v34, vcc
	v_alignbit_b32 v16, v18, v16, 30
	v_xor_b32_e32 v12, v12, v41
	v_sub_u32_e32 v35, 32, v34
	v_xor_b32_e32 v16, v16, v41
	v_alignbit_b32 v36, v42, v12, v35
	v_alignbit_b32 v12, v12, v16, v35
	;; [unrolled: 1-line block ×3, first 2 shown]
	v_ffbh_u32_e32 v18, v16
	v_min_u32_e32 v18, 32, v18
	v_lshrrev_b32_e32 v39, 29, v11
	v_sub_u32_e32 v35, 31, v18
	v_alignbit_b32 v12, v16, v12, v35
	v_lshlrev_b32_e32 v16, 31, v39
	v_or_b32_e32 v35, 0x33800000, v16
	v_add_lshl_u32 v18, v18, v34, 23
	v_lshrrev_b32_e32 v12, 9, v12
	v_sub_u32_e32 v18, v35, v18
	v_or_b32_e32 v12, v18, v12
	v_alignbit_b32 v18, v34, v36, 9
	v_or_b32_e32 v16, v18, v16
	v_xor_b32_e32 v16, 1.0, v16
	v_mul_f32_e32 v18, 0x3fc90fda, v16
	v_fma_f32 v34, v16, s40, -v18
	v_fmac_f32_e32 v34, 0x33a22168, v16
	v_fmac_f32_e32 v34, 0x3fc90fda, v12
	v_lshrrev_b32_e32 v11, 30, v11
	v_add_f32_e32 v18, v18, v34
	v_add_u32_e32 v12, v40, v11
                                        ; implicit-def: $vgpr34
	s_andn2_saveexec_b64 s[0:1], s[20:21]
	s_cbranch_execnz .LBB163_290
	s_branch .LBB163_291
.LBB163_289:                            ;   in Loop: Header=BB163_180 Depth=1
	s_andn2_saveexec_b64 s[0:1], s[20:21]
.LBB163_290:                            ;   in Loop: Header=BB163_180 Depth=1
	v_cvt_i32_f32_e32 v12, v34
	v_fma_f32 v18, v34, s42, |v1|
	v_fmac_f32_e32 v18, 0xb3a22168, v34
	v_fmac_f32_e32 v18, 0xa7c234c4, v34
.LBB163_291:                            ;   in Loop: Header=BB163_180 Depth=1
	s_or_b64 exec, exec, s[0:1]
	v_mul_f32_e32 v11, v10, v10
	v_mov_b32_e32 v16, 0x3c0881c4
	v_fmac_f32_e32 v16, 0xb94c1982, v11
	v_fma_f32 v16, v11, v16, v27
	v_mul_f32_e32 v16, v11, v16
	v_fmac_f32_e32 v10, v10, v16
	v_mov_b32_e32 v16, 0xbab64f3b
	v_fmac_f32_e32 v16, 0x37d75334, v11
	v_fma_f32 v16, v11, v16, v28
	v_fma_f32 v16, v11, v16, v29
	v_fma_f32 v11, v11, v16, 1.0
	v_and_b32_e32 v16, 1, v9
	v_lshlrev_b32_e32 v9, 30, v9
	v_cmp_eq_u32_e32 vcc, 0, v16
	v_and_b32_e32 v9, 0x80000000, v9
	v_cndmask_b32_e32 v10, v11, v10, vcc
	v_xor_b32_e32 v8, v8, v9
	v_xor_b32_e32 v8, v8, v10
	v_mul_f32_e32 v9, v18, v18
	v_mov_b32_e32 v10, 0x3c0881c4
	v_fmac_f32_e32 v10, 0xb94c1982, v9
	v_fma_f32 v10, v9, v10, v27
	v_mul_f32_e32 v10, v9, v10
	v_fmac_f32_e32 v18, v18, v10
	v_mov_b32_e32 v10, 0xbab64f3b
	v_fmac_f32_e32 v10, 0x37d75334, v9
	v_fma_f32 v10, v9, v10, v28
	v_fma_f32 v10, v9, v10, v29
	v_fma_f32 v9, v9, v10, 1.0
	v_and_b32_e32 v10, 1, v12
	v_cmp_eq_u32_e32 vcc, 0, v10
	v_lshlrev_b32_e32 v10, 30, v12
	v_cndmask_b32_e64 v9, -v18, v9, vcc
	v_and_b32_e32 v10, 0x80000000, v10
	v_xor_b32_e32 v8, v8, v1
	v_xor_b32_e32 v9, v10, v9
	v_mul_f32_e32 v8, v8, v9
	v_cmp_class_f32_e64 vcc, v1, s29
	v_cndmask_b32_e32 v1, v33, v8, vcc
.LBB163_292:                            ;   in Loop: Header=BB163_180 Depth=1
	s_or_b64 exec, exec, s[18:19]
	v_add_u32_e32 v0, -2.0, v0
	v_bfi_b32 v9, s27, 0, v1
.LBB163_293:                            ;   in Loop: Header=BB163_180 Depth=1
	s_or_b64 exec, exec, s[14:15]
	v_mov_b32_e32 v8, v0
.LBB163_294:                            ;   in Loop: Header=BB163_180 Depth=1
	s_or_b64 exec, exec, s[12:13]
	v_and_b32_e32 v16, 0x7fffffff, v2
	v_cmp_gt_u32_e32 vcc, s28, v16
	s_and_saveexec_b64 s[0:1], vcc
	s_xor_b64 s[12:13], exec, s[0:1]
	s_cbranch_execz .LBB163_316
; %bb.295:                              ;   in Loop: Header=BB163_180 Depth=1
	v_cmp_class_f32_e64 s[0:1], v3, s29
	s_and_saveexec_b64 s[2:3], s[0:1]
	s_xor_b64 s[14:15], exec, s[2:3]
	s_cbranch_execz .LBB163_313
; %bb.296:                              ;   in Loop: Header=BB163_180 Depth=1
	v_and_b32_e32 v0, 0x7fffffff, v3
	v_cmp_gt_u32_e32 vcc, s30, v16
	s_and_saveexec_b64 s[0:1], vcc
	s_xor_b64 s[18:19], exec, s[0:1]
	s_cbranch_execz .LBB163_302
; %bb.297:                              ;   in Loop: Header=BB163_180 Depth=1
	v_cmp_nlt_f32_e64 s[0:1], |v3|, s31
                                        ; implicit-def: $vgpr10
                                        ; implicit-def: $vgpr1
	s_and_saveexec_b64 s[2:3], s[0:1]
	s_xor_b64 s[20:21], exec, s[2:3]
	s_cbranch_execz .LBB163_299
; %bb.298:                              ;   in Loop: Header=BB163_180 Depth=1
	v_lshrrev_b32_e32 v1, 23, v0
	v_add_u32_e32 v1, 0xffffff88, v1
	v_cmp_lt_u32_e32 vcc, 63, v1
	v_cndmask_b32_e32 v10, 0, v30, vcc
	v_add_u32_e32 v1, v10, v1
	v_cmp_lt_u32_e64 s[0:1], 31, v1
	v_cndmask_b32_e64 v10, 0, v31, s[0:1]
	v_add_u32_e32 v1, v10, v1
	v_cmp_lt_u32_e64 s[2:3], 31, v1
	v_cndmask_b32_e64 v10, 0, v31, s[2:3]
	v_add_u32_e32 v1, v10, v1
	v_and_b32_e32 v10, 0x7fffff, v0
	v_or_b32_e32 v18, 0x800000, v10
	v_mad_u64_u32 v[10:11], s[4:5], v18, s33, 0
	v_mov_b32_e32 v12, v11
	v_mad_u64_u32 v[34:35], s[4:5], v18, s34, v[12:13]
	v_mov_b32_e32 v12, v35
	;; [unrolled: 2-line block ×6, first 2 shown]
	v_mad_u64_u32 v[44:45], s[4:5], v18, s39, v[12:13]
	v_cndmask_b32_e32 v11, v42, v38, vcc
	v_cndmask_b32_e32 v12, v44, v40, vcc
	;; [unrolled: 1-line block ×3, first 2 shown]
	v_cndmask_b32_e64 v18, v12, v11, s[0:1]
	v_cndmask_b32_e64 v12, v35, v12, s[0:1]
	v_cndmask_b32_e32 v35, v40, v36, vcc
	v_cndmask_b32_e64 v11, v11, v35, s[0:1]
	v_sub_u32_e32 v37, 32, v1
	v_cmp_eq_u32_e64 s[4:5], 0, v1
	v_cndmask_b32_e32 v1, v38, v34, vcc
	v_cndmask_b32_e64 v12, v12, v18, s[2:3]
	v_cndmask_b32_e64 v18, v18, v11, s[2:3]
	;; [unrolled: 1-line block ×3, first 2 shown]
	v_alignbit_b32 v39, v12, v18, v37
	v_cndmask_b32_e64 v11, v11, v34, s[2:3]
	v_cndmask_b32_e32 v10, v36, v10, vcc
	v_cndmask_b32_e64 v12, v39, v12, s[4:5]
	v_alignbit_b32 v35, v18, v11, v37
	v_cndmask_b32_e64 v1, v1, v10, s[0:1]
	v_cndmask_b32_e64 v18, v35, v18, s[4:5]
	v_bfe_u32 v39, v12, 29, 1
	v_cndmask_b32_e64 v1, v34, v1, s[2:3]
	v_alignbit_b32 v35, v12, v18, 30
	v_sub_u32_e32 v40, 0, v39
	v_alignbit_b32 v10, v11, v1, v37
	v_xor_b32_e32 v41, v35, v40
	v_cndmask_b32_e64 v10, v10, v11, s[4:5]
	v_alignbit_b32 v11, v18, v10, 30
	v_ffbh_u32_e32 v18, v41
	v_add_u32_e32 v18, 1, v18
	v_cmp_ne_u32_e32 vcc, v35, v40
	v_cndmask_b32_e32 v18, 33, v18, vcc
	v_alignbit_b32 v1, v10, v1, 30
	v_xor_b32_e32 v11, v11, v40
	v_sub_u32_e32 v34, 32, v18
	v_xor_b32_e32 v1, v1, v40
	v_alignbit_b32 v35, v41, v11, v34
	v_alignbit_b32 v1, v11, v1, v34
	;; [unrolled: 1-line block ×3, first 2 shown]
	v_ffbh_u32_e32 v11, v10
	v_min_u32_e32 v11, 32, v11
	v_lshrrev_b32_e32 v38, 29, v12
	v_sub_u32_e32 v34, 31, v11
	v_alignbit_b32 v1, v10, v1, v34
	v_lshlrev_b32_e32 v10, 31, v38
	v_or_b32_e32 v34, 0x33800000, v10
	v_add_lshl_u32 v11, v11, v18, 23
	v_lshrrev_b32_e32 v1, 9, v1
	v_sub_u32_e32 v11, v34, v11
	v_or_b32_e32 v1, v11, v1
	v_alignbit_b32 v11, v18, v35, 9
	v_or_b32_e32 v10, v11, v10
	v_xor_b32_e32 v10, 1.0, v10
	v_mul_f32_e32 v11, 0x3fc90fda, v10
	v_fma_f32 v18, v10, s40, -v11
	v_fmac_f32_e32 v18, 0x33a22168, v10
	v_fmac_f32_e32 v18, 0x3fc90fda, v1
	v_lshrrev_b32_e32 v10, 30, v12
	v_add_f32_e32 v1, v11, v18
	v_add_u32_e32 v10, v39, v10
.LBB163_299:                            ;   in Loop: Header=BB163_180 Depth=1
	s_andn2_saveexec_b64 s[0:1], s[20:21]
; %bb.300:                              ;   in Loop: Header=BB163_180 Depth=1
	v_mul_f32_e64 v1, |v3|, s41
	v_rndne_f32_e32 v11, v1
	v_cvt_i32_f32_e32 v10, v11
	v_fma_f32 v1, v11, s42, |v3|
	v_fmac_f32_e32 v1, 0xb3a22168, v11
	v_fmac_f32_e32 v1, 0xa7c234c4, v11
; %bb.301:                              ;   in Loop: Header=BB163_180 Depth=1
	s_or_b64 exec, exec, s[0:1]
	v_mul_f32_e32 v11, v1, v1
	v_mov_b32_e32 v12, 0xbf039337
	v_fmac_f32_e32 v12, 0x3c971480, v11
	v_fma_f32 v12, v11, v12, v22
	v_rcp_f32_e32 v12, v12
	v_mov_b32_e32 v18, 0x3ec54587
	v_fmac_f32_e32 v18, 0xbc8cedd3, v11
	v_and_b32_e32 v10, 1, v10
	v_mul_f32_e32 v12, v18, v12
	v_mul_f32_e32 v11, v11, v12
	v_fma_f32 v12, v11, v1, v1
	v_rcp_f32_e32 v18, v12
	v_sub_f32_e32 v34, v12, v1
	v_fma_f32 v1, v11, v1, -v34
	v_cmp_eq_u32_e32 vcc, 0, v10
	v_fma_f32 v11, v12, -v18, 1.0
	v_fma_f32 v1, v1, -v18, v11
	v_fma_f32 v1, v1, -v18, -v18
	v_cndmask_b32_e32 v1, v1, v12, vcc
	v_add_f32_e64 v12, |v2|, s43
	v_sub_f32_e64 v11, v12, |v2|
	v_sub_f32_e32 v10, v11, v12
	v_pk_add_f32 v[10:11], v[16:17], v[10:11]
	v_sub_f32_e32 v10, v10, v11
	v_add_f32_e32 v10, 0x3102e308, v10
	v_add_f32_e32 v11, v12, v10
	v_sub_f32_e32 v12, v12, v11
	v_add_f32_e32 v10, v10, v12
	v_mul_f32_e32 v12, 0x3fb8aa3b, v11
	v_rndne_f32_e32 v12, v12
	v_fmac_f32_e32 v11, 0xbf317200, v12
	v_add_f32_e32 v16, v10, v11
	v_mul_f32_e32 v18, 0x35bfbc00, v12
	v_sub_f32_e32 v34, v16, v18
	v_sub_f32_e32 v11, v11, v16
	;; [unrolled: 1-line block ×3, first 2 shown]
	v_add_f32_e32 v10, v10, v11
	v_sub_f32_e32 v16, v16, v18
	v_add_f32_e32 v16, v10, v16
	v_add_f32_e32 v35, v34, v16
	v_mul_f32_e32 v11, 0x2ea39ef3, v12
	v_mov_b32_e32 v10, v35
	v_pk_add_f32 v[36:37], v[34:35], v[10:11] neg_lo:[0,1] neg_hi:[0,1]
	v_sub_f32_e32 v10, v35, v37
	v_sub_f32_e32 v10, v10, v11
	v_add_f32_e32 v11, v16, v36
	v_add_f32_e32 v10, v11, v10
	;; [unrolled: 1-line block ×3, first 2 shown]
	v_sub_f32_e32 v18, v37, v11
	v_mov_b32_e32 v16, 0x3c091de6
	v_add_f32_e32 v10, v10, v18
	v_mul_f32_e32 v34, v11, v11
	v_fmac_f32_e32 v16, 0x3ab42872, v11
	v_add_f32_e32 v18, v10, v10
	v_fma_f32 v35, v11, v11, -v34
	v_fma_f32 v16, v11, v16, v23
	v_fmac_f32_e32 v35, v11, v18
	v_fma_f32 v16, v11, v16, v24
	v_add_f32_e32 v18, v34, v35
	v_fma_f32 v16, v11, v16, v25
	v_sub_f32_e32 v34, v18, v34
	v_sub_f32_e32 v34, v35, v34
	v_mul_f32_e32 v35, v16, v18
	v_fma_f32 v18, v18, v16, -v35
	v_fmac_f32_e32 v18, v34, v16
	v_add_f32_e32 v16, v35, v18
	v_sub_f32_e32 v34, v16, v35
	v_sub_f32_e32 v34, v18, v34
	v_add_f32_e32 v18, v11, v16
	v_sub_f32_e32 v11, v18, v11
	v_sub_f32_e32 v11, v16, v11
	v_add_f32_e32 v10, v10, v34
	v_add_f32_e32 v10, v10, v11
	;; [unrolled: 1-line block ×3, first 2 shown]
	v_add_f32_e32 v35, 1.0, v34
	v_pk_add_f32 v[36:37], v[34:35], v[18:19] neg_lo:[0,1] neg_hi:[0,1]
	v_pk_add_f32 v[38:39], v[34:35], s[8:9]
	v_mov_b32_e32 v37, v39
	v_mov_b32_e32 v11, v34
	v_cvt_i32_f32_e32 v12, v12
	v_pk_add_f32 v[10:11], v[10:11], v[36:37] neg_lo:[0,1] neg_hi:[0,1]
	v_add_f32_e32 v10, v10, v11
	v_add_f32_e32 v11, v35, v10
	v_ldexp_f32 v16, v11, v12
	v_rcp_f32_e32 v18, v16
	v_sub_f32_e32 v11, v11, v35
	v_sub_f32_e32 v10, v10, v11
	v_ldexp_f32 v10, v10, v12
	v_mul_f32_e32 v11, v16, v18
	v_fma_f32 v12, v18, v16, -v11
	v_fmac_f32_e32 v12, v18, v10
	v_add_f32_e32 v34, v11, v12
	v_sub_f32_e32 v35, 1.0, v34
	v_sub_f32_e32 v36, 1.0, v35
	v_sub_f32_e32 v11, v34, v11
	v_sub_f32_e32 v36, v36, v34
	v_sub_f32_e32 v11, v11, v12
	v_add_f32_e32 v11, v11, v36
	v_add_f32_e32 v12, v35, v11
	v_mul_f32_e32 v34, v18, v12
	v_mul_f32_e32 v36, v16, v34
	v_fma_f32 v37, v34, v16, -v36
	v_fmac_f32_e32 v37, v34, v10
	v_sub_f32_e32 v35, v35, v12
	v_add_f32_e32 v11, v11, v35
	v_add_f32_e32 v35, v36, v37
	v_sub_f32_e32 v38, v12, v35
	v_sub_f32_e32 v12, v12, v38
	;; [unrolled: 1-line block ×4, first 2 shown]
	v_add_f32_e32 v11, v11, v12
	v_sub_f32_e32 v12, v36, v37
	v_add_f32_e32 v11, v12, v11
	v_add_f32_e32 v11, v38, v11
	;; [unrolled: 1-line block ×3, first 2 shown]
	v_mul_f32_e32 v11, v18, v11
	v_sub_f32_e32 v18, v12, v18
	v_sub_f32_e32 v18, v34, v18
	v_add_f32_e32 v11, v18, v11
	v_add_f32_e32 v18, v12, v11
	v_sub_f32_e32 v12, v18, v12
	v_sub_f32_e32 v11, v11, v12
	v_ldexp_f32 v12, v18, -2
	v_sub_f32_e32 v18, v16, v12
	v_sub_f32_e32 v16, v16, v18
	v_sub_f32_e32 v12, v16, v12
	v_ldexp_f32 v11, v11, -2
	v_add_f32_e32 v10, v10, v12
	v_sub_f32_e32 v10, v10, v11
	v_add_f32_e32 v10, v18, v10
	v_cmp_ngt_f32_e64 vcc, |v2|, s44
	v_cndmask_b32_e32 v10, v32, v10, vcc
	v_cmp_lt_f32_e64 s[0:1], |v2|, s45
	v_cndmask_b32_e64 v10, v10, |v2|, s[0:1]
	v_bfi_b32 v2, s27, v10, v2
	v_fma_f32 v10, v2, v2, 1.0
	v_mul_f32_e32 v11, 0x4f800000, v10
	v_cmp_gt_f32_e32 vcc, s46, v10
	v_cndmask_b32_e32 v10, v10, v11, vcc
	v_sqrt_f32_e32 v11, v10
	v_xor_b32_e32 v0, v0, v1
	v_xor_b32_e32 v0, v0, v3
	v_fma_f32 v1, v0, v0, 1.0
	v_add_u32_e32 v3, -1, v11
	v_fma_f32 v12, -v3, v11, v10
	v_cmp_ge_f32_e64 s[0:1], 0, v12
	v_add_u32_e32 v12, 1, v11
	v_cndmask_b32_e64 v3, v11, v3, s[0:1]
	v_fma_f32 v11, -v12, v11, v10
	v_cmp_lt_f32_e64 s[0:1], 0, v11
	v_cndmask_b32_e64 v3, v3, v12, s[0:1]
	v_mul_f32_e32 v11, 0x37800000, v3
	v_cndmask_b32_e32 v3, v3, v11, vcc
	v_cmp_class_f32_e32 vcc, v10, v26
	v_cndmask_b32_e32 v3, v3, v10, vcc
	v_mul_f32_e32 v10, v2, v1
	v_mul_f32_e32 v1, v3, v1
	v_fma_f32 v11, v2, v10, 1.0
	v_mul_f32_e32 v1, v2, v1
	v_div_scale_f32 v2, s[0:1], v11, v11, v1
	v_rcp_f32_e32 v3, v2
	v_fma_f32 v10, -v2, v3, 1.0
	v_fmac_f32_e32 v3, v10, v3
	v_div_scale_f32 v10, vcc, v1, v11, v1
	v_mul_f32_e32 v12, v10, v3
	v_fma_f32 v16, -v2, v12, v10
	v_fmac_f32_e32 v12, v16, v3
	v_div_scale_f32 v16, s[0:1], v11, v11, v0
	v_rcp_f32_e32 v18, v16
	v_fma_f32 v2, -v2, v12, v10
	v_div_fmas_f32 v2, v2, v3, v12
	v_div_fixup_f32 v10, v2, v11, v1
	v_fma_f32 v1, -v16, v18, 1.0
	v_fmac_f32_e32 v18, v1, v18
	v_div_scale_f32 v1, vcc, v0, v11, v0
	v_mul_f32_e32 v2, v1, v18
	v_fma_f32 v3, -v16, v2, v1
	v_fmac_f32_e32 v2, v3, v18
	v_fma_f32 v1, -v16, v2, v1
	v_div_fmas_f32 v1, v1, v18, v2
	v_div_fixup_f32 v11, v1, v11, v0
                                        ; implicit-def: $vgpr0_vgpr1_vgpr2_vgpr3
                                        ; implicit-def: $vgpr0
.LBB163_302:                            ;   in Loop: Header=BB163_180 Depth=1
	s_andn2_saveexec_b64 s[18:19], s[18:19]
	s_cbranch_execz .LBB163_312
; %bb.303:                              ;   in Loop: Header=BB163_180 Depth=1
	v_lshrrev_b32_e32 v1, 23, v0
	v_and_b32_e32 v10, 0x7fffff, v0
	v_cmp_nlt_f32_e64 s[20:21], |v3|, s31
	v_add_u32_e32 v16, 0xffffff88, v1
	v_or_b32_e32 v11, 0x800000, v10
                                        ; implicit-def: $vgpr1
                                        ; implicit-def: $vgpr10
	s_and_saveexec_b64 s[0:1], s[20:21]
	s_xor_b64 s[22:23], exec, s[0:1]
	s_cbranch_execz .LBB163_305
; %bb.304:                              ;   in Loop: Header=BB163_180 Depth=1
	v_mad_u64_u32 v[34:35], s[4:5], v11, s33, 0
	v_mov_b32_e32 v12, v35
	v_mad_u64_u32 v[36:37], s[4:5], v11, s34, v[12:13]
	v_mov_b32_e32 v12, v37
	v_mad_u64_u32 v[38:39], s[4:5], v11, s35, v[12:13]
	v_cmp_lt_u32_e32 vcc, 63, v16
	v_mov_b32_e32 v12, v39
	v_cndmask_b32_e32 v1, 0, v30, vcc
	v_mad_u64_u32 v[40:41], s[4:5], v11, s36, v[12:13]
	v_add_u32_e32 v1, v1, v16
	v_mov_b32_e32 v12, v41
	v_cmp_lt_u32_e64 s[0:1], 31, v1
	v_mad_u64_u32 v[42:43], s[4:5], v11, s37, v[12:13]
	v_cndmask_b32_e64 v10, 0, v31, s[0:1]
	v_mov_b32_e32 v12, v43
	v_add_u32_e32 v1, v10, v1
	v_mad_u64_u32 v[44:45], s[4:5], v11, s38, v[12:13]
	v_cmp_lt_u32_e64 s[2:3], 31, v1
	v_mov_b32_e32 v12, v45
	v_cndmask_b32_e64 v10, 0, v31, s[2:3]
	v_mad_u64_u32 v[46:47], s[4:5], v11, s39, v[12:13]
	v_add_u32_e32 v1, v10, v1
	v_cndmask_b32_e32 v10, v44, v40, vcc
	v_cndmask_b32_e32 v12, v46, v42, vcc
	;; [unrolled: 1-line block ×3, first 2 shown]
	v_cndmask_b32_e64 v18, v12, v10, s[0:1]
	v_cndmask_b32_e64 v12, v35, v12, s[0:1]
	v_cndmask_b32_e32 v35, v42, v38, vcc
	v_cndmask_b32_e64 v10, v10, v35, s[0:1]
	v_cndmask_b32_e64 v12, v12, v18, s[2:3]
	;; [unrolled: 1-line block ×3, first 2 shown]
	v_sub_u32_e32 v37, 32, v1
	v_alignbit_b32 v39, v12, v18, v37
	v_cmp_eq_u32_e64 s[4:5], 0, v1
	v_cndmask_b32_e64 v1, v39, v12, s[4:5]
	v_cndmask_b32_e32 v12, v40, v36, vcc
	v_cndmask_b32_e64 v35, v35, v12, s[0:1]
	v_cndmask_b32_e64 v10, v10, v35, s[2:3]
	v_alignbit_b32 v36, v18, v10, v37
	v_cndmask_b32_e32 v34, v38, v34, vcc
	v_cndmask_b32_e64 v18, v36, v18, s[4:5]
	v_bfe_u32 v40, v1, 29, 1
	v_cndmask_b32_e64 v12, v12, v34, s[0:1]
	v_alignbit_b32 v36, v1, v18, 30
	v_sub_u32_e32 v41, 0, v40
	v_cndmask_b32_e64 v12, v35, v12, s[2:3]
	v_xor_b32_e32 v42, v36, v41
	v_alignbit_b32 v34, v10, v12, v37
	v_cndmask_b32_e64 v10, v34, v10, s[4:5]
	v_ffbh_u32_e32 v34, v42
	v_add_u32_e32 v34, 1, v34
	v_cmp_ne_u32_e32 vcc, v36, v41
	v_alignbit_b32 v18, v18, v10, 30
	v_cndmask_b32_e32 v34, 33, v34, vcc
	v_alignbit_b32 v10, v10, v12, 30
	v_xor_b32_e32 v18, v18, v41
	v_sub_u32_e32 v35, 32, v34
	v_xor_b32_e32 v10, v10, v41
	v_alignbit_b32 v36, v42, v18, v35
	v_alignbit_b32 v10, v18, v10, v35
	;; [unrolled: 1-line block ×3, first 2 shown]
	v_ffbh_u32_e32 v18, v12
	v_min_u32_e32 v18, 32, v18
	v_lshrrev_b32_e32 v39, 29, v1
	v_sub_u32_e32 v35, 31, v18
	v_alignbit_b32 v10, v12, v10, v35
	v_lshlrev_b32_e32 v12, 31, v39
	v_or_b32_e32 v35, 0x33800000, v12
	v_add_lshl_u32 v18, v18, v34, 23
	v_lshrrev_b32_e32 v10, 9, v10
	v_sub_u32_e32 v18, v35, v18
	v_or_b32_e32 v10, v18, v10
	v_alignbit_b32 v18, v34, v36, 9
	v_or_b32_e32 v12, v18, v12
	v_xor_b32_e32 v12, 1.0, v12
	v_mul_f32_e32 v18, 0x3fc90fda, v12
	v_fma_f32 v34, v12, s40, -v18
	v_fmac_f32_e32 v34, 0x33a22168, v12
	v_fmac_f32_e32 v34, 0x3fc90fda, v10
	v_lshrrev_b32_e32 v1, 30, v1
	v_add_f32_e32 v10, v18, v34
	v_add_u32_e32 v1, v40, v1
	s_andn2_saveexec_b64 s[0:1], s[22:23]
	s_branch .LBB163_306
.LBB163_305:                            ;   in Loop: Header=BB163_180 Depth=1
	s_andn2_saveexec_b64 s[0:1], s[22:23]
.LBB163_306:                            ;   in Loop: Header=BB163_180 Depth=1
	v_mul_f32_e64 v1, |v3|, s41
	v_rndne_f32_e32 v12, v1
	v_cvt_i32_f32_e32 v1, v12
	v_fma_f32 v10, v12, s42, |v3|
	v_fmac_f32_e32 v10, 0xb3a22168, v12
	v_fmac_f32_e32 v10, 0xa7c234c4, v12
; %bb.307:                              ;   in Loop: Header=BB163_180 Depth=1
	s_or_b64 exec, exec, s[0:1]
                                        ; implicit-def: $vgpr12
                                        ; implicit-def: $vgpr18
	s_and_saveexec_b64 s[0:1], s[20:21]
	s_xor_b64 s[20:21], exec, s[0:1]
	s_cbranch_execz .LBB163_309
; %bb.308:                              ;   in Loop: Header=BB163_180 Depth=1
	v_cmp_lt_u32_e32 vcc, 63, v16
	v_cndmask_b32_e32 v12, 0, v30, vcc
	v_add_u32_e32 v12, v12, v16
	v_cmp_lt_u32_e64 s[0:1], 31, v12
	v_cndmask_b32_e64 v16, 0, v31, s[0:1]
	v_add_u32_e32 v12, v16, v12
	v_cmp_lt_u32_e64 s[2:3], 31, v12
	v_cndmask_b32_e64 v16, 0, v31, s[2:3]
	v_mad_u64_u32 v[34:35], s[4:5], v11, s33, 0
	v_add_u32_e32 v16, v16, v12
	v_mov_b32_e32 v12, v35
	v_mad_u64_u32 v[36:37], s[4:5], v11, s34, v[12:13]
	v_mov_b32_e32 v12, v37
	v_mad_u64_u32 v[38:39], s[4:5], v11, s35, v[12:13]
	;; [unrolled: 2-line block ×6, first 2 shown]
	v_cndmask_b32_e32 v18, v44, v40, vcc
	v_cndmask_b32_e32 v11, v46, v42, vcc
	;; [unrolled: 1-line block ×3, first 2 shown]
	v_cndmask_b32_e64 v12, v11, v18, s[0:1]
	v_cndmask_b32_e64 v11, v35, v11, s[0:1]
	v_cndmask_b32_e32 v35, v42, v38, vcc
	v_cndmask_b32_e64 v18, v18, v35, s[0:1]
	v_sub_u32_e32 v37, 32, v16
	v_cmp_eq_u32_e64 s[4:5], 0, v16
	v_cndmask_b32_e32 v16, v40, v36, vcc
	v_cndmask_b32_e64 v11, v11, v12, s[2:3]
	v_cndmask_b32_e64 v12, v12, v18, s[2:3]
	;; [unrolled: 1-line block ×3, first 2 shown]
	v_alignbit_b32 v39, v11, v12, v37
	v_cndmask_b32_e64 v18, v18, v35, s[2:3]
	v_cndmask_b32_e64 v11, v39, v11, s[4:5]
	v_alignbit_b32 v36, v12, v18, v37
	v_cndmask_b32_e32 v34, v38, v34, vcc
	v_cndmask_b32_e64 v12, v36, v12, s[4:5]
	v_bfe_u32 v40, v11, 29, 1
	v_cndmask_b32_e64 v16, v16, v34, s[0:1]
	v_alignbit_b32 v36, v11, v12, 30
	v_sub_u32_e32 v41, 0, v40
	v_cndmask_b32_e64 v16, v35, v16, s[2:3]
	v_xor_b32_e32 v42, v36, v41
	v_alignbit_b32 v34, v18, v16, v37
	v_cndmask_b32_e64 v18, v34, v18, s[4:5]
	v_ffbh_u32_e32 v34, v42
	v_add_u32_e32 v34, 1, v34
	v_cmp_ne_u32_e32 vcc, v36, v41
	v_alignbit_b32 v12, v12, v18, 30
	v_cndmask_b32_e32 v34, 33, v34, vcc
	v_alignbit_b32 v16, v18, v16, 30
	v_xor_b32_e32 v12, v12, v41
	v_sub_u32_e32 v35, 32, v34
	v_xor_b32_e32 v16, v16, v41
	v_alignbit_b32 v36, v42, v12, v35
	v_alignbit_b32 v12, v12, v16, v35
	v_alignbit_b32 v16, v36, v12, 9
	v_ffbh_u32_e32 v18, v16
	v_min_u32_e32 v18, 32, v18
	v_lshrrev_b32_e32 v39, 29, v11
	v_sub_u32_e32 v35, 31, v18
	v_alignbit_b32 v12, v16, v12, v35
	v_lshlrev_b32_e32 v16, 31, v39
	v_or_b32_e32 v35, 0x33800000, v16
	v_add_lshl_u32 v18, v18, v34, 23
	v_lshrrev_b32_e32 v12, 9, v12
	v_sub_u32_e32 v18, v35, v18
	v_or_b32_e32 v12, v18, v12
	v_alignbit_b32 v18, v34, v36, 9
	v_or_b32_e32 v16, v18, v16
	v_xor_b32_e32 v16, 1.0, v16
	v_mul_f32_e32 v18, 0x3fc90fda, v16
	v_fma_f32 v34, v16, s40, -v18
	v_fmac_f32_e32 v34, 0x33a22168, v16
	v_fmac_f32_e32 v34, 0x3fc90fda, v12
	v_lshrrev_b32_e32 v11, 30, v11
	v_add_f32_e32 v18, v18, v34
	v_add_u32_e32 v12, v40, v11
	s_andn2_saveexec_b64 s[0:1], s[20:21]
	s_cbranch_execnz .LBB163_310
	s_branch .LBB163_311
.LBB163_309:                            ;   in Loop: Header=BB163_180 Depth=1
	s_andn2_saveexec_b64 s[0:1], s[20:21]
.LBB163_310:                            ;   in Loop: Header=BB163_180 Depth=1
	v_mul_f32_e64 v11, |v3|, s41
	v_rndne_f32_e32 v11, v11
	v_cvt_i32_f32_e32 v12, v11
	v_fma_f32 v18, v11, s42, |v3|
	v_fmac_f32_e32 v18, 0xb3a22168, v11
	v_fmac_f32_e32 v18, 0xa7c234c4, v11
.LBB163_311:                            ;   in Loop: Header=BB163_180 Depth=1
	s_or_b64 exec, exec, s[0:1]
	v_mul_f32_e32 v11, v10, v10
	v_mov_b32_e32 v16, 0x3c0881c4
	v_fmac_f32_e32 v16, 0xb94c1982, v11
	v_fma_f32 v16, v11, v16, v27
	v_mul_f32_e32 v16, v11, v16
	v_fmac_f32_e32 v10, v10, v16
	v_mov_b32_e32 v16, 0xbab64f3b
	v_fmac_f32_e32 v16, 0x37d75334, v11
	v_fma_f32 v16, v11, v16, v28
	v_fma_f32 v16, v11, v16, v29
	v_fma_f32 v11, v11, v16, 1.0
	v_and_b32_e32 v16, 1, v1
	v_lshlrev_b32_e32 v1, 30, v1
	v_and_b32_e32 v1, 0x80000000, v1
	v_cmp_eq_u32_e32 vcc, 0, v16
	v_xor_b32_e32 v0, v0, v1
	v_mul_f32_e64 v1, |v2|, s47
	v_cndmask_b32_e32 v10, v11, v10, vcc
	v_rndne_f32_e32 v11, v1
	v_sub_f32_e32 v16, v1, v11
	v_fma_f32 v1, |v2|, s47, -v1
	v_fma_f32 v1, |v2|, s48, v1
	v_add_f32_e32 v1, v16, v1
	v_exp_f32_e32 v1, v1
	v_cvt_i32_f32_e32 v11, v11
	v_xor_b32_e32 v0, v0, v10
	v_cmp_ngt_f32_e64 vcc, |v2|, s49
	v_xor_b32_e32 v0, v0, v3
	v_ldexp_f32 v1, v1, v11
	v_cndmask_b32_e32 v1, 0, v1, vcc
	v_cmp_nlt_f32_e64 vcc, |v2|, s50
	v_bfi_b32 v10, s27, 1.0, v2
	v_mul_f32_e32 v2, v18, v18
	v_mov_b32_e32 v3, 0x3c0881c4
	v_fmac_f32_e32 v3, 0xb94c1982, v2
	v_fma_f32 v3, v2, v3, v27
	v_mul_f32_e32 v3, v2, v3
	v_fmac_f32_e32 v18, v18, v3
	v_mov_b32_e32 v3, 0xbab64f3b
	v_fmac_f32_e32 v3, 0x37d75334, v2
	v_fma_f32 v3, v2, v3, v28
	v_fma_f32 v3, v2, v3, v29
	v_fma_f32 v2, v2, v3, 1.0
	v_and_b32_e32 v3, 1, v12
	v_cndmask_b32_e32 v1, v32, v1, vcc
	v_cmp_eq_u32_e32 vcc, 0, v3
	v_lshlrev_b32_e32 v3, 30, v12
	v_cndmask_b32_e64 v2, -v18, v2, vcc
	v_and_b32_e32 v3, 0x80000000, v3
	v_mul_f32_e32 v0, 4.0, v0
	v_xor_b32_e32 v2, v3, v2
	v_mul_f32_e32 v0, v0, v2
	v_mul_f32_e32 v0, v1, v0
	;; [unrolled: 1-line block ×3, first 2 shown]
.LBB163_312:                            ;   in Loop: Header=BB163_180 Depth=1
	s_or_b64 exec, exec, s[18:19]
                                        ; implicit-def: $vgpr0_vgpr1_vgpr2_vgpr3
.LBB163_313:                            ;   in Loop: Header=BB163_180 Depth=1
	s_andn2_saveexec_b64 s[0:1], s[14:15]
; %bb.314:                              ;   in Loop: Header=BB163_180 Depth=1
	v_sub_f32_e32 v11, v3, v3
	v_mov_b32_e32 v10, v11
; %bb.315:                              ;   in Loop: Header=BB163_180 Depth=1
	s_or_b64 exec, exec, s[0:1]
                                        ; implicit-def: $vgpr2
.LBB163_316:                            ;   in Loop: Header=BB163_180 Depth=1
	s_andn2_saveexec_b64 s[12:13], s[12:13]
	s_cbranch_execz .LBB163_179
; %bb.317:                              ;   in Loop: Header=BB163_180 Depth=1
	v_and_b32_e32 v0, 0x7fffff, v2
	v_cmp_ne_u32_e32 vcc, 0, v0
	s_and_saveexec_b64 s[0:1], vcc
	s_xor_b64 s[0:1], exec, s[0:1]
; %bb.318:                              ;   in Loop: Header=BB163_180 Depth=1
	v_mul_f32_e32 v0, v2, v3
	v_cmp_eq_f32_e32 vcc, 0, v3
	v_cndmask_b32_e32 v11, v0, v3, vcc
; %bb.319:                              ;   in Loop: Header=BB163_180 Depth=1
	s_andn2_saveexec_b64 s[14:15], s[0:1]
	s_cbranch_execz .LBB163_178
; %bb.320:                              ;   in Loop: Header=BB163_180 Depth=1
	v_cmp_neq_f32_e64 s[0:1], |v3|, s28
	s_and_saveexec_b64 s[18:19], s[0:1]
	s_cbranch_execz .LBB163_177
; %bb.321:                              ;   in Loop: Header=BB163_180 Depth=1
	v_and_b32_e32 v0, 0x7fffffff, v3
	v_lshrrev_b32_e32 v1, 23, v0
	v_and_b32_e32 v10, 0x7fffff, v0
	v_cmp_nlt_f32_e64 s[20:21], |v3|, s31
	v_add_u32_e32 v16, 0xffffff88, v1
	v_or_b32_e32 v11, 0x800000, v10
                                        ; implicit-def: $vgpr1
                                        ; implicit-def: $vgpr10
	s_and_saveexec_b64 s[0:1], s[20:21]
	s_xor_b64 s[22:23], exec, s[0:1]
	s_cbranch_execz .LBB163_323
; %bb.322:                              ;   in Loop: Header=BB163_180 Depth=1
	v_mad_u64_u32 v[34:35], s[4:5], v11, s33, 0
	v_mov_b32_e32 v12, v35
	v_mad_u64_u32 v[36:37], s[4:5], v11, s34, v[12:13]
	v_mov_b32_e32 v12, v37
	v_mad_u64_u32 v[38:39], s[4:5], v11, s35, v[12:13]
	v_cmp_lt_u32_e32 vcc, 63, v16
	v_mov_b32_e32 v12, v39
	v_cndmask_b32_e32 v1, 0, v30, vcc
	v_mad_u64_u32 v[40:41], s[4:5], v11, s36, v[12:13]
	v_add_u32_e32 v1, v1, v16
	v_mov_b32_e32 v12, v41
	v_cmp_lt_u32_e64 s[0:1], 31, v1
	v_mad_u64_u32 v[42:43], s[4:5], v11, s37, v[12:13]
	v_cndmask_b32_e64 v10, 0, v31, s[0:1]
	v_mov_b32_e32 v12, v43
	v_add_u32_e32 v1, v10, v1
	v_mad_u64_u32 v[44:45], s[4:5], v11, s38, v[12:13]
	v_cmp_lt_u32_e64 s[2:3], 31, v1
	v_mov_b32_e32 v12, v45
	v_cndmask_b32_e64 v10, 0, v31, s[2:3]
	v_mad_u64_u32 v[46:47], s[4:5], v11, s39, v[12:13]
	v_add_u32_e32 v1, v10, v1
	v_cndmask_b32_e32 v10, v44, v40, vcc
	v_cndmask_b32_e32 v12, v46, v42, vcc
	;; [unrolled: 1-line block ×3, first 2 shown]
	v_cndmask_b32_e64 v18, v12, v10, s[0:1]
	v_cndmask_b32_e64 v12, v35, v12, s[0:1]
	v_cndmask_b32_e32 v35, v42, v38, vcc
	v_cndmask_b32_e64 v10, v10, v35, s[0:1]
	v_cndmask_b32_e64 v12, v12, v18, s[2:3]
	;; [unrolled: 1-line block ×3, first 2 shown]
	v_sub_u32_e32 v37, 32, v1
	v_alignbit_b32 v39, v12, v18, v37
	v_cmp_eq_u32_e64 s[4:5], 0, v1
	v_cndmask_b32_e64 v1, v39, v12, s[4:5]
	v_cndmask_b32_e32 v12, v40, v36, vcc
	v_cndmask_b32_e64 v35, v35, v12, s[0:1]
	v_cndmask_b32_e64 v10, v10, v35, s[2:3]
	v_alignbit_b32 v36, v18, v10, v37
	v_cndmask_b32_e32 v34, v38, v34, vcc
	v_cndmask_b32_e64 v18, v36, v18, s[4:5]
	v_bfe_u32 v40, v1, 29, 1
	v_cndmask_b32_e64 v12, v12, v34, s[0:1]
	v_alignbit_b32 v36, v1, v18, 30
	v_sub_u32_e32 v41, 0, v40
	v_cndmask_b32_e64 v12, v35, v12, s[2:3]
	v_xor_b32_e32 v42, v36, v41
	v_alignbit_b32 v34, v10, v12, v37
	v_cndmask_b32_e64 v10, v34, v10, s[4:5]
	v_ffbh_u32_e32 v34, v42
	v_add_u32_e32 v34, 1, v34
	v_cmp_ne_u32_e32 vcc, v36, v41
	v_alignbit_b32 v18, v18, v10, 30
	v_cndmask_b32_e32 v34, 33, v34, vcc
	v_alignbit_b32 v10, v10, v12, 30
	v_xor_b32_e32 v18, v18, v41
	v_sub_u32_e32 v35, 32, v34
	v_xor_b32_e32 v10, v10, v41
	v_alignbit_b32 v36, v42, v18, v35
	v_alignbit_b32 v10, v18, v10, v35
	;; [unrolled: 1-line block ×3, first 2 shown]
	v_ffbh_u32_e32 v18, v12
	v_min_u32_e32 v18, 32, v18
	v_lshrrev_b32_e32 v39, 29, v1
	v_sub_u32_e32 v35, 31, v18
	v_alignbit_b32 v10, v12, v10, v35
	v_lshlrev_b32_e32 v12, 31, v39
	v_or_b32_e32 v35, 0x33800000, v12
	v_add_lshl_u32 v18, v18, v34, 23
	v_lshrrev_b32_e32 v10, 9, v10
	v_sub_u32_e32 v18, v35, v18
	v_or_b32_e32 v10, v18, v10
	v_alignbit_b32 v18, v34, v36, 9
	v_or_b32_e32 v12, v18, v12
	v_xor_b32_e32 v12, 1.0, v12
	v_mul_f32_e32 v18, 0x3fc90fda, v12
	v_fma_f32 v34, v12, s40, -v18
	v_fmac_f32_e32 v34, 0x33a22168, v12
	v_fmac_f32_e32 v34, 0x3fc90fda, v10
	v_lshrrev_b32_e32 v1, 30, v1
	v_add_f32_e32 v10, v18, v34
	v_add_u32_e32 v1, v40, v1
.LBB163_323:                            ;   in Loop: Header=BB163_180 Depth=1
	s_or_saveexec_b64 s[0:1], s[22:23]
	v_mul_f32_e64 v12, |v3|, s41
	v_rndne_f32_e32 v34, v12
	s_xor_b64 exec, exec, s[0:1]
; %bb.324:                              ;   in Loop: Header=BB163_180 Depth=1
	v_cvt_i32_f32_e32 v1, v34
	v_fma_f32 v10, v34, s42, |v3|
	v_fmac_f32_e32 v10, 0xb3a22168, v34
	v_fmac_f32_e32 v10, 0xa7c234c4, v34
; %bb.325:                              ;   in Loop: Header=BB163_180 Depth=1
	s_or_b64 exec, exec, s[0:1]
                                        ; implicit-def: $vgpr12
                                        ; implicit-def: $vgpr18
	s_and_saveexec_b64 s[0:1], s[20:21]
	s_xor_b64 s[20:21], exec, s[0:1]
	s_cbranch_execz .LBB163_327
; %bb.326:                              ;   in Loop: Header=BB163_180 Depth=1
	v_cmp_lt_u32_e32 vcc, 63, v16
	v_cndmask_b32_e32 v12, 0, v30, vcc
	v_add_u32_e32 v12, v12, v16
	v_cmp_lt_u32_e64 s[0:1], 31, v12
	v_cndmask_b32_e64 v16, 0, v31, s[0:1]
	v_add_u32_e32 v12, v16, v12
	v_cmp_lt_u32_e64 s[2:3], 31, v12
	v_cndmask_b32_e64 v16, 0, v31, s[2:3]
	v_mad_u64_u32 v[34:35], s[4:5], v11, s33, 0
	v_add_u32_e32 v16, v16, v12
	v_mov_b32_e32 v12, v35
	v_mad_u64_u32 v[36:37], s[4:5], v11, s34, v[12:13]
	v_mov_b32_e32 v12, v37
	v_mad_u64_u32 v[38:39], s[4:5], v11, s35, v[12:13]
	;; [unrolled: 2-line block ×6, first 2 shown]
	v_cndmask_b32_e32 v18, v44, v40, vcc
	v_cndmask_b32_e32 v11, v46, v42, vcc
	;; [unrolled: 1-line block ×3, first 2 shown]
	v_cndmask_b32_e64 v12, v11, v18, s[0:1]
	v_cndmask_b32_e64 v11, v35, v11, s[0:1]
	v_cndmask_b32_e32 v35, v42, v38, vcc
	v_cndmask_b32_e64 v18, v18, v35, s[0:1]
	v_sub_u32_e32 v37, 32, v16
	v_cmp_eq_u32_e64 s[4:5], 0, v16
	v_cndmask_b32_e32 v16, v40, v36, vcc
	v_cndmask_b32_e64 v11, v11, v12, s[2:3]
	v_cndmask_b32_e64 v12, v12, v18, s[2:3]
	;; [unrolled: 1-line block ×3, first 2 shown]
	v_alignbit_b32 v39, v11, v12, v37
	v_cndmask_b32_e64 v18, v18, v35, s[2:3]
	v_cndmask_b32_e64 v11, v39, v11, s[4:5]
	v_alignbit_b32 v36, v12, v18, v37
	v_cndmask_b32_e32 v34, v38, v34, vcc
	v_cndmask_b32_e64 v12, v36, v12, s[4:5]
	v_bfe_u32 v40, v11, 29, 1
	v_cndmask_b32_e64 v16, v16, v34, s[0:1]
	v_alignbit_b32 v36, v11, v12, 30
	v_sub_u32_e32 v41, 0, v40
	v_cndmask_b32_e64 v16, v35, v16, s[2:3]
	v_xor_b32_e32 v42, v36, v41
	v_alignbit_b32 v34, v18, v16, v37
	v_cndmask_b32_e64 v18, v34, v18, s[4:5]
	v_ffbh_u32_e32 v34, v42
	v_add_u32_e32 v34, 1, v34
	v_cmp_ne_u32_e32 vcc, v36, v41
	v_alignbit_b32 v12, v12, v18, 30
	v_cndmask_b32_e32 v34, 33, v34, vcc
	v_alignbit_b32 v16, v18, v16, 30
	v_xor_b32_e32 v12, v12, v41
	v_sub_u32_e32 v35, 32, v34
	v_xor_b32_e32 v16, v16, v41
	v_alignbit_b32 v36, v42, v12, v35
	v_alignbit_b32 v12, v12, v16, v35
	;; [unrolled: 1-line block ×3, first 2 shown]
	v_ffbh_u32_e32 v18, v16
	v_min_u32_e32 v18, 32, v18
	v_lshrrev_b32_e32 v39, 29, v11
	v_sub_u32_e32 v35, 31, v18
	v_alignbit_b32 v12, v16, v12, v35
	v_lshlrev_b32_e32 v16, 31, v39
	v_or_b32_e32 v35, 0x33800000, v16
	v_add_lshl_u32 v18, v18, v34, 23
	v_lshrrev_b32_e32 v12, 9, v12
	v_sub_u32_e32 v18, v35, v18
	v_or_b32_e32 v12, v18, v12
	v_alignbit_b32 v18, v34, v36, 9
	v_or_b32_e32 v16, v18, v16
	v_xor_b32_e32 v16, 1.0, v16
	v_mul_f32_e32 v18, 0x3fc90fda, v16
	v_fma_f32 v34, v16, s40, -v18
	v_fmac_f32_e32 v34, 0x33a22168, v16
	v_fmac_f32_e32 v34, 0x3fc90fda, v12
	v_lshrrev_b32_e32 v11, 30, v11
	v_add_f32_e32 v18, v18, v34
	v_add_u32_e32 v12, v40, v11
                                        ; implicit-def: $vgpr34
	s_andn2_saveexec_b64 s[0:1], s[20:21]
	s_cbranch_execz .LBB163_176
	s_branch .LBB163_328
.LBB163_327:                            ;   in Loop: Header=BB163_180 Depth=1
	s_andn2_saveexec_b64 s[0:1], s[20:21]
	s_cbranch_execz .LBB163_176
.LBB163_328:                            ;   in Loop: Header=BB163_180 Depth=1
	v_cvt_i32_f32_e32 v12, v34
	v_fma_f32 v18, v34, s42, |v3|
	v_fmac_f32_e32 v18, 0xb3a22168, v34
	v_fmac_f32_e32 v18, 0xa7c234c4, v34
	s_branch .LBB163_176
.LBB163_329:
	s_endpgm
	.section	.rodata,"a",@progbits
	.p2align	6, 0x0
	.amdhsa_kernel _ZN2at6native12_GLOBAL__N_125multi_tensor_apply_kernelINS1_18TensorListMetadataILi1EEENS1_14UnaryOpFunctorIN3c107complexIfEELi1ELi1ELi0EEEJNS0_4TanhIS8_EEEEEvT_T0_DpT1_
		.amdhsa_group_segment_fixed_size 0
		.amdhsa_private_segment_fixed_size 0
		.amdhsa_kernarg_size 3632
		.amdhsa_user_sgpr_count 6
		.amdhsa_user_sgpr_private_segment_buffer 1
		.amdhsa_user_sgpr_dispatch_ptr 0
		.amdhsa_user_sgpr_queue_ptr 0
		.amdhsa_user_sgpr_kernarg_segment_ptr 1
		.amdhsa_user_sgpr_dispatch_id 0
		.amdhsa_user_sgpr_flat_scratch_init 0
		.amdhsa_user_sgpr_kernarg_preload_length 0
		.amdhsa_user_sgpr_kernarg_preload_offset 0
		.amdhsa_user_sgpr_private_segment_size 0
		.amdhsa_uses_dynamic_stack 0
		.amdhsa_system_sgpr_private_segment_wavefront_offset 0
		.amdhsa_system_sgpr_workgroup_id_x 1
		.amdhsa_system_sgpr_workgroup_id_y 0
		.amdhsa_system_sgpr_workgroup_id_z 0
		.amdhsa_system_sgpr_workgroup_info 0
		.amdhsa_system_vgpr_workitem_id 0
		.amdhsa_next_free_vgpr 54
		.amdhsa_next_free_sgpr 68
		.amdhsa_accum_offset 56
		.amdhsa_reserve_vcc 1
		.amdhsa_reserve_flat_scratch 0
		.amdhsa_float_round_mode_32 0
		.amdhsa_float_round_mode_16_64 0
		.amdhsa_float_denorm_mode_32 3
		.amdhsa_float_denorm_mode_16_64 3
		.amdhsa_dx10_clamp 1
		.amdhsa_ieee_mode 1
		.amdhsa_fp16_overflow 0
		.amdhsa_tg_split 0
		.amdhsa_exception_fp_ieee_invalid_op 0
		.amdhsa_exception_fp_denorm_src 0
		.amdhsa_exception_fp_ieee_div_zero 0
		.amdhsa_exception_fp_ieee_overflow 0
		.amdhsa_exception_fp_ieee_underflow 0
		.amdhsa_exception_fp_ieee_inexact 0
		.amdhsa_exception_int_div_zero 0
	.end_amdhsa_kernel
	.section	.text._ZN2at6native12_GLOBAL__N_125multi_tensor_apply_kernelINS1_18TensorListMetadataILi1EEENS1_14UnaryOpFunctorIN3c107complexIfEELi1ELi1ELi0EEEJNS0_4TanhIS8_EEEEEvT_T0_DpT1_,"axG",@progbits,_ZN2at6native12_GLOBAL__N_125multi_tensor_apply_kernelINS1_18TensorListMetadataILi1EEENS1_14UnaryOpFunctorIN3c107complexIfEELi1ELi1ELi0EEEJNS0_4TanhIS8_EEEEEvT_T0_DpT1_,comdat
.Lfunc_end163:
	.size	_ZN2at6native12_GLOBAL__N_125multi_tensor_apply_kernelINS1_18TensorListMetadataILi1EEENS1_14UnaryOpFunctorIN3c107complexIfEELi1ELi1ELi0EEEJNS0_4TanhIS8_EEEEEvT_T0_DpT1_, .Lfunc_end163-_ZN2at6native12_GLOBAL__N_125multi_tensor_apply_kernelINS1_18TensorListMetadataILi1EEENS1_14UnaryOpFunctorIN3c107complexIfEELi1ELi1ELi0EEEJNS0_4TanhIS8_EEEEEvT_T0_DpT1_
                                        ; -- End function
	.section	.AMDGPU.csdata,"",@progbits
; Kernel info:
; codeLenInByte = 38732
; NumSgprs: 72
; NumVgprs: 54
; NumAgprs: 0
; TotalNumVgprs: 54
; ScratchSize: 0
; MemoryBound: 1
; FloatMode: 240
; IeeeMode: 1
; LDSByteSize: 0 bytes/workgroup (compile time only)
; SGPRBlocks: 8
; VGPRBlocks: 6
; NumSGPRsForWavesPerEU: 72
; NumVGPRsForWavesPerEU: 54
; AccumOffset: 56
; Occupancy: 8
; WaveLimiterHint : 0
; COMPUTE_PGM_RSRC2:SCRATCH_EN: 0
; COMPUTE_PGM_RSRC2:USER_SGPR: 6
; COMPUTE_PGM_RSRC2:TRAP_HANDLER: 0
; COMPUTE_PGM_RSRC2:TGID_X_EN: 1
; COMPUTE_PGM_RSRC2:TGID_Y_EN: 0
; COMPUTE_PGM_RSRC2:TGID_Z_EN: 0
; COMPUTE_PGM_RSRC2:TIDIG_COMP_CNT: 0
; COMPUTE_PGM_RSRC3_GFX90A:ACCUM_OFFSET: 13
; COMPUTE_PGM_RSRC3_GFX90A:TG_SPLIT: 0
	.section	.text._ZN2at6native12_GLOBAL__N_125multi_tensor_apply_kernelINS1_18TensorListMetadataILi1EEENS1_14UnaryOpFunctorIN3c104HalfELi1ELi1ELi0EEEJNS0_4TanhIfEEEEEvT_T0_DpT1_,"axG",@progbits,_ZN2at6native12_GLOBAL__N_125multi_tensor_apply_kernelINS1_18TensorListMetadataILi1EEENS1_14UnaryOpFunctorIN3c104HalfELi1ELi1ELi0EEEJNS0_4TanhIfEEEEEvT_T0_DpT1_,comdat
	.globl	_ZN2at6native12_GLOBAL__N_125multi_tensor_apply_kernelINS1_18TensorListMetadataILi1EEENS1_14UnaryOpFunctorIN3c104HalfELi1ELi1ELi0EEEJNS0_4TanhIfEEEEEvT_T0_DpT1_ ; -- Begin function _ZN2at6native12_GLOBAL__N_125multi_tensor_apply_kernelINS1_18TensorListMetadataILi1EEENS1_14UnaryOpFunctorIN3c104HalfELi1ELi1ELi0EEEJNS0_4TanhIfEEEEEvT_T0_DpT1_
	.p2align	8
	.type	_ZN2at6native12_GLOBAL__N_125multi_tensor_apply_kernelINS1_18TensorListMetadataILi1EEENS1_14UnaryOpFunctorIN3c104HalfELi1ELi1ELi0EEEJNS0_4TanhIfEEEEEvT_T0_DpT1_,@function
_ZN2at6native12_GLOBAL__N_125multi_tensor_apply_kernelINS1_18TensorListMetadataILi1EEENS1_14UnaryOpFunctorIN3c104HalfELi1ELi1ELi0EEEJNS0_4TanhIfEEEEEvT_T0_DpT1_: ; @_ZN2at6native12_GLOBAL__N_125multi_tensor_apply_kernelINS1_18TensorListMetadataILi1EEENS1_14UnaryOpFunctorIN3c104HalfELi1ELi1ELi0EEEJNS0_4TanhIfEEEEEvT_T0_DpT1_
; %bb.0:
	v_mov_b32_e32 v1, s6
	global_load_ubyte v1, v1, s[4:5] offset:1760
	s_add_u32 s0, s4, s6
	s_mul_hi_u32 s1, s6, 3
	s_mul_i32 s6, s6, 3
	s_addc_u32 s2, s5, 0
	s_add_u32 s0, s0, s6
	s_addc_u32 s1, s2, s1
	s_load_dword s0, s[0:1], 0x820
	s_mov_b32 s7, 0
	s_waitcnt vmcnt(0)
	v_readfirstlane_b32 s2, v1
	s_lshl_b32 s1, s2, 3
	s_load_dwordx2 s[2:3], s[4:5], s1 offset:0x370
	s_load_dwordx2 s[12:13], s[4:5], s1 offset:0x0
	s_waitcnt lgkmcnt(0)
	s_ashr_i32 s1, s0, 31
	s_lshl_b64 s[14:15], s[0:1], 17
	s_lshl_b64 s[0:1], s[0:1], 16
	s_and_b32 s6, s12, 7
	s_sub_u32 s10, s2, s0
	s_subb_u32 s11, s3, s1
	s_and_b32 s0, s2, 3
	s_mov_b32 s1, s7
	s_or_b64 s[0:1], s[6:7], s[0:1]
	s_cmp_eq_u64 s[0:1], 0
	s_cbranch_scc1 .LBB164_37
; %bb.1:
	v_cmp_lt_i64_e64 s[0:1], s[10:11], 1
	s_and_b64 vcc, exec, s[0:1]
	s_cbranch_vccnz .LBB164_36
; %bb.2:
	s_load_dword s0, s[4:5], 0xd3c
	v_mov_b32_e32 v2, 0x10000
	v_mov_b32_e32 v3, 0
	v_cmp_lt_u64_e32 vcc, s[10:11], v[2:3]
	v_lshlrev_b32_e32 v1, 1, v0
	s_waitcnt lgkmcnt(0)
	s_and_b32 s2, s0, 0xffff
	s_and_b64 s[0:1], vcc, exec
	s_cselect_b32 s17, s11, 0
	s_cselect_b32 s16, s10, 0x10000
	s_lshl_b32 s3, s2, 1
	s_lshl_b32 s23, s2, 2
	s_add_u32 s6, s12, s14
	s_addc_u32 s7, s13, s15
	v_mov_b32_e32 v3, s7
	v_add_co_u32_e32 v2, vcc, s6, v1
	s_mul_i32 s0, s2, 3
	v_addc_co_u32_e32 v3, vcc, 0, v3, vcc
	v_add_co_u32_e32 v1, vcc, s0, v0
	v_addc_co_u32_e64 v6, s[0:1], 0, 0, vcc
	v_add_co_u32_e32 v7, vcc, s3, v0
	v_addc_co_u32_e64 v8, s[0:1], 0, 0, vcc
	v_add_co_u32_e32 v9, vcc, s2, v0
	v_lshlrev_b32_e32 v4, 1, v9
	s_mov_b32 s22, 0
	v_addc_co_u32_e64 v10, s[0:1], 0, 0, vcc
	v_mov_b32_e32 v5, s7
	v_add_co_u32_e32 v4, vcc, s6, v4
	s_lshl_b32 s24, s2, 3
	s_mov_b32 s25, s22
	s_mul_i32 s26, s2, 6
	s_mov_b32 s27, s22
	v_addc_co_u32_e32 v5, vcc, 0, v5, vcc
	s_mov_b64 s[18:19], 0
	s_mov_b32 s28, 0x3f200000
	s_mov_b32 s29, 0x3fb8aa3b
	;; [unrolled: 1-line block ×4, first 2 shown]
	v_mov_b32_e32 v11, 0xbd5c1c4e
	v_mov_b32_e32 v12, 0x3e088382
	;; [unrolled: 1-line block ×3, first 2 shown]
	s_movk_i32 s33, 0x7fff
	v_mov_b32_e32 v14, 0x7f800000
	s_branch .LBB164_4
.LBB164_3:                              ;   in Loop: Header=BB164_4 Depth=1
	s_or_b64 exec, exec, s[0:1]
	s_add_u32 s18, s18, s23
	s_addc_u32 s19, s19, 0
	v_pk_mov_b32 v[16:17], s[10:11], s[10:11] op_sel:[0,1]
	v_cmp_ge_i64_e32 vcc, s[18:19], v[16:17]
	v_mov_b32_e32 v16, 0xffff
	v_mov_b32_e32 v17, 0
	v_cmp_gt_u64_e64 s[0:1], s[18:19], v[16:17]
	s_or_b64 s[0:1], vcc, s[0:1]
	v_mov_b32_e32 v15, s25
	v_add_co_u32_e32 v2, vcc, s24, v2
	v_addc_co_u32_e32 v3, vcc, v3, v15, vcc
	v_add_co_u32_e32 v4, vcc, s24, v4
	v_addc_co_u32_e32 v5, vcc, v5, v15, vcc
	s_and_b64 vcc, exec, s[0:1]
	s_cbranch_vccnz .LBB164_36
.LBB164_4:                              ; =>This Inner Loop Header: Depth=1
	v_mov_b32_e32 v15, s19
	v_add_co_u32_e32 v16, vcc, s18, v0
	v_addc_co_u32_e32 v17, vcc, 0, v15, vcc
	v_cmp_gt_u64_e32 vcc, s[16:17], v[16:17]
	v_mov_b32_e32 v15, 0
	s_and_saveexec_b64 s[0:1], vcc
	s_cbranch_execz .LBB164_6
; %bb.5:                                ;   in Loop: Header=BB164_4 Depth=1
	global_load_ushort v15, v[2:3], off
.LBB164_6:                              ;   in Loop: Header=BB164_4 Depth=1
	s_or_b64 exec, exec, s[0:1]
	v_mov_b32_e32 v17, s19
	v_add_co_u32_e64 v16, s[0:1], s18, v9
	v_addc_co_u32_e64 v17, s[0:1], v10, v17, s[0:1]
	v_cmp_gt_u64_e64 s[0:1], s[16:17], v[16:17]
	v_mov_b32_e32 v18, 0
	s_and_saveexec_b64 s[2:3], s[0:1]
	s_cbranch_execz .LBB164_8
; %bb.7:                                ;   in Loop: Header=BB164_4 Depth=1
	global_load_ushort v18, v[4:5], off
.LBB164_8:                              ;   in Loop: Header=BB164_4 Depth=1
	s_or_b64 exec, exec, s[2:3]
	v_mov_b32_e32 v17, s19
	v_add_co_u32_e64 v16, s[2:3], s18, v7
	v_addc_co_u32_e64 v17, s[2:3], v8, v17, s[2:3]
	v_cmp_gt_u64_e64 s[2:3], s[16:17], v[16:17]
	v_mov_b32_e32 v16, 0
	v_mov_b32_e32 v20, 0
	s_and_saveexec_b64 s[8:9], s[2:3]
	s_cbranch_execz .LBB164_10
; %bb.9:                                ;   in Loop: Header=BB164_4 Depth=1
	v_mov_b32_e32 v17, s22
	v_add_co_u32_e64 v20, s[6:7], s23, v2
	v_addc_co_u32_e64 v21, s[6:7], v3, v17, s[6:7]
	global_load_ushort v20, v[20:21], off
.LBB164_10:                             ;   in Loop: Header=BB164_4 Depth=1
	s_or_b64 exec, exec, s[8:9]
	v_mov_b32_e32 v17, s19
	v_add_co_u32_e64 v22, s[6:7], s18, v1
	v_addc_co_u32_e64 v23, s[6:7], v6, v17, s[6:7]
	v_cmp_gt_u64_e64 s[6:7], s[16:17], v[22:23]
	s_and_saveexec_b64 s[20:21], s[6:7]
	s_cbranch_execz .LBB164_12
; %bb.11:                               ;   in Loop: Header=BB164_4 Depth=1
	v_mov_b32_e32 v17, s27
	v_add_co_u32_e64 v16, s[8:9], s26, v2
	v_addc_co_u32_e64 v17, s[8:9], v3, v17, s[8:9]
	global_load_ushort v16, v[16:17], off
.LBB164_12:                             ;   in Loop: Header=BB164_4 Depth=1
	s_or_b64 exec, exec, s[20:21]
	s_waitcnt vmcnt(0)
	v_cvt_f32_f16_e32 v15, v15
                                        ; implicit-def: $vgpr17
	v_cmp_nlt_f32_e64 s[8:9], |v15|, s28
	s_and_saveexec_b64 s[20:21], s[8:9]
	s_xor_b64 s[20:21], exec, s[20:21]
	s_cbranch_execz .LBB164_14
; %bb.13:                               ;   in Loop: Header=BB164_4 Depth=1
	v_add_f32_e64 v17, |v15|, |v15|
	v_mul_f32_e32 v19, 0x3fb8aa3b, v17
	v_rndne_f32_e32 v21, v19
	v_sub_f32_e32 v22, v19, v21
	v_fma_f32 v19, v17, s29, -v19
	v_fmac_f32_e32 v19, 0x32a5705f, v17
	v_add_f32_e32 v19, v22, v19
	v_cvt_i32_f32_e32 v21, v21
	v_exp_f32_e32 v19, v19
	v_cmp_ngt_f32_e64 s[8:9], s30, v17
	v_ldexp_f32 v19, v19, v21
	v_cndmask_b32_e64 v19, 0, v19, s[8:9]
	v_cmp_nlt_f32_e64 s[8:9], s31, v17
	v_cndmask_b32_e64 v17, v14, v19, s[8:9]
	v_add_f32_e32 v17, 1.0, v17
	v_rcp_f32_e32 v17, v17
	v_fma_f32 v17, v17, -2.0, 1.0
.LBB164_14:                             ;   in Loop: Header=BB164_4 Depth=1
	s_andn2_saveexec_b64 s[8:9], s[20:21]
; %bb.15:                               ;   in Loop: Header=BB164_4 Depth=1
	v_mul_f32_e32 v17, v15, v15
	v_mov_b32_e32 v19, 0x3ca908c9
	v_fmac_f32_e32 v19, 0xbbbac73d, v17
	v_fma_f32 v19, v17, v19, v11
	v_fma_f32 v19, v17, v19, v12
	;; [unrolled: 1-line block ×3, first 2 shown]
	v_mul_f32_e64 v19, |v15|, v19
	v_fma_f32 v17, v17, v19, |v15|
; %bb.16:                               ;   in Loop: Header=BB164_4 Depth=1
	s_or_b64 exec, exec, s[8:9]
	v_cvt_f32_f16_e32 v18, v18
                                        ; implicit-def: $vgpr19
	v_cmp_nlt_f32_e64 s[8:9], |v18|, s28
	s_and_saveexec_b64 s[20:21], s[8:9]
	s_xor_b64 s[20:21], exec, s[20:21]
	s_cbranch_execz .LBB164_18
; %bb.17:                               ;   in Loop: Header=BB164_4 Depth=1
	v_add_f32_e64 v19, |v18|, |v18|
	v_mul_f32_e32 v21, 0x3fb8aa3b, v19
	v_rndne_f32_e32 v22, v21
	v_sub_f32_e32 v23, v21, v22
	v_fma_f32 v21, v19, s29, -v21
	v_fmac_f32_e32 v21, 0x32a5705f, v19
	v_add_f32_e32 v21, v23, v21
	v_cvt_i32_f32_e32 v22, v22
	v_exp_f32_e32 v21, v21
	v_cmp_ngt_f32_e64 s[8:9], s30, v19
	v_ldexp_f32 v21, v21, v22
	v_cndmask_b32_e64 v21, 0, v21, s[8:9]
	v_cmp_nlt_f32_e64 s[8:9], s31, v19
	v_cndmask_b32_e64 v19, v14, v21, s[8:9]
	v_add_f32_e32 v19, 1.0, v19
	v_rcp_f32_e32 v19, v19
	v_fma_f32 v19, v19, -2.0, 1.0
.LBB164_18:                             ;   in Loop: Header=BB164_4 Depth=1
	s_andn2_saveexec_b64 s[8:9], s[20:21]
; %bb.19:                               ;   in Loop: Header=BB164_4 Depth=1
	v_mul_f32_e32 v19, v18, v18
	v_mov_b32_e32 v21, 0x3ca908c9
	v_fmac_f32_e32 v21, 0xbbbac73d, v19
	v_fma_f32 v21, v19, v21, v11
	v_fma_f32 v21, v19, v21, v12
	;; [unrolled: 1-line block ×3, first 2 shown]
	v_mul_f32_e64 v21, |v18|, v21
	v_fma_f32 v19, v19, v21, |v18|
; %bb.20:                               ;   in Loop: Header=BB164_4 Depth=1
	s_or_b64 exec, exec, s[8:9]
	v_cvt_f32_f16_e32 v20, v20
                                        ; implicit-def: $vgpr21
	v_cmp_nlt_f32_e64 s[8:9], |v20|, s28
	s_and_saveexec_b64 s[20:21], s[8:9]
	s_xor_b64 s[20:21], exec, s[20:21]
	s_cbranch_execz .LBB164_22
; %bb.21:                               ;   in Loop: Header=BB164_4 Depth=1
	v_add_f32_e64 v21, |v20|, |v20|
	v_mul_f32_e32 v22, 0x3fb8aa3b, v21
	v_rndne_f32_e32 v23, v22
	v_sub_f32_e32 v24, v22, v23
	v_fma_f32 v22, v21, s29, -v22
	v_fmac_f32_e32 v22, 0x32a5705f, v21
	v_add_f32_e32 v22, v24, v22
	v_cvt_i32_f32_e32 v23, v23
	v_exp_f32_e32 v22, v22
	v_cmp_ngt_f32_e64 s[8:9], s30, v21
	v_ldexp_f32 v22, v22, v23
	v_cndmask_b32_e64 v22, 0, v22, s[8:9]
	v_cmp_nlt_f32_e64 s[8:9], s31, v21
	v_cndmask_b32_e64 v21, v14, v22, s[8:9]
	v_add_f32_e32 v21, 1.0, v21
	v_rcp_f32_e32 v21, v21
	v_fma_f32 v21, v21, -2.0, 1.0
.LBB164_22:                             ;   in Loop: Header=BB164_4 Depth=1
	s_andn2_saveexec_b64 s[8:9], s[20:21]
; %bb.23:                               ;   in Loop: Header=BB164_4 Depth=1
	v_mul_f32_e32 v21, v20, v20
	v_mov_b32_e32 v22, 0x3ca908c9
	v_fmac_f32_e32 v22, 0xbbbac73d, v21
	v_fma_f32 v22, v21, v22, v11
	v_fma_f32 v22, v21, v22, v12
	;; [unrolled: 1-line block ×3, first 2 shown]
	v_mul_f32_e64 v22, |v20|, v22
	v_fma_f32 v21, v21, v22, |v20|
; %bb.24:                               ;   in Loop: Header=BB164_4 Depth=1
	s_or_b64 exec, exec, s[8:9]
	v_cvt_f32_f16_e32 v16, v16
                                        ; implicit-def: $vgpr22
	v_cmp_nlt_f32_e64 s[8:9], |v16|, s28
	s_and_saveexec_b64 s[20:21], s[8:9]
	s_xor_b64 s[20:21], exec, s[20:21]
	s_cbranch_execnz .LBB164_30
; %bb.25:                               ;   in Loop: Header=BB164_4 Depth=1
	s_andn2_saveexec_b64 s[8:9], s[20:21]
	s_cbranch_execnz .LBB164_31
.LBB164_26:                             ;   in Loop: Header=BB164_4 Depth=1
	s_or_b64 exec, exec, s[8:9]
	s_and_saveexec_b64 s[8:9], vcc
	s_xor_b64 s[8:9], exec, s[8:9]
	s_cbranch_execnz .LBB164_32
.LBB164_27:                             ;   in Loop: Header=BB164_4 Depth=1
	s_or_b64 exec, exec, s[8:9]
	s_and_saveexec_b64 s[8:9], s[0:1]
	s_cbranch_execnz .LBB164_33
.LBB164_28:                             ;   in Loop: Header=BB164_4 Depth=1
	s_or_b64 exec, exec, s[8:9]
	s_and_saveexec_b64 s[0:1], s[2:3]
	s_cbranch_execnz .LBB164_34
.LBB164_29:                             ;   in Loop: Header=BB164_4 Depth=1
	s_or_b64 exec, exec, s[0:1]
	s_and_saveexec_b64 s[0:1], s[6:7]
	s_cbranch_execz .LBB164_3
	s_branch .LBB164_35
.LBB164_30:                             ;   in Loop: Header=BB164_4 Depth=1
	v_add_f32_e64 v22, |v16|, |v16|
	v_mul_f32_e32 v23, 0x3fb8aa3b, v22
	v_rndne_f32_e32 v24, v23
	v_sub_f32_e32 v25, v23, v24
	v_fma_f32 v23, v22, s29, -v23
	v_fmac_f32_e32 v23, 0x32a5705f, v22
	v_add_f32_e32 v23, v25, v23
	v_cvt_i32_f32_e32 v24, v24
	v_exp_f32_e32 v23, v23
	v_cmp_ngt_f32_e64 s[8:9], s30, v22
	v_ldexp_f32 v23, v23, v24
	v_cndmask_b32_e64 v23, 0, v23, s[8:9]
	v_cmp_nlt_f32_e64 s[8:9], s31, v22
	v_cndmask_b32_e64 v22, v14, v23, s[8:9]
	v_add_f32_e32 v22, 1.0, v22
	v_rcp_f32_e32 v22, v22
	v_fma_f32 v22, v22, -2.0, 1.0
	s_andn2_saveexec_b64 s[8:9], s[20:21]
	s_cbranch_execz .LBB164_26
.LBB164_31:                             ;   in Loop: Header=BB164_4 Depth=1
	v_mul_f32_e32 v22, v16, v16
	v_mov_b32_e32 v23, 0x3ca908c9
	v_fmac_f32_e32 v23, 0xbbbac73d, v22
	v_fma_f32 v23, v22, v23, v11
	v_fma_f32 v23, v22, v23, v12
	;; [unrolled: 1-line block ×3, first 2 shown]
	v_mul_f32_e64 v23, |v16|, v23
	v_fma_f32 v22, v22, v23, |v16|
	s_or_b64 exec, exec, s[8:9]
	s_and_saveexec_b64 s[8:9], vcc
	s_xor_b64 s[8:9], exec, s[8:9]
	s_cbranch_execz .LBB164_27
.LBB164_32:                             ;   in Loop: Header=BB164_4 Depth=1
	v_cvt_f16_f32_e32 v17, v17
	v_lshrrev_b32_e32 v15, 16, v15
	v_bfi_b32 v15, s33, v17, v15
	global_store_short v[2:3], v15, off
	s_or_b64 exec, exec, s[8:9]
	s_and_saveexec_b64 s[8:9], s[0:1]
	s_cbranch_execz .LBB164_28
.LBB164_33:                             ;   in Loop: Header=BB164_4 Depth=1
	v_cvt_f16_f32_e32 v15, v19
	v_lshrrev_b32_e32 v17, 16, v18
	v_bfi_b32 v15, s33, v15, v17
	global_store_short v[4:5], v15, off
	s_or_b64 exec, exec, s[8:9]
	s_and_saveexec_b64 s[0:1], s[2:3]
	s_cbranch_execz .LBB164_29
.LBB164_34:                             ;   in Loop: Header=BB164_4 Depth=1
	v_cvt_f16_f32_e32 v15, v21
	v_lshrrev_b32_e32 v17, 16, v20
	v_mov_b32_e32 v19, s22
	v_add_co_u32_e32 v18, vcc, s23, v2
	v_bfi_b32 v15, s33, v15, v17
	v_addc_co_u32_e32 v19, vcc, v3, v19, vcc
	global_store_short v[18:19], v15, off
	s_or_b64 exec, exec, s[0:1]
	s_and_saveexec_b64 s[0:1], s[6:7]
	s_cbranch_execz .LBB164_3
.LBB164_35:                             ;   in Loop: Header=BB164_4 Depth=1
	v_cvt_f16_f32_e32 v15, v22
	v_lshrrev_b32_e32 v16, 16, v16
	v_mov_b32_e32 v17, s27
	v_bfi_b32 v15, s33, v15, v16
	v_add_co_u32_e32 v16, vcc, s26, v2
	v_addc_co_u32_e32 v17, vcc, v3, v17, vcc
	global_store_short v[16:17], v15, off
	s_branch .LBB164_3
.LBB164_36:
	s_cbranch_execz .LBB164_38
	s_branch .LBB164_57
.LBB164_37:
.LBB164_38:
	v_mov_b32_e32 v3, 0
	v_lshlrev_b32_e32 v2, 2, v0
	s_mov_b32 s0, 0
	v_cmp_gt_i64_e32 vcc, s[10:11], v[2:3]
	s_and_saveexec_b64 s[2:3], vcc
	s_cbranch_execz .LBB164_57
; %bb.39:
	s_load_dword s1, s[4:5], 0xd3c
	v_lshlrev_b32_e32 v1, 3, v0
	s_mov_b32 s8, 0x3f200000
	s_mov_b32 s9, 0x3fb8aa3b
	v_mov_b32_e32 v6, 0xbd5c1c4e
	s_waitcnt lgkmcnt(0)
	s_and_b32 s1, s1, 0xffff
	s_lshl_b32 s6, s1, 2
	s_add_u32 s2, s12, s14
	s_addc_u32 s3, s13, s15
	v_add_lshl_u32 v2, v0, s1, 2
	v_mov_b32_e32 v0, s3
	v_add_co_u32_e32 v1, vcc, s2, v1
	v_addc_co_u32_e32 v4, vcc, 0, v0, vcc
	v_add_co_u32_e32 v0, vcc, 4, v1
	v_addc_co_u32_e32 v1, vcc, 0, v4, vcc
	s_lshl_b32 s7, s1, 3
	s_mov_b64 s[2:3], 0
	s_mov_b32 s12, 0xc2ce8ed0
	s_mov_b32 s13, 0x42b17218
	v_mov_b32_e32 v7, 0x3e088382
	v_mov_b32_e32 v8, 0xbeaaaa99
	s_movk_i32 s14, 0x7fff
	s_mov_b64 s[4:5], 0xffff
	v_mov_b32_e32 v9, s0
	v_mov_b32_e32 v10, 0x7f800000
	;; [unrolled: 1-line block ×3, first 2 shown]
	s_branch .LBB164_41
.LBB164_40:                             ;   in Loop: Header=BB164_41 Depth=1
	s_or_b64 exec, exec, s[0:1]
	v_cvt_f16_f32_e32 v14, v14
	v_lshrrev_b32_e32 v4, 16, v4
	v_cvt_f16_f32_e32 v16, v16
	v_cvt_f16_f32_e32 v13, v13
	v_bfi_b32 v4, s14, v14, v4
	v_cvt_f16_f32_e32 v14, v17
	v_lshrrev_b32_e32 v15, 16, v15
	v_lshrrev_b32_e32 v12, 16, v12
	;; [unrolled: 1-line block ×3, first 2 shown]
	v_cmp_le_i64_e32 vcc, s[10:11], v[2:3]
	v_cmp_lt_u64_e64 s[0:1], s[4:5], v[2:3]
	v_bfi_b32 v15, s14, v16, v15
	v_bfi_b32 v12, s14, v13, v12
	;; [unrolled: 1-line block ×3, first 2 shown]
	s_or_b64 s[0:1], vcc, s[0:1]
	v_add_co_u32_e32 v2, vcc, s6, v2
	v_pack_b32_f16 v5, v15, v5
	v_pack_b32_f16 v4, v12, v4
	v_addc_co_u32_e32 v3, vcc, v3, v9, vcc
	global_store_dwordx2 v[0:1], v[4:5], off offset:-4
	s_and_b64 s[0:1], exec, s[0:1]
	v_add_co_u32_e32 v0, vcc, s7, v0
	s_or_b64 s[2:3], s[0:1], s[2:3]
	v_addc_co_u32_e32 v1, vcc, v1, v11, vcc
	s_andn2_b64 exec, exec, s[2:3]
	s_cbranch_execz .LBB164_57
.LBB164_41:                             ; =>This Inner Loop Header: Depth=1
	global_load_dwordx2 v[4:5], v[0:1], off offset:-4
                                        ; implicit-def: $vgpr13
	s_waitcnt vmcnt(0)
	v_cvt_f32_f16_e32 v12, v4
	v_cmp_nlt_f32_e64 s[0:1], |v12|, s8
	s_and_saveexec_b64 s[16:17], s[0:1]
	s_xor_b64 s[0:1], exec, s[16:17]
	s_cbranch_execz .LBB164_43
; %bb.42:                               ;   in Loop: Header=BB164_41 Depth=1
	v_add_f32_e64 v13, |v12|, |v12|
	v_mul_f32_e32 v14, 0x3fb8aa3b, v13
	v_rndne_f32_e32 v15, v14
	v_sub_f32_e32 v16, v14, v15
	v_fma_f32 v14, v13, s9, -v14
	v_fmac_f32_e32 v14, 0x32a5705f, v13
	v_add_f32_e32 v14, v16, v14
	v_cvt_i32_f32_e32 v15, v15
	v_exp_f32_e32 v14, v14
	v_cmp_ngt_f32_e32 vcc, s12, v13
	v_ldexp_f32 v14, v14, v15
	v_cndmask_b32_e32 v14, 0, v14, vcc
	v_cmp_nlt_f32_e32 vcc, s13, v13
	v_cndmask_b32_e32 v13, v10, v14, vcc
	v_add_f32_e32 v13, 1.0, v13
	v_rcp_f32_e32 v13, v13
	v_fma_f32 v13, v13, -2.0, 1.0
.LBB164_43:                             ;   in Loop: Header=BB164_41 Depth=1
	s_andn2_saveexec_b64 s[0:1], s[0:1]
; %bb.44:                               ;   in Loop: Header=BB164_41 Depth=1
	v_mul_f32_e32 v13, v12, v12
	v_mov_b32_e32 v14, 0x3ca908c9
	v_fmac_f32_e32 v14, 0xbbbac73d, v13
	v_fma_f32 v14, v13, v14, v6
	v_fma_f32 v14, v13, v14, v7
	;; [unrolled: 1-line block ×3, first 2 shown]
	v_mul_f32_e64 v14, |v12|, v14
	v_fma_f32 v13, v13, v14, |v12|
; %bb.45:                               ;   in Loop: Header=BB164_41 Depth=1
	s_or_b64 exec, exec, s[0:1]
	v_cvt_f32_f16_sdwa v4, v4 dst_sel:DWORD dst_unused:UNUSED_PAD src0_sel:WORD_1
                                        ; implicit-def: $vgpr14
	v_cmp_nlt_f32_e64 s[0:1], |v4|, s8
	s_and_saveexec_b64 s[16:17], s[0:1]
	s_xor_b64 s[0:1], exec, s[16:17]
	s_cbranch_execz .LBB164_47
; %bb.46:                               ;   in Loop: Header=BB164_41 Depth=1
	v_add_f32_e64 v14, |v4|, |v4|
	v_mul_f32_e32 v15, 0x3fb8aa3b, v14
	v_rndne_f32_e32 v16, v15
	v_sub_f32_e32 v17, v15, v16
	v_fma_f32 v15, v14, s9, -v15
	v_fmac_f32_e32 v15, 0x32a5705f, v14
	v_add_f32_e32 v15, v17, v15
	v_cvt_i32_f32_e32 v16, v16
	v_exp_f32_e32 v15, v15
	v_cmp_ngt_f32_e32 vcc, s12, v14
	v_ldexp_f32 v15, v15, v16
	v_cndmask_b32_e32 v15, 0, v15, vcc
	v_cmp_nlt_f32_e32 vcc, s13, v14
	v_cndmask_b32_e32 v14, v10, v15, vcc
	v_add_f32_e32 v14, 1.0, v14
	v_rcp_f32_e32 v14, v14
	v_fma_f32 v14, v14, -2.0, 1.0
.LBB164_47:                             ;   in Loop: Header=BB164_41 Depth=1
	s_andn2_saveexec_b64 s[0:1], s[0:1]
; %bb.48:                               ;   in Loop: Header=BB164_41 Depth=1
	v_mul_f32_e32 v14, v4, v4
	v_mov_b32_e32 v15, 0x3ca908c9
	v_fmac_f32_e32 v15, 0xbbbac73d, v14
	v_fma_f32 v15, v14, v15, v6
	v_fma_f32 v15, v14, v15, v7
	;; [unrolled: 1-line block ×3, first 2 shown]
	v_mul_f32_e64 v15, |v4|, v15
	v_fma_f32 v14, v14, v15, |v4|
; %bb.49:                               ;   in Loop: Header=BB164_41 Depth=1
	s_or_b64 exec, exec, s[0:1]
	v_cvt_f32_f16_e32 v15, v5
                                        ; implicit-def: $vgpr16
	v_cmp_nlt_f32_e64 s[0:1], |v15|, s8
	s_and_saveexec_b64 s[16:17], s[0:1]
	s_xor_b64 s[0:1], exec, s[16:17]
	s_cbranch_execz .LBB164_51
; %bb.50:                               ;   in Loop: Header=BB164_41 Depth=1
	v_add_f32_e64 v16, |v15|, |v15|
	v_mul_f32_e32 v17, 0x3fb8aa3b, v16
	v_rndne_f32_e32 v18, v17
	v_sub_f32_e32 v19, v17, v18
	v_fma_f32 v17, v16, s9, -v17
	v_fmac_f32_e32 v17, 0x32a5705f, v16
	v_add_f32_e32 v17, v19, v17
	v_cvt_i32_f32_e32 v18, v18
	v_exp_f32_e32 v17, v17
	v_cmp_ngt_f32_e32 vcc, s12, v16
	v_ldexp_f32 v17, v17, v18
	v_cndmask_b32_e32 v17, 0, v17, vcc
	v_cmp_nlt_f32_e32 vcc, s13, v16
	v_cndmask_b32_e32 v16, v10, v17, vcc
	v_add_f32_e32 v16, 1.0, v16
	v_rcp_f32_e32 v16, v16
	v_fma_f32 v16, v16, -2.0, 1.0
.LBB164_51:                             ;   in Loop: Header=BB164_41 Depth=1
	s_andn2_saveexec_b64 s[0:1], s[0:1]
; %bb.52:                               ;   in Loop: Header=BB164_41 Depth=1
	v_mul_f32_e32 v16, v15, v15
	v_mov_b32_e32 v17, 0x3ca908c9
	v_fmac_f32_e32 v17, 0xbbbac73d, v16
	v_fma_f32 v17, v16, v17, v6
	v_fma_f32 v17, v16, v17, v7
	;; [unrolled: 1-line block ×3, first 2 shown]
	v_mul_f32_e64 v17, |v15|, v17
	v_fma_f32 v16, v16, v17, |v15|
; %bb.53:                               ;   in Loop: Header=BB164_41 Depth=1
	s_or_b64 exec, exec, s[0:1]
	v_cvt_f32_f16_sdwa v5, v5 dst_sel:DWORD dst_unused:UNUSED_PAD src0_sel:WORD_1
                                        ; implicit-def: $vgpr17
	v_cmp_nlt_f32_e64 s[0:1], |v5|, s8
	s_and_saveexec_b64 s[16:17], s[0:1]
	s_xor_b64 s[0:1], exec, s[16:17]
	s_cbranch_execz .LBB164_55
; %bb.54:                               ;   in Loop: Header=BB164_41 Depth=1
	v_add_f32_e64 v17, |v5|, |v5|
	v_mul_f32_e32 v18, 0x3fb8aa3b, v17
	v_rndne_f32_e32 v19, v18
	v_sub_f32_e32 v20, v18, v19
	v_fma_f32 v18, v17, s9, -v18
	v_fmac_f32_e32 v18, 0x32a5705f, v17
	v_add_f32_e32 v18, v20, v18
	v_cvt_i32_f32_e32 v19, v19
	v_exp_f32_e32 v18, v18
	v_cmp_ngt_f32_e32 vcc, s12, v17
	v_ldexp_f32 v18, v18, v19
	v_cndmask_b32_e32 v18, 0, v18, vcc
	v_cmp_nlt_f32_e32 vcc, s13, v17
	v_cndmask_b32_e32 v17, v10, v18, vcc
	v_add_f32_e32 v17, 1.0, v17
	v_rcp_f32_e32 v17, v17
	v_fma_f32 v17, v17, -2.0, 1.0
.LBB164_55:                             ;   in Loop: Header=BB164_41 Depth=1
	s_andn2_saveexec_b64 s[0:1], s[0:1]
	s_cbranch_execz .LBB164_40
; %bb.56:                               ;   in Loop: Header=BB164_41 Depth=1
	v_mul_f32_e32 v17, v5, v5
	v_mov_b32_e32 v18, 0x3ca908c9
	v_fmac_f32_e32 v18, 0xbbbac73d, v17
	v_fma_f32 v18, v17, v18, v6
	v_fma_f32 v18, v17, v18, v7
	;; [unrolled: 1-line block ×3, first 2 shown]
	v_mul_f32_e64 v18, |v5|, v18
	v_fma_f32 v17, v17, v18, |v5|
	s_branch .LBB164_40
.LBB164_57:
	s_endpgm
	.section	.rodata,"a",@progbits
	.p2align	6, 0x0
	.amdhsa_kernel _ZN2at6native12_GLOBAL__N_125multi_tensor_apply_kernelINS1_18TensorListMetadataILi1EEENS1_14UnaryOpFunctorIN3c104HalfELi1ELi1ELi0EEEJNS0_4TanhIfEEEEEvT_T0_DpT1_
		.amdhsa_group_segment_fixed_size 0
		.amdhsa_private_segment_fixed_size 0
		.amdhsa_kernarg_size 3632
		.amdhsa_user_sgpr_count 6
		.amdhsa_user_sgpr_private_segment_buffer 1
		.amdhsa_user_sgpr_dispatch_ptr 0
		.amdhsa_user_sgpr_queue_ptr 0
		.amdhsa_user_sgpr_kernarg_segment_ptr 1
		.amdhsa_user_sgpr_dispatch_id 0
		.amdhsa_user_sgpr_flat_scratch_init 0
		.amdhsa_user_sgpr_kernarg_preload_length 0
		.amdhsa_user_sgpr_kernarg_preload_offset 0
		.amdhsa_user_sgpr_private_segment_size 0
		.amdhsa_uses_dynamic_stack 0
		.amdhsa_system_sgpr_private_segment_wavefront_offset 0
		.amdhsa_system_sgpr_workgroup_id_x 1
		.amdhsa_system_sgpr_workgroup_id_y 0
		.amdhsa_system_sgpr_workgroup_id_z 0
		.amdhsa_system_sgpr_workgroup_info 0
		.amdhsa_system_vgpr_workitem_id 0
		.amdhsa_next_free_vgpr 26
		.amdhsa_next_free_sgpr 34
		.amdhsa_accum_offset 28
		.amdhsa_reserve_vcc 1
		.amdhsa_reserve_flat_scratch 0
		.amdhsa_float_round_mode_32 0
		.amdhsa_float_round_mode_16_64 0
		.amdhsa_float_denorm_mode_32 3
		.amdhsa_float_denorm_mode_16_64 3
		.amdhsa_dx10_clamp 1
		.amdhsa_ieee_mode 1
		.amdhsa_fp16_overflow 0
		.amdhsa_tg_split 0
		.amdhsa_exception_fp_ieee_invalid_op 0
		.amdhsa_exception_fp_denorm_src 0
		.amdhsa_exception_fp_ieee_div_zero 0
		.amdhsa_exception_fp_ieee_overflow 0
		.amdhsa_exception_fp_ieee_underflow 0
		.amdhsa_exception_fp_ieee_inexact 0
		.amdhsa_exception_int_div_zero 0
	.end_amdhsa_kernel
	.section	.text._ZN2at6native12_GLOBAL__N_125multi_tensor_apply_kernelINS1_18TensorListMetadataILi1EEENS1_14UnaryOpFunctorIN3c104HalfELi1ELi1ELi0EEEJNS0_4TanhIfEEEEEvT_T0_DpT1_,"axG",@progbits,_ZN2at6native12_GLOBAL__N_125multi_tensor_apply_kernelINS1_18TensorListMetadataILi1EEENS1_14UnaryOpFunctorIN3c104HalfELi1ELi1ELi0EEEJNS0_4TanhIfEEEEEvT_T0_DpT1_,comdat
.Lfunc_end164:
	.size	_ZN2at6native12_GLOBAL__N_125multi_tensor_apply_kernelINS1_18TensorListMetadataILi1EEENS1_14UnaryOpFunctorIN3c104HalfELi1ELi1ELi0EEEJNS0_4TanhIfEEEEEvT_T0_DpT1_, .Lfunc_end164-_ZN2at6native12_GLOBAL__N_125multi_tensor_apply_kernelINS1_18TensorListMetadataILi1EEENS1_14UnaryOpFunctorIN3c104HalfELi1ELi1ELi0EEEJNS0_4TanhIfEEEEEvT_T0_DpT1_
                                        ; -- End function
	.section	.AMDGPU.csdata,"",@progbits
; Kernel info:
; codeLenInByte = 2828
; NumSgprs: 38
; NumVgprs: 26
; NumAgprs: 0
; TotalNumVgprs: 26
; ScratchSize: 0
; MemoryBound: 0
; FloatMode: 240
; IeeeMode: 1
; LDSByteSize: 0 bytes/workgroup (compile time only)
; SGPRBlocks: 4
; VGPRBlocks: 3
; NumSGPRsForWavesPerEU: 38
; NumVGPRsForWavesPerEU: 26
; AccumOffset: 28
; Occupancy: 8
; WaveLimiterHint : 0
; COMPUTE_PGM_RSRC2:SCRATCH_EN: 0
; COMPUTE_PGM_RSRC2:USER_SGPR: 6
; COMPUTE_PGM_RSRC2:TRAP_HANDLER: 0
; COMPUTE_PGM_RSRC2:TGID_X_EN: 1
; COMPUTE_PGM_RSRC2:TGID_Y_EN: 0
; COMPUTE_PGM_RSRC2:TGID_Z_EN: 0
; COMPUTE_PGM_RSRC2:TIDIG_COMP_CNT: 0
; COMPUTE_PGM_RSRC3_GFX90A:ACCUM_OFFSET: 6
; COMPUTE_PGM_RSRC3_GFX90A:TG_SPLIT: 0
	.section	.text._ZN2at6native12_GLOBAL__N_125multi_tensor_apply_kernelINS1_18TensorListMetadataILi1EEENS1_14UnaryOpFunctorIN3c108BFloat16ELi1ELi1ELi0EEEJNS0_4TanhIfEEEEEvT_T0_DpT1_,"axG",@progbits,_ZN2at6native12_GLOBAL__N_125multi_tensor_apply_kernelINS1_18TensorListMetadataILi1EEENS1_14UnaryOpFunctorIN3c108BFloat16ELi1ELi1ELi0EEEJNS0_4TanhIfEEEEEvT_T0_DpT1_,comdat
	.globl	_ZN2at6native12_GLOBAL__N_125multi_tensor_apply_kernelINS1_18TensorListMetadataILi1EEENS1_14UnaryOpFunctorIN3c108BFloat16ELi1ELi1ELi0EEEJNS0_4TanhIfEEEEEvT_T0_DpT1_ ; -- Begin function _ZN2at6native12_GLOBAL__N_125multi_tensor_apply_kernelINS1_18TensorListMetadataILi1EEENS1_14UnaryOpFunctorIN3c108BFloat16ELi1ELi1ELi0EEEJNS0_4TanhIfEEEEEvT_T0_DpT1_
	.p2align	8
	.type	_ZN2at6native12_GLOBAL__N_125multi_tensor_apply_kernelINS1_18TensorListMetadataILi1EEENS1_14UnaryOpFunctorIN3c108BFloat16ELi1ELi1ELi0EEEJNS0_4TanhIfEEEEEvT_T0_DpT1_,@function
_ZN2at6native12_GLOBAL__N_125multi_tensor_apply_kernelINS1_18TensorListMetadataILi1EEENS1_14UnaryOpFunctorIN3c108BFloat16ELi1ELi1ELi0EEEJNS0_4TanhIfEEEEEvT_T0_DpT1_: ; @_ZN2at6native12_GLOBAL__N_125multi_tensor_apply_kernelINS1_18TensorListMetadataILi1EEENS1_14UnaryOpFunctorIN3c108BFloat16ELi1ELi1ELi0EEEJNS0_4TanhIfEEEEEvT_T0_DpT1_
; %bb.0:
	v_mov_b32_e32 v1, s6
	global_load_ubyte v1, v1, s[4:5] offset:1760
	s_add_u32 s0, s4, s6
	s_mul_hi_u32 s1, s6, 3
	s_mul_i32 s6, s6, 3
	s_addc_u32 s2, s5, 0
	s_add_u32 s0, s0, s6
	s_addc_u32 s1, s2, s1
	s_load_dword s0, s[0:1], 0x820
	s_mov_b32 s7, 0
	s_waitcnt vmcnt(0)
	v_readfirstlane_b32 s2, v1
	s_lshl_b32 s1, s2, 3
	s_load_dwordx2 s[2:3], s[4:5], s1 offset:0x370
	s_load_dwordx2 s[12:13], s[4:5], s1 offset:0x0
	s_waitcnt lgkmcnt(0)
	s_ashr_i32 s1, s0, 31
	s_lshl_b64 s[14:15], s[0:1], 17
	s_lshl_b64 s[0:1], s[0:1], 16
	s_and_b32 s6, s12, 7
	s_sub_u32 s10, s2, s0
	s_subb_u32 s11, s3, s1
	s_and_b32 s0, s2, 3
	s_mov_b32 s1, s7
	s_or_b64 s[0:1], s[6:7], s[0:1]
	s_cmp_eq_u64 s[0:1], 0
	s_cbranch_scc1 .LBB165_37
; %bb.1:
	v_cmp_lt_i64_e64 s[0:1], s[10:11], 1
	s_and_b64 vcc, exec, s[0:1]
	s_cbranch_vccnz .LBB165_36
; %bb.2:
	s_load_dword s0, s[4:5], 0xd3c
	v_mov_b32_e32 v2, 0x10000
	v_mov_b32_e32 v3, 0
	v_cmp_lt_u64_e32 vcc, s[10:11], v[2:3]
	v_lshlrev_b32_e32 v1, 1, v0
	s_waitcnt lgkmcnt(0)
	s_and_b32 s2, s0, 0xffff
	s_and_b64 s[0:1], vcc, exec
	s_cselect_b32 s17, s11, 0
	s_cselect_b32 s16, s10, 0x10000
	s_lshl_b32 s3, s2, 1
	s_lshl_b32 s23, s2, 2
	s_add_u32 s6, s12, s14
	s_addc_u32 s7, s13, s15
	v_mov_b32_e32 v3, s7
	v_add_co_u32_e32 v2, vcc, s6, v1
	s_mul_i32 s0, s2, 3
	v_addc_co_u32_e32 v3, vcc, 0, v3, vcc
	v_add_co_u32_e32 v1, vcc, s0, v0
	v_addc_co_u32_e64 v6, s[0:1], 0, 0, vcc
	v_add_co_u32_e32 v7, vcc, s3, v0
	v_addc_co_u32_e64 v8, s[0:1], 0, 0, vcc
	v_add_co_u32_e32 v9, vcc, s2, v0
	v_lshlrev_b32_e32 v4, 1, v9
	s_mov_b32 s22, 0
	v_addc_co_u32_e64 v10, s[0:1], 0, 0, vcc
	v_mov_b32_e32 v5, s7
	v_add_co_u32_e32 v4, vcc, s6, v4
	s_lshl_b32 s24, s2, 3
	s_mov_b32 s25, s22
	s_mul_i32 s26, s2, 6
	s_mov_b32 s27, s22
	v_addc_co_u32_e32 v5, vcc, 0, v5, vcc
	s_mov_b64 s[18:19], 0
	s_mov_b32 s28, 0x3f200000
	s_mov_b32 s29, 0x3fb8aa3b
	;; [unrolled: 1-line block ×4, first 2 shown]
	v_mov_b32_e32 v11, 0xbd5c1c4e
	v_mov_b32_e32 v12, 0x3e088382
	;; [unrolled: 1-line block ×3, first 2 shown]
	s_brev_b32 s33, -2
	s_movk_i32 s34, 0x7fff
	v_mov_b32_e32 v14, 0x7f800000
	v_mov_b32_e32 v15, 0x7fc0
	s_branch .LBB165_4
.LBB165_3:                              ;   in Loop: Header=BB165_4 Depth=1
	s_or_b64 exec, exec, s[0:1]
	s_add_u32 s18, s18, s23
	s_addc_u32 s19, s19, 0
	v_pk_mov_b32 v[16:17], s[10:11], s[10:11] op_sel:[0,1]
	v_cmp_ge_i64_e32 vcc, s[18:19], v[16:17]
	v_mov_b32_e32 v16, 0xffff
	v_mov_b32_e32 v17, 0
	v_cmp_gt_u64_e64 s[0:1], s[18:19], v[16:17]
	s_or_b64 s[0:1], vcc, s[0:1]
	v_mov_b32_e32 v16, s25
	v_add_co_u32_e32 v2, vcc, s24, v2
	v_addc_co_u32_e32 v3, vcc, v3, v16, vcc
	v_add_co_u32_e32 v4, vcc, s24, v4
	v_addc_co_u32_e32 v5, vcc, v5, v16, vcc
	s_and_b64 vcc, exec, s[0:1]
	s_cbranch_vccnz .LBB165_36
.LBB165_4:                              ; =>This Inner Loop Header: Depth=1
	v_mov_b32_e32 v17, s19
	v_add_co_u32_e32 v16, vcc, s18, v0
	v_addc_co_u32_e32 v17, vcc, 0, v17, vcc
	v_cmp_gt_u64_e32 vcc, s[16:17], v[16:17]
	v_mov_b32_e32 v16, 0
	s_and_saveexec_b64 s[0:1], vcc
	s_cbranch_execz .LBB165_6
; %bb.5:                                ;   in Loop: Header=BB165_4 Depth=1
	global_load_ushort v16, v[2:3], off
.LBB165_6:                              ;   in Loop: Header=BB165_4 Depth=1
	s_or_b64 exec, exec, s[0:1]
	v_mov_b32_e32 v17, s19
	v_add_co_u32_e64 v18, s[0:1], s18, v9
	v_addc_co_u32_e64 v19, s[0:1], v10, v17, s[0:1]
	v_cmp_gt_u64_e64 s[0:1], s[16:17], v[18:19]
	v_mov_b32_e32 v19, 0
	s_and_saveexec_b64 s[2:3], s[0:1]
	s_cbranch_execz .LBB165_8
; %bb.7:                                ;   in Loop: Header=BB165_4 Depth=1
	global_load_ushort v19, v[4:5], off
.LBB165_8:                              ;   in Loop: Header=BB165_4 Depth=1
	s_or_b64 exec, exec, s[2:3]
	v_mov_b32_e32 v17, s19
	v_add_co_u32_e64 v20, s[2:3], s18, v7
	v_addc_co_u32_e64 v21, s[2:3], v8, v17, s[2:3]
	v_cmp_gt_u64_e64 s[2:3], s[16:17], v[20:21]
	v_mov_b32_e32 v17, 0
	v_mov_b32_e32 v21, 0
	s_and_saveexec_b64 s[8:9], s[2:3]
	s_cbranch_execz .LBB165_10
; %bb.9:                                ;   in Loop: Header=BB165_4 Depth=1
	v_mov_b32_e32 v18, s22
	v_add_co_u32_e64 v20, s[6:7], s23, v2
	v_addc_co_u32_e64 v21, s[6:7], v3, v18, s[6:7]
	global_load_ushort v21, v[20:21], off
.LBB165_10:                             ;   in Loop: Header=BB165_4 Depth=1
	s_or_b64 exec, exec, s[8:9]
	v_mov_b32_e32 v18, s19
	v_add_co_u32_e64 v22, s[6:7], s18, v1
	v_addc_co_u32_e64 v23, s[6:7], v6, v18, s[6:7]
	v_cmp_gt_u64_e64 s[6:7], s[16:17], v[22:23]
	s_and_saveexec_b64 s[20:21], s[6:7]
	s_cbranch_execz .LBB165_12
; %bb.11:                               ;   in Loop: Header=BB165_4 Depth=1
	v_mov_b32_e32 v17, s27
	v_add_co_u32_e64 v22, s[8:9], s26, v2
	v_addc_co_u32_e64 v23, s[8:9], v3, v17, s[8:9]
	global_load_ushort v17, v[22:23], off
.LBB165_12:                             ;   in Loop: Header=BB165_4 Depth=1
	s_or_b64 exec, exec, s[20:21]
	s_waitcnt vmcnt(0)
	v_lshlrev_b32_e32 v16, 16, v16
	v_cmp_nlt_f32_e64 s[8:9], |v16|, s28
                                        ; implicit-def: $vgpr18
	s_and_saveexec_b64 s[20:21], s[8:9]
	s_xor_b64 s[20:21], exec, s[20:21]
	s_cbranch_execz .LBB165_14
; %bb.13:                               ;   in Loop: Header=BB165_4 Depth=1
	v_add_f32_e64 v18, |v16|, |v16|
	v_mul_f32_e32 v20, 0x3fb8aa3b, v18
	v_rndne_f32_e32 v22, v20
	v_sub_f32_e32 v23, v20, v22
	v_fma_f32 v20, v18, s29, -v20
	v_fmac_f32_e32 v20, 0x32a5705f, v18
	v_add_f32_e32 v20, v23, v20
	v_cvt_i32_f32_e32 v22, v22
	v_exp_f32_e32 v20, v20
	v_cmp_ngt_f32_e64 s[8:9], s30, v18
	v_ldexp_f32 v20, v20, v22
	v_cndmask_b32_e64 v20, 0, v20, s[8:9]
	v_cmp_nlt_f32_e64 s[8:9], s31, v18
	v_cndmask_b32_e64 v18, v14, v20, s[8:9]
	v_add_f32_e32 v18, 1.0, v18
	v_rcp_f32_e32 v18, v18
	v_fma_f32 v18, v18, -2.0, 1.0
.LBB165_14:                             ;   in Loop: Header=BB165_4 Depth=1
	s_andn2_saveexec_b64 s[8:9], s[20:21]
; %bb.15:                               ;   in Loop: Header=BB165_4 Depth=1
	v_mul_f32_e32 v18, v16, v16
	v_mov_b32_e32 v20, 0x3ca908c9
	v_fmac_f32_e32 v20, 0xbbbac73d, v18
	v_fma_f32 v20, v18, v20, v11
	v_fma_f32 v20, v18, v20, v12
	;; [unrolled: 1-line block ×3, first 2 shown]
	v_mul_f32_e64 v20, |v16|, v20
	v_fma_f32 v18, v18, v20, |v16|
; %bb.16:                               ;   in Loop: Header=BB165_4 Depth=1
	s_or_b64 exec, exec, s[8:9]
	v_lshlrev_b32_e32 v19, 16, v19
	v_cmp_nlt_f32_e64 s[8:9], |v19|, s28
                                        ; implicit-def: $vgpr20
	s_and_saveexec_b64 s[20:21], s[8:9]
	s_xor_b64 s[20:21], exec, s[20:21]
	s_cbranch_execz .LBB165_18
; %bb.17:                               ;   in Loop: Header=BB165_4 Depth=1
	v_add_f32_e64 v20, |v19|, |v19|
	v_mul_f32_e32 v22, 0x3fb8aa3b, v20
	v_rndne_f32_e32 v23, v22
	v_sub_f32_e32 v24, v22, v23
	v_fma_f32 v22, v20, s29, -v22
	v_fmac_f32_e32 v22, 0x32a5705f, v20
	v_add_f32_e32 v22, v24, v22
	v_cvt_i32_f32_e32 v23, v23
	v_exp_f32_e32 v22, v22
	v_cmp_ngt_f32_e64 s[8:9], s30, v20
	v_ldexp_f32 v22, v22, v23
	v_cndmask_b32_e64 v22, 0, v22, s[8:9]
	v_cmp_nlt_f32_e64 s[8:9], s31, v20
	v_cndmask_b32_e64 v20, v14, v22, s[8:9]
	v_add_f32_e32 v20, 1.0, v20
	v_rcp_f32_e32 v20, v20
	v_fma_f32 v20, v20, -2.0, 1.0
.LBB165_18:                             ;   in Loop: Header=BB165_4 Depth=1
	s_andn2_saveexec_b64 s[8:9], s[20:21]
; %bb.19:                               ;   in Loop: Header=BB165_4 Depth=1
	v_mul_f32_e32 v20, v19, v19
	v_mov_b32_e32 v22, 0x3ca908c9
	v_fmac_f32_e32 v22, 0xbbbac73d, v20
	v_fma_f32 v22, v20, v22, v11
	v_fma_f32 v22, v20, v22, v12
	;; [unrolled: 1-line block ×3, first 2 shown]
	v_mul_f32_e64 v22, |v19|, v22
	v_fma_f32 v20, v20, v22, |v19|
; %bb.20:                               ;   in Loop: Header=BB165_4 Depth=1
	s_or_b64 exec, exec, s[8:9]
	v_lshlrev_b32_e32 v21, 16, v21
	v_cmp_nlt_f32_e64 s[8:9], |v21|, s28
                                        ; implicit-def: $vgpr22
	s_and_saveexec_b64 s[20:21], s[8:9]
	s_xor_b64 s[20:21], exec, s[20:21]
	s_cbranch_execz .LBB165_22
; %bb.21:                               ;   in Loop: Header=BB165_4 Depth=1
	v_add_f32_e64 v22, |v21|, |v21|
	v_mul_f32_e32 v23, 0x3fb8aa3b, v22
	v_rndne_f32_e32 v24, v23
	v_sub_f32_e32 v25, v23, v24
	v_fma_f32 v23, v22, s29, -v23
	v_fmac_f32_e32 v23, 0x32a5705f, v22
	v_add_f32_e32 v23, v25, v23
	v_cvt_i32_f32_e32 v24, v24
	v_exp_f32_e32 v23, v23
	v_cmp_ngt_f32_e64 s[8:9], s30, v22
	v_ldexp_f32 v23, v23, v24
	v_cndmask_b32_e64 v23, 0, v23, s[8:9]
	v_cmp_nlt_f32_e64 s[8:9], s31, v22
	v_cndmask_b32_e64 v22, v14, v23, s[8:9]
	v_add_f32_e32 v22, 1.0, v22
	v_rcp_f32_e32 v22, v22
	v_fma_f32 v22, v22, -2.0, 1.0
.LBB165_22:                             ;   in Loop: Header=BB165_4 Depth=1
	s_andn2_saveexec_b64 s[8:9], s[20:21]
; %bb.23:                               ;   in Loop: Header=BB165_4 Depth=1
	v_mul_f32_e32 v22, v21, v21
	v_mov_b32_e32 v23, 0x3ca908c9
	v_fmac_f32_e32 v23, 0xbbbac73d, v22
	v_fma_f32 v23, v22, v23, v11
	v_fma_f32 v23, v22, v23, v12
	;; [unrolled: 1-line block ×3, first 2 shown]
	v_mul_f32_e64 v23, |v21|, v23
	v_fma_f32 v22, v22, v23, |v21|
; %bb.24:                               ;   in Loop: Header=BB165_4 Depth=1
	s_or_b64 exec, exec, s[8:9]
	v_lshlrev_b32_e32 v17, 16, v17
	v_cmp_nlt_f32_e64 s[8:9], |v17|, s28
                                        ; implicit-def: $vgpr23
	s_and_saveexec_b64 s[20:21], s[8:9]
	s_xor_b64 s[20:21], exec, s[20:21]
	s_cbranch_execnz .LBB165_30
; %bb.25:                               ;   in Loop: Header=BB165_4 Depth=1
	s_andn2_saveexec_b64 s[8:9], s[20:21]
	s_cbranch_execnz .LBB165_31
.LBB165_26:                             ;   in Loop: Header=BB165_4 Depth=1
	s_or_b64 exec, exec, s[8:9]
	s_and_saveexec_b64 s[8:9], vcc
	s_xor_b64 s[8:9], exec, s[8:9]
	s_cbranch_execnz .LBB165_32
.LBB165_27:                             ;   in Loop: Header=BB165_4 Depth=1
	s_or_b64 exec, exec, s[8:9]
	s_and_saveexec_b64 s[8:9], s[0:1]
	s_cbranch_execnz .LBB165_33
.LBB165_28:                             ;   in Loop: Header=BB165_4 Depth=1
	s_or_b64 exec, exec, s[8:9]
	s_and_saveexec_b64 s[0:1], s[2:3]
	s_cbranch_execnz .LBB165_34
.LBB165_29:                             ;   in Loop: Header=BB165_4 Depth=1
	s_or_b64 exec, exec, s[0:1]
	s_and_saveexec_b64 s[0:1], s[6:7]
	s_cbranch_execz .LBB165_3
	s_branch .LBB165_35
.LBB165_30:                             ;   in Loop: Header=BB165_4 Depth=1
	v_add_f32_e64 v23, |v17|, |v17|
	v_mul_f32_e32 v24, 0x3fb8aa3b, v23
	v_rndne_f32_e32 v25, v24
	v_sub_f32_e32 v26, v24, v25
	v_fma_f32 v24, v23, s29, -v24
	v_fmac_f32_e32 v24, 0x32a5705f, v23
	v_add_f32_e32 v24, v26, v24
	v_cvt_i32_f32_e32 v25, v25
	v_exp_f32_e32 v24, v24
	v_cmp_ngt_f32_e64 s[8:9], s30, v23
	v_ldexp_f32 v24, v24, v25
	v_cndmask_b32_e64 v24, 0, v24, s[8:9]
	v_cmp_nlt_f32_e64 s[8:9], s31, v23
	v_cndmask_b32_e64 v23, v14, v24, s[8:9]
	v_add_f32_e32 v23, 1.0, v23
	v_rcp_f32_e32 v23, v23
	v_fma_f32 v23, v23, -2.0, 1.0
	s_andn2_saveexec_b64 s[8:9], s[20:21]
	s_cbranch_execz .LBB165_26
.LBB165_31:                             ;   in Loop: Header=BB165_4 Depth=1
	v_mul_f32_e32 v23, v17, v17
	v_mov_b32_e32 v24, 0x3ca908c9
	v_fmac_f32_e32 v24, 0xbbbac73d, v23
	v_fma_f32 v24, v23, v24, v11
	v_fma_f32 v24, v23, v24, v12
	;; [unrolled: 1-line block ×3, first 2 shown]
	v_mul_f32_e64 v24, |v17|, v24
	v_fma_f32 v23, v23, v24, |v17|
	s_or_b64 exec, exec, s[8:9]
	s_and_saveexec_b64 s[8:9], vcc
	s_xor_b64 s[8:9], exec, s[8:9]
	s_cbranch_execz .LBB165_27
.LBB165_32:                             ;   in Loop: Header=BB165_4 Depth=1
	v_bfi_b32 v16, s33, v18, v16
	v_bfe_u32 v18, v16, 16, 1
	v_add3_u32 v18, v16, v18, s34
	v_lshrrev_b32_e32 v18, 16, v18
	v_cmp_o_f32_e32 vcc, v16, v16
	v_cndmask_b32_e32 v16, v15, v18, vcc
	global_store_short v[2:3], v16, off
	s_or_b64 exec, exec, s[8:9]
	s_and_saveexec_b64 s[8:9], s[0:1]
	s_cbranch_execz .LBB165_28
.LBB165_33:                             ;   in Loop: Header=BB165_4 Depth=1
	v_bfi_b32 v16, s33, v20, v19
	v_bfe_u32 v18, v16, 16, 1
	v_add3_u32 v18, v16, v18, s34
	v_lshrrev_b32_e32 v18, 16, v18
	v_cmp_o_f32_e32 vcc, v16, v16
	v_cndmask_b32_e32 v16, v15, v18, vcc
	global_store_short v[4:5], v16, off
	s_or_b64 exec, exec, s[8:9]
	s_and_saveexec_b64 s[0:1], s[2:3]
	s_cbranch_execz .LBB165_29
.LBB165_34:                             ;   in Loop: Header=BB165_4 Depth=1
	v_bfi_b32 v16, s33, v22, v21
	v_bfe_u32 v18, v16, 16, 1
	v_add3_u32 v18, v16, v18, s34
	v_lshrrev_b32_e32 v18, 16, v18
	v_cmp_o_f32_e32 vcc, v16, v16
	v_cndmask_b32_e32 v16, v15, v18, vcc
	v_mov_b32_e32 v19, s22
	v_add_co_u32_e32 v18, vcc, s23, v2
	v_addc_co_u32_e32 v19, vcc, v3, v19, vcc
	global_store_short v[18:19], v16, off
	s_or_b64 exec, exec, s[0:1]
	s_and_saveexec_b64 s[0:1], s[6:7]
	s_cbranch_execz .LBB165_3
.LBB165_35:                             ;   in Loop: Header=BB165_4 Depth=1
	v_bfi_b32 v16, s33, v23, v17
	v_bfe_u32 v17, v16, 16, 1
	v_add3_u32 v17, v16, v17, s34
	v_lshrrev_b32_e32 v17, 16, v17
	v_cmp_o_f32_e32 vcc, v16, v16
	v_cndmask_b32_e32 v18, v15, v17, vcc
	v_mov_b32_e32 v17, s27
	v_add_co_u32_e32 v16, vcc, s26, v2
	v_addc_co_u32_e32 v17, vcc, v3, v17, vcc
	global_store_short v[16:17], v18, off
	s_branch .LBB165_3
.LBB165_36:
	s_cbranch_execz .LBB165_38
	s_branch .LBB165_57
.LBB165_37:
.LBB165_38:
	v_mov_b32_e32 v3, 0
	v_lshlrev_b32_e32 v2, 2, v0
	s_mov_b32 s0, 0
	v_cmp_gt_i64_e32 vcc, s[10:11], v[2:3]
	s_and_saveexec_b64 s[2:3], vcc
	s_cbranch_execz .LBB165_57
; %bb.39:
	s_load_dword s1, s[4:5], 0xd3c
	v_lshlrev_b32_e32 v1, 3, v0
	s_mov_b32 s8, 0x3f200000
	s_mov_b32 s9, 0x3fb8aa3b
	v_mov_b32_e32 v6, 0xbd5c1c4e
	s_waitcnt lgkmcnt(0)
	s_and_b32 s1, s1, 0xffff
	s_add_u32 s2, s12, s14
	s_addc_u32 s3, s13, s15
	v_mov_b32_e32 v2, s3
	v_add_co_u32_e32 v4, vcc, s2, v1
	v_addc_co_u32_e32 v5, vcc, 0, v2, vcc
	s_lshl_b32 s6, s1, 3
	v_add_lshl_u32 v2, v0, s1, 2
	s_lshl_b32 s7, s1, 2
	s_mov_b64 s[2:3], 0
	s_mov_b32 s12, 0xc2ce8ed0
	s_mov_b32 s13, 0x42b17218
	v_mov_b32_e32 v7, 0x3e088382
	v_mov_b32_e32 v8, 0xbeaaaa99
	s_brev_b32 s14, -2
	s_movk_i32 s15, 0x7fff
	v_mov_b32_e32 v9, 0x7fc00000
	v_mov_b32_e32 v10, 0x7fc0
	s_mov_b64 s[4:5], 0xffff
	v_mov_b32_e32 v11, 0x7f800000
	v_mov_b32_e32 v12, s0
	;; [unrolled: 1-line block ×3, first 2 shown]
	s_branch .LBB165_41
.LBB165_40:                             ;   in Loop: Header=BB165_41 Depth=1
	s_or_b64 exec, exec, s[0:1]
	v_bfi_b32 v1, s14, v19, v1
	v_bfi_b32 v0, s14, v18, v0
	v_bfe_u32 v19, v1, 16, 1
	v_bfe_u32 v18, v0, 16, 1
	v_bfi_b32 v16, s14, v17, v16
	v_add3_u32 v19, v1, v19, s15
	v_add3_u32 v18, v0, v18, s15
	v_bfe_u32 v17, v16, 16, 1
	v_bfi_b32 v14, s14, v15, v14
	v_and_b32_e32 v19, 0xffff0000, v19
	v_cmp_o_f32_e32 vcc, v1, v1
	v_lshrrev_b32_e32 v18, 16, v18
	v_add3_u32 v17, v16, v17, s15
	v_bfe_u32 v15, v14, 16, 1
	v_cndmask_b32_e32 v1, v9, v19, vcc
	v_cmp_o_f32_e32 vcc, v0, v0
	v_and_b32_e32 v17, 0xffff0000, v17
	v_add3_u32 v15, v14, v15, s15
	v_cndmask_b32_e32 v0, v10, v18, vcc
	v_cmp_o_f32_e32 vcc, v16, v16
	v_lshrrev_b32_e32 v15, 16, v15
	v_cndmask_b32_e32 v16, v9, v17, vcc
	v_cmp_o_f32_e32 vcc, v14, v14
	v_cndmask_b32_e32 v14, v10, v15, vcc
	v_or_b32_e32 v14, v16, v14
	v_or3_b32 v1, 0, v0, v1
	v_or3_b32 v0, v14, 0, 0
	v_cmp_le_i64_e32 vcc, s[10:11], v[2:3]
	v_cmp_lt_u64_e64 s[0:1], s[4:5], v[2:3]
	global_store_dwordx2 v[4:5], v[0:1], off
	s_or_b64 s[0:1], vcc, s[0:1]
	v_add_co_u32_e32 v4, vcc, s6, v4
	v_addc_co_u32_e32 v5, vcc, v5, v12, vcc
	s_and_b64 s[0:1], exec, s[0:1]
	v_add_co_u32_e32 v2, vcc, s7, v2
	s_or_b64 s[2:3], s[0:1], s[2:3]
	v_addc_co_u32_e32 v3, vcc, v3, v13, vcc
	s_andn2_b64 exec, exec, s[2:3]
	s_cbranch_execz .LBB165_57
.LBB165_41:                             ; =>This Inner Loop Header: Depth=1
	global_load_dwordx2 v[0:1], v[4:5], off
                                        ; implicit-def: $vgpr15
	s_waitcnt vmcnt(0)
	v_lshlrev_b32_e32 v14, 16, v0
	v_cmp_nlt_f32_e64 s[0:1], |v14|, s8
	s_and_saveexec_b64 s[16:17], s[0:1]
	s_xor_b64 s[0:1], exec, s[16:17]
	s_cbranch_execz .LBB165_43
; %bb.42:                               ;   in Loop: Header=BB165_41 Depth=1
	v_add_f32_e64 v15, |v14|, |v14|
	v_mul_f32_e32 v16, 0x3fb8aa3b, v15
	v_rndne_f32_e32 v17, v16
	v_sub_f32_e32 v18, v16, v17
	v_fma_f32 v16, v15, s9, -v16
	v_fmac_f32_e32 v16, 0x32a5705f, v15
	v_add_f32_e32 v16, v18, v16
	v_cvt_i32_f32_e32 v17, v17
	v_exp_f32_e32 v16, v16
	v_cmp_ngt_f32_e32 vcc, s12, v15
	v_ldexp_f32 v16, v16, v17
	v_cndmask_b32_e32 v16, 0, v16, vcc
	v_cmp_nlt_f32_e32 vcc, s13, v15
	v_cndmask_b32_e32 v15, v11, v16, vcc
	v_add_f32_e32 v15, 1.0, v15
	v_rcp_f32_e32 v15, v15
	v_fma_f32 v15, v15, -2.0, 1.0
.LBB165_43:                             ;   in Loop: Header=BB165_41 Depth=1
	s_andn2_saveexec_b64 s[0:1], s[0:1]
; %bb.44:                               ;   in Loop: Header=BB165_41 Depth=1
	v_mul_f32_e32 v15, v14, v14
	v_mov_b32_e32 v16, 0x3ca908c9
	v_fmac_f32_e32 v16, 0xbbbac73d, v15
	v_fma_f32 v16, v15, v16, v6
	v_fma_f32 v16, v15, v16, v7
	;; [unrolled: 1-line block ×3, first 2 shown]
	v_mul_f32_e64 v16, |v14|, v16
	v_fma_f32 v15, v15, v16, |v14|
; %bb.45:                               ;   in Loop: Header=BB165_41 Depth=1
	s_or_b64 exec, exec, s[0:1]
	v_and_b32_e32 v16, 0xffff0000, v0
	v_cmp_nlt_f32_e64 s[0:1], |v16|, s8
                                        ; implicit-def: $vgpr17
	s_and_saveexec_b64 s[16:17], s[0:1]
	s_xor_b64 s[0:1], exec, s[16:17]
	s_cbranch_execz .LBB165_47
; %bb.46:                               ;   in Loop: Header=BB165_41 Depth=1
	v_add_f32_e64 v17, |v16|, |v16|
	v_mul_f32_e32 v18, 0x3fb8aa3b, v17
	v_rndne_f32_e32 v19, v18
	v_sub_f32_e32 v20, v18, v19
	v_fma_f32 v18, v17, s9, -v18
	v_fmac_f32_e32 v18, 0x32a5705f, v17
	v_add_f32_e32 v18, v20, v18
	v_cvt_i32_f32_e32 v19, v19
	v_exp_f32_e32 v18, v18
	v_cmp_ngt_f32_e32 vcc, s12, v17
	v_ldexp_f32 v18, v18, v19
	v_cndmask_b32_e32 v18, 0, v18, vcc
	v_cmp_nlt_f32_e32 vcc, s13, v17
	v_cndmask_b32_e32 v17, v11, v18, vcc
	v_add_f32_e32 v17, 1.0, v17
	v_rcp_f32_e32 v17, v17
	v_fma_f32 v17, v17, -2.0, 1.0
.LBB165_47:                             ;   in Loop: Header=BB165_41 Depth=1
	s_andn2_saveexec_b64 s[0:1], s[0:1]
; %bb.48:                               ;   in Loop: Header=BB165_41 Depth=1
	v_mul_f32_e32 v17, v16, v16
	v_mov_b32_e32 v18, 0x3ca908c9
	v_fmac_f32_e32 v18, 0xbbbac73d, v17
	v_fma_f32 v18, v17, v18, v6
	v_fma_f32 v18, v17, v18, v7
	;; [unrolled: 1-line block ×3, first 2 shown]
	v_mul_f32_e64 v18, |v16|, v18
	v_fma_f32 v17, v17, v18, |v16|
; %bb.49:                               ;   in Loop: Header=BB165_41 Depth=1
	s_or_b64 exec, exec, s[0:1]
	v_alignbit_b32 v0, v1, v0, 16
	v_and_b32_e32 v0, 0xffff0000, v0
	v_cmp_nlt_f32_e64 s[0:1], |v0|, s8
                                        ; implicit-def: $vgpr18
	s_and_saveexec_b64 s[16:17], s[0:1]
	s_xor_b64 s[0:1], exec, s[16:17]
	s_cbranch_execz .LBB165_51
; %bb.50:                               ;   in Loop: Header=BB165_41 Depth=1
	v_add_f32_e64 v18, |v0|, |v0|
	v_mul_f32_e32 v19, 0x3fb8aa3b, v18
	v_rndne_f32_e32 v20, v19
	v_sub_f32_e32 v21, v19, v20
	v_fma_f32 v19, v18, s9, -v19
	v_fmac_f32_e32 v19, 0x32a5705f, v18
	v_add_f32_e32 v19, v21, v19
	v_cvt_i32_f32_e32 v20, v20
	v_exp_f32_e32 v19, v19
	v_cmp_ngt_f32_e32 vcc, s12, v18
	v_ldexp_f32 v19, v19, v20
	v_cndmask_b32_e32 v19, 0, v19, vcc
	v_cmp_nlt_f32_e32 vcc, s13, v18
	v_cndmask_b32_e32 v18, v11, v19, vcc
	v_add_f32_e32 v18, 1.0, v18
	v_rcp_f32_e32 v18, v18
	v_fma_f32 v18, v18, -2.0, 1.0
.LBB165_51:                             ;   in Loop: Header=BB165_41 Depth=1
	s_andn2_saveexec_b64 s[0:1], s[0:1]
; %bb.52:                               ;   in Loop: Header=BB165_41 Depth=1
	v_mul_f32_e32 v18, v0, v0
	v_mov_b32_e32 v19, 0x3ca908c9
	v_fmac_f32_e32 v19, 0xbbbac73d, v18
	v_fma_f32 v19, v18, v19, v6
	v_fma_f32 v19, v18, v19, v7
	;; [unrolled: 1-line block ×3, first 2 shown]
	v_mul_f32_e64 v19, |v0|, v19
	v_fma_f32 v18, v18, v19, |v0|
; %bb.53:                               ;   in Loop: Header=BB165_41 Depth=1
	s_or_b64 exec, exec, s[0:1]
	v_and_b32_e32 v1, 0xffff0000, v1
	v_cmp_nlt_f32_e64 s[0:1], |v1|, s8
                                        ; implicit-def: $vgpr19
	s_and_saveexec_b64 s[16:17], s[0:1]
	s_xor_b64 s[0:1], exec, s[16:17]
	s_cbranch_execz .LBB165_55
; %bb.54:                               ;   in Loop: Header=BB165_41 Depth=1
	v_add_f32_e64 v19, |v1|, |v1|
	v_mul_f32_e32 v20, 0x3fb8aa3b, v19
	v_rndne_f32_e32 v21, v20
	v_sub_f32_e32 v22, v20, v21
	v_fma_f32 v20, v19, s9, -v20
	v_fmac_f32_e32 v20, 0x32a5705f, v19
	v_add_f32_e32 v20, v22, v20
	v_cvt_i32_f32_e32 v21, v21
	v_exp_f32_e32 v20, v20
	v_cmp_ngt_f32_e32 vcc, s12, v19
	v_ldexp_f32 v20, v20, v21
	v_cndmask_b32_e32 v20, 0, v20, vcc
	v_cmp_nlt_f32_e32 vcc, s13, v19
	v_cndmask_b32_e32 v19, v11, v20, vcc
	v_add_f32_e32 v19, 1.0, v19
	v_rcp_f32_e32 v19, v19
	v_fma_f32 v19, v19, -2.0, 1.0
.LBB165_55:                             ;   in Loop: Header=BB165_41 Depth=1
	s_andn2_saveexec_b64 s[0:1], s[0:1]
	s_cbranch_execz .LBB165_40
; %bb.56:                               ;   in Loop: Header=BB165_41 Depth=1
	v_mul_f32_e32 v19, v1, v1
	v_mov_b32_e32 v20, 0x3ca908c9
	v_fmac_f32_e32 v20, 0xbbbac73d, v19
	v_fma_f32 v20, v19, v20, v6
	v_fma_f32 v20, v19, v20, v7
	;; [unrolled: 1-line block ×3, first 2 shown]
	v_mul_f32_e64 v20, |v1|, v20
	v_fma_f32 v19, v19, v20, |v1|
	s_branch .LBB165_40
.LBB165_57:
	s_endpgm
	.section	.rodata,"a",@progbits
	.p2align	6, 0x0
	.amdhsa_kernel _ZN2at6native12_GLOBAL__N_125multi_tensor_apply_kernelINS1_18TensorListMetadataILi1EEENS1_14UnaryOpFunctorIN3c108BFloat16ELi1ELi1ELi0EEEJNS0_4TanhIfEEEEEvT_T0_DpT1_
		.amdhsa_group_segment_fixed_size 0
		.amdhsa_private_segment_fixed_size 0
		.amdhsa_kernarg_size 3632
		.amdhsa_user_sgpr_count 6
		.amdhsa_user_sgpr_private_segment_buffer 1
		.amdhsa_user_sgpr_dispatch_ptr 0
		.amdhsa_user_sgpr_queue_ptr 0
		.amdhsa_user_sgpr_kernarg_segment_ptr 1
		.amdhsa_user_sgpr_dispatch_id 0
		.amdhsa_user_sgpr_flat_scratch_init 0
		.amdhsa_user_sgpr_kernarg_preload_length 0
		.amdhsa_user_sgpr_kernarg_preload_offset 0
		.amdhsa_user_sgpr_private_segment_size 0
		.amdhsa_uses_dynamic_stack 0
		.amdhsa_system_sgpr_private_segment_wavefront_offset 0
		.amdhsa_system_sgpr_workgroup_id_x 1
		.amdhsa_system_sgpr_workgroup_id_y 0
		.amdhsa_system_sgpr_workgroup_id_z 0
		.amdhsa_system_sgpr_workgroup_info 0
		.amdhsa_system_vgpr_workitem_id 0
		.amdhsa_next_free_vgpr 27
		.amdhsa_next_free_sgpr 35
		.amdhsa_accum_offset 28
		.amdhsa_reserve_vcc 1
		.amdhsa_reserve_flat_scratch 0
		.amdhsa_float_round_mode_32 0
		.amdhsa_float_round_mode_16_64 0
		.amdhsa_float_denorm_mode_32 3
		.amdhsa_float_denorm_mode_16_64 3
		.amdhsa_dx10_clamp 1
		.amdhsa_ieee_mode 1
		.amdhsa_fp16_overflow 0
		.amdhsa_tg_split 0
		.amdhsa_exception_fp_ieee_invalid_op 0
		.amdhsa_exception_fp_denorm_src 0
		.amdhsa_exception_fp_ieee_div_zero 0
		.amdhsa_exception_fp_ieee_overflow 0
		.amdhsa_exception_fp_ieee_underflow 0
		.amdhsa_exception_fp_ieee_inexact 0
		.amdhsa_exception_int_div_zero 0
	.end_amdhsa_kernel
	.section	.text._ZN2at6native12_GLOBAL__N_125multi_tensor_apply_kernelINS1_18TensorListMetadataILi1EEENS1_14UnaryOpFunctorIN3c108BFloat16ELi1ELi1ELi0EEEJNS0_4TanhIfEEEEEvT_T0_DpT1_,"axG",@progbits,_ZN2at6native12_GLOBAL__N_125multi_tensor_apply_kernelINS1_18TensorListMetadataILi1EEENS1_14UnaryOpFunctorIN3c108BFloat16ELi1ELi1ELi0EEEJNS0_4TanhIfEEEEEvT_T0_DpT1_,comdat
.Lfunc_end165:
	.size	_ZN2at6native12_GLOBAL__N_125multi_tensor_apply_kernelINS1_18TensorListMetadataILi1EEENS1_14UnaryOpFunctorIN3c108BFloat16ELi1ELi1ELi0EEEJNS0_4TanhIfEEEEEvT_T0_DpT1_, .Lfunc_end165-_ZN2at6native12_GLOBAL__N_125multi_tensor_apply_kernelINS1_18TensorListMetadataILi1EEENS1_14UnaryOpFunctorIN3c108BFloat16ELi1ELi1ELi0EEEJNS0_4TanhIfEEEEEvT_T0_DpT1_
                                        ; -- End function
	.section	.AMDGPU.csdata,"",@progbits
; Kernel info:
; codeLenInByte = 3036
; NumSgprs: 39
; NumVgprs: 27
; NumAgprs: 0
; TotalNumVgprs: 27
; ScratchSize: 0
; MemoryBound: 0
; FloatMode: 240
; IeeeMode: 1
; LDSByteSize: 0 bytes/workgroup (compile time only)
; SGPRBlocks: 4
; VGPRBlocks: 3
; NumSGPRsForWavesPerEU: 39
; NumVGPRsForWavesPerEU: 27
; AccumOffset: 28
; Occupancy: 8
; WaveLimiterHint : 0
; COMPUTE_PGM_RSRC2:SCRATCH_EN: 0
; COMPUTE_PGM_RSRC2:USER_SGPR: 6
; COMPUTE_PGM_RSRC2:TRAP_HANDLER: 0
; COMPUTE_PGM_RSRC2:TGID_X_EN: 1
; COMPUTE_PGM_RSRC2:TGID_Y_EN: 0
; COMPUTE_PGM_RSRC2:TGID_Z_EN: 0
; COMPUTE_PGM_RSRC2:TIDIG_COMP_CNT: 0
; COMPUTE_PGM_RSRC3_GFX90A:ACCUM_OFFSET: 6
; COMPUTE_PGM_RSRC3_GFX90A:TG_SPLIT: 0
	.section	.text._ZN2at6native12_GLOBAL__N_125multi_tensor_apply_kernelINS1_18TensorListMetadataILi2EEENS1_14UnaryOpFunctorIdLi2ELi1ELi1EEEJNS0_3LogIdEEEEEvT_T0_DpT1_,"axG",@progbits,_ZN2at6native12_GLOBAL__N_125multi_tensor_apply_kernelINS1_18TensorListMetadataILi2EEENS1_14UnaryOpFunctorIdLi2ELi1ELi1EEEJNS0_3LogIdEEEEEvT_T0_DpT1_,comdat
	.globl	_ZN2at6native12_GLOBAL__N_125multi_tensor_apply_kernelINS1_18TensorListMetadataILi2EEENS1_14UnaryOpFunctorIdLi2ELi1ELi1EEEJNS0_3LogIdEEEEEvT_T0_DpT1_ ; -- Begin function _ZN2at6native12_GLOBAL__N_125multi_tensor_apply_kernelINS1_18TensorListMetadataILi2EEENS1_14UnaryOpFunctorIdLi2ELi1ELi1EEEJNS0_3LogIdEEEEEvT_T0_DpT1_
	.p2align	8
	.type	_ZN2at6native12_GLOBAL__N_125multi_tensor_apply_kernelINS1_18TensorListMetadataILi2EEENS1_14UnaryOpFunctorIdLi2ELi1ELi1EEEJNS0_3LogIdEEEEEvT_T0_DpT1_,@function
_ZN2at6native12_GLOBAL__N_125multi_tensor_apply_kernelINS1_18TensorListMetadataILi2EEENS1_14UnaryOpFunctorIdLi2ELi1ELi1EEEJNS0_3LogIdEEEEEvT_T0_DpT1_: ; @_ZN2at6native12_GLOBAL__N_125multi_tensor_apply_kernelINS1_18TensorListMetadataILi2EEENS1_14UnaryOpFunctorIdLi2ELi1ELi1EEEJNS0_3LogIdEEEEEvT_T0_DpT1_
; %bb.0:
	v_mov_b32_e32 v1, s6
	global_load_ubyte v1, v1, s[4:5] offset:1536
	s_add_u32 s0, s4, s6
	s_mul_hi_u32 s3, s6, 3
	s_mul_i32 s6, s6, 3
	s_addc_u32 s7, s5, 0
	s_add_u32 s2, s0, s6
	s_addc_u32 s3, s7, s3
	s_load_dword s14, s[2:3], 0x740
	s_mov_b32 s1, 0
	s_mov_b32 s13, s1
	;; [unrolled: 1-line block ×3, first 2 shown]
	s_waitcnt lgkmcnt(0)
	s_ashr_i32 s15, s14, 31
	s_lshl_b64 s[8:9], s[14:15], 19
	s_waitcnt vmcnt(0)
	v_readfirstlane_b32 s0, v1
	s_lshl_b32 s0, s0, 3
	s_load_dwordx2 s[6:7], s[4:5], s0 offset:0x0
	s_load_dwordx2 s[16:17], s[4:5], s0 offset:0x400
	;; [unrolled: 1-line block ×3, first 2 shown]
	s_waitcnt lgkmcnt(0)
	s_add_u32 s33, s6, s8
	s_addc_u32 s38, s7, s9
	s_and_b32 s0, s33, 31
	s_add_u32 s39, s2, s8
	s_addc_u32 s40, s3, s9
	s_and_b32 s12, s16, 3
	s_and_b32 s10, s39, 31
	s_or_b64 s[12:13], s[0:1], s[12:13]
	s_or_b64 s[12:13], s[10:11], s[12:13]
	s_lshl_b64 s[10:11], s[14:15], 16
	s_sub_u32 s10, s16, s10
	s_subb_u32 s11, s17, s11
	s_cmp_eq_u64 s[12:13], 0
	s_mov_b64 s[12:13], -1
	s_cbranch_scc0 .LBB166_5
; %bb.1:
	v_mov_b32_e32 v14, 0
	v_lshlrev_b32_e32 v2, 2, v0
	v_mov_b32_e32 v3, v14
	v_cmp_gt_i64_e32 vcc, s[10:11], v[2:3]
	s_and_saveexec_b64 s[12:13], vcc
	s_cbranch_execz .LBB166_4
; %bb.2:
	s_load_dword s0, s[4:5], 0xc5c
	s_mov_b32 s20, 0x6b47b09a
	s_mov_b32 s16, 0x55555555
	;; [unrolled: 1-line block ×4, first 2 shown]
	s_waitcnt lgkmcnt(0)
	s_and_b32 s0, s0, 0xffff
	s_mov_b32 s18, 0xbf559e2b
	v_pk_mov_b32 v[20:21], s[20:21], s[20:21] op_sel:[0,1]
	s_mov_b32 s20, 0xd7f4df2e
	s_mov_b32 s22, 0x16291751
	;; [unrolled: 1-line block ×6, first 2 shown]
	v_mov_b32_e32 v17, v14
	v_lshlrev_b32_e32 v18, 5, v0
	v_add_lshl_u32 v16, v0, s0, 2
	s_lshl_b32 s41, s0, 2
	s_lshl_b32 s42, s0, 5
	s_mov_b64 s[14:15], 0
	v_mov_b32_e32 v1, 0x3ff00000
	s_mov_b32 s19, 0x3fc3ab76
	s_mov_b32 s21, 0x3fc7474d
	;; [unrolled: 1-line block ×9, first 2 shown]
	s_movk_i32 s43, 0x204
	v_mov_b32_e32 v19, 0x7ff80000
	v_mov_b32_e32 v22, 0xfff00000
	s_mov_b64 s[36:37], 0xffff
	v_mov_b32_e32 v23, s1
.LBB166_3:                              ; =>This Inner Loop Header: Depth=1
	v_add_co_u32_e32 v2, vcc, s33, v18
	v_mov_b32_e32 v3, s38
	v_addc_co_u32_e32 v3, vcc, 0, v3, vcc
	global_load_dwordx4 v[6:9], v[2:3], off offset:16
	global_load_dwordx4 v[10:13], v[2:3], off
	v_cmp_lt_u64_e64 s[0:1], s[36:37], v[16:17]
	s_waitcnt vmcnt(0)
	v_frexp_mant_f64_e32 v[2:3], v[10:11]
	v_cmp_gt_f64_e32 vcc, s[16:17], v[2:3]
	v_cndmask_b32_e64 v15, v1, 2.0, vcc
	v_mul_f64 v[2:3], v[2:3], v[14:15]
	v_add_f64 v[24:25], v[2:3], 1.0
	v_frexp_exp_i32_f64_e32 v4, v[10:11]
	v_add_f64 v[26:27], v[24:25], -1.0
	v_subbrev_co_u32_e32 v15, vcc, 0, v4, vcc
	v_add_f64 v[4:5], v[2:3], -1.0
	v_add_f64 v[2:3], v[2:3], -v[26:27]
	v_rcp_f64_e32 v[26:27], v[24:25]
	v_cmp_class_f64_e64 vcc, v[10:11], s43
	v_fma_f64 v[28:29], -v[24:25], v[26:27], 1.0
	v_fmac_f64_e32 v[26:27], v[28:29], v[26:27]
	v_fma_f64 v[28:29], -v[24:25], v[26:27], 1.0
	v_fmac_f64_e32 v[26:27], v[28:29], v[26:27]
	v_mul_f64 v[28:29], v[4:5], v[26:27]
	v_mul_f64 v[30:31], v[24:25], v[28:29]
	v_fma_f64 v[24:25], v[28:29], v[24:25], -v[30:31]
	v_fmac_f64_e32 v[24:25], v[28:29], v[2:3]
	v_add_f64 v[2:3], v[30:31], v[24:25]
	v_add_f64 v[32:33], v[4:5], -v[2:3]
	v_add_f64 v[30:31], v[2:3], -v[30:31]
	;; [unrolled: 1-line block ×5, first 2 shown]
	v_add_f64 v[2:3], v[4:5], v[2:3]
	v_add_f64 v[2:3], v[32:33], v[2:3]
	v_mul_f64 v[2:3], v[26:27], v[2:3]
	v_add_f64 v[4:5], v[28:29], v[2:3]
	v_add_f64 v[24:25], v[4:5], -v[28:29]
	v_add_f64 v[2:3], v[2:3], -v[24:25]
	v_mul_f64 v[24:25], v[4:5], v[4:5]
	v_fma_f64 v[26:27], s[18:19], v[24:25], v[20:21]
	v_fma_f64 v[26:27], v[24:25], v[26:27], s[20:21]
	;; [unrolled: 1-line block ×6, first 2 shown]
	v_ldexp_f64 v[28:29], v[4:5], 1
	v_mul_f64 v[4:5], v[4:5], v[24:25]
	v_mul_f64 v[4:5], v[4:5], v[26:27]
	v_add_f64 v[24:25], v[28:29], v[4:5]
	v_add_f64 v[26:27], v[24:25], -v[28:29]
	v_ldexp_f64 v[2:3], v[2:3], 1
	v_add_f64 v[4:5], v[4:5], -v[26:27]
	v_add_f64 v[2:3], v[2:3], v[4:5]
	v_add_f64 v[4:5], v[24:25], v[2:3]
	v_add_f64 v[24:25], v[4:5], -v[24:25]
	v_add_f64 v[2:3], v[2:3], -v[24:25]
	v_cvt_f64_i32_e32 v[24:25], v15
	v_mul_f64 v[26:27], v[24:25], s[30:31]
	v_fma_f64 v[28:29], v[24:25], s[30:31], -v[26:27]
	v_fmac_f64_e32 v[28:29], s[34:35], v[24:25]
	v_add_f64 v[24:25], v[26:27], v[28:29]
	v_add_f64 v[26:27], v[24:25], -v[26:27]
	v_add_f64 v[26:27], v[28:29], -v[26:27]
	v_add_f64 v[28:29], v[24:25], v[4:5]
	v_add_f64 v[30:31], v[28:29], -v[24:25]
	v_add_f64 v[32:33], v[28:29], -v[30:31]
	;; [unrolled: 1-line block ×4, first 2 shown]
	v_add_f64 v[4:5], v[4:5], v[24:25]
	v_add_f64 v[24:25], v[26:27], v[2:3]
	v_add_f64 v[30:31], v[24:25], -v[26:27]
	v_add_f64 v[32:33], v[24:25], -v[30:31]
	v_add_f64 v[4:5], v[24:25], v[4:5]
	v_add_f64 v[26:27], v[26:27], -v[32:33]
	v_add_f64 v[2:3], v[2:3], -v[30:31]
	v_add_f64 v[24:25], v[28:29], v[4:5]
	v_add_f64 v[2:3], v[2:3], v[26:27]
	v_add_f64 v[26:27], v[24:25], -v[28:29]
	v_add_f64 v[4:5], v[4:5], -v[26:27]
	v_add_f64 v[2:3], v[2:3], v[4:5]
	v_add_f64 v[2:3], v[24:25], v[2:3]
	v_cndmask_b32_e32 v2, v2, v10, vcc
	v_cndmask_b32_e32 v3, v3, v11, vcc
	v_cmp_ngt_f64_e32 vcc, 0, v[10:11]
	v_cndmask_b32_e32 v3, v19, v3, vcc
	v_cmp_nge_f64_e32 vcc, 0, v[10:11]
	v_cndmask_b32_e32 v2, 0, v2, vcc
	v_cmp_neq_f64_e32 vcc, 0, v[10:11]
	v_frexp_mant_f64_e32 v[4:5], v[12:13]
	v_cndmask_b32_e32 v3, v22, v3, vcc
	v_cmp_gt_f64_e32 vcc, s[16:17], v[4:5]
	v_cndmask_b32_e64 v15, v1, 2.0, vcc
	v_mul_f64 v[4:5], v[4:5], v[14:15]
	v_add_f64 v[24:25], v[4:5], 1.0
	v_frexp_exp_i32_f64_e32 v10, v[12:13]
	v_add_f64 v[26:27], v[24:25], -1.0
	v_subbrev_co_u32_e32 v15, vcc, 0, v10, vcc
	v_add_f64 v[10:11], v[4:5], -1.0
	v_add_f64 v[4:5], v[4:5], -v[26:27]
	v_rcp_f64_e32 v[26:27], v[24:25]
	v_cmp_class_f64_e64 vcc, v[12:13], s43
	v_fma_f64 v[28:29], -v[24:25], v[26:27], 1.0
	v_fmac_f64_e32 v[26:27], v[28:29], v[26:27]
	v_fma_f64 v[28:29], -v[24:25], v[26:27], 1.0
	v_fmac_f64_e32 v[26:27], v[28:29], v[26:27]
	v_mul_f64 v[28:29], v[10:11], v[26:27]
	v_mul_f64 v[30:31], v[24:25], v[28:29]
	v_fma_f64 v[24:25], v[28:29], v[24:25], -v[30:31]
	v_fmac_f64_e32 v[24:25], v[28:29], v[4:5]
	v_add_f64 v[4:5], v[30:31], v[24:25]
	v_add_f64 v[32:33], v[10:11], -v[4:5]
	v_add_f64 v[30:31], v[4:5], -v[30:31]
	;; [unrolled: 1-line block ×5, first 2 shown]
	v_add_f64 v[4:5], v[10:11], v[4:5]
	v_add_f64 v[4:5], v[32:33], v[4:5]
	v_mul_f64 v[4:5], v[26:27], v[4:5]
	v_add_f64 v[10:11], v[28:29], v[4:5]
	v_add_f64 v[24:25], v[10:11], -v[28:29]
	v_add_f64 v[4:5], v[4:5], -v[24:25]
	v_mul_f64 v[24:25], v[10:11], v[10:11]
	v_fma_f64 v[26:27], s[18:19], v[24:25], v[20:21]
	v_fma_f64 v[26:27], v[24:25], v[26:27], s[20:21]
	v_fma_f64 v[26:27], v[24:25], v[26:27], s[22:23]
	v_fma_f64 v[26:27], v[24:25], v[26:27], s[24:25]
	v_fma_f64 v[26:27], v[24:25], v[26:27], s[26:27]
	v_fma_f64 v[26:27], v[24:25], v[26:27], s[28:29]
	v_ldexp_f64 v[28:29], v[10:11], 1
	v_mul_f64 v[10:11], v[10:11], v[24:25]
	v_mul_f64 v[10:11], v[10:11], v[26:27]
	v_add_f64 v[24:25], v[28:29], v[10:11]
	v_add_f64 v[26:27], v[24:25], -v[28:29]
	v_ldexp_f64 v[4:5], v[4:5], 1
	v_add_f64 v[10:11], v[10:11], -v[26:27]
	v_add_f64 v[4:5], v[4:5], v[10:11]
	v_add_f64 v[10:11], v[24:25], v[4:5]
	v_add_f64 v[24:25], v[10:11], -v[24:25]
	v_add_f64 v[4:5], v[4:5], -v[24:25]
	v_cvt_f64_i32_e32 v[24:25], v15
	v_mul_f64 v[26:27], v[24:25], s[30:31]
	v_fma_f64 v[28:29], v[24:25], s[30:31], -v[26:27]
	v_fmac_f64_e32 v[28:29], s[34:35], v[24:25]
	v_add_f64 v[24:25], v[26:27], v[28:29]
	v_add_f64 v[26:27], v[24:25], -v[26:27]
	v_add_f64 v[26:27], v[28:29], -v[26:27]
	v_add_f64 v[28:29], v[24:25], v[10:11]
	v_add_f64 v[30:31], v[28:29], -v[24:25]
	v_add_f64 v[32:33], v[28:29], -v[30:31]
	;; [unrolled: 1-line block ×4, first 2 shown]
	v_add_f64 v[10:11], v[10:11], v[24:25]
	v_add_f64 v[24:25], v[26:27], v[4:5]
	v_add_f64 v[30:31], v[24:25], -v[26:27]
	v_add_f64 v[32:33], v[24:25], -v[30:31]
	v_add_f64 v[10:11], v[24:25], v[10:11]
	v_add_f64 v[26:27], v[26:27], -v[32:33]
	v_add_f64 v[4:5], v[4:5], -v[30:31]
	v_add_f64 v[24:25], v[28:29], v[10:11]
	v_add_f64 v[4:5], v[4:5], v[26:27]
	v_add_f64 v[26:27], v[24:25], -v[28:29]
	v_add_f64 v[10:11], v[10:11], -v[26:27]
	v_add_f64 v[4:5], v[4:5], v[10:11]
	v_add_f64 v[4:5], v[24:25], v[4:5]
	v_cndmask_b32_e32 v4, v4, v12, vcc
	v_cndmask_b32_e32 v5, v5, v13, vcc
	v_cmp_ngt_f64_e32 vcc, 0, v[12:13]
	v_cndmask_b32_e32 v5, v19, v5, vcc
	v_cmp_nge_f64_e32 vcc, 0, v[12:13]
	v_cndmask_b32_e32 v4, 0, v4, vcc
	v_cmp_neq_f64_e32 vcc, 0, v[12:13]
	v_frexp_mant_f64_e32 v[10:11], v[6:7]
	v_cndmask_b32_e32 v5, v22, v5, vcc
	v_cmp_gt_f64_e32 vcc, s[16:17], v[10:11]
	v_cndmask_b32_e64 v15, v1, 2.0, vcc
	v_mul_f64 v[10:11], v[10:11], v[14:15]
	v_add_f64 v[24:25], v[10:11], 1.0
	v_frexp_exp_i32_f64_e32 v12, v[6:7]
	v_add_f64 v[26:27], v[24:25], -1.0
	v_subbrev_co_u32_e32 v15, vcc, 0, v12, vcc
	v_add_f64 v[12:13], v[10:11], -1.0
	v_add_f64 v[10:11], v[10:11], -v[26:27]
	v_rcp_f64_e32 v[26:27], v[24:25]
	v_cmp_class_f64_e64 vcc, v[6:7], s43
	v_fma_f64 v[28:29], -v[24:25], v[26:27], 1.0
	v_fmac_f64_e32 v[26:27], v[28:29], v[26:27]
	v_fma_f64 v[28:29], -v[24:25], v[26:27], 1.0
	v_fmac_f64_e32 v[26:27], v[28:29], v[26:27]
	v_mul_f64 v[28:29], v[12:13], v[26:27]
	v_mul_f64 v[30:31], v[24:25], v[28:29]
	v_fma_f64 v[24:25], v[28:29], v[24:25], -v[30:31]
	v_fmac_f64_e32 v[24:25], v[28:29], v[10:11]
	v_add_f64 v[10:11], v[30:31], v[24:25]
	v_add_f64 v[32:33], v[12:13], -v[10:11]
	v_add_f64 v[30:31], v[10:11], -v[30:31]
	;; [unrolled: 1-line block ×5, first 2 shown]
	v_add_f64 v[10:11], v[12:13], v[10:11]
	v_add_f64 v[10:11], v[32:33], v[10:11]
	v_mul_f64 v[10:11], v[26:27], v[10:11]
	v_add_f64 v[12:13], v[28:29], v[10:11]
	v_add_f64 v[24:25], v[12:13], -v[28:29]
	v_add_f64 v[10:11], v[10:11], -v[24:25]
	v_mul_f64 v[24:25], v[12:13], v[12:13]
	v_fma_f64 v[26:27], s[18:19], v[24:25], v[20:21]
	v_fma_f64 v[26:27], v[24:25], v[26:27], s[20:21]
	;; [unrolled: 1-line block ×6, first 2 shown]
	v_ldexp_f64 v[28:29], v[12:13], 1
	v_mul_f64 v[12:13], v[12:13], v[24:25]
	v_mul_f64 v[12:13], v[12:13], v[26:27]
	v_add_f64 v[24:25], v[28:29], v[12:13]
	v_add_f64 v[26:27], v[24:25], -v[28:29]
	v_ldexp_f64 v[10:11], v[10:11], 1
	v_add_f64 v[12:13], v[12:13], -v[26:27]
	v_add_f64 v[10:11], v[10:11], v[12:13]
	v_add_f64 v[12:13], v[24:25], v[10:11]
	v_add_f64 v[24:25], v[12:13], -v[24:25]
	v_add_f64 v[10:11], v[10:11], -v[24:25]
	v_cvt_f64_i32_e32 v[24:25], v15
	v_mul_f64 v[26:27], v[24:25], s[30:31]
	v_fma_f64 v[28:29], v[24:25], s[30:31], -v[26:27]
	v_fmac_f64_e32 v[28:29], s[34:35], v[24:25]
	v_add_f64 v[24:25], v[26:27], v[28:29]
	v_add_f64 v[26:27], v[24:25], -v[26:27]
	v_add_f64 v[26:27], v[28:29], -v[26:27]
	v_add_f64 v[28:29], v[24:25], v[12:13]
	v_add_f64 v[30:31], v[28:29], -v[24:25]
	v_add_f64 v[32:33], v[28:29], -v[30:31]
	;; [unrolled: 1-line block ×4, first 2 shown]
	v_add_f64 v[12:13], v[12:13], v[24:25]
	v_add_f64 v[24:25], v[26:27], v[10:11]
	v_add_f64 v[30:31], v[24:25], -v[26:27]
	v_add_f64 v[32:33], v[24:25], -v[30:31]
	v_add_f64 v[12:13], v[24:25], v[12:13]
	v_add_f64 v[26:27], v[26:27], -v[32:33]
	v_add_f64 v[10:11], v[10:11], -v[30:31]
	v_add_f64 v[24:25], v[28:29], v[12:13]
	v_add_f64 v[10:11], v[10:11], v[26:27]
	v_add_f64 v[26:27], v[24:25], -v[28:29]
	v_add_f64 v[12:13], v[12:13], -v[26:27]
	v_add_f64 v[10:11], v[10:11], v[12:13]
	v_add_f64 v[10:11], v[24:25], v[10:11]
	v_cndmask_b32_e32 v10, v10, v6, vcc
	v_cndmask_b32_e32 v11, v11, v7, vcc
	v_cmp_ngt_f64_e32 vcc, 0, v[6:7]
	v_cndmask_b32_e32 v11, v19, v11, vcc
	v_cmp_nge_f64_e32 vcc, 0, v[6:7]
	v_cndmask_b32_e32 v10, 0, v10, vcc
	v_cmp_neq_f64_e32 vcc, 0, v[6:7]
	v_frexp_mant_f64_e32 v[6:7], v[8:9]
	v_cndmask_b32_e32 v11, v22, v11, vcc
	v_cmp_gt_f64_e32 vcc, s[16:17], v[6:7]
	v_cndmask_b32_e64 v15, v1, 2.0, vcc
	v_mul_f64 v[6:7], v[6:7], v[14:15]
	v_add_f64 v[24:25], v[6:7], 1.0
	v_frexp_exp_i32_f64_e32 v12, v[8:9]
	v_add_f64 v[26:27], v[24:25], -1.0
	v_subbrev_co_u32_e32 v15, vcc, 0, v12, vcc
	v_add_f64 v[12:13], v[6:7], -1.0
	v_add_f64 v[6:7], v[6:7], -v[26:27]
	v_rcp_f64_e32 v[26:27], v[24:25]
	v_cmp_class_f64_e64 vcc, v[8:9], s43
	v_fma_f64 v[28:29], -v[24:25], v[26:27], 1.0
	v_fmac_f64_e32 v[26:27], v[28:29], v[26:27]
	v_fma_f64 v[28:29], -v[24:25], v[26:27], 1.0
	v_fmac_f64_e32 v[26:27], v[28:29], v[26:27]
	v_mul_f64 v[28:29], v[12:13], v[26:27]
	v_mul_f64 v[30:31], v[24:25], v[28:29]
	v_fma_f64 v[24:25], v[28:29], v[24:25], -v[30:31]
	v_fmac_f64_e32 v[24:25], v[28:29], v[6:7]
	v_add_f64 v[6:7], v[30:31], v[24:25]
	v_add_f64 v[32:33], v[12:13], -v[6:7]
	v_add_f64 v[30:31], v[6:7], -v[30:31]
	;; [unrolled: 1-line block ×5, first 2 shown]
	v_add_f64 v[6:7], v[12:13], v[6:7]
	v_add_f64 v[6:7], v[32:33], v[6:7]
	v_mul_f64 v[6:7], v[26:27], v[6:7]
	v_add_f64 v[12:13], v[28:29], v[6:7]
	v_add_f64 v[24:25], v[12:13], -v[28:29]
	v_add_f64 v[6:7], v[6:7], -v[24:25]
	v_mul_f64 v[24:25], v[12:13], v[12:13]
	v_fma_f64 v[26:27], s[18:19], v[24:25], v[20:21]
	v_fma_f64 v[26:27], v[24:25], v[26:27], s[20:21]
	;; [unrolled: 1-line block ×6, first 2 shown]
	v_ldexp_f64 v[28:29], v[12:13], 1
	v_mul_f64 v[12:13], v[12:13], v[24:25]
	v_mul_f64 v[12:13], v[12:13], v[26:27]
	v_add_f64 v[24:25], v[28:29], v[12:13]
	v_add_f64 v[26:27], v[24:25], -v[28:29]
	v_ldexp_f64 v[6:7], v[6:7], 1
	v_add_f64 v[12:13], v[12:13], -v[26:27]
	v_add_f64 v[6:7], v[6:7], v[12:13]
	v_add_f64 v[12:13], v[24:25], v[6:7]
	v_add_f64 v[24:25], v[12:13], -v[24:25]
	v_add_f64 v[6:7], v[6:7], -v[24:25]
	v_cvt_f64_i32_e32 v[24:25], v15
	v_mul_f64 v[26:27], v[24:25], s[30:31]
	v_fma_f64 v[28:29], v[24:25], s[30:31], -v[26:27]
	v_fmac_f64_e32 v[28:29], s[34:35], v[24:25]
	v_add_f64 v[24:25], v[26:27], v[28:29]
	v_add_f64 v[26:27], v[24:25], -v[26:27]
	v_add_f64 v[26:27], v[28:29], -v[26:27]
	v_add_f64 v[28:29], v[24:25], v[12:13]
	v_add_f64 v[30:31], v[28:29], -v[24:25]
	v_add_f64 v[32:33], v[28:29], -v[30:31]
	;; [unrolled: 1-line block ×4, first 2 shown]
	v_add_f64 v[12:13], v[12:13], v[24:25]
	v_add_f64 v[24:25], v[26:27], v[6:7]
	v_add_f64 v[30:31], v[24:25], -v[26:27]
	v_add_f64 v[32:33], v[24:25], -v[30:31]
	v_add_f64 v[12:13], v[24:25], v[12:13]
	v_add_f64 v[26:27], v[26:27], -v[32:33]
	v_add_f64 v[6:7], v[6:7], -v[30:31]
	v_add_f64 v[24:25], v[28:29], v[12:13]
	v_add_f64 v[6:7], v[6:7], v[26:27]
	v_add_f64 v[26:27], v[24:25], -v[28:29]
	v_add_f64 v[12:13], v[12:13], -v[26:27]
	v_add_f64 v[6:7], v[6:7], v[12:13]
	v_add_f64 v[6:7], v[24:25], v[6:7]
	v_cndmask_b32_e32 v6, v6, v8, vcc
	v_cndmask_b32_e32 v7, v7, v9, vcc
	v_cmp_ngt_f64_e32 vcc, 0, v[8:9]
	v_cndmask_b32_e32 v7, v19, v7, vcc
	v_cmp_nge_f64_e32 vcc, 0, v[8:9]
	v_cndmask_b32_e32 v12, 0, v6, vcc
	v_cmp_neq_f64_e32 vcc, 0, v[8:9]
	v_cndmask_b32_e32 v13, v22, v7, vcc
	v_add_co_u32_e32 v6, vcc, s39, v18
	v_mov_b32_e32 v7, s40
	v_addc_co_u32_e32 v7, vcc, 0, v7, vcc
	v_cmp_le_i64_e32 vcc, s[10:11], v[16:17]
	s_or_b64 s[0:1], vcc, s[0:1]
	s_add_u32 s33, s33, s42
	s_addc_u32 s38, s38, 0
	s_add_u32 s39, s39, s42
	s_addc_u32 s40, s40, 0
	v_add_co_u32_e32 v16, vcc, s41, v16
	s_and_b64 s[0:1], exec, s[0:1]
	v_addc_co_u32_e32 v17, vcc, v17, v23, vcc
	s_or_b64 s[14:15], s[0:1], s[14:15]
	global_store_dwordx4 v[6:7], v[2:5], off
	global_store_dwordx4 v[6:7], v[10:13], off offset:16
	s_andn2_b64 exec, exec, s[14:15]
	s_cbranch_execnz .LBB166_3
.LBB166_4:
	s_or_b64 exec, exec, s[12:13]
	s_mov_b64 s[12:13], 0
.LBB166_5:
	s_andn2_b64 vcc, exec, s[12:13]
	s_cbranch_vccnz .LBB166_25
; %bb.6:
	v_cmp_lt_i64_e64 s[0:1], s[10:11], 1
	s_and_b64 vcc, exec, s[0:1]
	s_cbranch_vccnz .LBB166_25
; %bb.7:
	s_load_dword s0, s[4:5], 0xc5c
	v_mov_b32_e32 v4, 0x10000
	v_mov_b32_e32 v5, 0
	v_cmp_lt_u64_e32 vcc, s[10:11], v[4:5]
	v_lshlrev_b32_e32 v12, 3, v0
	s_waitcnt lgkmcnt(0)
	s_and_b32 s4, s0, 0xffff
	s_and_b64 s[0:1], vcc, exec
	v_mov_b32_e32 v3, s7
	v_add_co_u32_e32 v4, vcc, s6, v12
	v_mov_b32_e32 v2, 0
	v_addc_co_u32_e32 v1, vcc, 0, v3, vcc
	v_mov_b32_e32 v13, v2
	v_mov_b32_e32 v17, s3
	v_add_co_u32_e32 v6, vcc, s2, v12
	v_addc_co_u32_e32 v5, vcc, 0, v17, vcc
	v_mad_u64_u32 v[10:11], s[0:1], s4, 24, v[12:13]
	v_add_co_u32_e32 v8, vcc, s6, v10
	v_addc_co_u32_e32 v7, vcc, v3, v11, vcc
	v_add_co_u32_e32 v10, vcc, s2, v10
	s_mul_i32 s14, s4, 3
	v_addc_co_u32_e32 v9, vcc, v17, v11, vcc
	v_add_co_u32_e32 v19, vcc, s14, v0
	v_addc_co_u32_e64 v40, s[0:1], 0, 0, vcc
	s_cselect_b32 s13, s11, 0
	s_cselect_b32 s12, s10, 0x10000
	s_lshl_b32 s0, s4, 4
	v_add_co_u32_e32 v13, vcc, s0, v12
	v_addc_co_u32_e64 v15, s[0:1], 0, 0, vcc
	v_add_co_u32_e32 v12, vcc, s6, v13
	v_addc_co_u32_e32 v11, vcc, v3, v15, vcc
	v_add_co_u32_e32 v14, vcc, s2, v13
	s_lshl_b32 s5, s4, 1
	v_addc_co_u32_e32 v13, vcc, v17, v15, vcc
	v_add_co_u32_e32 v41, vcc, s5, v0
	v_addc_co_u32_e64 v42, s[0:1], 0, 0, vcc
	v_add_co_u32_e32 v43, vcc, s4, v0
	v_lshlrev_b32_e32 v18, 3, v43
	v_addc_co_u32_e64 v44, s[0:1], 0, 0, vcc
	v_add_co_u32_e32 v16, vcc, s6, v18
	v_addc_co_u32_e32 v15, vcc, 0, v3, vcc
	v_add_co_u32_e32 v18, vcc, s2, v18
	s_mov_b32 s16, 0x55555555
	s_mov_b32 s18, 0xfefa39ef
	;; [unrolled: 1-line block ×5, first 2 shown]
	s_lshl_b32 s27, s4, 2
	s_lshl_b32 s28, s4, 5
	v_addc_co_u32_e32 v17, vcc, 0, v17, vcc
	s_mov_b64 s[14:15], 0
	s_movk_i32 s29, 0x204
	s_mov_b32 s17, 0x3fe55555
	s_mov_b32 s19, 0x3fe62e42
	;; [unrolled: 1-line block ×4, first 2 shown]
	v_mov_b32_e32 v45, 0x3ff00000
	v_mov_b32_e32 v20, 0x6b47b09a
	;; [unrolled: 1-line block ×15, first 2 shown]
	s_branch .LBB166_9
.LBB166_8:                              ;   in Loop: Header=BB166_9 Depth=1
	s_or_b64 exec, exec, s[0:1]
	s_add_u32 s14, s14, s27
	s_addc_u32 s15, s15, 0
	s_waitcnt vmcnt(0)
	v_pk_mov_b32 v[32:33], s[10:11], s[10:11] op_sel:[0,1]
	v_cmp_ge_i64_e32 vcc, s[14:15], v[32:33]
	v_mov_b32_e32 v32, 0xffff
	v_mov_b32_e32 v33, 0
	v_cmp_gt_u64_e64 s[0:1], s[14:15], v[32:33]
	s_or_b64 s[0:1], vcc, s[0:1]
	v_mov_b32_e32 v3, s26
	v_add_co_u32_e32 v4, vcc, s28, v4
	v_addc_co_u32_e32 v1, vcc, v1, v3, vcc
	v_add_co_u32_e32 v6, vcc, s28, v6
	v_addc_co_u32_e32 v5, vcc, v5, v3, vcc
	;; [unrolled: 2-line block ×8, first 2 shown]
	s_and_b64 vcc, exec, s[0:1]
	s_cbranch_vccnz .LBB166_25
.LBB166_9:                              ; =>This Inner Loop Header: Depth=1
	v_mov_b32_e32 v3, s15
	v_add_co_u32_e32 v32, vcc, s14, v0
	v_addc_co_u32_e32 v33, vcc, 0, v3, vcc
	v_pk_mov_b32 v[36:37], 0, 0
	v_cmp_gt_u64_e64 s[4:5], s[12:13], v[32:33]
	v_pk_mov_b32 v[38:39], v[36:37], v[36:37] op_sel:[0,1]
	s_and_saveexec_b64 s[0:1], s[4:5]
	s_cbranch_execz .LBB166_11
; %bb.10:                               ;   in Loop: Header=BB166_9 Depth=1
	v_mov_b32_e32 v3, s9
	v_add_co_u32_e32 v32, vcc, s8, v4
	v_addc_co_u32_e32 v33, vcc, v1, v3, vcc
	global_load_dwordx2 v[38:39], v[32:33], off
.LBB166_11:                             ;   in Loop: Header=BB166_9 Depth=1
	s_or_b64 exec, exec, s[0:1]
	v_mov_b32_e32 v3, s15
	v_add_co_u32_e32 v32, vcc, s14, v43
	v_addc_co_u32_e32 v33, vcc, v44, v3, vcc
	v_cmp_gt_u64_e64 s[2:3], s[12:13], v[32:33]
	s_and_saveexec_b64 s[0:1], s[2:3]
	s_cbranch_execz .LBB166_13
; %bb.12:                               ;   in Loop: Header=BB166_9 Depth=1
	v_mov_b32_e32 v3, s9
	v_add_co_u32_e32 v32, vcc, s8, v16
	v_addc_co_u32_e32 v33, vcc, v15, v3, vcc
	global_load_dwordx2 v[36:37], v[32:33], off
.LBB166_13:                             ;   in Loop: Header=BB166_9 Depth=1
	s_or_b64 exec, exec, s[0:1]
	v_mov_b32_e32 v3, s15
	v_add_co_u32_e32 v32, vcc, s14, v41
	v_addc_co_u32_e32 v33, vcc, v42, v3, vcc
	v_cmp_gt_u64_e64 s[0:1], s[12:13], v[32:33]
	v_pk_mov_b32 v[32:33], 0, 0
	v_pk_mov_b32 v[34:35], v[32:33], v[32:33] op_sel:[0,1]
	s_and_saveexec_b64 s[6:7], s[0:1]
	s_cbranch_execz .LBB166_15
; %bb.14:                               ;   in Loop: Header=BB166_9 Depth=1
	v_mov_b32_e32 v3, s9
	v_add_co_u32_e32 v34, vcc, s8, v12
	v_addc_co_u32_e32 v35, vcc, v11, v3, vcc
	global_load_dwordx2 v[34:35], v[34:35], off
.LBB166_15:                             ;   in Loop: Header=BB166_9 Depth=1
	s_or_b64 exec, exec, s[6:7]
	v_mov_b32_e32 v3, s15
	v_add_co_u32_e32 v48, vcc, s14, v19
	v_addc_co_u32_e32 v49, vcc, v40, v3, vcc
	v_cmp_gt_u64_e32 vcc, s[12:13], v[48:49]
	s_and_saveexec_b64 s[24:25], vcc
	s_cbranch_execnz .LBB166_20
; %bb.16:                               ;   in Loop: Header=BB166_9 Depth=1
	s_or_b64 exec, exec, s[24:25]
	s_and_saveexec_b64 s[24:25], s[4:5]
	s_cbranch_execnz .LBB166_21
.LBB166_17:                             ;   in Loop: Header=BB166_9 Depth=1
	s_or_b64 exec, exec, s[24:25]
	s_and_saveexec_b64 s[4:5], s[2:3]
	s_cbranch_execnz .LBB166_22
.LBB166_18:                             ;   in Loop: Header=BB166_9 Depth=1
	s_or_b64 exec, exec, s[4:5]
	s_and_saveexec_b64 s[2:3], s[0:1]
	s_cbranch_execnz .LBB166_23
.LBB166_19:                             ;   in Loop: Header=BB166_9 Depth=1
	s_or_b64 exec, exec, s[2:3]
	s_and_saveexec_b64 s[0:1], vcc
	s_cbranch_execz .LBB166_8
	s_branch .LBB166_24
.LBB166_20:                             ;   in Loop: Header=BB166_9 Depth=1
	v_mov_b32_e32 v3, s9
	v_add_co_u32_e64 v32, s[6:7], s8, v8
	v_addc_co_u32_e64 v33, s[6:7], v7, v3, s[6:7]
	global_load_dwordx2 v[32:33], v[32:33], off
	s_or_b64 exec, exec, s[24:25]
	s_and_saveexec_b64 s[24:25], s[4:5]
	s_cbranch_execz .LBB166_17
.LBB166_21:                             ;   in Loop: Header=BB166_9 Depth=1
	s_waitcnt vmcnt(0)
	v_frexp_mant_f64_e32 v[48:49], v[38:39]
	v_frexp_exp_i32_f64_e32 v3, v[38:39]
	v_cmp_gt_f64_e64 s[4:5], s[16:17], v[48:49]
	v_subbrev_co_u32_e64 v3, s[6:7], 0, v3, s[4:5]
	v_cvt_f64_i32_e32 v[50:51], v3
	v_cndmask_b32_e64 v3, v45, 2.0, s[4:5]
	v_mul_f64 v[48:49], v[48:49], v[2:3]
	v_add_f64 v[56:57], v[48:49], 1.0
	v_rcp_f64_e32 v[58:59], v[56:57]
	v_add_f64 v[60:61], v[48:49], -1.0
	v_add_f64 v[66:67], v[56:57], -1.0
	v_add_f64 v[48:49], v[48:49], -v[66:67]
	v_fma_f64 v[62:63], -v[56:57], v[58:59], 1.0
	v_fmac_f64_e32 v[58:59], v[62:63], v[58:59]
	v_fma_f64 v[62:63], -v[56:57], v[58:59], 1.0
	v_fmac_f64_e32 v[58:59], v[62:63], v[58:59]
	v_mul_f64 v[62:63], v[60:61], v[58:59]
	v_mul_f64 v[64:65], v[56:57], v[62:63]
	v_fma_f64 v[56:57], v[62:63], v[56:57], -v[64:65]
	v_fmac_f64_e32 v[56:57], v[62:63], v[48:49]
	v_add_f64 v[48:49], v[64:65], v[56:57]
	v_add_f64 v[66:67], v[60:61], -v[48:49]
	v_add_f64 v[64:65], v[48:49], -v[64:65]
	;; [unrolled: 1-line block ×5, first 2 shown]
	v_add_f64 v[48:49], v[56:57], v[48:49]
	v_add_f64 v[48:49], v[66:67], v[48:49]
	v_mul_f64 v[48:49], v[58:59], v[48:49]
	v_add_f64 v[56:57], v[62:63], v[48:49]
	v_mul_f64 v[60:61], v[56:57], v[56:57]
	v_pk_mov_b32 v[66:67], v[20:21], v[20:21] op_sel:[0,1]
	v_fmac_f64_e32 v[66:67], s[22:23], v[60:61]
	v_pk_mov_b32 v[68:69], v[22:23], v[22:23] op_sel:[0,1]
	v_fmac_f64_e32 v[68:69], v[60:61], v[66:67]
	v_pk_mov_b32 v[66:67], v[24:25], v[24:25] op_sel:[0,1]
	v_fmac_f64_e32 v[66:67], v[60:61], v[68:69]
	v_pk_mov_b32 v[68:69], v[26:27], v[26:27] op_sel:[0,1]
	v_fmac_f64_e32 v[68:69], v[60:61], v[66:67]
	v_pk_mov_b32 v[66:67], v[28:29], v[28:29] op_sel:[0,1]
	v_fmac_f64_e32 v[66:67], v[60:61], v[68:69]
	v_pk_mov_b32 v[68:69], v[30:31], v[30:31] op_sel:[0,1]
	v_mul_f64 v[64:65], v[56:57], v[60:61]
	v_fmac_f64_e32 v[68:69], v[60:61], v[66:67]
	v_ldexp_f64 v[58:59], v[56:57], 1
	v_mul_f64 v[60:61], v[64:65], v[68:69]
	v_add_f64 v[64:65], v[58:59], v[60:61]
	v_add_f64 v[56:57], v[56:57], -v[62:63]
	v_mul_f64 v[52:53], v[50:51], s[18:19]
	v_add_f64 v[48:49], v[48:49], -v[56:57]
	v_add_f64 v[56:57], v[64:65], -v[58:59]
	v_fma_f64 v[54:55], v[50:51], s[18:19], -v[52:53]
	v_ldexp_f64 v[48:49], v[48:49], 1
	v_add_f64 v[56:57], v[60:61], -v[56:57]
	v_fmac_f64_e32 v[54:55], s[20:21], v[50:51]
	v_add_f64 v[48:49], v[48:49], v[56:57]
	v_add_f64 v[50:51], v[52:53], v[54:55]
	;; [unrolled: 1-line block ×4, first 2 shown]
	v_add_f64 v[52:53], v[50:51], -v[52:53]
	v_add_f64 v[52:53], v[54:55], -v[52:53]
	;; [unrolled: 1-line block ×7, first 2 shown]
	v_add_f64 v[54:55], v[52:53], v[48:49]
	v_add_f64 v[50:51], v[50:51], -v[60:61]
	v_add_f64 v[50:51], v[56:57], v[50:51]
	v_add_f64 v[60:61], v[54:55], -v[52:53]
	;; [unrolled: 2-line block ×4, first 2 shown]
	v_add_f64 v[52:53], v[52:53], -v[54:55]
	v_add_f64 v[48:49], v[48:49], v[52:53]
	v_add_f64 v[52:53], v[56:57], -v[58:59]
	v_add_f64 v[50:51], v[50:51], -v[52:53]
	v_add_f64 v[48:49], v[48:49], v[50:51]
	v_add_f64 v[48:49], v[56:57], v[48:49]
	v_cmp_class_f64_e64 s[4:5], v[38:39], s29
	v_cndmask_b32_e64 v3, v48, v38, s[4:5]
	v_cndmask_b32_e64 v48, v49, v39, s[4:5]
	v_cmp_ngt_f64_e64 s[4:5], 0, v[38:39]
	v_cndmask_b32_e64 v49, v46, v48, s[4:5]
	v_cmp_nge_f64_e64 s[4:5], 0, v[38:39]
	v_cndmask_b32_e64 v48, 0, v3, s[4:5]
	v_cmp_neq_f64_e64 s[4:5], 0, v[38:39]
	v_cndmask_b32_e64 v49, v47, v49, s[4:5]
	v_mov_b32_e32 v3, s9
	v_add_co_u32_e64 v38, s[4:5], s8, v6
	v_addc_co_u32_e64 v39, s[4:5], v5, v3, s[4:5]
	global_store_dwordx2 v[38:39], v[48:49], off
	s_or_b64 exec, exec, s[24:25]
	s_and_saveexec_b64 s[4:5], s[2:3]
	s_cbranch_execz .LBB166_18
.LBB166_22:                             ;   in Loop: Header=BB166_9 Depth=1
	s_waitcnt vmcnt(0)
	v_frexp_mant_f64_e32 v[38:39], v[36:37]
	v_cmp_gt_f64_e64 s[2:3], s[16:17], v[38:39]
	v_cndmask_b32_e64 v3, v45, 2.0, s[2:3]
	v_frexp_exp_i32_f64_e32 v48, v[36:37]
	v_mul_f64 v[38:39], v[38:39], v[2:3]
	v_subbrev_co_u32_e64 v3, s[2:3], 0, v48, s[2:3]
	v_add_f64 v[48:49], v[38:39], 1.0
	v_rcp_f64_e32 v[50:51], v[48:49]
	v_add_f64 v[54:55], v[48:49], -1.0
	v_add_f64 v[52:53], v[38:39], -1.0
	v_add_f64 v[38:39], v[38:39], -v[54:55]
	v_fma_f64 v[54:55], -v[48:49], v[50:51], 1.0
	v_fmac_f64_e32 v[50:51], v[54:55], v[50:51]
	v_fma_f64 v[54:55], -v[48:49], v[50:51], 1.0
	v_fmac_f64_e32 v[50:51], v[54:55], v[50:51]
	v_mul_f64 v[54:55], v[52:53], v[50:51]
	v_mul_f64 v[56:57], v[48:49], v[54:55]
	v_fma_f64 v[48:49], v[54:55], v[48:49], -v[56:57]
	v_fmac_f64_e32 v[48:49], v[54:55], v[38:39]
	v_add_f64 v[38:39], v[56:57], v[48:49]
	v_add_f64 v[58:59], v[52:53], -v[38:39]
	v_add_f64 v[56:57], v[38:39], -v[56:57]
	;; [unrolled: 1-line block ×5, first 2 shown]
	v_add_f64 v[38:39], v[48:49], v[38:39]
	v_add_f64 v[38:39], v[58:59], v[38:39]
	v_mul_f64 v[38:39], v[50:51], v[38:39]
	v_add_f64 v[48:49], v[54:55], v[38:39]
	v_add_f64 v[50:51], v[48:49], -v[54:55]
	v_add_f64 v[38:39], v[38:39], -v[50:51]
	v_mul_f64 v[50:51], v[48:49], v[48:49]
	v_pk_mov_b32 v[52:53], v[20:21], v[20:21] op_sel:[0,1]
	v_fmac_f64_e32 v[52:53], s[22:23], v[50:51]
	v_pk_mov_b32 v[54:55], v[22:23], v[22:23] op_sel:[0,1]
	v_fmac_f64_e32 v[54:55], v[50:51], v[52:53]
	;; [unrolled: 2-line block ×6, first 2 shown]
	v_ldexp_f64 v[52:53], v[48:49], 1
	v_mul_f64 v[48:49], v[48:49], v[50:51]
	v_mul_f64 v[48:49], v[48:49], v[54:55]
	v_add_f64 v[50:51], v[52:53], v[48:49]
	v_add_f64 v[52:53], v[50:51], -v[52:53]
	v_ldexp_f64 v[38:39], v[38:39], 1
	v_add_f64 v[48:49], v[48:49], -v[52:53]
	v_add_f64 v[38:39], v[38:39], v[48:49]
	v_add_f64 v[48:49], v[50:51], v[38:39]
	v_add_f64 v[50:51], v[48:49], -v[50:51]
	v_add_f64 v[38:39], v[38:39], -v[50:51]
	v_cvt_f64_i32_e32 v[50:51], v3
	v_mul_f64 v[52:53], v[50:51], s[18:19]
	v_fma_f64 v[54:55], v[50:51], s[18:19], -v[52:53]
	v_fmac_f64_e32 v[54:55], s[20:21], v[50:51]
	v_add_f64 v[50:51], v[52:53], v[54:55]
	v_add_f64 v[52:53], v[50:51], -v[52:53]
	v_add_f64 v[52:53], v[54:55], -v[52:53]
	v_add_f64 v[54:55], v[50:51], v[48:49]
	v_add_f64 v[56:57], v[54:55], -v[50:51]
	v_add_f64 v[58:59], v[54:55], -v[56:57]
	;; [unrolled: 1-line block ×4, first 2 shown]
	v_add_f64 v[48:49], v[48:49], v[50:51]
	v_add_f64 v[50:51], v[52:53], v[38:39]
	v_add_f64 v[56:57], v[50:51], -v[52:53]
	v_add_f64 v[58:59], v[50:51], -v[56:57]
	v_add_f64 v[48:49], v[50:51], v[48:49]
	v_add_f64 v[52:53], v[52:53], -v[58:59]
	v_add_f64 v[38:39], v[38:39], -v[56:57]
	v_add_f64 v[50:51], v[54:55], v[48:49]
	v_add_f64 v[38:39], v[38:39], v[52:53]
	v_add_f64 v[52:53], v[50:51], -v[54:55]
	v_add_f64 v[48:49], v[48:49], -v[52:53]
	v_add_f64 v[38:39], v[38:39], v[48:49]
	v_add_f64 v[38:39], v[50:51], v[38:39]
	v_cmp_class_f64_e64 s[2:3], v[36:37], s29
	v_cndmask_b32_e64 v3, v38, v36, s[2:3]
	v_cndmask_b32_e64 v38, v39, v37, s[2:3]
	v_cmp_ngt_f64_e64 s[2:3], 0, v[36:37]
	v_cndmask_b32_e64 v39, v46, v38, s[2:3]
	v_cmp_nge_f64_e64 s[2:3], 0, v[36:37]
	v_cndmask_b32_e64 v38, 0, v3, s[2:3]
	v_cmp_neq_f64_e64 s[2:3], 0, v[36:37]
	v_cndmask_b32_e64 v39, v47, v39, s[2:3]
	v_mov_b32_e32 v3, s9
	v_add_co_u32_e64 v36, s[2:3], s8, v18
	v_addc_co_u32_e64 v37, s[2:3], v17, v3, s[2:3]
	global_store_dwordx2 v[36:37], v[38:39], off
	s_or_b64 exec, exec, s[4:5]
	s_and_saveexec_b64 s[2:3], s[0:1]
	s_cbranch_execz .LBB166_19
.LBB166_23:                             ;   in Loop: Header=BB166_9 Depth=1
	s_waitcnt vmcnt(0)
	v_frexp_mant_f64_e32 v[36:37], v[34:35]
	v_cmp_gt_f64_e64 s[0:1], s[16:17], v[36:37]
	v_cndmask_b32_e64 v3, v45, 2.0, s[0:1]
	v_frexp_exp_i32_f64_e32 v38, v[34:35]
	v_mul_f64 v[36:37], v[36:37], v[2:3]
	v_subbrev_co_u32_e64 v3, s[0:1], 0, v38, s[0:1]
	v_add_f64 v[38:39], v[36:37], 1.0
	v_rcp_f64_e32 v[48:49], v[38:39]
	v_add_f64 v[52:53], v[38:39], -1.0
	v_add_f64 v[50:51], v[36:37], -1.0
	v_add_f64 v[36:37], v[36:37], -v[52:53]
	v_fma_f64 v[52:53], -v[38:39], v[48:49], 1.0
	v_fmac_f64_e32 v[48:49], v[52:53], v[48:49]
	v_fma_f64 v[52:53], -v[38:39], v[48:49], 1.0
	v_fmac_f64_e32 v[48:49], v[52:53], v[48:49]
	v_mul_f64 v[52:53], v[50:51], v[48:49]
	v_mul_f64 v[54:55], v[38:39], v[52:53]
	v_fma_f64 v[38:39], v[52:53], v[38:39], -v[54:55]
	v_fmac_f64_e32 v[38:39], v[52:53], v[36:37]
	v_add_f64 v[36:37], v[54:55], v[38:39]
	v_add_f64 v[56:57], v[50:51], -v[36:37]
	v_add_f64 v[54:55], v[36:37], -v[54:55]
	;; [unrolled: 1-line block ×5, first 2 shown]
	v_add_f64 v[36:37], v[38:39], v[36:37]
	v_add_f64 v[36:37], v[56:57], v[36:37]
	v_mul_f64 v[36:37], v[48:49], v[36:37]
	v_add_f64 v[38:39], v[52:53], v[36:37]
	v_add_f64 v[48:49], v[38:39], -v[52:53]
	v_add_f64 v[36:37], v[36:37], -v[48:49]
	v_mul_f64 v[48:49], v[38:39], v[38:39]
	v_pk_mov_b32 v[50:51], v[20:21], v[20:21] op_sel:[0,1]
	v_fmac_f64_e32 v[50:51], s[22:23], v[48:49]
	v_pk_mov_b32 v[52:53], v[22:23], v[22:23] op_sel:[0,1]
	v_fmac_f64_e32 v[52:53], v[48:49], v[50:51]
	;; [unrolled: 2-line block ×6, first 2 shown]
	v_ldexp_f64 v[50:51], v[38:39], 1
	v_mul_f64 v[38:39], v[38:39], v[48:49]
	v_mul_f64 v[38:39], v[38:39], v[52:53]
	v_add_f64 v[48:49], v[50:51], v[38:39]
	v_add_f64 v[50:51], v[48:49], -v[50:51]
	v_ldexp_f64 v[36:37], v[36:37], 1
	v_add_f64 v[38:39], v[38:39], -v[50:51]
	v_add_f64 v[36:37], v[36:37], v[38:39]
	v_add_f64 v[38:39], v[48:49], v[36:37]
	v_add_f64 v[48:49], v[38:39], -v[48:49]
	v_add_f64 v[36:37], v[36:37], -v[48:49]
	v_cvt_f64_i32_e32 v[48:49], v3
	v_mul_f64 v[50:51], v[48:49], s[18:19]
	v_fma_f64 v[52:53], v[48:49], s[18:19], -v[50:51]
	v_fmac_f64_e32 v[52:53], s[20:21], v[48:49]
	v_add_f64 v[48:49], v[50:51], v[52:53]
	v_add_f64 v[50:51], v[48:49], -v[50:51]
	v_add_f64 v[50:51], v[52:53], -v[50:51]
	v_add_f64 v[52:53], v[48:49], v[38:39]
	v_add_f64 v[54:55], v[52:53], -v[48:49]
	v_add_f64 v[56:57], v[52:53], -v[54:55]
	;; [unrolled: 1-line block ×4, first 2 shown]
	v_add_f64 v[38:39], v[38:39], v[48:49]
	v_add_f64 v[48:49], v[50:51], v[36:37]
	v_add_f64 v[54:55], v[48:49], -v[50:51]
	v_add_f64 v[56:57], v[48:49], -v[54:55]
	v_add_f64 v[38:39], v[48:49], v[38:39]
	v_add_f64 v[50:51], v[50:51], -v[56:57]
	v_add_f64 v[36:37], v[36:37], -v[54:55]
	v_add_f64 v[48:49], v[52:53], v[38:39]
	v_add_f64 v[36:37], v[36:37], v[50:51]
	v_add_f64 v[50:51], v[48:49], -v[52:53]
	v_add_f64 v[38:39], v[38:39], -v[50:51]
	v_add_f64 v[36:37], v[36:37], v[38:39]
	v_add_f64 v[36:37], v[48:49], v[36:37]
	v_cmp_class_f64_e64 s[0:1], v[34:35], s29
	v_cndmask_b32_e64 v3, v36, v34, s[0:1]
	v_cndmask_b32_e64 v36, v37, v35, s[0:1]
	v_cmp_ngt_f64_e64 s[0:1], 0, v[34:35]
	v_cndmask_b32_e64 v37, v46, v36, s[0:1]
	v_cmp_nge_f64_e64 s[0:1], 0, v[34:35]
	v_cndmask_b32_e64 v36, 0, v3, s[0:1]
	v_cmp_neq_f64_e64 s[0:1], 0, v[34:35]
	v_cndmask_b32_e64 v37, v47, v37, s[0:1]
	v_mov_b32_e32 v3, s9
	v_add_co_u32_e64 v34, s[0:1], s8, v14
	v_addc_co_u32_e64 v35, s[0:1], v13, v3, s[0:1]
	global_store_dwordx2 v[34:35], v[36:37], off
	s_or_b64 exec, exec, s[2:3]
	s_and_saveexec_b64 s[0:1], vcc
	s_cbranch_execz .LBB166_8
.LBB166_24:                             ;   in Loop: Header=BB166_9 Depth=1
	s_waitcnt vmcnt(0)
	v_frexp_mant_f64_e32 v[34:35], v[32:33]
	v_cmp_gt_f64_e32 vcc, s[16:17], v[34:35]
	v_cndmask_b32_e64 v3, v45, 2.0, vcc
	v_frexp_exp_i32_f64_e32 v36, v[32:33]
	v_mul_f64 v[34:35], v[34:35], v[2:3]
	v_subbrev_co_u32_e32 v3, vcc, 0, v36, vcc
	v_add_f64 v[36:37], v[34:35], 1.0
	v_rcp_f64_e32 v[38:39], v[36:37]
	v_add_f64 v[50:51], v[36:37], -1.0
	v_add_f64 v[48:49], v[34:35], -1.0
	v_add_f64 v[34:35], v[34:35], -v[50:51]
	v_fma_f64 v[50:51], -v[36:37], v[38:39], 1.0
	v_fmac_f64_e32 v[38:39], v[50:51], v[38:39]
	v_fma_f64 v[50:51], -v[36:37], v[38:39], 1.0
	v_fmac_f64_e32 v[38:39], v[50:51], v[38:39]
	v_mul_f64 v[50:51], v[48:49], v[38:39]
	v_mul_f64 v[52:53], v[36:37], v[50:51]
	v_fma_f64 v[36:37], v[50:51], v[36:37], -v[52:53]
	v_fmac_f64_e32 v[36:37], v[50:51], v[34:35]
	v_add_f64 v[34:35], v[52:53], v[36:37]
	v_add_f64 v[54:55], v[48:49], -v[34:35]
	v_add_f64 v[52:53], v[34:35], -v[52:53]
	;; [unrolled: 1-line block ×5, first 2 shown]
	v_add_f64 v[34:35], v[36:37], v[34:35]
	v_add_f64 v[34:35], v[54:55], v[34:35]
	v_mul_f64 v[34:35], v[38:39], v[34:35]
	v_add_f64 v[36:37], v[50:51], v[34:35]
	v_add_f64 v[38:39], v[36:37], -v[50:51]
	v_add_f64 v[34:35], v[34:35], -v[38:39]
	v_mul_f64 v[38:39], v[36:37], v[36:37]
	v_pk_mov_b32 v[48:49], v[20:21], v[20:21] op_sel:[0,1]
	v_fmac_f64_e32 v[48:49], s[22:23], v[38:39]
	v_pk_mov_b32 v[50:51], v[22:23], v[22:23] op_sel:[0,1]
	v_fmac_f64_e32 v[50:51], v[38:39], v[48:49]
	;; [unrolled: 2-line block ×6, first 2 shown]
	v_ldexp_f64 v[48:49], v[36:37], 1
	v_mul_f64 v[36:37], v[36:37], v[38:39]
	v_mul_f64 v[36:37], v[36:37], v[50:51]
	v_add_f64 v[38:39], v[48:49], v[36:37]
	v_add_f64 v[48:49], v[38:39], -v[48:49]
	v_ldexp_f64 v[34:35], v[34:35], 1
	v_add_f64 v[36:37], v[36:37], -v[48:49]
	v_add_f64 v[34:35], v[34:35], v[36:37]
	v_add_f64 v[36:37], v[38:39], v[34:35]
	v_add_f64 v[38:39], v[36:37], -v[38:39]
	v_add_f64 v[34:35], v[34:35], -v[38:39]
	v_cvt_f64_i32_e32 v[38:39], v3
	v_mul_f64 v[48:49], v[38:39], s[18:19]
	v_fma_f64 v[50:51], v[38:39], s[18:19], -v[48:49]
	v_fmac_f64_e32 v[50:51], s[20:21], v[38:39]
	v_add_f64 v[38:39], v[48:49], v[50:51]
	v_add_f64 v[48:49], v[38:39], -v[48:49]
	v_add_f64 v[48:49], v[50:51], -v[48:49]
	v_add_f64 v[50:51], v[38:39], v[36:37]
	v_add_f64 v[52:53], v[50:51], -v[38:39]
	v_add_f64 v[54:55], v[50:51], -v[52:53]
	;; [unrolled: 1-line block ×4, first 2 shown]
	v_add_f64 v[36:37], v[36:37], v[38:39]
	v_add_f64 v[38:39], v[48:49], v[34:35]
	v_add_f64 v[52:53], v[38:39], -v[48:49]
	v_add_f64 v[54:55], v[38:39], -v[52:53]
	v_add_f64 v[36:37], v[38:39], v[36:37]
	v_add_f64 v[48:49], v[48:49], -v[54:55]
	v_add_f64 v[34:35], v[34:35], -v[52:53]
	v_add_f64 v[38:39], v[50:51], v[36:37]
	v_add_f64 v[34:35], v[34:35], v[48:49]
	v_add_f64 v[48:49], v[38:39], -v[50:51]
	v_add_f64 v[36:37], v[36:37], -v[48:49]
	v_add_f64 v[34:35], v[34:35], v[36:37]
	v_add_f64 v[34:35], v[38:39], v[34:35]
	v_cmp_class_f64_e64 vcc, v[32:33], s29
	v_cndmask_b32_e32 v3, v34, v32, vcc
	v_cndmask_b32_e32 v34, v35, v33, vcc
	v_cmp_ngt_f64_e32 vcc, 0, v[32:33]
	v_cndmask_b32_e32 v35, v46, v34, vcc
	v_cmp_nge_f64_e32 vcc, 0, v[32:33]
	v_cndmask_b32_e32 v34, 0, v3, vcc
	v_cmp_neq_f64_e32 vcc, 0, v[32:33]
	v_cndmask_b32_e32 v35, v47, v35, vcc
	v_mov_b32_e32 v3, s9
	v_add_co_u32_e32 v32, vcc, s8, v10
	v_addc_co_u32_e32 v33, vcc, v9, v3, vcc
	global_store_dwordx2 v[32:33], v[34:35], off
	s_branch .LBB166_8
.LBB166_25:
	s_endpgm
	.section	.rodata,"a",@progbits
	.p2align	6, 0x0
	.amdhsa_kernel _ZN2at6native12_GLOBAL__N_125multi_tensor_apply_kernelINS1_18TensorListMetadataILi2EEENS1_14UnaryOpFunctorIdLi2ELi1ELi1EEEJNS0_3LogIdEEEEEvT_T0_DpT1_
		.amdhsa_group_segment_fixed_size 0
		.amdhsa_private_segment_fixed_size 0
		.amdhsa_kernarg_size 3408
		.amdhsa_user_sgpr_count 6
		.amdhsa_user_sgpr_private_segment_buffer 1
		.amdhsa_user_sgpr_dispatch_ptr 0
		.amdhsa_user_sgpr_queue_ptr 0
		.amdhsa_user_sgpr_kernarg_segment_ptr 1
		.amdhsa_user_sgpr_dispatch_id 0
		.amdhsa_user_sgpr_flat_scratch_init 0
		.amdhsa_user_sgpr_kernarg_preload_length 0
		.amdhsa_user_sgpr_kernarg_preload_offset 0
		.amdhsa_user_sgpr_private_segment_size 0
		.amdhsa_uses_dynamic_stack 0
		.amdhsa_system_sgpr_private_segment_wavefront_offset 0
		.amdhsa_system_sgpr_workgroup_id_x 1
		.amdhsa_system_sgpr_workgroup_id_y 0
		.amdhsa_system_sgpr_workgroup_id_z 0
		.amdhsa_system_sgpr_workgroup_info 0
		.amdhsa_system_vgpr_workitem_id 0
		.amdhsa_next_free_vgpr 70
		.amdhsa_next_free_sgpr 44
		.amdhsa_accum_offset 72
		.amdhsa_reserve_vcc 1
		.amdhsa_reserve_flat_scratch 0
		.amdhsa_float_round_mode_32 0
		.amdhsa_float_round_mode_16_64 0
		.amdhsa_float_denorm_mode_32 3
		.amdhsa_float_denorm_mode_16_64 3
		.amdhsa_dx10_clamp 1
		.amdhsa_ieee_mode 1
		.amdhsa_fp16_overflow 0
		.amdhsa_tg_split 0
		.amdhsa_exception_fp_ieee_invalid_op 0
		.amdhsa_exception_fp_denorm_src 0
		.amdhsa_exception_fp_ieee_div_zero 0
		.amdhsa_exception_fp_ieee_overflow 0
		.amdhsa_exception_fp_ieee_underflow 0
		.amdhsa_exception_fp_ieee_inexact 0
		.amdhsa_exception_int_div_zero 0
	.end_amdhsa_kernel
	.section	.text._ZN2at6native12_GLOBAL__N_125multi_tensor_apply_kernelINS1_18TensorListMetadataILi2EEENS1_14UnaryOpFunctorIdLi2ELi1ELi1EEEJNS0_3LogIdEEEEEvT_T0_DpT1_,"axG",@progbits,_ZN2at6native12_GLOBAL__N_125multi_tensor_apply_kernelINS1_18TensorListMetadataILi2EEENS1_14UnaryOpFunctorIdLi2ELi1ELi1EEEJNS0_3LogIdEEEEEvT_T0_DpT1_,comdat
.Lfunc_end166:
	.size	_ZN2at6native12_GLOBAL__N_125multi_tensor_apply_kernelINS1_18TensorListMetadataILi2EEENS1_14UnaryOpFunctorIdLi2ELi1ELi1EEEJNS0_3LogIdEEEEEvT_T0_DpT1_, .Lfunc_end166-_ZN2at6native12_GLOBAL__N_125multi_tensor_apply_kernelINS1_18TensorListMetadataILi2EEENS1_14UnaryOpFunctorIdLi2ELi1ELi1EEEJNS0_3LogIdEEEEEvT_T0_DpT1_
                                        ; -- End function
	.section	.AMDGPU.csdata,"",@progbits
; Kernel info:
; codeLenInByte = 6556
; NumSgprs: 48
; NumVgprs: 70
; NumAgprs: 0
; TotalNumVgprs: 70
; ScratchSize: 0
; MemoryBound: 0
; FloatMode: 240
; IeeeMode: 1
; LDSByteSize: 0 bytes/workgroup (compile time only)
; SGPRBlocks: 5
; VGPRBlocks: 8
; NumSGPRsForWavesPerEU: 48
; NumVGPRsForWavesPerEU: 70
; AccumOffset: 72
; Occupancy: 7
; WaveLimiterHint : 0
; COMPUTE_PGM_RSRC2:SCRATCH_EN: 0
; COMPUTE_PGM_RSRC2:USER_SGPR: 6
; COMPUTE_PGM_RSRC2:TRAP_HANDLER: 0
; COMPUTE_PGM_RSRC2:TGID_X_EN: 1
; COMPUTE_PGM_RSRC2:TGID_Y_EN: 0
; COMPUTE_PGM_RSRC2:TGID_Z_EN: 0
; COMPUTE_PGM_RSRC2:TIDIG_COMP_CNT: 0
; COMPUTE_PGM_RSRC3_GFX90A:ACCUM_OFFSET: 17
; COMPUTE_PGM_RSRC3_GFX90A:TG_SPLIT: 0
	.section	.text._ZN2at6native12_GLOBAL__N_125multi_tensor_apply_kernelINS1_18TensorListMetadataILi2EEENS1_14UnaryOpFunctorIfLi2ELi1ELi1EEEJNS0_3LogIfEEEEEvT_T0_DpT1_,"axG",@progbits,_ZN2at6native12_GLOBAL__N_125multi_tensor_apply_kernelINS1_18TensorListMetadataILi2EEENS1_14UnaryOpFunctorIfLi2ELi1ELi1EEEJNS0_3LogIfEEEEEvT_T0_DpT1_,comdat
	.globl	_ZN2at6native12_GLOBAL__N_125multi_tensor_apply_kernelINS1_18TensorListMetadataILi2EEENS1_14UnaryOpFunctorIfLi2ELi1ELi1EEEJNS0_3LogIfEEEEEvT_T0_DpT1_ ; -- Begin function _ZN2at6native12_GLOBAL__N_125multi_tensor_apply_kernelINS1_18TensorListMetadataILi2EEENS1_14UnaryOpFunctorIfLi2ELi1ELi1EEEJNS0_3LogIfEEEEEvT_T0_DpT1_
	.p2align	8
	.type	_ZN2at6native12_GLOBAL__N_125multi_tensor_apply_kernelINS1_18TensorListMetadataILi2EEENS1_14UnaryOpFunctorIfLi2ELi1ELi1EEEJNS0_3LogIfEEEEEvT_T0_DpT1_,@function
_ZN2at6native12_GLOBAL__N_125multi_tensor_apply_kernelINS1_18TensorListMetadataILi2EEENS1_14UnaryOpFunctorIfLi2ELi1ELi1EEEJNS0_3LogIfEEEEEvT_T0_DpT1_: ; @_ZN2at6native12_GLOBAL__N_125multi_tensor_apply_kernelINS1_18TensorListMetadataILi2EEENS1_14UnaryOpFunctorIfLi2ELi1ELi1EEEJNS0_3LogIfEEEEEvT_T0_DpT1_
; %bb.0:
	v_mov_b32_e32 v1, s6
	global_load_ubyte v1, v1, s[4:5] offset:1536
	s_add_u32 s0, s4, s6
	s_mul_hi_u32 s2, s6, 3
	s_mul_i32 s6, s6, 3
	s_addc_u32 s7, s5, 0
	s_add_u32 s6, s0, s6
	s_addc_u32 s7, s7, s2
	s_mov_b32 s1, 0
	s_mov_b32 s3, s1
	s_waitcnt vmcnt(0)
	v_readfirstlane_b32 s0, v1
	s_lshl_b32 s0, s0, 3
	s_load_dword s10, s[6:7], 0x740
	s_load_dwordx2 s[16:17], s[4:5], s0 offset:0x0
	s_load_dwordx2 s[12:13], s[4:5], s0 offset:0x400
	;; [unrolled: 1-line block ×3, first 2 shown]
	s_mov_b32 s7, s1
	s_waitcnt lgkmcnt(0)
	s_ashr_i32 s11, s10, 31
	s_and_b32 s0, s16, 15
	s_and_b32 s6, s12, 3
	;; [unrolled: 1-line block ×3, first 2 shown]
	s_or_b64 s[6:7], s[0:1], s[6:7]
	s_lshl_b64 s[8:9], s[10:11], 18
	s_or_b64 s[2:3], s[2:3], s[6:7]
	s_lshl_b64 s[6:7], s[10:11], 16
	s_sub_u32 s10, s12, s6
	s_subb_u32 s11, s13, s7
	s_cmp_eq_u64 s[2:3], 0
	s_mov_b64 s[2:3], -1
	s_cbranch_scc0 .LBB167_5
; %bb.1:
	v_mov_b32_e32 v3, 0
	v_lshlrev_b32_e32 v2, 2, v0
	v_cmp_gt_i64_e32 vcc, s[10:11], v[2:3]
	s_and_saveexec_b64 s[12:13], vcc
	s_cbranch_execz .LBB167_4
; %bb.2:
	s_load_dword s0, s[4:5], 0xc5c
	v_lshlrev_b32_e32 v1, 4, v0
	v_mov_b32_e32 v4, s9
	v_add_co_u32_e32 v1, vcc, s8, v1
	v_addc_co_u32_e32 v5, vcc, 0, v4, vcc
	s_waitcnt lgkmcnt(0)
	s_and_b32 s0, s0, 0xffff
	v_add_co_u32_e32 v4, vcc, 8, v1
	v_add_lshl_u32 v2, v0, s0, 2
	s_lshl_b32 s22, s0, 2
	v_addc_co_u32_e32 v1, vcc, 0, v5, vcc
	s_lshl_b32 s23, s0, 4
	s_mov_b64 s[18:19], 0
	v_mov_b32_e32 v5, s17
	v_mov_b32_e32 v6, s15
	s_mov_b32 s24, 0x800000
	v_mov_b32_e32 v7, 0x4f800000
	s_mov_b32 s25, 0x3f317217
	s_mov_b32 s26, 0x7f800000
	v_mov_b32_e32 v8, 0x41b17218
	s_mov_b64 s[20:21], 0xffff
	v_mov_b32_e32 v9, s1
	v_mov_b32_e32 v10, s1
.LBB167_3:                              ; =>This Inner Loop Header: Depth=1
	v_add_co_u32_e32 v12, vcc, s16, v4
	v_addc_co_u32_e32 v13, vcc, v5, v1, vcc
	global_load_dwordx4 v[12:15], v[12:13], off offset:-8
	v_add_co_u32_e32 v16, vcc, s14, v4
	v_addc_co_u32_e32 v17, vcc, v6, v1, vcc
	v_cmp_le_i64_e32 vcc, s[10:11], v[2:3]
	v_cmp_lt_u64_e64 s[0:1], s[20:21], v[2:3]
	v_add_co_u32_e64 v2, s[2:3], s22, v2
	v_addc_co_u32_e64 v3, s[2:3], v3, v9, s[2:3]
	v_add_co_u32_e64 v4, s[2:3], s23, v4
	s_or_b64 s[0:1], vcc, s[0:1]
	v_addc_co_u32_e64 v1, s[2:3], v1, v10, s[2:3]
	s_and_b64 s[0:1], exec, s[0:1]
	s_or_b64 s[18:19], s[0:1], s[18:19]
	s_waitcnt vmcnt(0)
	v_cmp_gt_f32_e32 vcc, s24, v13
	v_cmp_gt_f32_e64 s[0:1], s24, v12
	v_cmp_gt_f32_e64 s[2:3], s24, v15
	;; [unrolled: 1-line block ×3, first 2 shown]
	v_cndmask_b32_e32 v11, 1.0, v7, vcc
	v_cndmask_b32_e64 v18, 1.0, v7, s[0:1]
	v_cndmask_b32_e64 v19, 1.0, v7, s[2:3]
	;; [unrolled: 1-line block ×3, first 2 shown]
	v_mul_f32_e32 v11, v13, v11
	v_mul_f32_e32 v12, v12, v18
	;; [unrolled: 1-line block ×4, first 2 shown]
	v_log_f32_e32 v11, v11
	v_log_f32_e32 v12, v12
	;; [unrolled: 1-line block ×4, first 2 shown]
	v_mul_f32_e32 v21, 0x3f317217, v11
	v_mul_f32_e32 v22, 0x3f317217, v12
	;; [unrolled: 1-line block ×4, first 2 shown]
	v_fma_f32 v25, v11, s25, -v21
	v_fma_f32 v26, v12, s25, -v22
	;; [unrolled: 1-line block ×4, first 2 shown]
	v_fmac_f32_e32 v25, 0x3377d1cf, v11
	v_fmac_f32_e32 v26, 0x3377d1cf, v12
	;; [unrolled: 1-line block ×4, first 2 shown]
	v_cndmask_b32_e32 v13, 0, v8, vcc
	v_cndmask_b32_e64 v18, 0, v8, s[0:1]
	v_cndmask_b32_e64 v19, 0, v8, s[2:3]
	v_cndmask_b32_e64 v20, 0, v8, s[6:7]
	v_add_f32_e32 v21, v21, v25
	v_add_f32_e32 v22, v22, v26
	v_cmp_lt_f32_e64 vcc, |v12|, s26
	v_add_f32_e32 v23, v23, v27
	v_cmp_lt_f32_e64 s[0:1], |v15|, s26
	v_add_f32_e32 v24, v24, v28
	v_cmp_lt_f32_e64 s[2:3], |v14|, s26
	v_cmp_lt_f32_e64 s[6:7], |v11|, s26
	v_cndmask_b32_e64 v11, v11, v21, s[6:7]
	v_cndmask_b32_e32 v12, v12, v22, vcc
	v_cndmask_b32_e64 v15, v15, v23, s[0:1]
	v_cndmask_b32_e64 v14, v14, v24, s[2:3]
	v_sub_f32_e32 v13, v11, v13
	v_sub_f32_e32 v12, v12, v18
	;; [unrolled: 1-line block ×4, first 2 shown]
	global_store_dwordx4 v[16:17], v[12:15], off offset:-8
	s_andn2_b64 exec, exec, s[18:19]
	s_cbranch_execnz .LBB167_3
.LBB167_4:
	s_or_b64 exec, exec, s[12:13]
	s_mov_b64 s[2:3], 0
.LBB167_5:
	s_andn2_b64 vcc, exec, s[2:3]
	s_cbranch_vccnz .LBB167_25
; %bb.6:
	v_cmp_lt_i64_e64 s[0:1], s[10:11], 1
	s_and_b64 vcc, exec, s[0:1]
	s_cbranch_vccnz .LBB167_25
; %bb.7:
	s_load_dword s0, s[4:5], 0xc5c
	v_mov_b32_e32 v2, 0x10000
	v_mov_b32_e32 v3, 0
	v_cmp_lt_u64_e32 vcc, s[10:11], v[2:3]
	v_lshlrev_b32_e32 v10, 2, v0
	s_waitcnt lgkmcnt(0)
	s_and_b32 s2, s0, 0xffff
	s_and_b64 s[0:1], vcc, exec
	v_mov_b32_e32 v13, s17
	v_add_co_u32_e32 v2, vcc, s16, v10
	v_addc_co_u32_e32 v1, vcc, 0, v13, vcc
	v_mov_b32_e32 v11, 0
	v_mov_b32_e32 v15, s15
	v_add_co_u32_e32 v4, vcc, s14, v10
	v_addc_co_u32_e32 v3, vcc, 0, v15, vcc
	v_mad_u64_u32 v[8:9], s[0:1], s2, 12, v[10:11]
	v_add_co_u32_e32 v6, vcc, s16, v8
	v_addc_co_u32_e32 v5, vcc, v13, v9, vcc
	v_add_co_u32_e32 v8, vcc, s14, v8
	s_mul_i32 s4, s2, 3
	v_addc_co_u32_e32 v7, vcc, v15, v9, vcc
	v_add_co_u32_e32 v17, vcc, s4, v0
	v_addc_co_u32_e64 v18, s[0:1], 0, 0, vcc
	s_cselect_b32 s13, s11, 0
	s_cselect_b32 s12, s10, 0x10000
	s_lshl_b32 s0, s2, 3
	v_add_co_u32_e32 v11, vcc, s0, v10
	v_addc_co_u32_e64 v14, s[0:1], 0, 0, vcc
	v_add_co_u32_e32 v10, vcc, s16, v11
	v_addc_co_u32_e32 v9, vcc, v13, v14, vcc
	v_add_co_u32_e32 v12, vcc, s14, v11
	s_lshl_b32 s3, s2, 1
	v_addc_co_u32_e32 v11, vcc, v15, v14, vcc
	v_add_co_u32_e32 v19, vcc, s3, v0
	v_addc_co_u32_e64 v20, s[0:1], 0, 0, vcc
	v_add_co_u32_e32 v21, vcc, s2, v0
	v_lshlrev_b32_e32 v16, 2, v21
	v_addc_co_u32_e64 v22, s[0:1], 0, 0, vcc
	v_add_co_u32_e32 v14, vcc, s16, v16
	v_addc_co_u32_e32 v13, vcc, 0, v13, vcc
	v_add_co_u32_e32 v16, vcc, s14, v16
	s_mov_b32 s18, 0
	s_lshl_b32 s19, s2, 2
	s_lshl_b32 s20, s2, 4
	v_addc_co_u32_e32 v15, vcc, 0, v15, vcc
	s_mov_b64 s[14:15], 0
	s_mov_b32 s21, 0x800000
	s_mov_b32 s22, 0x3f317217
	;; [unrolled: 1-line block ×3, first 2 shown]
	v_mov_b32_e32 v23, 0x4f800000
	v_mov_b32_e32 v24, 0x41b17218
	s_branch .LBB167_9
.LBB167_8:                              ;   in Loop: Header=BB167_9 Depth=1
	s_or_b64 exec, exec, s[0:1]
	s_add_u32 s14, s14, s19
	s_addc_u32 s15, s15, 0
	s_waitcnt vmcnt(0)
	v_pk_mov_b32 v[26:27], s[10:11], s[10:11] op_sel:[0,1]
	v_cmp_ge_i64_e32 vcc, s[14:15], v[26:27]
	v_mov_b32_e32 v26, 0xffff
	v_mov_b32_e32 v27, 0
	v_cmp_gt_u64_e64 s[0:1], s[14:15], v[26:27]
	s_or_b64 s[0:1], vcc, s[0:1]
	v_mov_b32_e32 v25, s18
	v_add_co_u32_e32 v2, vcc, s20, v2
	v_addc_co_u32_e32 v1, vcc, v1, v25, vcc
	v_add_co_u32_e32 v4, vcc, s20, v4
	v_addc_co_u32_e32 v3, vcc, v3, v25, vcc
	;; [unrolled: 2-line block ×8, first 2 shown]
	s_and_b64 vcc, exec, s[0:1]
	s_cbranch_vccnz .LBB167_25
.LBB167_9:                              ; =>This Inner Loop Header: Depth=1
	v_mov_b32_e32 v25, s15
	v_add_co_u32_e32 v26, vcc, s14, v0
	v_addc_co_u32_e32 v27, vcc, 0, v25, vcc
	v_cmp_gt_u64_e64 s[4:5], s[12:13], v[26:27]
	v_mov_b32_e32 v27, 0
	s_and_saveexec_b64 s[0:1], s[4:5]
	s_cbranch_execz .LBB167_11
; %bb.10:                               ;   in Loop: Header=BB167_9 Depth=1
	v_mov_b32_e32 v25, s9
	v_add_co_u32_e32 v26, vcc, s8, v2
	v_addc_co_u32_e32 v27, vcc, v1, v25, vcc
	global_load_dword v27, v[26:27], off
.LBB167_11:                             ;   in Loop: Header=BB167_9 Depth=1
	s_or_b64 exec, exec, s[0:1]
	v_mov_b32_e32 v25, s15
	v_add_co_u32_e32 v28, vcc, s14, v21
	v_addc_co_u32_e32 v29, vcc, v22, v25, vcc
	v_cmp_gt_u64_e64 s[2:3], s[12:13], v[28:29]
	v_mov_b32_e32 v28, 0
	s_and_saveexec_b64 s[0:1], s[2:3]
	s_cbranch_execz .LBB167_13
; %bb.12:                               ;   in Loop: Header=BB167_9 Depth=1
	v_mov_b32_e32 v25, s9
	v_add_co_u32_e32 v28, vcc, s8, v14
	v_addc_co_u32_e32 v29, vcc, v13, v25, vcc
	global_load_dword v28, v[28:29], off
.LBB167_13:                             ;   in Loop: Header=BB167_9 Depth=1
	s_or_b64 exec, exec, s[0:1]
	v_mov_b32_e32 v25, s15
	v_add_co_u32_e32 v30, vcc, s14, v19
	v_addc_co_u32_e32 v31, vcc, v20, v25, vcc
	v_cmp_gt_u64_e64 s[0:1], s[12:13], v[30:31]
	v_mov_b32_e32 v25, 0
	v_mov_b32_e32 v26, 0
	s_and_saveexec_b64 s[6:7], s[0:1]
	s_cbranch_execz .LBB167_15
; %bb.14:                               ;   in Loop: Header=BB167_9 Depth=1
	v_mov_b32_e32 v26, s9
	v_add_co_u32_e32 v30, vcc, s8, v10
	v_addc_co_u32_e32 v31, vcc, v9, v26, vcc
	global_load_dword v26, v[30:31], off
.LBB167_15:                             ;   in Loop: Header=BB167_9 Depth=1
	s_or_b64 exec, exec, s[6:7]
	v_mov_b32_e32 v29, s15
	v_add_co_u32_e32 v30, vcc, s14, v17
	v_addc_co_u32_e32 v31, vcc, v18, v29, vcc
	v_cmp_gt_u64_e32 vcc, s[12:13], v[30:31]
	s_and_saveexec_b64 s[16:17], vcc
	s_cbranch_execnz .LBB167_20
; %bb.16:                               ;   in Loop: Header=BB167_9 Depth=1
	s_or_b64 exec, exec, s[16:17]
	s_and_saveexec_b64 s[16:17], s[4:5]
	s_cbranch_execnz .LBB167_21
.LBB167_17:                             ;   in Loop: Header=BB167_9 Depth=1
	s_or_b64 exec, exec, s[16:17]
	s_and_saveexec_b64 s[4:5], s[2:3]
	s_cbranch_execnz .LBB167_22
.LBB167_18:                             ;   in Loop: Header=BB167_9 Depth=1
	s_or_b64 exec, exec, s[4:5]
	s_and_saveexec_b64 s[2:3], s[0:1]
	s_cbranch_execnz .LBB167_23
.LBB167_19:                             ;   in Loop: Header=BB167_9 Depth=1
	s_or_b64 exec, exec, s[2:3]
	s_and_saveexec_b64 s[0:1], vcc
	s_cbranch_execz .LBB167_8
	s_branch .LBB167_24
.LBB167_20:                             ;   in Loop: Header=BB167_9 Depth=1
	v_mov_b32_e32 v25, s9
	v_add_co_u32_e64 v30, s[6:7], s8, v6
	v_addc_co_u32_e64 v31, s[6:7], v5, v25, s[6:7]
	global_load_dword v25, v[30:31], off
	s_or_b64 exec, exec, s[16:17]
	s_and_saveexec_b64 s[16:17], s[4:5]
	s_cbranch_execz .LBB167_17
.LBB167_21:                             ;   in Loop: Header=BB167_9 Depth=1
	s_waitcnt vmcnt(0)
	v_cmp_gt_f32_e64 s[4:5], s21, v27
	v_cndmask_b32_e64 v30, 1.0, v23, s[4:5]
	v_mul_f32_e32 v27, v27, v30
	v_log_f32_e32 v27, v27
	v_mov_b32_e32 v29, s9
	v_add_co_u32_e64 v30, s[6:7], s8, v4
	v_addc_co_u32_e64 v31, s[6:7], v3, v29, s[6:7]
	v_mul_f32_e32 v29, 0x3f317217, v27
	v_fma_f32 v32, v27, s22, -v29
	v_fmac_f32_e32 v32, 0x3377d1cf, v27
	v_add_f32_e32 v29, v29, v32
	v_cmp_lt_f32_e64 s[6:7], |v27|, s23
	v_cndmask_b32_e64 v27, v27, v29, s[6:7]
	v_cndmask_b32_e64 v29, 0, v24, s[4:5]
	v_sub_f32_e32 v27, v27, v29
	global_store_dword v[30:31], v27, off
	s_or_b64 exec, exec, s[16:17]
	s_and_saveexec_b64 s[4:5], s[2:3]
	s_cbranch_execz .LBB167_18
.LBB167_22:                             ;   in Loop: Header=BB167_9 Depth=1
	s_waitcnt vmcnt(0)
	v_cmp_gt_f32_e64 s[2:3], s21, v28
	v_cndmask_b32_e64 v27, 1.0, v23, s[2:3]
	v_mul_f32_e32 v27, v28, v27
	v_log_f32_e32 v27, v27
	v_cndmask_b32_e64 v28, 0, v24, s[2:3]
	v_mul_f32_e32 v29, 0x3f317217, v27
	v_fma_f32 v30, v27, s22, -v29
	v_fmac_f32_e32 v30, 0x3377d1cf, v27
	v_add_f32_e32 v29, v29, v30
	v_cmp_lt_f32_e64 s[2:3], |v27|, s23
	v_cndmask_b32_e64 v27, v27, v29, s[2:3]
	v_sub_f32_e32 v27, v27, v28
	v_mov_b32_e32 v29, s9
	v_add_co_u32_e64 v28, s[2:3], s8, v16
	v_addc_co_u32_e64 v29, s[2:3], v15, v29, s[2:3]
	global_store_dword v[28:29], v27, off
	s_or_b64 exec, exec, s[4:5]
	s_and_saveexec_b64 s[2:3], s[0:1]
	s_cbranch_execz .LBB167_19
.LBB167_23:                             ;   in Loop: Header=BB167_9 Depth=1
	s_waitcnt vmcnt(0)
	v_cmp_gt_f32_e64 s[0:1], s21, v26
	v_cndmask_b32_e64 v27, 1.0, v23, s[0:1]
	v_mul_f32_e32 v26, v26, v27
	v_log_f32_e32 v26, v26
	v_cndmask_b32_e64 v27, 0, v24, s[0:1]
	v_mul_f32_e32 v28, 0x3f317217, v26
	v_fma_f32 v29, v26, s22, -v28
	v_fmac_f32_e32 v29, 0x3377d1cf, v26
	v_add_f32_e32 v28, v28, v29
	v_cmp_lt_f32_e64 s[0:1], |v26|, s23
	v_cndmask_b32_e64 v26, v26, v28, s[0:1]
	v_sub_f32_e32 v28, v26, v27
	v_mov_b32_e32 v27, s9
	v_add_co_u32_e64 v26, s[0:1], s8, v12
	v_addc_co_u32_e64 v27, s[0:1], v11, v27, s[0:1]
	global_store_dword v[26:27], v28, off
	s_or_b64 exec, exec, s[2:3]
	s_and_saveexec_b64 s[0:1], vcc
	s_cbranch_execz .LBB167_8
.LBB167_24:                             ;   in Loop: Header=BB167_9 Depth=1
	s_waitcnt vmcnt(0)
	v_cmp_gt_f32_e32 vcc, s21, v25
	v_cndmask_b32_e32 v26, 1.0, v23, vcc
	v_mul_f32_e32 v25, v25, v26
	v_log_f32_e32 v25, v25
	v_cndmask_b32_e32 v26, 0, v24, vcc
	v_mul_f32_e32 v27, 0x3f317217, v25
	v_fma_f32 v28, v25, s22, -v27
	v_fmac_f32_e32 v28, 0x3377d1cf, v25
	v_add_f32_e32 v27, v27, v28
	v_cmp_lt_f32_e64 vcc, |v25|, s23
	v_cndmask_b32_e32 v25, v25, v27, vcc
	v_sub_f32_e32 v25, v25, v26
	v_mov_b32_e32 v27, s9
	v_add_co_u32_e32 v26, vcc, s8, v8
	v_addc_co_u32_e32 v27, vcc, v7, v27, vcc
	global_store_dword v[26:27], v25, off
	s_branch .LBB167_8
.LBB167_25:
	s_endpgm
	.section	.rodata,"a",@progbits
	.p2align	6, 0x0
	.amdhsa_kernel _ZN2at6native12_GLOBAL__N_125multi_tensor_apply_kernelINS1_18TensorListMetadataILi2EEENS1_14UnaryOpFunctorIfLi2ELi1ELi1EEEJNS0_3LogIfEEEEEvT_T0_DpT1_
		.amdhsa_group_segment_fixed_size 0
		.amdhsa_private_segment_fixed_size 0
		.amdhsa_kernarg_size 3408
		.amdhsa_user_sgpr_count 6
		.amdhsa_user_sgpr_private_segment_buffer 1
		.amdhsa_user_sgpr_dispatch_ptr 0
		.amdhsa_user_sgpr_queue_ptr 0
		.amdhsa_user_sgpr_kernarg_segment_ptr 1
		.amdhsa_user_sgpr_dispatch_id 0
		.amdhsa_user_sgpr_flat_scratch_init 0
		.amdhsa_user_sgpr_kernarg_preload_length 0
		.amdhsa_user_sgpr_kernarg_preload_offset 0
		.amdhsa_user_sgpr_private_segment_size 0
		.amdhsa_uses_dynamic_stack 0
		.amdhsa_system_sgpr_private_segment_wavefront_offset 0
		.amdhsa_system_sgpr_workgroup_id_x 1
		.amdhsa_system_sgpr_workgroup_id_y 0
		.amdhsa_system_sgpr_workgroup_id_z 0
		.amdhsa_system_sgpr_workgroup_info 0
		.amdhsa_system_vgpr_workitem_id 0
		.amdhsa_next_free_vgpr 33
		.amdhsa_next_free_sgpr 27
		.amdhsa_accum_offset 36
		.amdhsa_reserve_vcc 1
		.amdhsa_reserve_flat_scratch 0
		.amdhsa_float_round_mode_32 0
		.amdhsa_float_round_mode_16_64 0
		.amdhsa_float_denorm_mode_32 3
		.amdhsa_float_denorm_mode_16_64 3
		.amdhsa_dx10_clamp 1
		.amdhsa_ieee_mode 1
		.amdhsa_fp16_overflow 0
		.amdhsa_tg_split 0
		.amdhsa_exception_fp_ieee_invalid_op 0
		.amdhsa_exception_fp_denorm_src 0
		.amdhsa_exception_fp_ieee_div_zero 0
		.amdhsa_exception_fp_ieee_overflow 0
		.amdhsa_exception_fp_ieee_underflow 0
		.amdhsa_exception_fp_ieee_inexact 0
		.amdhsa_exception_int_div_zero 0
	.end_amdhsa_kernel
	.section	.text._ZN2at6native12_GLOBAL__N_125multi_tensor_apply_kernelINS1_18TensorListMetadataILi2EEENS1_14UnaryOpFunctorIfLi2ELi1ELi1EEEJNS0_3LogIfEEEEEvT_T0_DpT1_,"axG",@progbits,_ZN2at6native12_GLOBAL__N_125multi_tensor_apply_kernelINS1_18TensorListMetadataILi2EEENS1_14UnaryOpFunctorIfLi2ELi1ELi1EEEJNS0_3LogIfEEEEEvT_T0_DpT1_,comdat
.Lfunc_end167:
	.size	_ZN2at6native12_GLOBAL__N_125multi_tensor_apply_kernelINS1_18TensorListMetadataILi2EEENS1_14UnaryOpFunctorIfLi2ELi1ELi1EEEJNS0_3LogIfEEEEEvT_T0_DpT1_, .Lfunc_end167-_ZN2at6native12_GLOBAL__N_125multi_tensor_apply_kernelINS1_18TensorListMetadataILi2EEENS1_14UnaryOpFunctorIfLi2ELi1ELi1EEEJNS0_3LogIfEEEEEvT_T0_DpT1_
                                        ; -- End function
	.section	.AMDGPU.csdata,"",@progbits
; Kernel info:
; codeLenInByte = 1880
; NumSgprs: 31
; NumVgprs: 33
; NumAgprs: 0
; TotalNumVgprs: 33
; ScratchSize: 0
; MemoryBound: 0
; FloatMode: 240
; IeeeMode: 1
; LDSByteSize: 0 bytes/workgroup (compile time only)
; SGPRBlocks: 3
; VGPRBlocks: 4
; NumSGPRsForWavesPerEU: 31
; NumVGPRsForWavesPerEU: 33
; AccumOffset: 36
; Occupancy: 8
; WaveLimiterHint : 0
; COMPUTE_PGM_RSRC2:SCRATCH_EN: 0
; COMPUTE_PGM_RSRC2:USER_SGPR: 6
; COMPUTE_PGM_RSRC2:TRAP_HANDLER: 0
; COMPUTE_PGM_RSRC2:TGID_X_EN: 1
; COMPUTE_PGM_RSRC2:TGID_Y_EN: 0
; COMPUTE_PGM_RSRC2:TGID_Z_EN: 0
; COMPUTE_PGM_RSRC2:TIDIG_COMP_CNT: 0
; COMPUTE_PGM_RSRC3_GFX90A:ACCUM_OFFSET: 8
; COMPUTE_PGM_RSRC3_GFX90A:TG_SPLIT: 0
	.section	.text._ZN2at6native12_GLOBAL__N_125multi_tensor_apply_kernelINS1_18TensorListMetadataILi2EEENS1_14UnaryOpFunctorIN3c107complexIdEELi2ELi1ELi1EEEJNS0_3LogIS8_EEEEEvT_T0_DpT1_,"axG",@progbits,_ZN2at6native12_GLOBAL__N_125multi_tensor_apply_kernelINS1_18TensorListMetadataILi2EEENS1_14UnaryOpFunctorIN3c107complexIdEELi2ELi1ELi1EEEJNS0_3LogIS8_EEEEEvT_T0_DpT1_,comdat
	.globl	_ZN2at6native12_GLOBAL__N_125multi_tensor_apply_kernelINS1_18TensorListMetadataILi2EEENS1_14UnaryOpFunctorIN3c107complexIdEELi2ELi1ELi1EEEJNS0_3LogIS8_EEEEEvT_T0_DpT1_ ; -- Begin function _ZN2at6native12_GLOBAL__N_125multi_tensor_apply_kernelINS1_18TensorListMetadataILi2EEENS1_14UnaryOpFunctorIN3c107complexIdEELi2ELi1ELi1EEEJNS0_3LogIS8_EEEEEvT_T0_DpT1_
	.p2align	8
	.type	_ZN2at6native12_GLOBAL__N_125multi_tensor_apply_kernelINS1_18TensorListMetadataILi2EEENS1_14UnaryOpFunctorIN3c107complexIdEELi2ELi1ELi1EEEJNS0_3LogIS8_EEEEEvT_T0_DpT1_,@function
_ZN2at6native12_GLOBAL__N_125multi_tensor_apply_kernelINS1_18TensorListMetadataILi2EEENS1_14UnaryOpFunctorIN3c107complexIdEELi2ELi1ELi1EEEJNS0_3LogIS8_EEEEEvT_T0_DpT1_: ; @_ZN2at6native12_GLOBAL__N_125multi_tensor_apply_kernelINS1_18TensorListMetadataILi2EEENS1_14UnaryOpFunctorIN3c107complexIdEELi2ELi1ELi1EEEJNS0_3LogIS8_EEEEEvT_T0_DpT1_
; %bb.0:
	v_mov_b32_e32 v1, s6
	global_load_ubyte v1, v1, s[4:5] offset:1536
	s_add_u32 s0, s4, s6
	s_mul_hi_u32 s3, s6, 3
	s_mul_i32 s6, s6, 3
	s_addc_u32 s7, s5, 0
	s_add_u32 s2, s0, s6
	s_addc_u32 s3, s7, s3
	s_load_dword s2, s[2:3], 0x740
	s_mov_b32 s9, 0
	s_mov_b32 s1, s9
	s_waitcnt lgkmcnt(0)
	s_ashr_i32 s3, s2, 31
	s_lshl_b64 s[14:15], s[2:3], 20
	s_waitcnt vmcnt(0)
	v_readfirstlane_b32 s0, v1
	s_lshl_b32 s0, s0, 3
	s_load_dwordx2 s[6:7], s[4:5], s0 offset:0x0
	s_load_dwordx2 s[10:11], s[4:5], s0 offset:0x400
	;; [unrolled: 1-line block ×3, first 2 shown]
	s_waitcnt lgkmcnt(0)
	s_add_u32 s33, s6, s14
	s_addc_u32 s66, s7, s15
	s_add_u32 s67, s12, s14
	s_addc_u32 s68, s13, s15
	s_and_b32 s0, s33, 63
	s_and_b32 s6, s10, 3
	s_mov_b32 s7, s9
	s_and_b32 s8, s67, 63
	s_or_b64 s[0:1], s[0:1], s[6:7]
	s_lshl_b64 s[2:3], s[2:3], 16
	s_or_b64 s[0:1], s[8:9], s[0:1]
	s_sub_u32 s14, s10, s2
	s_subb_u32 s15, s11, s3
	s_cmp_eq_u64 s[0:1], 0
	s_mov_b64 s[0:1], -1
	s_cbranch_scc0 .LBB168_141
; %bb.1:
	v_mov_b32_e32 v34, 0
	v_lshlrev_b32_e32 v2, 2, v0
	v_mov_b32_e32 v3, v34
	v_cmp_gt_i64_e32 vcc, s[14:15], v[2:3]
	s_and_saveexec_b64 s[10:11], vcc
	s_cbranch_execz .LBB168_140
; %bb.2:
	s_load_dword s0, s[4:5], 0xc5c
	v_mov_b32_e32 v1, v34
	s_mov_b32 s16, 0x85ebc8a0
	s_mov_b32 s18, 0x4ad4b81f
	;; [unrolled: 1-line block ×14, first 2 shown]
	s_mov_b64 s[12:13], 0
	v_mov_b32_e32 v106, s66
	s_brev_b32 s8, -2
	s_waitcnt lgkmcnt(0)
	s_and_b32 s64, s0, 0xffff
	s_mov_b32 s17, 0x7fd1ccf3
	s_mov_b32 s19, 0x358dee7a
	;; [unrolled: 1-line block ×9, first 2 shown]
	s_movk_i32 s65, 0x204
	s_mov_b32 s37, 0x3ff921fb
	s_mov_b32 s39, 0x400921fb
	;; [unrolled: 1-line block ×5, first 2 shown]
	s_brev_b32 s47, 4
	s_mov_b64 s[48:49], 0xffff
	v_mov_b32_e32 v36, 0x6b47b09a
	v_mov_b32_e32 v37, 0x3fc38538
	;; [unrolled: 1-line block ×58, first 2 shown]
	v_pk_mov_b32 v[86:87], v[0:1], v[0:1] op_sel:[0,1]
	s_branch .LBB168_5
.LBB168_3:                              ;   in Loop: Header=BB168_5 Depth=1
	s_or_b64 exec, exec, s[2:3]
	v_frexp_mant_f64_e32 v[2:3], v[6:7]
	v_cmp_gt_f64_e32 vcc, s[22:23], v[2:3]
	v_cndmask_b32_e64 v35, v113, 2.0, vcc
	v_mul_f64 v[2:3], v[2:3], v[34:35]
	v_add_f64 v[10:11], v[2:3], 1.0
	v_rcp_f64_e32 v[14:15], v[10:11]
	v_add_f64 v[32:33], v[10:11], -1.0
	v_add_f64 v[30:31], v[2:3], -1.0
	v_add_f64 v[2:3], v[2:3], -v[32:33]
	v_fma_f64 v[32:33], -v[10:11], v[14:15], 1.0
	v_fmac_f64_e32 v[14:15], v[32:33], v[14:15]
	v_fma_f64 v[32:33], -v[10:11], v[14:15], 1.0
	v_fmac_f64_e32 v[14:15], v[32:33], v[14:15]
	v_mul_f64 v[32:33], v[30:31], v[14:15]
	v_mul_f64 v[90:91], v[10:11], v[32:33]
	v_fma_f64 v[10:11], v[32:33], v[10:11], -v[90:91]
	v_fmac_f64_e32 v[10:11], v[32:33], v[2:3]
	v_add_f64 v[2:3], v[90:91], v[10:11]
	v_add_f64 v[92:93], v[30:31], -v[2:3]
	v_add_f64 v[90:91], v[2:3], -v[90:91]
	;; [unrolled: 1-line block ×5, first 2 shown]
	v_add_f64 v[2:3], v[10:11], v[2:3]
	v_add_f64 v[2:3], v[92:93], v[2:3]
	v_mul_f64 v[2:3], v[14:15], v[2:3]
	v_add_f64 v[10:11], v[32:33], v[2:3]
	v_add_f64 v[14:15], v[10:11], -v[32:33]
	v_add_f64 v[2:3], v[2:3], -v[14:15]
	v_mul_f64 v[14:15], v[10:11], v[10:11]
	v_pk_mov_b32 v[30:31], v[36:37], v[36:37] op_sel:[0,1]
	v_fmac_f64_e32 v[30:31], s[24:25], v[14:15]
	v_pk_mov_b32 v[32:33], v[38:39], v[38:39] op_sel:[0,1]
	v_fmac_f64_e32 v[32:33], v[14:15], v[30:31]
	;; [unrolled: 2-line block ×6, first 2 shown]
	v_ldexp_f64 v[30:31], v[10:11], 1
	v_mul_f64 v[10:11], v[10:11], v[14:15]
	v_mul_f64 v[10:11], v[10:11], v[32:33]
	v_add_f64 v[14:15], v[30:31], v[10:11]
	v_add_f64 v[30:31], v[14:15], -v[30:31]
	v_ldexp_f64 v[2:3], v[2:3], 1
	v_add_f64 v[10:11], v[10:11], -v[30:31]
	v_add_f64 v[2:3], v[2:3], v[10:11]
	v_frexp_exp_i32_f64_e32 v1, v[6:7]
	v_add_f64 v[10:11], v[14:15], v[2:3]
	v_subbrev_co_u32_e32 v1, vcc, 0, v1, vcc
	v_add_f64 v[14:15], v[10:11], -v[14:15]
	v_add_f64 v[2:3], v[2:3], -v[14:15]
	v_cvt_f64_i32_e32 v[14:15], v1
	v_mul_f64 v[30:31], v[14:15], s[26:27]
	v_fma_f64 v[32:33], v[14:15], s[26:27], -v[30:31]
	v_fmac_f64_e32 v[32:33], s[28:29], v[14:15]
	v_add_f64 v[14:15], v[30:31], v[32:33]
	v_add_f64 v[30:31], v[14:15], -v[30:31]
	v_add_f64 v[30:31], v[32:33], -v[30:31]
	v_add_f64 v[32:33], v[14:15], v[10:11]
	v_add_f64 v[90:91], v[32:33], -v[14:15]
	v_add_f64 v[92:93], v[32:33], -v[90:91]
	v_add_f64 v[14:15], v[14:15], -v[92:93]
	v_add_f64 v[10:11], v[10:11], -v[90:91]
	v_add_f64 v[10:11], v[10:11], v[14:15]
	v_add_f64 v[14:15], v[30:31], v[2:3]
	v_add_f64 v[90:91], v[14:15], -v[30:31]
	v_add_f64 v[92:93], v[14:15], -v[90:91]
	v_add_f64 v[10:11], v[14:15], v[10:11]
	v_add_f64 v[30:31], v[30:31], -v[92:93]
	v_add_f64 v[2:3], v[2:3], -v[90:91]
	v_add_f64 v[14:15], v[32:33], v[10:11]
	v_add_f64 v[2:3], v[2:3], v[30:31]
	v_add_f64 v[30:31], v[14:15], -v[32:33]
	v_add_f64 v[10:11], v[10:11], -v[30:31]
	v_add_f64 v[2:3], v[2:3], v[10:11]
	v_add_f64 v[2:3], v[14:15], v[2:3]
	v_cmp_class_f64_e64 vcc, v[6:7], s65
	v_cndmask_b32_e32 v1, v2, v6, vcc
	v_cndmask_b32_e32 v2, v3, v7, vcc
	v_cmp_ngt_f64_e32 vcc, 0, v[6:7]
	v_cndmask_b32_e32 v2, v107, v2, vcc
	v_cmp_nge_f64_e32 vcc, 0, v[6:7]
	v_cndmask_b32_e32 v30, 0, v1, vcc
	v_cmp_neq_f64_e32 vcc, 0, v[6:7]
	v_mov_b32_e32 v32, 0
	v_cndmask_b32_e32 v31, v108, v2, vcc
	v_mov_b32_e32 v33, 0x7ff80000
.LBB168_4:                              ;   in Loop: Header=BB168_5 Depth=1
	s_or_b64 exec, exec, s[0:1]
	v_mov_b32_e32 v1, s68
	v_add_co_u32_e32 v2, vcc, s67, v88
	v_addc_co_u32_e32 v3, vcc, v1, v89, vcc
	v_mov_b32_e32 v1, s9
	v_add_co_u32_e32 v86, vcc, s64, v86
	v_addc_co_u32_e32 v87, vcc, v87, v1, vcc
	v_bfi_b32 v33, s8, v33, v5
	v_lshlrev_b64 v[4:5], 2, v[86:87]
	v_cmp_le_i64_e32 vcc, s[14:15], v[4:5]
	v_cmp_lt_u64_e64 s[0:1], s[48:49], v[4:5]
	s_or_b64 s[0:1], vcc, s[0:1]
	s_and_b64 s[0:1], exec, s[0:1]
	v_bfi_b32 v21, s8, v21, v9
	s_or_b64 s[12:13], s[0:1], s[12:13]
	v_bfi_b32 v29, s8, v29, v17
	v_bfi_b32 v25, s8, v25, v13
	global_store_dwordx4 v[2:3], v[18:21], off
	global_store_dwordx4 v[2:3], v[22:25], off offset:16
	global_store_dwordx4 v[2:3], v[26:29], off offset:32
	;; [unrolled: 1-line block ×3, first 2 shown]
	s_andn2_b64 exec, exec, s[12:13]
	s_cbranch_execz .LBB168_140
.LBB168_5:                              ; =>This Loop Header: Depth=1
                                        ;     Child Loop BB168_16 Depth 2
                                        ;     Child Loop BB168_50 Depth 2
	;; [unrolled: 1-line block ×4, first 2 shown]
	v_lshlrev_b64 v[88:89], 6, v[86:87]
	v_add_co_u32_e32 v18, vcc, s33, v88
	v_addc_co_u32_e32 v19, vcc, v106, v89, vcc
	global_load_dwordx4 v[10:13], v[18:19], off offset:16
	global_load_dwordx4 v[6:9], v[18:19], off
	global_load_dwordx4 v[2:5], v[18:19], off offset:48
	global_load_dwordx4 v[14:17], v[18:19], off offset:32
                                        ; implicit-def: $vgpr18_vgpr19
	s_waitcnt vmcnt(2)
	v_cmp_o_f64_e32 vcc, v[6:7], v[8:9]
	s_and_saveexec_b64 s[0:1], vcc
	s_xor_b64 s[50:51], exec, s[0:1]
	s_cbranch_execz .LBB168_33
; %bb.6:                                ;   in Loop: Header=BB168_5 Depth=1
	v_and_b32_e32 v21, 0x7fffffff, v7
	v_and_b32_e32 v1, 0x7fffffff, v9
	v_mov_b32_e32 v20, v8
	v_cmp_lt_f64_e64 s[0:1], |v[6:7]|, |v[8:9]|
	v_cndmask_b32_e64 v23, v1, v21, s[0:1]
	v_cndmask_b32_e64 v22, v20, v6, s[0:1]
	v_cmp_nlt_f64_e32 vcc, s[16:17], v[22:23]
                                        ; implicit-def: $vgpr18_vgpr19
	s_and_saveexec_b64 s[2:3], vcc
	s_xor_b64 s[6:7], exec, s[2:3]
	s_cbranch_execz .LBB168_30
; %bb.7:                                ;   in Loop: Header=BB168_5 Depth=1
	v_cndmask_b32_e64 v25, v21, v1, s[0:1]
	v_cndmask_b32_e64 v24, v6, v20, s[0:1]
	v_cmp_neq_f64_e32 vcc, 1.0, v[24:25]
                                        ; implicit-def: $vgpr18_vgpr19
	s_and_saveexec_b64 s[2:3], vcc
	s_xor_b64 s[52:53], exec, s[2:3]
	s_cbranch_execz .LBB168_23
; %bb.8:                                ;   in Loop: Header=BB168_5 Depth=1
	v_max_f64 v[18:19], v[22:23], v[22:23]
	v_max_f64 v[20:21], v[24:25], v[24:25]
	v_min_f64 v[26:27], v[20:21], v[18:19]
	v_max_f64 v[18:19], v[20:21], v[18:19]
	v_cmp_ngt_f64_e32 vcc, s[18:19], v[26:27]
	v_cmp_nlt_f64_e64 s[2:3], s[20:21], v[18:19]
	s_and_b64 s[2:3], s[2:3], vcc
                                        ; implicit-def: $vgpr18_vgpr19
	s_and_saveexec_b64 s[54:55], s[2:3]
	s_xor_b64 s[54:55], exec, s[54:55]
	s_cbranch_execz .LBB168_20
; %bb.9:                                ;   in Loop: Header=BB168_5 Depth=1
	v_cmp_le_f64_e32 vcc, 1.0, v[24:25]
                                        ; implicit-def: $vgpr18_vgpr19
	s_and_saveexec_b64 s[2:3], vcc
	s_xor_b64 s[2:3], exec, s[2:3]
	s_cbranch_execz .LBB168_11
; %bb.10:                               ;   in Loop: Header=BB168_5 Depth=1
	v_add_f64 v[18:19], v[24:25], -1.0
	v_add_f64 v[20:21], v[24:25], 1.0
	v_mul_f64 v[20:21], v[18:19], v[20:21]
	v_fmac_f64_e32 v[20:21], v[22:23], v[22:23]
	v_add_f64 v[18:19], v[20:21], 1.0
	v_add_f64 v[22:23], v[18:19], -1.0
	v_add_f64 v[24:25], v[22:23], -v[18:19]
	v_add_f64 v[24:25], v[24:25], 1.0
	v_add_f64 v[22:23], v[20:21], -v[22:23]
	v_add_f64 v[22:23], v[22:23], v[24:25]
	v_frexp_mant_f64_e32 v[24:25], v[18:19]
	v_frexp_exp_i32_f64_e32 v1, v[18:19]
	v_cmp_gt_f64_e32 vcc, s[22:23], v[24:25]
	v_subbrev_co_u32_e32 v1, vcc, 0, v1, vcc
	v_sub_u32_e32 v24, 0, v1
	v_ldexp_f64 v[18:19], v[18:19], v24
	v_ldexp_f64 v[22:23], v[22:23], v24
	v_add_f64 v[24:25], v[18:19], -1.0
	v_add_f64 v[30:31], v[18:19], 1.0
	v_add_f64 v[26:27], v[24:25], 1.0
	v_add_f64 v[32:33], v[30:31], -1.0
	v_add_f64 v[26:27], v[18:19], -v[26:27]
	v_add_f64 v[18:19], v[18:19], -v[32:33]
	v_add_f64 v[18:19], v[22:23], v[18:19]
	v_add_f64 v[26:27], v[22:23], v[26:27]
	;; [unrolled: 1-line block ×3, first 2 shown]
	v_rcp_f64_e32 v[32:33], v[22:23]
	v_add_f64 v[28:29], v[24:25], v[26:27]
	v_add_f64 v[24:25], v[28:29], -v[24:25]
	v_add_f64 v[24:25], v[26:27], -v[24:25]
	;; [unrolled: 1-line block ×4, first 2 shown]
	v_fma_f64 v[26:27], -v[22:23], v[32:33], 1.0
	v_fmac_f64_e32 v[32:33], v[26:27], v[32:33]
	v_fma_f64 v[26:27], -v[22:23], v[32:33], 1.0
	v_fmac_f64_e32 v[32:33], v[26:27], v[32:33]
	v_mul_f64 v[26:27], v[28:29], v[32:33]
	v_mul_f64 v[30:31], v[22:23], v[26:27]
	v_fma_f64 v[90:91], v[26:27], v[22:23], -v[30:31]
	v_fmac_f64_e32 v[90:91], v[26:27], v[18:19]
	v_add_f64 v[92:93], v[30:31], v[90:91]
	v_add_f64 v[94:95], v[28:29], -v[92:93]
	v_add_f64 v[28:29], v[28:29], -v[94:95]
	;; [unrolled: 1-line block ×4, first 2 shown]
	v_add_f64 v[24:25], v[24:25], v[28:29]
	v_add_f64 v[28:29], v[30:31], -v[90:91]
	v_add_f64 v[24:25], v[28:29], v[24:25]
	v_add_f64 v[28:29], v[94:95], v[24:25]
	v_add_f64 v[30:31], v[94:95], -v[28:29]
	v_add_f64 v[24:25], v[24:25], v[30:31]
	v_mul_f64 v[30:31], v[32:33], v[28:29]
	v_mul_f64 v[90:91], v[22:23], v[30:31]
	v_fma_f64 v[22:23], v[30:31], v[22:23], -v[90:91]
	v_fmac_f64_e32 v[22:23], v[30:31], v[18:19]
	v_add_f64 v[18:19], v[90:91], v[22:23]
	v_add_f64 v[92:93], v[28:29], -v[18:19]
	v_add_f64 v[28:29], v[28:29], -v[92:93]
	;; [unrolled: 1-line block ×4, first 2 shown]
	v_add_f64 v[18:19], v[24:25], v[18:19]
	v_add_f64 v[22:23], v[90:91], -v[22:23]
	v_add_f64 v[18:19], v[22:23], v[18:19]
	v_add_f64 v[22:23], v[26:27], v[30:31]
	;; [unrolled: 1-line block ×3, first 2 shown]
	v_add_f64 v[24:25], v[22:23], -v[26:27]
	v_mul_f64 v[18:19], v[32:33], v[18:19]
	v_add_f64 v[24:25], v[30:31], -v[24:25]
	v_add_f64 v[18:19], v[24:25], v[18:19]
	v_add_f64 v[24:25], v[22:23], v[18:19]
	v_add_f64 v[22:23], v[24:25], -v[22:23]
	v_add_f64 v[18:19], v[18:19], -v[22:23]
	v_mul_f64 v[22:23], v[24:25], v[24:25]
	v_pk_mov_b32 v[26:27], v[36:37], v[36:37] op_sel:[0,1]
	v_fmac_f64_e32 v[26:27], s[24:25], v[22:23]
	v_pk_mov_b32 v[28:29], v[38:39], v[38:39] op_sel:[0,1]
	v_fmac_f64_e32 v[28:29], v[22:23], v[26:27]
	v_pk_mov_b32 v[26:27], v[40:41], v[40:41] op_sel:[0,1]
	v_fmac_f64_e32 v[26:27], v[22:23], v[28:29]
	v_pk_mov_b32 v[28:29], v[42:43], v[42:43] op_sel:[0,1]
	v_fmac_f64_e32 v[28:29], v[22:23], v[26:27]
	v_pk_mov_b32 v[26:27], v[44:45], v[44:45] op_sel:[0,1]
	v_fmac_f64_e32 v[26:27], v[22:23], v[28:29]
	v_pk_mov_b32 v[28:29], v[46:47], v[46:47] op_sel:[0,1]
	v_fmac_f64_e32 v[28:29], v[22:23], v[26:27]
	v_cvt_f64_i32_e32 v[26:27], v1
	v_mul_f64 v[30:31], v[26:27], s[26:27]
	v_fma_f64 v[32:33], v[26:27], s[26:27], -v[30:31]
	v_fmac_f64_e32 v[32:33], s[28:29], v[26:27]
	v_add_f64 v[26:27], v[30:31], v[32:33]
	v_add_f64 v[30:31], v[26:27], -v[30:31]
	v_mul_f64 v[22:23], v[24:25], v[22:23]
	v_add_f64 v[30:31], v[32:33], -v[30:31]
	v_ldexp_f64 v[32:33], v[24:25], 1
	v_mul_f64 v[22:23], v[22:23], v[28:29]
	v_add_f64 v[24:25], v[32:33], v[22:23]
	v_add_f64 v[28:29], v[24:25], -v[32:33]
	v_ldexp_f64 v[18:19], v[18:19], 1
	v_add_f64 v[22:23], v[22:23], -v[28:29]
	v_add_f64 v[18:19], v[18:19], v[22:23]
	v_add_f64 v[22:23], v[24:25], v[18:19]
	v_add_f64 v[24:25], v[22:23], -v[24:25]
	v_add_f64 v[18:19], v[18:19], -v[24:25]
	v_add_f64 v[24:25], v[26:27], v[22:23]
	v_add_f64 v[28:29], v[24:25], -v[26:27]
	v_add_f64 v[32:33], v[24:25], -v[28:29]
	;; [unrolled: 1-line block ×4, first 2 shown]
	v_add_f64 v[22:23], v[22:23], v[26:27]
	v_add_f64 v[26:27], v[30:31], v[18:19]
	v_add_f64 v[28:29], v[26:27], -v[30:31]
	v_add_f64 v[22:23], v[26:27], v[22:23]
	v_add_f64 v[32:33], v[26:27], -v[28:29]
	v_add_f64 v[26:27], v[24:25], v[22:23]
	v_add_f64 v[30:31], v[30:31], -v[32:33]
	v_add_f64 v[18:19], v[18:19], -v[28:29]
	v_add_f64 v[24:25], v[26:27], -v[24:25]
	v_add_f64 v[18:19], v[18:19], v[30:31]
	v_add_f64 v[22:23], v[22:23], -v[24:25]
	v_add_f64 v[18:19], v[18:19], v[22:23]
	v_max_f64 v[22:23], |v[8:9]|, |v[8:9]|
	v_max_f64 v[24:25], |v[6:7]|, |v[6:7]|
	v_add_f64 v[18:19], v[26:27], v[18:19]
	v_max_f64 v[26:27], v[24:25], v[22:23]
	v_min_f64 v[22:23], v[24:25], v[22:23]
	v_div_scale_f64 v[24:25], s[56:57], v[26:27], v[26:27], v[22:23]
	v_cmp_eq_f64_e32 vcc, s[30:31], v[20:21]
	v_rcp_f64_e32 v[28:29], v[24:25]
	v_cndmask_b32_e32 v19, v19, v21, vcc
	v_cndmask_b32_e32 v18, v18, v20, vcc
	v_mul_f64 v[18:19], v[18:19], 0.5
	v_cmp_ngt_f64_e32 vcc, -1.0, v[20:21]
	v_cndmask_b32_e32 v1, v107, v19, vcc
	v_cmp_nge_f64_e32 vcc, -1.0, v[20:21]
	v_cndmask_b32_e32 v18, 0, v18, vcc
	v_cmp_neq_f64_e32 vcc, -1.0, v[20:21]
	v_fma_f64 v[20:21], -v[24:25], v[28:29], 1.0
	v_fmac_f64_e32 v[28:29], v[28:29], v[20:21]
	v_fma_f64 v[20:21], -v[24:25], v[28:29], 1.0
	v_cndmask_b32_e32 v19, v108, v1, vcc
	v_fmac_f64_e32 v[28:29], v[28:29], v[20:21]
	v_div_scale_f64 v[20:21], vcc, v[22:23], v[26:27], v[22:23]
	v_mul_f64 v[30:31], v[20:21], v[28:29]
	v_fma_f64 v[20:21], -v[24:25], v[30:31], v[20:21]
	v_pk_mov_b32 v[24:25], v[48:49], v[48:49] op_sel:[0,1]
	s_nop 0
	v_div_fmas_f64 v[20:21], v[20:21], v[28:29], v[30:31]
	v_div_fixup_f64 v[20:21], v[20:21], v[26:27], v[22:23]
	v_mul_f64 v[22:23], v[20:21], v[20:21]
	v_fmac_f64_e32 v[24:25], s[34:35], v[22:23]
	v_pk_mov_b32 v[26:27], v[50:51], v[50:51] op_sel:[0,1]
	v_fmac_f64_e32 v[26:27], v[22:23], v[24:25]
	v_pk_mov_b32 v[24:25], v[52:53], v[52:53] op_sel:[0,1]
	;; [unrolled: 2-line block ×18, first 2 shown]
	v_fmac_f64_e32 v[24:25], v[22:23], v[26:27]
	v_mul_f64 v[22:23], v[22:23], v[24:25]
	v_cmp_gt_i32_e32 vcc, 0, v7
	v_fmac_f64_e32 v[20:21], v[20:21], v[22:23]
	v_cndmask_b32_e32 v22, v111, v112, vcc
	v_bfi_b32 v24, s8, v22, v9
	v_ashrrev_i32_e32 v22, 31, v7
	v_and_b32_e32 v25, 0x400921fb, v22
	v_and_b32_e32 v26, 0x54442d18, v22
	v_add_f64 v[22:23], -v[20:21], s[36:37]
	v_cndmask_b32_e64 v21, v21, v23, s[0:1]
	v_cndmask_b32_e64 v20, v20, v22, s[0:1]
	s_mov_b32 s38, s36
	v_add_f64 v[22:23], -v[20:21], s[38:39]
	v_cmp_class_f64_e64 s[56:57], v[8:9], s65
	v_cmp_class_f64_e64 s[58:59], v[6:7], s65
	v_cndmask_b32_e32 v1, v109, v110, vcc
	v_cndmask_b32_e32 v21, v21, v23, vcc
	v_cndmask_b32_e32 v20, v20, v22, vcc
	v_cmp_eq_f64_e32 vcc, 0, v[8:9]
	v_cndmask_b32_e32 v20, v20, v26, vcc
	v_cndmask_b32_e32 v21, v21, v25, vcc
	s_and_b64 vcc, s[58:59], s[56:57]
	v_cndmask_b32_e32 v21, v21, v24, vcc
	v_cndmask_b32_e32 v20, v20, v1, vcc
                                        ; implicit-def: $vgpr22_vgpr23
                                        ; implicit-def: $vgpr24_vgpr25
.LBB168_11:                             ;   in Loop: Header=BB168_5 Depth=1
	s_andn2_saveexec_b64 s[56:57], s[2:3]
	s_cbranch_execz .LBB168_19
; %bb.12:                               ;   in Loop: Header=BB168_5 Depth=1
	v_mul_f64 v[20:21], v[22:23], v[22:23]
	v_fmac_f64_e32 v[20:21], v[24:25], v[24:25]
	v_cmp_ge_f64_e32 vcc, s[40:41], v[20:21]
                                        ; implicit-def: $vgpr18_vgpr19
	s_and_saveexec_b64 s[2:3], vcc
	s_xor_b64 s[2:3], exec, s[2:3]
	s_cbranch_execz .LBB168_14
; %bb.13:                               ;   in Loop: Header=BB168_5 Depth=1
	v_frexp_mant_f64_e32 v[18:19], v[20:21]
	v_cmp_gt_f64_e32 vcc, s[22:23], v[18:19]
	v_cndmask_b32_e64 v35, v113, 2.0, vcc
	v_mul_f64 v[18:19], v[18:19], v[34:35]
	v_add_f64 v[22:23], v[18:19], 1.0
	v_rcp_f64_e32 v[24:25], v[22:23]
	v_add_f64 v[28:29], v[22:23], -1.0
	v_add_f64 v[26:27], v[18:19], -1.0
	v_add_f64 v[18:19], v[18:19], -v[28:29]
	v_fma_f64 v[28:29], -v[22:23], v[24:25], 1.0
	v_fmac_f64_e32 v[24:25], v[28:29], v[24:25]
	v_fma_f64 v[28:29], -v[22:23], v[24:25], 1.0
	v_fmac_f64_e32 v[24:25], v[28:29], v[24:25]
	v_mul_f64 v[28:29], v[26:27], v[24:25]
	v_mul_f64 v[30:31], v[22:23], v[28:29]
	v_fma_f64 v[22:23], v[28:29], v[22:23], -v[30:31]
	v_fmac_f64_e32 v[22:23], v[28:29], v[18:19]
	v_add_f64 v[18:19], v[30:31], v[22:23]
	v_add_f64 v[32:33], v[26:27], -v[18:19]
	v_add_f64 v[30:31], v[18:19], -v[30:31]
	;; [unrolled: 1-line block ×5, first 2 shown]
	v_add_f64 v[18:19], v[22:23], v[18:19]
	v_add_f64 v[18:19], v[32:33], v[18:19]
	v_mul_f64 v[18:19], v[24:25], v[18:19]
	v_add_f64 v[22:23], v[28:29], v[18:19]
	v_add_f64 v[24:25], v[22:23], -v[28:29]
	v_add_f64 v[18:19], v[18:19], -v[24:25]
	v_mul_f64 v[24:25], v[22:23], v[22:23]
	v_pk_mov_b32 v[26:27], v[36:37], v[36:37] op_sel:[0,1]
	v_fmac_f64_e32 v[26:27], s[24:25], v[24:25]
	v_pk_mov_b32 v[28:29], v[38:39], v[38:39] op_sel:[0,1]
	v_fmac_f64_e32 v[28:29], v[24:25], v[26:27]
	v_pk_mov_b32 v[26:27], v[40:41], v[40:41] op_sel:[0,1]
	v_fmac_f64_e32 v[26:27], v[24:25], v[28:29]
	v_pk_mov_b32 v[28:29], v[42:43], v[42:43] op_sel:[0,1]
	v_fmac_f64_e32 v[28:29], v[24:25], v[26:27]
	v_pk_mov_b32 v[26:27], v[44:45], v[44:45] op_sel:[0,1]
	v_fmac_f64_e32 v[26:27], v[24:25], v[28:29]
	v_pk_mov_b32 v[28:29], v[46:47], v[46:47] op_sel:[0,1]
	v_fmac_f64_e32 v[28:29], v[24:25], v[26:27]
	v_ldexp_f64 v[26:27], v[22:23], 1
	v_mul_f64 v[22:23], v[22:23], v[24:25]
	v_mul_f64 v[22:23], v[22:23], v[28:29]
	v_add_f64 v[24:25], v[26:27], v[22:23]
	v_add_f64 v[26:27], v[24:25], -v[26:27]
	v_ldexp_f64 v[18:19], v[18:19], 1
	v_add_f64 v[22:23], v[22:23], -v[26:27]
	v_add_f64 v[18:19], v[18:19], v[22:23]
	v_frexp_exp_i32_f64_e32 v1, v[20:21]
	v_add_f64 v[22:23], v[24:25], v[18:19]
	v_subbrev_co_u32_e32 v1, vcc, 0, v1, vcc
	v_add_f64 v[24:25], v[22:23], -v[24:25]
	v_add_f64 v[18:19], v[18:19], -v[24:25]
	v_cvt_f64_i32_e32 v[24:25], v1
	v_mul_f64 v[26:27], v[24:25], s[26:27]
	v_fma_f64 v[28:29], v[24:25], s[26:27], -v[26:27]
	v_fmac_f64_e32 v[28:29], s[28:29], v[24:25]
	v_add_f64 v[24:25], v[26:27], v[28:29]
	v_add_f64 v[26:27], v[24:25], -v[26:27]
	v_add_f64 v[26:27], v[28:29], -v[26:27]
	v_add_f64 v[28:29], v[24:25], v[22:23]
	v_add_f64 v[30:31], v[28:29], -v[24:25]
	v_add_f64 v[32:33], v[28:29], -v[30:31]
	v_add_f64 v[24:25], v[24:25], -v[32:33]
	v_add_f64 v[22:23], v[22:23], -v[30:31]
	v_add_f64 v[22:23], v[22:23], v[24:25]
	v_add_f64 v[24:25], v[26:27], v[18:19]
	v_add_f64 v[30:31], v[24:25], -v[26:27]
	v_add_f64 v[32:33], v[24:25], -v[30:31]
	v_add_f64 v[22:23], v[24:25], v[22:23]
	v_add_f64 v[26:27], v[26:27], -v[32:33]
	v_add_f64 v[18:19], v[18:19], -v[30:31]
	v_add_f64 v[24:25], v[28:29], v[22:23]
	v_add_f64 v[18:19], v[18:19], v[26:27]
	v_add_f64 v[26:27], v[24:25], -v[28:29]
	v_add_f64 v[22:23], v[22:23], -v[26:27]
	v_add_f64 v[18:19], v[18:19], v[22:23]
	v_add_f64 v[18:19], v[24:25], v[18:19]
	v_max_f64 v[22:23], |v[8:9]|, |v[8:9]|
	v_max_f64 v[24:25], |v[6:7]|, |v[6:7]|
	v_max_f64 v[26:27], v[24:25], v[22:23]
	v_min_f64 v[22:23], v[24:25], v[22:23]
	v_div_scale_f64 v[24:25], s[58:59], v[26:27], v[26:27], v[22:23]
	v_rcp_f64_e32 v[28:29], v[24:25]
	v_cmp_neq_f64_e32 vcc, 0, v[20:21]
	v_mul_f64 v[18:19], v[18:19], 0.5
	v_cndmask_b32_e32 v19, v108, v19, vcc
	v_fma_f64 v[20:21], -v[24:25], v[28:29], 1.0
	v_fmac_f64_e32 v[28:29], v[28:29], v[20:21]
	v_fma_f64 v[20:21], -v[24:25], v[28:29], 1.0
	v_cndmask_b32_e32 v18, 0, v18, vcc
	v_fmac_f64_e32 v[28:29], v[28:29], v[20:21]
	v_div_scale_f64 v[20:21], vcc, v[22:23], v[26:27], v[22:23]
	v_mul_f64 v[30:31], v[20:21], v[28:29]
	v_fma_f64 v[20:21], -v[24:25], v[30:31], v[20:21]
	v_pk_mov_b32 v[24:25], v[48:49], v[48:49] op_sel:[0,1]
	s_nop 0
	v_div_fmas_f64 v[20:21], v[20:21], v[28:29], v[30:31]
	v_div_fixup_f64 v[20:21], v[20:21], v[26:27], v[22:23]
	v_mul_f64 v[22:23], v[20:21], v[20:21]
	v_fmac_f64_e32 v[24:25], s[34:35], v[22:23]
	v_pk_mov_b32 v[26:27], v[50:51], v[50:51] op_sel:[0,1]
	v_fmac_f64_e32 v[26:27], v[22:23], v[24:25]
	v_pk_mov_b32 v[24:25], v[52:53], v[52:53] op_sel:[0,1]
	v_fmac_f64_e32 v[24:25], v[22:23], v[26:27]
	v_pk_mov_b32 v[26:27], v[54:55], v[54:55] op_sel:[0,1]
	v_fmac_f64_e32 v[26:27], v[22:23], v[24:25]
	v_pk_mov_b32 v[24:25], v[56:57], v[56:57] op_sel:[0,1]
	v_fmac_f64_e32 v[24:25], v[22:23], v[26:27]
	v_pk_mov_b32 v[26:27], v[58:59], v[58:59] op_sel:[0,1]
	v_fmac_f64_e32 v[26:27], v[22:23], v[24:25]
	v_pk_mov_b32 v[24:25], v[60:61], v[60:61] op_sel:[0,1]
	v_fmac_f64_e32 v[24:25], v[22:23], v[26:27]
	v_pk_mov_b32 v[26:27], v[62:63], v[62:63] op_sel:[0,1]
	v_fmac_f64_e32 v[26:27], v[22:23], v[24:25]
	v_pk_mov_b32 v[24:25], v[64:65], v[64:65] op_sel:[0,1]
	v_fmac_f64_e32 v[24:25], v[22:23], v[26:27]
	v_pk_mov_b32 v[26:27], v[66:67], v[66:67] op_sel:[0,1]
	v_fmac_f64_e32 v[26:27], v[22:23], v[24:25]
	v_pk_mov_b32 v[24:25], v[68:69], v[68:69] op_sel:[0,1]
	v_fmac_f64_e32 v[24:25], v[22:23], v[26:27]
	v_pk_mov_b32 v[26:27], v[70:71], v[70:71] op_sel:[0,1]
	v_fmac_f64_e32 v[26:27], v[22:23], v[24:25]
	v_pk_mov_b32 v[24:25], v[72:73], v[72:73] op_sel:[0,1]
	v_fmac_f64_e32 v[24:25], v[22:23], v[26:27]
	v_pk_mov_b32 v[26:27], v[74:75], v[74:75] op_sel:[0,1]
	v_fmac_f64_e32 v[26:27], v[22:23], v[24:25]
	v_pk_mov_b32 v[24:25], v[76:77], v[76:77] op_sel:[0,1]
	v_fmac_f64_e32 v[24:25], v[22:23], v[26:27]
	v_pk_mov_b32 v[26:27], v[78:79], v[78:79] op_sel:[0,1]
	v_fmac_f64_e32 v[26:27], v[22:23], v[24:25]
	v_pk_mov_b32 v[24:25], v[80:81], v[80:81] op_sel:[0,1]
	v_fmac_f64_e32 v[24:25], v[22:23], v[26:27]
	v_pk_mov_b32 v[26:27], v[82:83], v[82:83] op_sel:[0,1]
	v_fmac_f64_e32 v[26:27], v[22:23], v[24:25]
	v_pk_mov_b32 v[24:25], v[84:85], v[84:85] op_sel:[0,1]
	v_fmac_f64_e32 v[24:25], v[22:23], v[26:27]
	v_mul_f64 v[22:23], v[22:23], v[24:25]
	v_cmp_gt_i32_e32 vcc, 0, v7
	v_fmac_f64_e32 v[20:21], v[20:21], v[22:23]
	v_cndmask_b32_e32 v22, v111, v112, vcc
	v_bfi_b32 v24, s8, v22, v9
	v_ashrrev_i32_e32 v22, 31, v7
	v_and_b32_e32 v25, 0x400921fb, v22
	v_and_b32_e32 v26, 0x54442d18, v22
	v_add_f64 v[22:23], -v[20:21], s[36:37]
	v_cndmask_b32_e64 v21, v21, v23, s[0:1]
	v_cndmask_b32_e64 v20, v20, v22, s[0:1]
	s_mov_b32 s38, s36
	v_add_f64 v[22:23], -v[20:21], s[38:39]
	v_cmp_class_f64_e64 s[58:59], v[8:9], s65
	v_cmp_class_f64_e64 s[60:61], v[6:7], s65
	v_cndmask_b32_e32 v1, v109, v110, vcc
	v_cndmask_b32_e32 v21, v21, v23, vcc
	;; [unrolled: 1-line block ×3, first 2 shown]
	v_cmp_eq_f64_e32 vcc, 0, v[8:9]
	v_cndmask_b32_e32 v20, v20, v26, vcc
	v_cndmask_b32_e32 v21, v21, v25, vcc
	s_and_b64 vcc, s[60:61], s[58:59]
	v_cndmask_b32_e32 v21, v21, v24, vcc
	v_cndmask_b32_e32 v20, v20, v1, vcc
                                        ; implicit-def: $vgpr24_vgpr25
                                        ; implicit-def: $vgpr22_vgpr23
.LBB168_14:                             ;   in Loop: Header=BB168_5 Depth=1
	s_andn2_saveexec_b64 s[58:59], s[2:3]
	s_cbranch_execz .LBB168_18
; %bb.15:                               ;   in Loop: Header=BB168_5 Depth=1
	v_and_b32_e32 v35, 0x7ffffff8, v25
	v_add_f64 v[18:19], v[24:25], -v[34:35]
	v_and_b32_e32 v91, -8, v19
	v_mov_b32_e32 v90, v34
	v_and_b32_e32 v25, 0x7ffffff8, v23
	v_mov_b32_e32 v24, v34
	v_add_f64 v[94:95], v[18:19], -v[90:91]
	v_add_f64 v[18:19], v[22:23], -v[24:25]
	v_and_b32_e32 v93, -8, v19
	v_mov_b32_e32 v92, v34
	v_add_f64 v[28:29], v[34:35], v[34:35]
	v_add_f64 v[98:99], v[24:25], v[24:25]
	v_add_f64 v[96:97], v[18:19], -v[92:93]
	v_mul_f64 v[20:21], v[24:25], v[24:25]
	v_mul_f64 v[26:27], v[28:29], v[90:91]
	;; [unrolled: 1-line block ×5, first 2 shown]
	v_add_f64 v[90:91], v[90:91], v[90:91]
	v_add_f64 v[92:93], v[92:93], v[92:93]
	v_mul_f64 v[18:19], v[34:35], v[34:35]
	v_mul_f64 v[30:31], v[28:29], v[94:95]
	v_mul_f64 v[28:29], v[98:99], v[96:97]
	v_mul_f64 v[90:91], v[90:91], v[94:95]
	v_mul_f64 v[92:93], v[92:93], v[96:97]
	v_mul_f64 v[94:95], v[94:95], v[94:95]
	v_mul_f64 v[96:97], v[96:97], v[96:97]
	s_mov_b64 s[60:61], 0
.LBB168_16:                             ;   Parent Loop BB168_5 Depth=1
                                        ; =>  This Inner Loop Header: Depth=2
	v_cmp_nlt_f64_e32 vcc, v[18:19], v[20:21]
	v_cndmask_b32_e32 v99, v19, v21, vcc
	v_cndmask_b32_e32 v98, v18, v20, vcc
	v_cmp_nlt_f64_e64 s[2:3], v[98:99], v[26:27]
	v_cndmask_b32_e64 v101, v99, v27, s[2:3]
	v_cndmask_b32_e64 v100, v98, v26, s[2:3]
	v_cndmask_b32_e32 v19, v21, v19, vcc
	v_cndmask_b32_e32 v18, v20, v18, vcc
	s_and_b64 s[62:63], vcc, s[2:3]
	v_cmp_nlt_f64_e32 vcc, v[100:101], v[24:25]
	v_cndmask_b32_e64 v21, v27, v99, s[2:3]
	v_cndmask_b32_e64 v20, v26, v98, s[2:3]
	v_cndmask_b32_e32 v99, v101, v25, vcc
	v_cndmask_b32_e32 v98, v100, v24, vcc
	v_cmp_nlt_f64_e64 s[2:3], v[98:99], v[32:33]
	v_cndmask_b32_e32 v27, v25, v101, vcc
	v_cndmask_b32_e32 v26, v24, v100, vcc
	v_cndmask_b32_e64 v101, v99, v33, s[2:3]
	v_cndmask_b32_e64 v100, v98, v32, s[2:3]
	s_and_b64 s[70:71], vcc, s[2:3]
	v_cmp_nlt_f64_e32 vcc, v[100:101], v[22:23]
	v_cndmask_b32_e64 v25, v33, v99, s[2:3]
	v_cndmask_b32_e64 v24, v32, v98, s[2:3]
	v_cndmask_b32_e32 v99, v101, v23, vcc
	v_cndmask_b32_e32 v98, v100, v22, vcc
	v_cmp_nlt_f64_e64 s[2:3], v[98:99], v[30:31]
	v_cndmask_b32_e32 v33, v23, v101, vcc
	v_cndmask_b32_e32 v32, v22, v100, vcc
	v_cndmask_b32_e64 v101, v99, v31, s[2:3]
	v_cndmask_b32_e64 v100, v98, v30, s[2:3]
	;; [unrolled: 1-line block ×4, first 2 shown]
	s_and_b64 s[2:3], vcc, s[2:3]
	v_cmp_nlt_f64_e32 vcc, v[100:101], v[28:29]
	v_cndmask_b32_e32 v99, v101, v29, vcc
	v_cndmask_b32_e32 v98, v100, v28, vcc
	v_cndmask_b32_e32 v31, v29, v101, vcc
	v_cndmask_b32_e32 v30, v28, v100, vcc
	s_and_b64 s[2:3], s[2:3], vcc
	v_cmp_nlt_f64_e32 vcc, v[98:99], v[90:91]
	v_cndmask_b32_e32 v101, v99, v91, vcc
	v_cndmask_b32_e32 v100, v98, v90, vcc
	v_cndmask_b32_e32 v29, v91, v99, vcc
	v_cndmask_b32_e32 v28, v90, v98, vcc
	s_and_b64 s[2:3], s[2:3], vcc
	v_cmp_nlt_f64_e32 vcc, v[100:101], v[92:93]
	v_cndmask_b32_e32 v99, v101, v93, vcc
	v_cndmask_b32_e32 v98, v100, v92, vcc
	v_cndmask_b32_e32 v91, v93, v101, vcc
	v_cndmask_b32_e32 v90, v92, v100, vcc
	s_and_b64 s[2:3], s[2:3], vcc
	v_cmp_nlt_f64_e32 vcc, v[98:99], v[94:95]
	v_cndmask_b32_e32 v101, v99, v95, vcc
	v_cndmask_b32_e32 v100, v98, v94, vcc
	v_cndmask_b32_e32 v93, v95, v99, vcc
	v_cndmask_b32_e32 v92, v94, v98, vcc
	s_and_b64 s[2:3], s[2:3], vcc
	v_cmp_nlt_f64_e32 vcc, v[100:101], v[96:97]
	s_and_b64 s[2:3], s[2:3], vcc
	s_and_b64 s[2:3], s[2:3], s[70:71]
	s_and_b64 s[2:3], s[2:3], s[62:63]
	v_cndmask_b32_e32 v99, v101, v97, vcc
	v_cndmask_b32_e32 v98, v100, v96, vcc
	s_and_b64 s[2:3], exec, s[2:3]
	v_cndmask_b32_e32 v95, v97, v101, vcc
	v_cndmask_b32_e32 v94, v96, v100, vcc
	s_or_b64 s[60:61], s[2:3], s[60:61]
	v_pk_mov_b32 v[96:97], v[98:99], v[98:99] op_sel:[0,1]
	s_andn2_b64 exec, exec, s[60:61]
	s_cbranch_execnz .LBB168_16
; %bb.17:                               ;   in Loop: Header=BB168_5 Depth=1
	s_or_b64 exec, exec, s[60:61]
	v_add_f64 v[18:19], v[18:19], -1.0
	v_add_f64 v[18:19], v[18:19], v[20:21]
	v_add_f64 v[18:19], v[18:19], v[26:27]
	;; [unrolled: 1-line block ×11, first 2 shown]
	v_add_f64 v[18:19], v[20:21], 1.0
	v_add_f64 v[22:23], v[18:19], -1.0
	v_add_f64 v[24:25], v[22:23], -v[18:19]
	v_add_f64 v[24:25], v[24:25], 1.0
	v_add_f64 v[22:23], v[20:21], -v[22:23]
	v_add_f64 v[22:23], v[22:23], v[24:25]
	v_frexp_mant_f64_e32 v[24:25], v[18:19]
	v_frexp_exp_i32_f64_e32 v1, v[18:19]
	v_cmp_gt_f64_e32 vcc, s[22:23], v[24:25]
	v_subbrev_co_u32_e32 v1, vcc, 0, v1, vcc
	v_sub_u32_e32 v24, 0, v1
	v_ldexp_f64 v[18:19], v[18:19], v24
	v_ldexp_f64 v[22:23], v[22:23], v24
	v_add_f64 v[24:25], v[18:19], -1.0
	v_add_f64 v[30:31], v[18:19], 1.0
	v_add_f64 v[26:27], v[24:25], 1.0
	v_add_f64 v[32:33], v[30:31], -1.0
	v_add_f64 v[26:27], v[18:19], -v[26:27]
	v_add_f64 v[18:19], v[18:19], -v[32:33]
	v_add_f64 v[18:19], v[22:23], v[18:19]
	v_add_f64 v[26:27], v[22:23], v[26:27]
	;; [unrolled: 1-line block ×3, first 2 shown]
	v_rcp_f64_e32 v[32:33], v[22:23]
	v_add_f64 v[28:29], v[24:25], v[26:27]
	v_add_f64 v[24:25], v[28:29], -v[24:25]
	v_add_f64 v[24:25], v[26:27], -v[24:25]
	;; [unrolled: 1-line block ×4, first 2 shown]
	v_fma_f64 v[26:27], -v[22:23], v[32:33], 1.0
	v_fmac_f64_e32 v[32:33], v[26:27], v[32:33]
	v_fma_f64 v[26:27], -v[22:23], v[32:33], 1.0
	v_fmac_f64_e32 v[32:33], v[26:27], v[32:33]
	v_mul_f64 v[26:27], v[28:29], v[32:33]
	v_mul_f64 v[30:31], v[22:23], v[26:27]
	v_fma_f64 v[90:91], v[26:27], v[22:23], -v[30:31]
	v_fmac_f64_e32 v[90:91], v[26:27], v[18:19]
	v_add_f64 v[92:93], v[30:31], v[90:91]
	v_add_f64 v[94:95], v[28:29], -v[92:93]
	v_add_f64 v[28:29], v[28:29], -v[94:95]
	;; [unrolled: 1-line block ×4, first 2 shown]
	v_add_f64 v[24:25], v[24:25], v[28:29]
	v_add_f64 v[28:29], v[30:31], -v[90:91]
	v_add_f64 v[24:25], v[28:29], v[24:25]
	v_add_f64 v[28:29], v[94:95], v[24:25]
	v_add_f64 v[30:31], v[94:95], -v[28:29]
	v_add_f64 v[24:25], v[24:25], v[30:31]
	v_mul_f64 v[30:31], v[32:33], v[28:29]
	v_mul_f64 v[90:91], v[22:23], v[30:31]
	v_fma_f64 v[22:23], v[30:31], v[22:23], -v[90:91]
	v_fmac_f64_e32 v[22:23], v[30:31], v[18:19]
	v_add_f64 v[18:19], v[90:91], v[22:23]
	v_add_f64 v[92:93], v[28:29], -v[18:19]
	v_add_f64 v[28:29], v[28:29], -v[92:93]
	v_add_f64 v[90:91], v[18:19], -v[90:91]
	v_add_f64 v[18:19], v[28:29], -v[18:19]
	v_add_f64 v[18:19], v[24:25], v[18:19]
	v_add_f64 v[22:23], v[90:91], -v[22:23]
	v_add_f64 v[18:19], v[22:23], v[18:19]
	v_add_f64 v[22:23], v[26:27], v[30:31]
	v_add_f64 v[18:19], v[92:93], v[18:19]
	v_add_f64 v[24:25], v[22:23], -v[26:27]
	v_mul_f64 v[18:19], v[32:33], v[18:19]
	v_add_f64 v[24:25], v[30:31], -v[24:25]
	v_add_f64 v[18:19], v[24:25], v[18:19]
	v_add_f64 v[24:25], v[22:23], v[18:19]
	v_add_f64 v[22:23], v[24:25], -v[22:23]
	v_add_f64 v[18:19], v[18:19], -v[22:23]
	v_mul_f64 v[22:23], v[24:25], v[24:25]
	v_pk_mov_b32 v[26:27], v[36:37], v[36:37] op_sel:[0,1]
	v_fmac_f64_e32 v[26:27], s[24:25], v[22:23]
	v_pk_mov_b32 v[28:29], v[38:39], v[38:39] op_sel:[0,1]
	v_fmac_f64_e32 v[28:29], v[22:23], v[26:27]
	;; [unrolled: 2-line block ×6, first 2 shown]
	v_cvt_f64_i32_e32 v[26:27], v1
	v_mul_f64 v[30:31], v[26:27], s[26:27]
	v_fma_f64 v[32:33], v[26:27], s[26:27], -v[30:31]
	v_fmac_f64_e32 v[32:33], s[28:29], v[26:27]
	v_add_f64 v[26:27], v[30:31], v[32:33]
	v_add_f64 v[30:31], v[26:27], -v[30:31]
	v_mul_f64 v[22:23], v[24:25], v[22:23]
	v_add_f64 v[30:31], v[32:33], -v[30:31]
	v_ldexp_f64 v[32:33], v[24:25], 1
	v_mul_f64 v[22:23], v[22:23], v[28:29]
	v_add_f64 v[24:25], v[32:33], v[22:23]
	v_add_f64 v[28:29], v[24:25], -v[32:33]
	v_ldexp_f64 v[18:19], v[18:19], 1
	v_add_f64 v[22:23], v[22:23], -v[28:29]
	v_add_f64 v[18:19], v[18:19], v[22:23]
	v_add_f64 v[22:23], v[24:25], v[18:19]
	v_add_f64 v[24:25], v[22:23], -v[24:25]
	v_add_f64 v[18:19], v[18:19], -v[24:25]
	v_add_f64 v[24:25], v[26:27], v[22:23]
	v_add_f64 v[28:29], v[24:25], -v[26:27]
	v_add_f64 v[32:33], v[24:25], -v[28:29]
	;; [unrolled: 1-line block ×4, first 2 shown]
	v_add_f64 v[22:23], v[22:23], v[26:27]
	v_add_f64 v[26:27], v[30:31], v[18:19]
	v_add_f64 v[28:29], v[26:27], -v[30:31]
	v_add_f64 v[22:23], v[26:27], v[22:23]
	v_add_f64 v[32:33], v[26:27], -v[28:29]
	;; [unrolled: 2-line block ×3, first 2 shown]
	v_add_f64 v[18:19], v[18:19], -v[28:29]
	v_add_f64 v[24:25], v[26:27], -v[24:25]
	v_add_f64 v[18:19], v[18:19], v[30:31]
	v_add_f64 v[22:23], v[22:23], -v[24:25]
	v_add_f64 v[18:19], v[18:19], v[22:23]
	v_max_f64 v[22:23], |v[8:9]|, |v[8:9]|
	v_max_f64 v[24:25], |v[6:7]|, |v[6:7]|
	v_add_f64 v[18:19], v[26:27], v[18:19]
	v_max_f64 v[26:27], v[24:25], v[22:23]
	v_min_f64 v[22:23], v[24:25], v[22:23]
	v_div_scale_f64 v[24:25], s[2:3], v[26:27], v[26:27], v[22:23]
	v_cmp_eq_f64_e32 vcc, s[30:31], v[20:21]
	v_rcp_f64_e32 v[28:29], v[24:25]
	v_cndmask_b32_e32 v19, v19, v21, vcc
	v_cndmask_b32_e32 v18, v18, v20, vcc
	v_mul_f64 v[18:19], v[18:19], 0.5
	v_cmp_ngt_f64_e32 vcc, -1.0, v[20:21]
	v_cndmask_b32_e32 v1, v107, v19, vcc
	v_cmp_nge_f64_e32 vcc, -1.0, v[20:21]
	v_cndmask_b32_e32 v18, 0, v18, vcc
	v_cmp_neq_f64_e32 vcc, -1.0, v[20:21]
	v_fma_f64 v[20:21], -v[24:25], v[28:29], 1.0
	v_fmac_f64_e32 v[28:29], v[28:29], v[20:21]
	v_fma_f64 v[20:21], -v[24:25], v[28:29], 1.0
	v_cndmask_b32_e32 v19, v108, v1, vcc
	v_fmac_f64_e32 v[28:29], v[28:29], v[20:21]
	v_div_scale_f64 v[20:21], vcc, v[22:23], v[26:27], v[22:23]
	v_mul_f64 v[30:31], v[20:21], v[28:29]
	v_fma_f64 v[20:21], -v[24:25], v[30:31], v[20:21]
	v_pk_mov_b32 v[24:25], v[48:49], v[48:49] op_sel:[0,1]
	s_nop 0
	v_div_fmas_f64 v[20:21], v[20:21], v[28:29], v[30:31]
	v_div_fixup_f64 v[20:21], v[20:21], v[26:27], v[22:23]
	v_mul_f64 v[22:23], v[20:21], v[20:21]
	v_fmac_f64_e32 v[24:25], s[34:35], v[22:23]
	v_pk_mov_b32 v[26:27], v[50:51], v[50:51] op_sel:[0,1]
	v_fmac_f64_e32 v[26:27], v[22:23], v[24:25]
	v_pk_mov_b32 v[24:25], v[52:53], v[52:53] op_sel:[0,1]
	;; [unrolled: 2-line block ×18, first 2 shown]
	v_fmac_f64_e32 v[24:25], v[22:23], v[26:27]
	v_mul_f64 v[22:23], v[22:23], v[24:25]
	v_cmp_gt_i32_e32 vcc, 0, v7
	v_fmac_f64_e32 v[20:21], v[20:21], v[22:23]
	v_cndmask_b32_e32 v22, v111, v112, vcc
	v_bfi_b32 v24, s8, v22, v9
	v_ashrrev_i32_e32 v22, 31, v7
	v_and_b32_e32 v25, 0x400921fb, v22
	v_and_b32_e32 v26, 0x54442d18, v22
	v_add_f64 v[22:23], -v[20:21], s[36:37]
	v_cndmask_b32_e64 v21, v21, v23, s[0:1]
	v_cndmask_b32_e64 v20, v20, v22, s[0:1]
	s_mov_b32 s38, s36
	v_add_f64 v[22:23], -v[20:21], s[38:39]
	v_cmp_class_f64_e64 s[2:3], v[8:9], s65
	v_cmp_class_f64_e64 s[60:61], v[6:7], s65
	v_cndmask_b32_e32 v1, v109, v110, vcc
	v_cndmask_b32_e32 v21, v21, v23, vcc
	v_cndmask_b32_e32 v20, v20, v22, vcc
	v_cmp_eq_f64_e32 vcc, 0, v[8:9]
	v_cndmask_b32_e32 v20, v20, v26, vcc
	v_cndmask_b32_e32 v21, v21, v25, vcc
	s_and_b64 vcc, s[60:61], s[2:3]
	v_cndmask_b32_e32 v21, v21, v24, vcc
	v_cndmask_b32_e32 v20, v20, v1, vcc
.LBB168_18:                             ;   in Loop: Header=BB168_5 Depth=1
	s_or_b64 exec, exec, s[58:59]
.LBB168_19:                             ;   in Loop: Header=BB168_5 Depth=1
	s_or_b64 exec, exec, s[56:57]
.LBB168_20:                             ;   in Loop: Header=BB168_5 Depth=1
	s_andn2_saveexec_b64 s[54:55], s[54:55]
	s_cbranch_execz .LBB168_22
; %bb.21:                               ;   in Loop: Header=BB168_5 Depth=1
	v_max_f64 v[18:19], |v[8:9]|, |v[8:9]|
	v_max_f64 v[20:21], |v[6:7]|, |v[6:7]|
	v_max_f64 v[22:23], v[20:21], v[18:19]
	v_frexp_exp_i32_f64_e32 v1, v[22:23]
	v_sub_u32_e32 v26, 0, v1
	v_ldexp_f64 v[24:25], |v[6:7]|, v26
	v_ldexp_f64 v[26:27], |v[8:9]|, v26
	v_mul_f64 v[26:27], v[26:27], v[26:27]
	v_fmac_f64_e32 v[26:27], v[24:25], v[24:25]
	v_rsq_f64_e32 v[24:25], v[26:27]
	v_cmp_eq_f64_e32 vcc, 0, v[26:27]
	v_cmp_class_f64_e64 s[56:57], v[6:7], s65
	v_cmp_class_f64_e64 s[58:59], v[8:9], s65
	v_mul_f64 v[28:29], v[26:27], v[24:25]
	v_mul_f64 v[24:25], v[24:25], 0.5
	v_fma_f64 v[30:31], -v[24:25], v[28:29], 0.5
	v_fmac_f64_e32 v[28:29], v[28:29], v[30:31]
	v_fmac_f64_e32 v[24:25], v[24:25], v[30:31]
	v_fma_f64 v[30:31], -v[28:29], v[28:29], v[26:27]
	v_fmac_f64_e32 v[28:29], v[30:31], v[24:25]
	v_cndmask_b32_e32 v25, v29, v27, vcc
	v_cndmask_b32_e32 v24, v28, v26, vcc
	v_ldexp_f64 v[24:25], v[24:25], v1
	s_or_b64 vcc, s[56:57], s[58:59]
	v_cndmask_b32_e32 v27, v25, v114, vcc
	v_cndmask_b32_e64 v26, v24, 0, vcc
	v_frexp_mant_f64_e32 v[28:29], v[26:27]
	v_cmp_gt_f64_e64 s[2:3], s[22:23], v[28:29]
	v_cndmask_b32_e64 v35, v113, 2.0, s[2:3]
	v_mul_f64 v[28:29], v[28:29], v[34:35]
	v_add_f64 v[30:31], v[28:29], 1.0
	v_rcp_f64_e32 v[32:33], v[30:31]
	v_add_f64 v[92:93], v[30:31], -1.0
	v_add_f64 v[90:91], v[28:29], -1.0
	v_add_f64 v[28:29], v[28:29], -v[92:93]
	v_fma_f64 v[92:93], -v[30:31], v[32:33], 1.0
	v_fmac_f64_e32 v[32:33], v[92:93], v[32:33]
	v_fma_f64 v[92:93], -v[30:31], v[32:33], 1.0
	v_fmac_f64_e32 v[32:33], v[92:93], v[32:33]
	v_mul_f64 v[92:93], v[90:91], v[32:33]
	v_mul_f64 v[94:95], v[30:31], v[92:93]
	v_fma_f64 v[30:31], v[92:93], v[30:31], -v[94:95]
	v_fmac_f64_e32 v[30:31], v[92:93], v[28:29]
	v_add_f64 v[28:29], v[94:95], v[30:31]
	v_add_f64 v[96:97], v[90:91], -v[28:29]
	v_add_f64 v[94:95], v[28:29], -v[94:95]
	;; [unrolled: 1-line block ×5, first 2 shown]
	v_add_f64 v[28:29], v[30:31], v[28:29]
	v_add_f64 v[28:29], v[96:97], v[28:29]
	v_mul_f64 v[28:29], v[32:33], v[28:29]
	v_add_f64 v[30:31], v[92:93], v[28:29]
	v_add_f64 v[32:33], v[30:31], -v[92:93]
	v_add_f64 v[28:29], v[28:29], -v[32:33]
	v_mul_f64 v[32:33], v[30:31], v[30:31]
	v_pk_mov_b32 v[90:91], v[36:37], v[36:37] op_sel:[0,1]
	v_fmac_f64_e32 v[90:91], s[24:25], v[32:33]
	v_pk_mov_b32 v[92:93], v[38:39], v[38:39] op_sel:[0,1]
	v_fmac_f64_e32 v[92:93], v[32:33], v[90:91]
	;; [unrolled: 2-line block ×6, first 2 shown]
	v_ldexp_f64 v[90:91], v[30:31], 1
	v_mul_f64 v[30:31], v[30:31], v[32:33]
	v_mul_f64 v[30:31], v[30:31], v[92:93]
	v_add_f64 v[32:33], v[90:91], v[30:31]
	v_add_f64 v[90:91], v[32:33], -v[90:91]
	v_ldexp_f64 v[28:29], v[28:29], 1
	v_add_f64 v[30:31], v[30:31], -v[90:91]
	v_add_f64 v[28:29], v[28:29], v[30:31]
	v_frexp_exp_i32_f64_e32 v1, v[26:27]
	v_add_f64 v[30:31], v[32:33], v[28:29]
	v_subbrev_co_u32_e64 v1, s[2:3], 0, v1, s[2:3]
	v_add_f64 v[32:33], v[30:31], -v[32:33]
	v_add_f64 v[28:29], v[28:29], -v[32:33]
	v_cvt_f64_i32_e32 v[32:33], v1
	v_mul_f64 v[90:91], v[32:33], s[26:27]
	v_fma_f64 v[92:93], v[32:33], s[26:27], -v[90:91]
	v_fmac_f64_e32 v[92:93], s[28:29], v[32:33]
	v_add_f64 v[32:33], v[90:91], v[92:93]
	v_add_f64 v[90:91], v[32:33], -v[90:91]
	v_add_f64 v[90:91], v[92:93], -v[90:91]
	v_add_f64 v[92:93], v[32:33], v[30:31]
	v_add_f64 v[94:95], v[92:93], -v[32:33]
	v_add_f64 v[96:97], v[92:93], -v[94:95]
	;; [unrolled: 1-line block ×4, first 2 shown]
	v_add_f64 v[30:31], v[30:31], v[32:33]
	v_add_f64 v[32:33], v[90:91], v[28:29]
	v_add_f64 v[94:95], v[32:33], -v[90:91]
	v_add_f64 v[96:97], v[32:33], -v[94:95]
	v_add_f64 v[30:31], v[32:33], v[30:31]
	v_add_f64 v[90:91], v[90:91], -v[96:97]
	v_add_f64 v[28:29], v[28:29], -v[94:95]
	v_add_f64 v[32:33], v[92:93], v[30:31]
	v_add_f64 v[28:29], v[28:29], v[90:91]
	v_add_f64 v[90:91], v[32:33], -v[92:93]
	v_add_f64 v[30:31], v[30:31], -v[90:91]
	v_add_f64 v[28:29], v[28:29], v[30:31]
	v_add_f64 v[28:29], v[32:33], v[28:29]
	v_cmp_class_f64_e64 s[2:3], v[24:25], s65
	v_cndmask_b32_e64 v24, v28, v24, s[2:3]
	v_min_f64 v[20:21], v[20:21], v[18:19]
	v_cndmask_b32_e64 v1, v29, v25, s[2:3]
	v_cndmask_b32_e64 v30, v24, 0, vcc
	v_div_scale_f64 v[24:25], s[2:3], v[22:23], v[22:23], v[20:21]
	v_rcp_f64_e32 v[28:29], v[24:25]
	v_cndmask_b32_e32 v1, v1, v114, vcc
	v_cmp_ngt_f64_e32 vcc, 0, v[26:27]
	v_cndmask_b32_e32 v1, v107, v1, vcc
	v_cmp_nge_f64_e32 vcc, 0, v[26:27]
	v_cndmask_b32_e32 v18, 0, v30, vcc
	v_cmp_neq_f64_e32 vcc, 0, v[26:27]
	v_fma_f64 v[26:27], -v[24:25], v[28:29], 1.0
	v_fmac_f64_e32 v[28:29], v[28:29], v[26:27]
	v_fma_f64 v[26:27], -v[24:25], v[28:29], 1.0
	v_cndmask_b32_e32 v19, v108, v1, vcc
	v_fmac_f64_e32 v[28:29], v[28:29], v[26:27]
	v_div_scale_f64 v[26:27], vcc, v[20:21], v[22:23], v[20:21]
	v_mul_f64 v[30:31], v[26:27], v[28:29]
	v_fma_f64 v[24:25], -v[24:25], v[30:31], v[26:27]
	v_pk_mov_b32 v[26:27], v[50:51], v[50:51] op_sel:[0,1]
	s_nop 0
	v_div_fmas_f64 v[24:25], v[24:25], v[28:29], v[30:31]
	v_div_fixup_f64 v[20:21], v[24:25], v[22:23], v[20:21]
	v_mul_f64 v[22:23], v[20:21], v[20:21]
	v_pk_mov_b32 v[24:25], v[48:49], v[48:49] op_sel:[0,1]
	v_fmac_f64_e32 v[24:25], s[34:35], v[22:23]
	v_fmac_f64_e32 v[26:27], v[22:23], v[24:25]
	v_pk_mov_b32 v[24:25], v[52:53], v[52:53] op_sel:[0,1]
	v_fmac_f64_e32 v[24:25], v[22:23], v[26:27]
	v_pk_mov_b32 v[26:27], v[54:55], v[54:55] op_sel:[0,1]
	;; [unrolled: 2-line block ×17, first 2 shown]
	v_fmac_f64_e32 v[24:25], v[22:23], v[26:27]
	v_mul_f64 v[22:23], v[22:23], v[24:25]
	v_cmp_gt_i32_e32 vcc, 0, v7
	v_fmac_f64_e32 v[20:21], v[20:21], v[22:23]
	v_cndmask_b32_e32 v22, v111, v112, vcc
	v_bfi_b32 v24, s8, v22, v9
	v_ashrrev_i32_e32 v22, 31, v7
	v_and_b32_e32 v25, 0x400921fb, v22
	v_and_b32_e32 v26, 0x54442d18, v22
	v_add_f64 v[22:23], -v[20:21], s[36:37]
	v_cndmask_b32_e64 v21, v21, v23, s[0:1]
	v_cndmask_b32_e64 v20, v20, v22, s[0:1]
	s_mov_b32 s38, s36
	v_add_f64 v[22:23], -v[20:21], s[38:39]
	v_cndmask_b32_e32 v1, v109, v110, vcc
	v_cndmask_b32_e32 v21, v21, v23, vcc
	;; [unrolled: 1-line block ×3, first 2 shown]
	v_cmp_eq_f64_e32 vcc, 0, v[8:9]
	v_cndmask_b32_e32 v20, v20, v26, vcc
	v_cndmask_b32_e32 v21, v21, v25, vcc
	s_and_b64 vcc, s[56:57], s[58:59]
	v_cndmask_b32_e32 v21, v21, v24, vcc
	v_cndmask_b32_e32 v20, v20, v1, vcc
.LBB168_22:                             ;   in Loop: Header=BB168_5 Depth=1
	s_or_b64 exec, exec, s[54:55]
                                        ; implicit-def: $vgpr22_vgpr23
.LBB168_23:                             ;   in Loop: Header=BB168_5 Depth=1
	s_andn2_saveexec_b64 s[2:3], s[52:53]
	s_cbranch_execz .LBB168_29
; %bb.24:                               ;   in Loop: Header=BB168_5 Depth=1
	v_cmp_ngt_f64_e32 vcc, s[42:43], v[22:23]
                                        ; implicit-def: $vgpr18_vgpr19
	s_and_saveexec_b64 s[52:53], vcc
	s_xor_b64 s[52:53], exec, s[52:53]
	s_cbranch_execz .LBB168_26
; %bb.25:                               ;   in Loop: Header=BB168_5 Depth=1
	v_mul_f64 v[18:19], v[22:23], v[22:23]
	v_add_f64 v[20:21], v[18:19], 1.0
	v_add_f64 v[22:23], v[20:21], -1.0
	v_add_f64 v[24:25], v[22:23], -v[20:21]
	v_add_f64 v[24:25], v[24:25], 1.0
	v_add_f64 v[22:23], v[18:19], -v[22:23]
	v_add_f64 v[22:23], v[22:23], v[24:25]
	v_frexp_mant_f64_e32 v[24:25], v[20:21]
	v_frexp_exp_i32_f64_e32 v1, v[20:21]
	v_cmp_gt_f64_e32 vcc, s[22:23], v[24:25]
	v_subbrev_co_u32_e32 v1, vcc, 0, v1, vcc
	v_sub_u32_e32 v24, 0, v1
	v_ldexp_f64 v[20:21], v[20:21], v24
	v_ldexp_f64 v[22:23], v[22:23], v24
	v_add_f64 v[24:25], v[20:21], -1.0
	v_add_f64 v[30:31], v[20:21], 1.0
	v_add_f64 v[26:27], v[24:25], 1.0
	v_add_f64 v[32:33], v[30:31], -1.0
	v_add_f64 v[26:27], v[20:21], -v[26:27]
	v_add_f64 v[20:21], v[20:21], -v[32:33]
	v_add_f64 v[20:21], v[22:23], v[20:21]
	v_add_f64 v[26:27], v[22:23], v[26:27]
	;; [unrolled: 1-line block ×3, first 2 shown]
	v_rcp_f64_e32 v[32:33], v[22:23]
	v_add_f64 v[28:29], v[24:25], v[26:27]
	v_add_f64 v[24:25], v[24:25], -v[28:29]
	v_add_f64 v[24:25], v[26:27], v[24:25]
	v_add_f64 v[26:27], v[30:31], -v[22:23]
	v_add_f64 v[20:21], v[20:21], v[26:27]
	v_fma_f64 v[26:27], -v[22:23], v[32:33], 1.0
	v_fmac_f64_e32 v[32:33], v[26:27], v[32:33]
	v_fma_f64 v[26:27], -v[22:23], v[32:33], 1.0
	v_fmac_f64_e32 v[32:33], v[26:27], v[32:33]
	v_mul_f64 v[26:27], v[28:29], v[32:33]
	v_mul_f64 v[30:31], v[22:23], v[26:27]
	v_fma_f64 v[90:91], v[26:27], v[22:23], -v[30:31]
	v_fmac_f64_e32 v[90:91], v[26:27], v[20:21]
	v_add_f64 v[92:93], v[30:31], v[90:91]
	v_add_f64 v[94:95], v[28:29], -v[92:93]
	v_add_f64 v[28:29], v[28:29], -v[94:95]
	;; [unrolled: 1-line block ×4, first 2 shown]
	v_add_f64 v[24:25], v[24:25], v[28:29]
	v_add_f64 v[28:29], v[30:31], -v[90:91]
	v_add_f64 v[24:25], v[28:29], v[24:25]
	v_add_f64 v[28:29], v[94:95], v[24:25]
	v_add_f64 v[30:31], v[94:95], -v[28:29]
	v_add_f64 v[24:25], v[24:25], v[30:31]
	v_mul_f64 v[30:31], v[32:33], v[28:29]
	v_mul_f64 v[90:91], v[22:23], v[30:31]
	v_fma_f64 v[22:23], v[30:31], v[22:23], -v[90:91]
	v_fmac_f64_e32 v[22:23], v[30:31], v[20:21]
	v_add_f64 v[20:21], v[90:91], v[22:23]
	v_add_f64 v[92:93], v[28:29], -v[20:21]
	v_add_f64 v[28:29], v[28:29], -v[92:93]
	;; [unrolled: 1-line block ×4, first 2 shown]
	v_add_f64 v[20:21], v[24:25], v[20:21]
	v_add_f64 v[22:23], v[90:91], -v[22:23]
	v_add_f64 v[20:21], v[22:23], v[20:21]
	v_add_f64 v[22:23], v[26:27], v[30:31]
	;; [unrolled: 1-line block ×3, first 2 shown]
	v_add_f64 v[24:25], v[22:23], -v[26:27]
	v_mul_f64 v[20:21], v[32:33], v[20:21]
	v_add_f64 v[24:25], v[30:31], -v[24:25]
	v_add_f64 v[20:21], v[24:25], v[20:21]
	v_add_f64 v[24:25], v[22:23], v[20:21]
	v_add_f64 v[22:23], v[24:25], -v[22:23]
	v_add_f64 v[20:21], v[20:21], -v[22:23]
	v_mul_f64 v[22:23], v[24:25], v[24:25]
	v_pk_mov_b32 v[26:27], v[36:37], v[36:37] op_sel:[0,1]
	v_fmac_f64_e32 v[26:27], s[24:25], v[22:23]
	v_pk_mov_b32 v[28:29], v[38:39], v[38:39] op_sel:[0,1]
	v_fmac_f64_e32 v[28:29], v[22:23], v[26:27]
	;; [unrolled: 2-line block ×6, first 2 shown]
	v_cvt_f64_i32_e32 v[26:27], v1
	v_mul_f64 v[30:31], v[26:27], s[26:27]
	v_fma_f64 v[32:33], v[26:27], s[26:27], -v[30:31]
	v_fmac_f64_e32 v[32:33], s[28:29], v[26:27]
	v_add_f64 v[26:27], v[30:31], v[32:33]
	v_add_f64 v[30:31], v[26:27], -v[30:31]
	v_mul_f64 v[22:23], v[24:25], v[22:23]
	v_add_f64 v[30:31], v[32:33], -v[30:31]
	v_ldexp_f64 v[32:33], v[24:25], 1
	v_mul_f64 v[22:23], v[22:23], v[28:29]
	v_add_f64 v[24:25], v[32:33], v[22:23]
	v_add_f64 v[28:29], v[24:25], -v[32:33]
	v_ldexp_f64 v[20:21], v[20:21], 1
	v_add_f64 v[22:23], v[22:23], -v[28:29]
	v_add_f64 v[20:21], v[20:21], v[22:23]
	v_add_f64 v[22:23], v[24:25], v[20:21]
	v_add_f64 v[24:25], v[22:23], -v[24:25]
	v_add_f64 v[20:21], v[20:21], -v[24:25]
	v_add_f64 v[24:25], v[26:27], v[22:23]
	v_add_f64 v[28:29], v[24:25], -v[26:27]
	v_add_f64 v[32:33], v[24:25], -v[28:29]
	;; [unrolled: 1-line block ×4, first 2 shown]
	v_add_f64 v[22:23], v[22:23], v[26:27]
	v_add_f64 v[26:27], v[30:31], v[20:21]
	v_add_f64 v[28:29], v[26:27], -v[30:31]
	v_add_f64 v[22:23], v[26:27], v[22:23]
	v_add_f64 v[32:33], v[26:27], -v[28:29]
	;; [unrolled: 2-line block ×3, first 2 shown]
	v_add_f64 v[20:21], v[20:21], -v[28:29]
	v_add_f64 v[24:25], v[26:27], -v[24:25]
	v_add_f64 v[20:21], v[20:21], v[30:31]
	v_add_f64 v[22:23], v[22:23], -v[24:25]
	v_add_f64 v[20:21], v[20:21], v[22:23]
	v_max_f64 v[22:23], |v[8:9]|, |v[8:9]|
	v_max_f64 v[24:25], |v[6:7]|, |v[6:7]|
	v_add_f64 v[20:21], v[26:27], v[20:21]
	v_max_f64 v[26:27], v[24:25], v[22:23]
	v_min_f64 v[22:23], v[24:25], v[22:23]
	v_div_scale_f64 v[24:25], s[54:55], v[26:27], v[26:27], v[22:23]
	v_rcp_f64_e32 v[28:29], v[24:25]
	v_cmp_eq_f64_e32 vcc, s[30:31], v[18:19]
	v_cndmask_b32_e32 v19, v21, v19, vcc
	v_cndmask_b32_e32 v18, v20, v18, vcc
	v_fma_f64 v[20:21], -v[24:25], v[28:29], 1.0
	v_fmac_f64_e32 v[28:29], v[28:29], v[20:21]
	v_fma_f64 v[20:21], -v[24:25], v[28:29], 1.0
	v_fmac_f64_e32 v[28:29], v[28:29], v[20:21]
	v_div_scale_f64 v[20:21], vcc, v[22:23], v[26:27], v[22:23]
	v_mul_f64 v[30:31], v[20:21], v[28:29]
	v_fma_f64 v[20:21], -v[24:25], v[30:31], v[20:21]
	v_pk_mov_b32 v[24:25], v[48:49], v[48:49] op_sel:[0,1]
	s_nop 0
	v_div_fmas_f64 v[20:21], v[20:21], v[28:29], v[30:31]
	v_div_fixup_f64 v[20:21], v[20:21], v[26:27], v[22:23]
	v_mul_f64 v[22:23], v[20:21], v[20:21]
	v_fmac_f64_e32 v[24:25], s[34:35], v[22:23]
	v_pk_mov_b32 v[26:27], v[50:51], v[50:51] op_sel:[0,1]
	v_fmac_f64_e32 v[26:27], v[22:23], v[24:25]
	v_pk_mov_b32 v[24:25], v[52:53], v[52:53] op_sel:[0,1]
	;; [unrolled: 2-line block ×18, first 2 shown]
	v_fmac_f64_e32 v[24:25], v[22:23], v[26:27]
	v_mul_f64 v[22:23], v[22:23], v[24:25]
	v_cmp_gt_i32_e32 vcc, 0, v7
	v_fmac_f64_e32 v[20:21], v[20:21], v[22:23]
	v_cndmask_b32_e32 v22, v111, v112, vcc
	v_bfi_b32 v24, s8, v22, v9
	v_ashrrev_i32_e32 v22, 31, v7
	v_and_b32_e32 v25, 0x400921fb, v22
	v_and_b32_e32 v26, 0x54442d18, v22
	v_add_f64 v[22:23], -v[20:21], s[36:37]
	v_cndmask_b32_e64 v21, v21, v23, s[0:1]
	v_cndmask_b32_e64 v20, v20, v22, s[0:1]
	s_mov_b32 s38, s36
	v_add_f64 v[22:23], -v[20:21], s[38:39]
	v_cmp_class_f64_e64 s[54:55], v[8:9], s65
	v_cmp_class_f64_e64 s[56:57], v[6:7], s65
	v_cndmask_b32_e32 v1, v109, v110, vcc
	v_cndmask_b32_e32 v21, v21, v23, vcc
	;; [unrolled: 1-line block ×3, first 2 shown]
	v_cmp_eq_f64_e32 vcc, 0, v[8:9]
	v_cndmask_b32_e32 v20, v20, v26, vcc
	v_cndmask_b32_e32 v21, v21, v25, vcc
	s_and_b64 vcc, s[56:57], s[54:55]
	v_mul_f64 v[18:19], v[18:19], 0.5
	v_cndmask_b32_e32 v21, v21, v24, vcc
	v_cndmask_b32_e32 v20, v20, v1, vcc
                                        ; implicit-def: $vgpr22_vgpr23
.LBB168_26:                             ;   in Loop: Header=BB168_5 Depth=1
	s_andn2_saveexec_b64 s[52:53], s[52:53]
	s_cbranch_execz .LBB168_28
; %bb.27:                               ;   in Loop: Header=BB168_5 Depth=1
	v_max_f64 v[18:19], |v[8:9]|, |v[8:9]|
	v_max_f64 v[20:21], |v[6:7]|, |v[6:7]|
	v_max_f64 v[24:25], v[20:21], v[18:19]
	v_min_f64 v[20:21], v[20:21], v[18:19]
	v_div_scale_f64 v[26:27], s[54:55], v[24:25], v[24:25], v[20:21]
	v_rcp_f64_e32 v[28:29], v[26:27]
	v_mul_f64 v[18:19], v[22:23], 0.5
	v_mul_f64 v[18:19], v[22:23], v[18:19]
	s_mov_b32 s38, s36
	v_fma_f64 v[22:23], -v[26:27], v[28:29], 1.0
	v_fmac_f64_e32 v[28:29], v[28:29], v[22:23]
	v_fma_f64 v[22:23], -v[26:27], v[28:29], 1.0
	v_fmac_f64_e32 v[28:29], v[28:29], v[22:23]
	v_div_scale_f64 v[22:23], vcc, v[20:21], v[24:25], v[20:21]
	v_mul_f64 v[30:31], v[22:23], v[28:29]
	v_fma_f64 v[22:23], -v[26:27], v[30:31], v[22:23]
	v_pk_mov_b32 v[26:27], v[50:51], v[50:51] op_sel:[0,1]
	s_nop 0
	v_div_fmas_f64 v[22:23], v[22:23], v[28:29], v[30:31]
	v_div_fixup_f64 v[20:21], v[22:23], v[24:25], v[20:21]
	v_mul_f64 v[22:23], v[20:21], v[20:21]
	v_pk_mov_b32 v[24:25], v[48:49], v[48:49] op_sel:[0,1]
	v_fmac_f64_e32 v[24:25], s[34:35], v[22:23]
	v_fmac_f64_e32 v[26:27], v[22:23], v[24:25]
	v_pk_mov_b32 v[24:25], v[52:53], v[52:53] op_sel:[0,1]
	v_fmac_f64_e32 v[24:25], v[22:23], v[26:27]
	v_pk_mov_b32 v[26:27], v[54:55], v[54:55] op_sel:[0,1]
	;; [unrolled: 2-line block ×17, first 2 shown]
	v_fmac_f64_e32 v[24:25], v[22:23], v[26:27]
	v_mul_f64 v[22:23], v[22:23], v[24:25]
	v_cmp_gt_i32_e32 vcc, 0, v7
	v_fmac_f64_e32 v[20:21], v[20:21], v[22:23]
	v_cndmask_b32_e32 v22, v111, v112, vcc
	v_bfi_b32 v24, s8, v22, v9
	v_ashrrev_i32_e32 v22, 31, v7
	v_and_b32_e32 v25, 0x400921fb, v22
	v_and_b32_e32 v26, 0x54442d18, v22
	v_add_f64 v[22:23], -v[20:21], s[36:37]
	v_cndmask_b32_e64 v21, v21, v23, s[0:1]
	v_cndmask_b32_e64 v20, v20, v22, s[0:1]
	v_add_f64 v[22:23], -v[20:21], s[38:39]
	v_cmp_class_f64_e64 s[54:55], v[8:9], s65
	v_cmp_class_f64_e64 s[56:57], v[6:7], s65
	v_cndmask_b32_e32 v1, v109, v110, vcc
	v_cndmask_b32_e32 v21, v21, v23, vcc
	;; [unrolled: 1-line block ×3, first 2 shown]
	v_cmp_eq_f64_e32 vcc, 0, v[8:9]
	v_cndmask_b32_e32 v20, v20, v26, vcc
	v_cndmask_b32_e32 v21, v21, v25, vcc
	s_and_b64 vcc, s[56:57], s[54:55]
	v_cndmask_b32_e32 v21, v21, v24, vcc
	v_cndmask_b32_e32 v20, v20, v1, vcc
.LBB168_28:                             ;   in Loop: Header=BB168_5 Depth=1
	s_or_b64 exec, exec, s[52:53]
.LBB168_29:                             ;   in Loop: Header=BB168_5 Depth=1
	s_or_b64 exec, exec, s[2:3]
.LBB168_30:                             ;   in Loop: Header=BB168_5 Depth=1
	s_andn2_saveexec_b64 s[52:53], s[6:7]
	s_cbranch_execz .LBB168_32
; %bb.31:                               ;   in Loop: Header=BB168_5 Depth=1
	v_div_scale_f64 v[18:19], s[2:3], s[44:45], s[44:45], v[6:7]
	v_rcp_f64_e32 v[20:21], v[18:19]
	v_div_scale_f64 v[22:23], vcc, v[6:7], s[44:45], v[6:7]
	s_mov_b32 s38, s36
	v_fma_f64 v[24:25], -v[18:19], v[20:21], 1.0
	v_fmac_f64_e32 v[20:21], v[20:21], v[24:25]
	v_fma_f64 v[24:25], -v[18:19], v[20:21], 1.0
	v_fmac_f64_e32 v[20:21], v[20:21], v[24:25]
	v_mul_f64 v[24:25], v[22:23], v[20:21]
	v_fma_f64 v[18:19], -v[18:19], v[24:25], v[22:23]
	v_div_scale_f64 v[22:23], s[2:3], s[44:45], s[44:45], v[8:9]
	v_rcp_f64_e32 v[26:27], v[22:23]
	v_div_fmas_f64 v[18:19], v[18:19], v[20:21], v[24:25]
	v_div_fixup_f64 v[18:19], v[18:19], s[44:45], v[6:7]
	v_cmp_class_f64_e64 s[6:7], v[18:19], s65
	v_fma_f64 v[20:21], -v[22:23], v[26:27], 1.0
	v_fmac_f64_e32 v[26:27], v[26:27], v[20:21]
	v_fma_f64 v[20:21], -v[22:23], v[26:27], 1.0
	v_fmac_f64_e32 v[26:27], v[26:27], v[20:21]
	v_div_scale_f64 v[20:21], vcc, v[8:9], s[44:45], v[8:9]
	v_mul_f64 v[24:25], v[20:21], v[26:27]
	v_fma_f64 v[20:21], -v[22:23], v[24:25], v[20:21]
	s_nop 1
	v_div_fmas_f64 v[20:21], v[20:21], v[26:27], v[24:25]
	v_div_fixup_f64 v[20:21], v[20:21], s[44:45], v[8:9]
	v_max_f64 v[22:23], |v[18:19]|, |v[20:21]|
	v_frexp_exp_i32_f64_e32 v1, v[22:23]
	v_sub_u32_e32 v24, 0, v1
	v_ldexp_f64 v[22:23], |v[18:19]|, v24
	v_ldexp_f64 v[24:25], |v[20:21]|, v24
	v_mul_f64 v[24:25], v[24:25], v[24:25]
	v_fmac_f64_e32 v[24:25], v[22:23], v[22:23]
	v_rsq_f64_e32 v[22:23], v[24:25]
	v_cmp_eq_f64_e32 vcc, 0, v[24:25]
	v_cmp_o_f64_e64 s[2:3], v[18:19], v[20:21]
	v_cmp_class_f64_e64 s[54:55], v[20:21], s65
	v_mul_f64 v[26:27], v[24:25], v[22:23]
	v_mul_f64 v[22:23], v[22:23], 0.5
	v_fma_f64 v[28:29], -v[22:23], v[26:27], 0.5
	v_fmac_f64_e32 v[26:27], v[26:27], v[28:29]
	v_fmac_f64_e32 v[22:23], v[22:23], v[28:29]
	v_fma_f64 v[28:29], -v[26:27], v[26:27], v[24:25]
	v_fmac_f64_e32 v[26:27], v[28:29], v[22:23]
	v_cndmask_b32_e32 v23, v27, v25, vcc
	v_cndmask_b32_e32 v22, v26, v24, vcc
	v_ldexp_f64 v[22:23], v[22:23], v1
	v_cndmask_b32_e64 v1, 0, v22, s[2:3]
	v_cndmask_b32_e64 v92, v107, v23, s[2:3]
	s_or_b64 vcc, s[6:7], s[54:55]
	v_cndmask_b32_e32 v21, v92, v114, vcc
	v_cndmask_b32_e64 v20, v1, 0, vcc
	v_frexp_mant_f64_e32 v[18:19], v[20:21]
	v_cmp_gt_f64_e64 s[6:7], s[22:23], v[18:19]
	v_cndmask_b32_e64 v35, v113, 2.0, s[6:7]
	v_frexp_exp_i32_f64_e32 v24, v[20:21]
	v_mul_f64 v[18:19], v[18:19], v[34:35]
	v_subbrev_co_u32_e64 v35, s[6:7], 0, v24, s[6:7]
	v_add_f64 v[24:25], v[18:19], 1.0
	v_rcp_f64_e32 v[26:27], v[24:25]
	v_add_f64 v[30:31], v[24:25], -1.0
	v_add_f64 v[28:29], v[18:19], -1.0
	v_add_f64 v[18:19], v[18:19], -v[30:31]
	v_fma_f64 v[30:31], -v[24:25], v[26:27], 1.0
	v_fmac_f64_e32 v[26:27], v[30:31], v[26:27]
	v_fma_f64 v[30:31], -v[24:25], v[26:27], 1.0
	v_fmac_f64_e32 v[26:27], v[30:31], v[26:27]
	v_mul_f64 v[30:31], v[28:29], v[26:27]
	v_mul_f64 v[32:33], v[24:25], v[30:31]
	v_fma_f64 v[24:25], v[30:31], v[24:25], -v[32:33]
	v_fmac_f64_e32 v[24:25], v[30:31], v[18:19]
	v_add_f64 v[18:19], v[32:33], v[24:25]
	v_add_f64 v[90:91], v[28:29], -v[18:19]
	v_add_f64 v[32:33], v[18:19], -v[32:33]
	;; [unrolled: 1-line block ×5, first 2 shown]
	v_add_f64 v[18:19], v[24:25], v[18:19]
	v_add_f64 v[18:19], v[90:91], v[18:19]
	v_mul_f64 v[18:19], v[26:27], v[18:19]
	v_add_f64 v[24:25], v[30:31], v[18:19]
	v_add_f64 v[26:27], v[24:25], -v[30:31]
	v_add_f64 v[18:19], v[18:19], -v[26:27]
	v_mul_f64 v[26:27], v[24:25], v[24:25]
	v_pk_mov_b32 v[28:29], v[36:37], v[36:37] op_sel:[0,1]
	v_fmac_f64_e32 v[28:29], s[24:25], v[26:27]
	v_pk_mov_b32 v[30:31], v[38:39], v[38:39] op_sel:[0,1]
	v_fmac_f64_e32 v[30:31], v[26:27], v[28:29]
	;; [unrolled: 2-line block ×6, first 2 shown]
	v_ldexp_f64 v[28:29], v[24:25], 1
	v_mul_f64 v[24:25], v[24:25], v[26:27]
	v_mul_f64 v[24:25], v[24:25], v[30:31]
	v_add_f64 v[26:27], v[28:29], v[24:25]
	v_add_f64 v[28:29], v[26:27], -v[28:29]
	v_ldexp_f64 v[18:19], v[18:19], 1
	v_add_f64 v[24:25], v[24:25], -v[28:29]
	v_add_f64 v[18:19], v[18:19], v[24:25]
	v_add_f64 v[24:25], v[26:27], v[18:19]
	v_add_f64 v[26:27], v[24:25], -v[26:27]
	v_add_f64 v[18:19], v[18:19], -v[26:27]
	v_cvt_f64_i32_e32 v[26:27], v35
	v_mul_f64 v[28:29], v[26:27], s[26:27]
	v_fma_f64 v[30:31], v[26:27], s[26:27], -v[28:29]
	v_fmac_f64_e32 v[30:31], s[28:29], v[26:27]
	v_add_f64 v[26:27], v[28:29], v[30:31]
	v_add_f64 v[28:29], v[26:27], -v[28:29]
	v_add_f64 v[28:29], v[30:31], -v[28:29]
	v_add_f64 v[30:31], v[26:27], v[24:25]
	v_add_f64 v[32:33], v[30:31], -v[26:27]
	v_add_f64 v[90:91], v[30:31], -v[32:33]
	;; [unrolled: 1-line block ×4, first 2 shown]
	v_add_f64 v[24:25], v[24:25], v[26:27]
	v_add_f64 v[26:27], v[28:29], v[18:19]
	v_add_f64 v[32:33], v[26:27], -v[28:29]
	v_add_f64 v[90:91], v[26:27], -v[32:33]
	v_add_f64 v[24:25], v[26:27], v[24:25]
	v_add_f64 v[28:29], v[28:29], -v[90:91]
	v_add_f64 v[18:19], v[18:19], -v[32:33]
	v_add_f64 v[26:27], v[30:31], v[24:25]
	v_add_f64 v[18:19], v[18:19], v[28:29]
	v_add_f64 v[28:29], v[26:27], -v[30:31]
	v_add_f64 v[24:25], v[24:25], -v[28:29]
	v_and_b32_e32 v23, 0x7fffffff, v23
	v_add_f64 v[18:19], v[18:19], v[24:25]
	v_cmp_eq_f64_e64 s[6:7], s[30:31], v[22:23]
	v_add_f64 v[18:19], v[26:27], v[18:19]
	s_and_b64 s[2:3], s[2:3], s[6:7]
	v_cndmask_b32_e64 v19, v19, v92, s[2:3]
	v_cndmask_b32_e64 v18, v18, v1, s[2:3]
	v_add_f64 v[18:19], v[18:19], 1.0
	v_cndmask_b32_e64 v1, v18, 0, vcc
	v_cndmask_b32_e32 v18, v19, v114, vcc
	v_cmp_ngt_f64_e32 vcc, 0, v[20:21]
	v_cndmask_b32_e32 v30, v107, v18, vcc
	v_max_f64 v[18:19], |v[8:9]|, |v[8:9]|
	v_max_f64 v[22:23], |v[6:7]|, |v[6:7]|
	v_max_f64 v[24:25], v[22:23], v[18:19]
	v_min_f64 v[22:23], v[22:23], v[18:19]
	v_div_scale_f64 v[26:27], s[2:3], v[24:25], v[24:25], v[22:23]
	v_rcp_f64_e32 v[28:29], v[26:27]
	v_cmp_nge_f64_e32 vcc, 0, v[20:21]
	v_cndmask_b32_e32 v18, 0, v1, vcc
	v_cmp_neq_f64_e32 vcc, 0, v[20:21]
	v_fma_f64 v[20:21], -v[26:27], v[28:29], 1.0
	v_fmac_f64_e32 v[28:29], v[28:29], v[20:21]
	v_fma_f64 v[20:21], -v[26:27], v[28:29], 1.0
	v_cndmask_b32_e32 v19, v108, v30, vcc
	v_fmac_f64_e32 v[28:29], v[28:29], v[20:21]
	v_div_scale_f64 v[20:21], vcc, v[22:23], v[24:25], v[22:23]
	v_mul_f64 v[30:31], v[20:21], v[28:29]
	v_fma_f64 v[20:21], -v[26:27], v[30:31], v[20:21]
	v_pk_mov_b32 v[26:27], v[50:51], v[50:51] op_sel:[0,1]
	s_nop 0
	v_div_fmas_f64 v[20:21], v[20:21], v[28:29], v[30:31]
	v_div_fixup_f64 v[20:21], v[20:21], v[24:25], v[22:23]
	v_mul_f64 v[22:23], v[20:21], v[20:21]
	v_pk_mov_b32 v[24:25], v[48:49], v[48:49] op_sel:[0,1]
	v_fmac_f64_e32 v[24:25], s[34:35], v[22:23]
	v_fmac_f64_e32 v[26:27], v[22:23], v[24:25]
	v_pk_mov_b32 v[24:25], v[52:53], v[52:53] op_sel:[0,1]
	v_fmac_f64_e32 v[24:25], v[22:23], v[26:27]
	v_pk_mov_b32 v[26:27], v[54:55], v[54:55] op_sel:[0,1]
	;; [unrolled: 2-line block ×17, first 2 shown]
	v_fmac_f64_e32 v[24:25], v[22:23], v[26:27]
	v_mul_f64 v[22:23], v[22:23], v[24:25]
	v_cmp_gt_i32_e32 vcc, 0, v7
	v_fmac_f64_e32 v[20:21], v[20:21], v[22:23]
	v_cndmask_b32_e32 v22, v111, v112, vcc
	v_bfi_b32 v24, s8, v22, v9
	v_ashrrev_i32_e32 v22, 31, v7
	v_and_b32_e32 v25, 0x400921fb, v22
	v_and_b32_e32 v26, 0x54442d18, v22
	v_add_f64 v[22:23], -v[20:21], s[36:37]
	v_cndmask_b32_e64 v21, v21, v23, s[0:1]
	v_cndmask_b32_e64 v20, v20, v22, s[0:1]
	v_add_f64 v[22:23], -v[20:21], s[38:39]
	v_cmp_class_f64_e64 s[2:3], v[8:9], s65
	v_cmp_class_f64_e64 s[6:7], v[6:7], s65
	v_cndmask_b32_e32 v1, v109, v110, vcc
	v_cndmask_b32_e32 v21, v21, v23, vcc
	;; [unrolled: 1-line block ×3, first 2 shown]
	v_cmp_eq_f64_e32 vcc, 0, v[8:9]
	v_cndmask_b32_e32 v20, v20, v26, vcc
	v_cndmask_b32_e32 v21, v21, v25, vcc
	s_and_b64 vcc, s[6:7], s[2:3]
	v_cndmask_b32_e32 v21, v21, v24, vcc
	v_cndmask_b32_e32 v20, v20, v1, vcc
.LBB168_32:                             ;   in Loop: Header=BB168_5 Depth=1
	s_or_b64 exec, exec, s[52:53]
.LBB168_33:                             ;   in Loop: Header=BB168_5 Depth=1
	s_andn2_saveexec_b64 s[0:1], s[50:51]
	s_cbranch_execz .LBB168_39
; %bb.34:                               ;   in Loop: Header=BB168_5 Depth=1
	v_cmp_nlt_f64_e64 s[2:3], |v[6:7]|, s[46:47]
	v_cmp_nlt_f64_e64 s[6:7], |v[8:9]|, s[46:47]
	s_or_b64 s[2:3], s[2:3], s[6:7]
                                        ; implicit-def: $vgpr20_vgpr21
	s_and_saveexec_b64 s[6:7], s[2:3]
	s_xor_b64 s[2:3], exec, s[6:7]
; %bb.35:                               ;   in Loop: Header=BB168_5 Depth=1
	v_mul_f64 v[20:21], v[8:9], v[8:9]
	v_fmac_f64_e32 v[20:21], v[6:7], v[6:7]
; %bb.36:                               ;   in Loop: Header=BB168_5 Depth=1
	s_andn2_saveexec_b64 s[2:3], s[2:3]
; %bb.37:                               ;   in Loop: Header=BB168_5 Depth=1
	v_mul_f64 v[18:19], v[8:9], 4.0
	v_mul_f64 v[6:7], v[6:7], 4.0
	v_mul_f64 v[18:19], v[18:19], v[18:19]
	v_fmac_f64_e32 v[18:19], v[6:7], v[6:7]
	v_ldexp_f64 v[20:21], v[18:19], -4
; %bb.38:                               ;   in Loop: Header=BB168_5 Depth=1
	s_or_b64 exec, exec, s[2:3]
	v_frexp_mant_f64_e32 v[6:7], v[20:21]
	v_cmp_gt_f64_e32 vcc, s[22:23], v[6:7]
	v_cndmask_b32_e64 v35, v113, 2.0, vcc
	v_mul_f64 v[6:7], v[6:7], v[34:35]
	v_add_f64 v[18:19], v[6:7], 1.0
	v_rcp_f64_e32 v[22:23], v[18:19]
	v_add_f64 v[26:27], v[18:19], -1.0
	v_add_f64 v[24:25], v[6:7], -1.0
	v_add_f64 v[6:7], v[6:7], -v[26:27]
	v_fma_f64 v[26:27], -v[18:19], v[22:23], 1.0
	v_fmac_f64_e32 v[22:23], v[26:27], v[22:23]
	v_fma_f64 v[26:27], -v[18:19], v[22:23], 1.0
	v_fmac_f64_e32 v[22:23], v[26:27], v[22:23]
	v_mul_f64 v[26:27], v[24:25], v[22:23]
	v_mul_f64 v[28:29], v[18:19], v[26:27]
	v_fma_f64 v[18:19], v[26:27], v[18:19], -v[28:29]
	v_fmac_f64_e32 v[18:19], v[26:27], v[6:7]
	v_add_f64 v[6:7], v[28:29], v[18:19]
	v_add_f64 v[30:31], v[24:25], -v[6:7]
	v_add_f64 v[28:29], v[6:7], -v[28:29]
	;; [unrolled: 1-line block ×5, first 2 shown]
	v_add_f64 v[6:7], v[18:19], v[6:7]
	v_add_f64 v[6:7], v[30:31], v[6:7]
	v_mul_f64 v[6:7], v[22:23], v[6:7]
	v_add_f64 v[18:19], v[26:27], v[6:7]
	v_add_f64 v[22:23], v[18:19], -v[26:27]
	v_add_f64 v[6:7], v[6:7], -v[22:23]
	v_mul_f64 v[22:23], v[18:19], v[18:19]
	v_pk_mov_b32 v[24:25], v[36:37], v[36:37] op_sel:[0,1]
	v_fmac_f64_e32 v[24:25], s[24:25], v[22:23]
	v_pk_mov_b32 v[26:27], v[38:39], v[38:39] op_sel:[0,1]
	v_fmac_f64_e32 v[26:27], v[22:23], v[24:25]
	;; [unrolled: 2-line block ×6, first 2 shown]
	v_ldexp_f64 v[24:25], v[18:19], 1
	v_mul_f64 v[18:19], v[18:19], v[22:23]
	v_mul_f64 v[18:19], v[18:19], v[26:27]
	v_add_f64 v[22:23], v[24:25], v[18:19]
	v_add_f64 v[24:25], v[22:23], -v[24:25]
	v_ldexp_f64 v[6:7], v[6:7], 1
	v_add_f64 v[18:19], v[18:19], -v[24:25]
	v_add_f64 v[6:7], v[6:7], v[18:19]
	v_frexp_exp_i32_f64_e32 v1, v[20:21]
	v_add_f64 v[18:19], v[22:23], v[6:7]
	v_subbrev_co_u32_e32 v1, vcc, 0, v1, vcc
	v_add_f64 v[22:23], v[18:19], -v[22:23]
	v_add_f64 v[6:7], v[6:7], -v[22:23]
	v_cvt_f64_i32_e32 v[22:23], v1
	v_mul_f64 v[24:25], v[22:23], s[26:27]
	v_fma_f64 v[26:27], v[22:23], s[26:27], -v[24:25]
	v_fmac_f64_e32 v[26:27], s[28:29], v[22:23]
	v_add_f64 v[22:23], v[24:25], v[26:27]
	v_add_f64 v[24:25], v[22:23], -v[24:25]
	v_add_f64 v[24:25], v[26:27], -v[24:25]
	v_add_f64 v[26:27], v[22:23], v[18:19]
	v_add_f64 v[28:29], v[26:27], -v[22:23]
	v_add_f64 v[30:31], v[26:27], -v[28:29]
	;; [unrolled: 1-line block ×4, first 2 shown]
	v_add_f64 v[18:19], v[18:19], v[22:23]
	v_add_f64 v[22:23], v[24:25], v[6:7]
	v_add_f64 v[28:29], v[22:23], -v[24:25]
	v_add_f64 v[30:31], v[22:23], -v[28:29]
	v_add_f64 v[18:19], v[22:23], v[18:19]
	v_add_f64 v[24:25], v[24:25], -v[30:31]
	v_add_f64 v[6:7], v[6:7], -v[28:29]
	v_add_f64 v[22:23], v[26:27], v[18:19]
	v_add_f64 v[6:7], v[6:7], v[24:25]
	v_add_f64 v[24:25], v[22:23], -v[26:27]
	v_add_f64 v[18:19], v[18:19], -v[24:25]
	v_add_f64 v[6:7], v[6:7], v[18:19]
	v_add_f64 v[6:7], v[22:23], v[6:7]
	v_cmp_class_f64_e64 vcc, v[20:21], s65
	v_cndmask_b32_e32 v1, v6, v20, vcc
	v_cndmask_b32_e32 v6, v7, v21, vcc
	v_cmp_ngt_f64_e32 vcc, 0, v[20:21]
	v_cndmask_b32_e32 v6, v107, v6, vcc
	v_cmp_nge_f64_e32 vcc, 0, v[20:21]
	v_cndmask_b32_e32 v18, 0, v1, vcc
	v_cmp_neq_f64_e32 vcc, 0, v[20:21]
	v_mov_b32_e32 v20, 0
	v_cndmask_b32_e32 v19, v108, v6, vcc
	v_mov_b32_e32 v21, 0x7ff80000
.LBB168_39:                             ;   in Loop: Header=BB168_5 Depth=1
	s_or_b64 exec, exec, s[0:1]
	v_cmp_o_f64_e32 vcc, v[10:11], v[12:13]
                                        ; implicit-def: $vgpr22_vgpr23
	s_and_saveexec_b64 s[0:1], vcc
	s_xor_b64 s[50:51], exec, s[0:1]
	s_cbranch_execz .LBB168_67
; %bb.40:                               ;   in Loop: Header=BB168_5 Depth=1
	v_and_b32_e32 v24, 0x7fffffff, v11
	v_and_b32_e32 v1, 0x7fffffff, v13
	v_mov_b32_e32 v8, v12
	v_cmp_lt_f64_e64 s[0:1], |v[10:11]|, |v[12:13]|
	v_cndmask_b32_e64 v7, v1, v24, s[0:1]
	v_cndmask_b32_e64 v6, v8, v10, s[0:1]
	v_cmp_nlt_f64_e32 vcc, s[16:17], v[6:7]
                                        ; implicit-def: $vgpr22_vgpr23
	s_and_saveexec_b64 s[2:3], vcc
	s_xor_b64 s[6:7], exec, s[2:3]
	s_cbranch_execz .LBB168_64
; %bb.41:                               ;   in Loop: Header=BB168_5 Depth=1
	v_cndmask_b32_e64 v27, v24, v1, s[0:1]
	v_cndmask_b32_e64 v26, v10, v8, s[0:1]
	v_cmp_neq_f64_e32 vcc, 1.0, v[26:27]
                                        ; implicit-def: $vgpr22_vgpr23
	s_and_saveexec_b64 s[2:3], vcc
	s_xor_b64 s[52:53], exec, s[2:3]
	s_cbranch_execz .LBB168_57
; %bb.42:                               ;   in Loop: Header=BB168_5 Depth=1
	v_max_f64 v[22:23], v[6:7], v[6:7]
	v_max_f64 v[24:25], v[26:27], v[26:27]
	v_min_f64 v[28:29], v[24:25], v[22:23]
	v_max_f64 v[22:23], v[24:25], v[22:23]
	v_cmp_ngt_f64_e32 vcc, s[18:19], v[28:29]
	v_cmp_nlt_f64_e64 s[2:3], s[20:21], v[22:23]
	s_and_b64 s[2:3], s[2:3], vcc
                                        ; implicit-def: $vgpr22_vgpr23
	s_and_saveexec_b64 s[54:55], s[2:3]
	s_xor_b64 s[54:55], exec, s[54:55]
	s_cbranch_execz .LBB168_54
; %bb.43:                               ;   in Loop: Header=BB168_5 Depth=1
	v_cmp_le_f64_e32 vcc, 1.0, v[26:27]
                                        ; implicit-def: $vgpr22_vgpr23
	s_and_saveexec_b64 s[2:3], vcc
	s_xor_b64 s[2:3], exec, s[2:3]
	s_cbranch_execz .LBB168_45
; %bb.44:                               ;   in Loop: Header=BB168_5 Depth=1
	v_add_f64 v[22:23], v[26:27], -1.0
	v_add_f64 v[24:25], v[26:27], 1.0
	v_mul_f64 v[24:25], v[22:23], v[24:25]
	v_fmac_f64_e32 v[24:25], v[6:7], v[6:7]
	v_add_f64 v[6:7], v[24:25], 1.0
	v_add_f64 v[22:23], v[6:7], -1.0
	v_add_f64 v[26:27], v[22:23], -v[6:7]
	v_add_f64 v[26:27], v[26:27], 1.0
	v_add_f64 v[22:23], v[24:25], -v[22:23]
	v_add_f64 v[22:23], v[22:23], v[26:27]
	v_frexp_mant_f64_e32 v[26:27], v[6:7]
	v_frexp_exp_i32_f64_e32 v1, v[6:7]
	v_cmp_gt_f64_e32 vcc, s[22:23], v[26:27]
	v_subbrev_co_u32_e32 v1, vcc, 0, v1, vcc
	v_sub_u32_e32 v8, 0, v1
	v_ldexp_f64 v[6:7], v[6:7], v8
	v_add_f64 v[26:27], v[6:7], -1.0
	v_add_f64 v[32:33], v[6:7], 1.0
	v_add_f64 v[28:29], v[26:27], 1.0
	v_add_f64 v[90:91], v[32:33], -1.0
	v_ldexp_f64 v[22:23], v[22:23], v8
	v_add_f64 v[28:29], v[6:7], -v[28:29]
	v_add_f64 v[6:7], v[6:7], -v[90:91]
	v_add_f64 v[6:7], v[22:23], v[6:7]
	v_add_f64 v[28:29], v[22:23], v[28:29]
	;; [unrolled: 1-line block ×3, first 2 shown]
	v_rcp_f64_e32 v[90:91], v[22:23]
	v_add_f64 v[30:31], v[26:27], v[28:29]
	v_add_f64 v[26:27], v[30:31], -v[26:27]
	v_add_f64 v[26:27], v[28:29], -v[26:27]
	;; [unrolled: 1-line block ×4, first 2 shown]
	v_fma_f64 v[28:29], -v[22:23], v[90:91], 1.0
	v_fmac_f64_e32 v[90:91], v[28:29], v[90:91]
	v_fma_f64 v[28:29], -v[22:23], v[90:91], 1.0
	v_fmac_f64_e32 v[90:91], v[28:29], v[90:91]
	v_mul_f64 v[28:29], v[30:31], v[90:91]
	v_mul_f64 v[32:33], v[22:23], v[28:29]
	v_fma_f64 v[92:93], v[28:29], v[22:23], -v[32:33]
	v_fmac_f64_e32 v[92:93], v[28:29], v[6:7]
	v_add_f64 v[94:95], v[32:33], v[92:93]
	v_add_f64 v[96:97], v[30:31], -v[94:95]
	v_add_f64 v[30:31], v[30:31], -v[96:97]
	;; [unrolled: 1-line block ×4, first 2 shown]
	v_add_f64 v[26:27], v[26:27], v[30:31]
	v_add_f64 v[30:31], v[32:33], -v[92:93]
	v_add_f64 v[26:27], v[30:31], v[26:27]
	v_add_f64 v[30:31], v[96:97], v[26:27]
	v_add_f64 v[32:33], v[96:97], -v[30:31]
	v_add_f64 v[26:27], v[26:27], v[32:33]
	v_mul_f64 v[32:33], v[90:91], v[30:31]
	v_mul_f64 v[92:93], v[22:23], v[32:33]
	v_fma_f64 v[22:23], v[32:33], v[22:23], -v[92:93]
	v_fmac_f64_e32 v[22:23], v[32:33], v[6:7]
	v_add_f64 v[6:7], v[92:93], v[22:23]
	v_add_f64 v[94:95], v[30:31], -v[6:7]
	v_add_f64 v[30:31], v[30:31], -v[94:95]
	;; [unrolled: 1-line block ×4, first 2 shown]
	v_add_f64 v[6:7], v[26:27], v[6:7]
	v_add_f64 v[22:23], v[92:93], -v[22:23]
	v_add_f64 v[6:7], v[22:23], v[6:7]
	v_add_f64 v[22:23], v[28:29], v[32:33]
	;; [unrolled: 1-line block ×3, first 2 shown]
	v_add_f64 v[26:27], v[22:23], -v[28:29]
	v_mul_f64 v[6:7], v[90:91], v[6:7]
	v_add_f64 v[26:27], v[32:33], -v[26:27]
	v_add_f64 v[6:7], v[26:27], v[6:7]
	v_add_f64 v[26:27], v[22:23], v[6:7]
	v_add_f64 v[22:23], v[26:27], -v[22:23]
	v_add_f64 v[6:7], v[6:7], -v[22:23]
	v_mul_f64 v[22:23], v[26:27], v[26:27]
	v_pk_mov_b32 v[28:29], v[36:37], v[36:37] op_sel:[0,1]
	v_fmac_f64_e32 v[28:29], s[24:25], v[22:23]
	v_pk_mov_b32 v[30:31], v[38:39], v[38:39] op_sel:[0,1]
	v_fmac_f64_e32 v[30:31], v[22:23], v[28:29]
	;; [unrolled: 2-line block ×6, first 2 shown]
	v_cvt_f64_i32_e32 v[28:29], v1
	v_mul_f64 v[32:33], v[28:29], s[26:27]
	v_fma_f64 v[90:91], v[28:29], s[26:27], -v[32:33]
	v_fmac_f64_e32 v[90:91], s[28:29], v[28:29]
	v_add_f64 v[28:29], v[32:33], v[90:91]
	v_add_f64 v[32:33], v[28:29], -v[32:33]
	v_mul_f64 v[22:23], v[26:27], v[22:23]
	v_add_f64 v[32:33], v[90:91], -v[32:33]
	v_ldexp_f64 v[90:91], v[26:27], 1
	v_mul_f64 v[22:23], v[22:23], v[30:31]
	v_add_f64 v[26:27], v[90:91], v[22:23]
	v_add_f64 v[30:31], v[26:27], -v[90:91]
	v_ldexp_f64 v[6:7], v[6:7], 1
	v_add_f64 v[22:23], v[22:23], -v[30:31]
	v_add_f64 v[6:7], v[6:7], v[22:23]
	v_add_f64 v[22:23], v[26:27], v[6:7]
	v_add_f64 v[26:27], v[22:23], -v[26:27]
	v_add_f64 v[6:7], v[6:7], -v[26:27]
	v_add_f64 v[26:27], v[28:29], v[22:23]
	v_add_f64 v[30:31], v[26:27], -v[28:29]
	v_add_f64 v[90:91], v[26:27], -v[30:31]
	;; [unrolled: 1-line block ×4, first 2 shown]
	v_add_f64 v[22:23], v[22:23], v[28:29]
	v_add_f64 v[28:29], v[32:33], v[6:7]
	v_add_f64 v[30:31], v[28:29], -v[32:33]
	v_add_f64 v[22:23], v[28:29], v[22:23]
	v_add_f64 v[90:91], v[28:29], -v[30:31]
	;; [unrolled: 2-line block ×3, first 2 shown]
	v_add_f64 v[6:7], v[6:7], -v[30:31]
	v_add_f64 v[26:27], v[28:29], -v[26:27]
	v_add_f64 v[6:7], v[6:7], v[32:33]
	v_add_f64 v[22:23], v[22:23], -v[26:27]
	v_add_f64 v[6:7], v[6:7], v[22:23]
	v_max_f64 v[22:23], |v[12:13]|, |v[12:13]|
	v_max_f64 v[26:27], |v[10:11]|, |v[10:11]|
	v_add_f64 v[6:7], v[28:29], v[6:7]
	v_max_f64 v[28:29], v[26:27], v[22:23]
	v_min_f64 v[26:27], v[26:27], v[22:23]
	v_div_scale_f64 v[30:31], s[56:57], v[28:29], v[28:29], v[26:27]
	v_cmp_eq_f64_e32 vcc, s[30:31], v[24:25]
	v_rcp_f64_e32 v[32:33], v[30:31]
	v_cndmask_b32_e32 v7, v7, v25, vcc
	v_cndmask_b32_e32 v6, v6, v24, vcc
	v_mul_f64 v[6:7], v[6:7], 0.5
	v_cmp_ngt_f64_e32 vcc, -1.0, v[24:25]
	v_cndmask_b32_e32 v1, v107, v7, vcc
	v_cmp_nge_f64_e32 vcc, -1.0, v[24:25]
	v_cndmask_b32_e32 v22, 0, v6, vcc
	v_fma_f64 v[6:7], -v[30:31], v[32:33], 1.0
	v_fmac_f64_e32 v[32:33], v[32:33], v[6:7]
	v_cmp_neq_f64_e32 vcc, -1.0, v[24:25]
	v_fma_f64 v[6:7], -v[30:31], v[32:33], 1.0
	v_cndmask_b32_e32 v23, v108, v1, vcc
	v_fmac_f64_e32 v[32:33], v[32:33], v[6:7]
	v_div_scale_f64 v[6:7], vcc, v[26:27], v[28:29], v[26:27]
	v_mul_f64 v[24:25], v[6:7], v[32:33]
	v_fma_f64 v[6:7], -v[30:31], v[24:25], v[6:7]
	s_mov_b32 s38, s36
	s_nop 0
	v_div_fmas_f64 v[6:7], v[6:7], v[32:33], v[24:25]
	v_div_fixup_f64 v[6:7], v[6:7], v[28:29], v[26:27]
	v_mul_f64 v[24:25], v[6:7], v[6:7]
	v_pk_mov_b32 v[26:27], v[48:49], v[48:49] op_sel:[0,1]
	v_fmac_f64_e32 v[26:27], s[34:35], v[24:25]
	v_pk_mov_b32 v[28:29], v[50:51], v[50:51] op_sel:[0,1]
	v_fmac_f64_e32 v[28:29], v[24:25], v[26:27]
	;; [unrolled: 2-line block ×19, first 2 shown]
	v_mul_f64 v[24:25], v[24:25], v[26:27]
	v_fmac_f64_e32 v[6:7], v[6:7], v[24:25]
	v_ashrrev_i32_e32 v24, 31, v11
	v_and_b32_e32 v26, 0x400921fb, v24
	v_and_b32_e32 v27, 0x54442d18, v24
	v_add_f64 v[24:25], -v[6:7], s[36:37]
	v_cndmask_b32_e64 v7, v7, v25, s[0:1]
	v_cndmask_b32_e64 v6, v6, v24, s[0:1]
	v_cmp_gt_i32_e32 vcc, 0, v11
	v_add_f64 v[24:25], -v[6:7], s[38:39]
	v_cmp_class_f64_e64 s[56:57], v[12:13], s65
	v_cmp_class_f64_e64 s[58:59], v[10:11], s65
	v_cndmask_b32_e32 v1, v109, v110, vcc
	v_cndmask_b32_e32 v8, v111, v112, vcc
	;; [unrolled: 1-line block ×4, first 2 shown]
	v_cmp_eq_f64_e32 vcc, 0, v[12:13]
	v_bfi_b32 v8, s8, v8, v13
	v_cndmask_b32_e32 v6, v6, v27, vcc
	v_cndmask_b32_e32 v7, v7, v26, vcc
	s_and_b64 vcc, s[58:59], s[56:57]
	v_cndmask_b32_e32 v25, v7, v8, vcc
	v_cndmask_b32_e32 v24, v6, v1, vcc
                                        ; implicit-def: $vgpr6_vgpr7
                                        ; implicit-def: $vgpr26_vgpr27
.LBB168_45:                             ;   in Loop: Header=BB168_5 Depth=1
	s_andn2_saveexec_b64 s[56:57], s[2:3]
	s_cbranch_execz .LBB168_53
; %bb.46:                               ;   in Loop: Header=BB168_5 Depth=1
	v_mul_f64 v[24:25], v[6:7], v[6:7]
	v_fmac_f64_e32 v[24:25], v[26:27], v[26:27]
	v_cmp_ge_f64_e32 vcc, s[40:41], v[24:25]
                                        ; implicit-def: $vgpr22_vgpr23
	s_and_saveexec_b64 s[2:3], vcc
	s_xor_b64 s[2:3], exec, s[2:3]
	s_cbranch_execz .LBB168_48
; %bb.47:                               ;   in Loop: Header=BB168_5 Depth=1
	v_frexp_mant_f64_e32 v[6:7], v[24:25]
	v_cmp_gt_f64_e32 vcc, s[22:23], v[6:7]
	v_cndmask_b32_e64 v35, v113, 2.0, vcc
	v_mul_f64 v[6:7], v[6:7], v[34:35]
	v_add_f64 v[22:23], v[6:7], 1.0
	v_rcp_f64_e32 v[26:27], v[22:23]
	v_add_f64 v[30:31], v[22:23], -1.0
	v_add_f64 v[28:29], v[6:7], -1.0
	v_add_f64 v[6:7], v[6:7], -v[30:31]
	v_fma_f64 v[30:31], -v[22:23], v[26:27], 1.0
	v_fmac_f64_e32 v[26:27], v[30:31], v[26:27]
	v_fma_f64 v[30:31], -v[22:23], v[26:27], 1.0
	v_fmac_f64_e32 v[26:27], v[30:31], v[26:27]
	v_mul_f64 v[30:31], v[28:29], v[26:27]
	v_mul_f64 v[32:33], v[22:23], v[30:31]
	v_fma_f64 v[22:23], v[30:31], v[22:23], -v[32:33]
	v_fmac_f64_e32 v[22:23], v[30:31], v[6:7]
	v_add_f64 v[6:7], v[32:33], v[22:23]
	v_add_f64 v[90:91], v[28:29], -v[6:7]
	v_add_f64 v[32:33], v[6:7], -v[32:33]
	;; [unrolled: 1-line block ×5, first 2 shown]
	v_add_f64 v[6:7], v[22:23], v[6:7]
	v_add_f64 v[6:7], v[90:91], v[6:7]
	v_mul_f64 v[6:7], v[26:27], v[6:7]
	v_add_f64 v[22:23], v[30:31], v[6:7]
	v_add_f64 v[26:27], v[22:23], -v[30:31]
	v_add_f64 v[6:7], v[6:7], -v[26:27]
	v_mul_f64 v[26:27], v[22:23], v[22:23]
	v_pk_mov_b32 v[28:29], v[36:37], v[36:37] op_sel:[0,1]
	v_fmac_f64_e32 v[28:29], s[24:25], v[26:27]
	v_pk_mov_b32 v[30:31], v[38:39], v[38:39] op_sel:[0,1]
	v_fmac_f64_e32 v[30:31], v[26:27], v[28:29]
	;; [unrolled: 2-line block ×6, first 2 shown]
	v_ldexp_f64 v[28:29], v[22:23], 1
	v_mul_f64 v[22:23], v[22:23], v[26:27]
	v_mul_f64 v[22:23], v[22:23], v[30:31]
	v_add_f64 v[26:27], v[28:29], v[22:23]
	v_add_f64 v[28:29], v[26:27], -v[28:29]
	v_ldexp_f64 v[6:7], v[6:7], 1
	v_add_f64 v[22:23], v[22:23], -v[28:29]
	v_add_f64 v[6:7], v[6:7], v[22:23]
	v_frexp_exp_i32_f64_e32 v1, v[24:25]
	v_add_f64 v[22:23], v[26:27], v[6:7]
	v_subbrev_co_u32_e32 v1, vcc, 0, v1, vcc
	v_add_f64 v[26:27], v[22:23], -v[26:27]
	v_add_f64 v[6:7], v[6:7], -v[26:27]
	v_cvt_f64_i32_e32 v[26:27], v1
	v_mul_f64 v[28:29], v[26:27], s[26:27]
	v_fma_f64 v[30:31], v[26:27], s[26:27], -v[28:29]
	v_fmac_f64_e32 v[30:31], s[28:29], v[26:27]
	v_add_f64 v[26:27], v[28:29], v[30:31]
	v_add_f64 v[28:29], v[26:27], -v[28:29]
	v_add_f64 v[28:29], v[30:31], -v[28:29]
	v_add_f64 v[30:31], v[26:27], v[22:23]
	v_add_f64 v[32:33], v[30:31], -v[26:27]
	v_add_f64 v[90:91], v[30:31], -v[32:33]
	;; [unrolled: 1-line block ×4, first 2 shown]
	v_add_f64 v[22:23], v[22:23], v[26:27]
	v_add_f64 v[26:27], v[28:29], v[6:7]
	v_add_f64 v[32:33], v[26:27], -v[28:29]
	v_add_f64 v[90:91], v[26:27], -v[32:33]
	v_add_f64 v[22:23], v[26:27], v[22:23]
	v_add_f64 v[28:29], v[28:29], -v[90:91]
	v_add_f64 v[6:7], v[6:7], -v[32:33]
	v_add_f64 v[26:27], v[30:31], v[22:23]
	v_add_f64 v[6:7], v[6:7], v[28:29]
	v_add_f64 v[28:29], v[26:27], -v[30:31]
	v_add_f64 v[22:23], v[22:23], -v[28:29]
	v_add_f64 v[6:7], v[6:7], v[22:23]
	v_add_f64 v[6:7], v[26:27], v[6:7]
	v_max_f64 v[22:23], |v[12:13]|, |v[12:13]|
	v_max_f64 v[26:27], |v[10:11]|, |v[10:11]|
	v_max_f64 v[28:29], v[26:27], v[22:23]
	v_min_f64 v[26:27], v[26:27], v[22:23]
	v_div_scale_f64 v[30:31], s[58:59], v[28:29], v[28:29], v[26:27]
	v_rcp_f64_e32 v[32:33], v[30:31]
	v_mul_f64 v[6:7], v[6:7], 0.5
	v_cmp_neq_f64_e32 vcc, 0, v[24:25]
	v_cndmask_b32_e32 v23, v108, v7, vcc
	v_cndmask_b32_e32 v22, 0, v6, vcc
	v_fma_f64 v[6:7], -v[30:31], v[32:33], 1.0
	v_fmac_f64_e32 v[32:33], v[32:33], v[6:7]
	v_fma_f64 v[6:7], -v[30:31], v[32:33], 1.0
	v_fmac_f64_e32 v[32:33], v[32:33], v[6:7]
	v_div_scale_f64 v[6:7], vcc, v[26:27], v[28:29], v[26:27]
	v_mul_f64 v[24:25], v[6:7], v[32:33]
	v_fma_f64 v[6:7], -v[30:31], v[24:25], v[6:7]
	s_mov_b32 s38, s36
	s_nop 0
	v_div_fmas_f64 v[6:7], v[6:7], v[32:33], v[24:25]
	v_div_fixup_f64 v[6:7], v[6:7], v[28:29], v[26:27]
	v_mul_f64 v[24:25], v[6:7], v[6:7]
	v_pk_mov_b32 v[26:27], v[48:49], v[48:49] op_sel:[0,1]
	v_fmac_f64_e32 v[26:27], s[34:35], v[24:25]
	v_pk_mov_b32 v[28:29], v[50:51], v[50:51] op_sel:[0,1]
	v_fmac_f64_e32 v[28:29], v[24:25], v[26:27]
	;; [unrolled: 2-line block ×19, first 2 shown]
	v_mul_f64 v[24:25], v[24:25], v[26:27]
	v_fmac_f64_e32 v[6:7], v[6:7], v[24:25]
	v_ashrrev_i32_e32 v24, 31, v11
	v_and_b32_e32 v26, 0x400921fb, v24
	v_and_b32_e32 v27, 0x54442d18, v24
	v_add_f64 v[24:25], -v[6:7], s[36:37]
	v_cndmask_b32_e64 v7, v7, v25, s[0:1]
	v_cndmask_b32_e64 v6, v6, v24, s[0:1]
	v_cmp_gt_i32_e32 vcc, 0, v11
	v_add_f64 v[24:25], -v[6:7], s[38:39]
	v_cmp_class_f64_e64 s[58:59], v[12:13], s65
	v_cmp_class_f64_e64 s[60:61], v[10:11], s65
	v_cndmask_b32_e32 v1, v109, v110, vcc
	v_cndmask_b32_e32 v8, v111, v112, vcc
	;; [unrolled: 1-line block ×4, first 2 shown]
	v_cmp_eq_f64_e32 vcc, 0, v[12:13]
	v_bfi_b32 v8, s8, v8, v13
	v_cndmask_b32_e32 v6, v6, v27, vcc
	v_cndmask_b32_e32 v7, v7, v26, vcc
	s_and_b64 vcc, s[60:61], s[58:59]
	v_cndmask_b32_e32 v25, v7, v8, vcc
	v_cndmask_b32_e32 v24, v6, v1, vcc
                                        ; implicit-def: $vgpr26_vgpr27
                                        ; implicit-def: $vgpr6_vgpr7
.LBB168_48:                             ;   in Loop: Header=BB168_5 Depth=1
	s_andn2_saveexec_b64 s[58:59], s[2:3]
	s_cbranch_execz .LBB168_52
; %bb.49:                               ;   in Loop: Header=BB168_5 Depth=1
	v_and_b32_e32 v35, 0x7ffffff8, v27
	v_and_b32_e32 v25, 0x7ffffff8, v7
	v_mov_b32_e32 v24, v34
	v_add_f64 v[22:23], v[26:27], -v[34:35]
	v_add_f64 v[6:7], v[6:7], -v[24:25]
	v_and_b32_e32 v93, -8, v23
	v_mov_b32_e32 v92, v34
	v_and_b32_e32 v95, -8, v7
	v_mov_b32_e32 v94, v34
	v_add_f64 v[30:31], v[34:35], v[34:35]
	v_add_f64 v[100:101], v[24:25], v[24:25]
	v_add_f64 v[96:97], v[22:23], -v[92:93]
	v_add_f64 v[98:99], v[6:7], -v[94:95]
	v_mul_f64 v[22:23], v[24:25], v[24:25]
	v_mul_f64 v[28:29], v[30:31], v[92:93]
	;; [unrolled: 1-line block ×5, first 2 shown]
	v_add_f64 v[92:93], v[92:93], v[92:93]
	v_add_f64 v[94:95], v[94:95], v[94:95]
	v_mul_f64 v[6:7], v[34:35], v[34:35]
	v_mul_f64 v[32:33], v[30:31], v[96:97]
	v_mul_f64 v[30:31], v[100:101], v[98:99]
	v_mul_f64 v[92:93], v[92:93], v[96:97]
	v_mul_f64 v[94:95], v[94:95], v[98:99]
	v_mul_f64 v[96:97], v[96:97], v[96:97]
	v_mul_f64 v[98:99], v[98:99], v[98:99]
	s_mov_b64 s[60:61], 0
.LBB168_50:                             ;   Parent Loop BB168_5 Depth=1
                                        ; =>  This Inner Loop Header: Depth=2
	v_cmp_nlt_f64_e32 vcc, v[6:7], v[22:23]
	v_cndmask_b32_e32 v101, v7, v23, vcc
	v_cndmask_b32_e32 v100, v6, v22, vcc
	v_cmp_nlt_f64_e64 s[2:3], v[100:101], v[28:29]
	v_cndmask_b32_e64 v103, v101, v29, s[2:3]
	v_cndmask_b32_e64 v102, v100, v28, s[2:3]
	v_cndmask_b32_e32 v7, v23, v7, vcc
	v_cndmask_b32_e32 v6, v22, v6, vcc
	s_and_b64 s[62:63], vcc, s[2:3]
	v_cmp_nlt_f64_e32 vcc, v[102:103], v[26:27]
	v_cndmask_b32_e64 v23, v29, v101, s[2:3]
	v_cndmask_b32_e64 v22, v28, v100, s[2:3]
	v_cndmask_b32_e32 v101, v103, v27, vcc
	v_cndmask_b32_e32 v100, v102, v26, vcc
	v_cmp_nlt_f64_e64 s[2:3], v[100:101], v[90:91]
	v_cndmask_b32_e32 v29, v27, v103, vcc
	v_cndmask_b32_e32 v28, v26, v102, vcc
	v_cndmask_b32_e64 v103, v101, v91, s[2:3]
	v_cndmask_b32_e64 v102, v100, v90, s[2:3]
	s_and_b64 s[70:71], vcc, s[2:3]
	v_cmp_nlt_f64_e32 vcc, v[102:103], v[24:25]
	v_cndmask_b32_e64 v27, v91, v101, s[2:3]
	v_cndmask_b32_e64 v26, v90, v100, s[2:3]
	v_cndmask_b32_e32 v101, v103, v25, vcc
	v_cndmask_b32_e32 v100, v102, v24, vcc
	v_cmp_nlt_f64_e64 s[2:3], v[100:101], v[32:33]
	v_cndmask_b32_e32 v91, v25, v103, vcc
	v_cndmask_b32_e32 v90, v24, v102, vcc
	v_cndmask_b32_e64 v103, v101, v33, s[2:3]
	v_cndmask_b32_e64 v102, v100, v32, s[2:3]
	;; [unrolled: 1-line block ×4, first 2 shown]
	s_and_b64 s[2:3], vcc, s[2:3]
	v_cmp_nlt_f64_e32 vcc, v[102:103], v[30:31]
	v_cndmask_b32_e32 v101, v103, v31, vcc
	v_cndmask_b32_e32 v100, v102, v30, vcc
	v_cndmask_b32_e32 v33, v31, v103, vcc
	v_cndmask_b32_e32 v32, v30, v102, vcc
	s_and_b64 s[2:3], s[2:3], vcc
	v_cmp_nlt_f64_e32 vcc, v[100:101], v[92:93]
	v_cndmask_b32_e32 v103, v101, v93, vcc
	v_cndmask_b32_e32 v102, v100, v92, vcc
	v_cndmask_b32_e32 v31, v93, v101, vcc
	v_cndmask_b32_e32 v30, v92, v100, vcc
	s_and_b64 s[2:3], s[2:3], vcc
	;; [unrolled: 6-line block ×4, first 2 shown]
	v_cmp_nlt_f64_e32 vcc, v[102:103], v[98:99]
	s_and_b64 s[2:3], s[2:3], vcc
	s_and_b64 s[2:3], s[2:3], s[70:71]
	s_and_b64 s[2:3], s[2:3], s[62:63]
	v_cndmask_b32_e32 v101, v103, v99, vcc
	v_cndmask_b32_e32 v100, v102, v98, vcc
	s_and_b64 s[2:3], exec, s[2:3]
	v_cndmask_b32_e32 v97, v99, v103, vcc
	v_cndmask_b32_e32 v96, v98, v102, vcc
	s_or_b64 s[60:61], s[2:3], s[60:61]
	v_pk_mov_b32 v[98:99], v[100:101], v[100:101] op_sel:[0,1]
	s_andn2_b64 exec, exec, s[60:61]
	s_cbranch_execnz .LBB168_50
; %bb.51:                               ;   in Loop: Header=BB168_5 Depth=1
	s_or_b64 exec, exec, s[60:61]
	v_add_f64 v[6:7], v[6:7], -1.0
	v_add_f64 v[6:7], v[6:7], v[22:23]
	v_add_f64 v[6:7], v[6:7], v[28:29]
	;; [unrolled: 1-line block ×11, first 2 shown]
	v_add_f64 v[22:23], v[6:7], 1.0
	v_add_f64 v[24:25], v[22:23], -1.0
	v_add_f64 v[26:27], v[24:25], -v[22:23]
	v_add_f64 v[26:27], v[26:27], 1.0
	v_add_f64 v[24:25], v[6:7], -v[24:25]
	v_add_f64 v[24:25], v[24:25], v[26:27]
	v_frexp_mant_f64_e32 v[26:27], v[22:23]
	v_frexp_exp_i32_f64_e32 v1, v[22:23]
	v_cmp_gt_f64_e32 vcc, s[22:23], v[26:27]
	v_subbrev_co_u32_e32 v1, vcc, 0, v1, vcc
	v_sub_u32_e32 v8, 0, v1
	v_ldexp_f64 v[22:23], v[22:23], v8
	v_add_f64 v[26:27], v[22:23], -1.0
	v_add_f64 v[32:33], v[22:23], 1.0
	v_add_f64 v[28:29], v[26:27], 1.0
	v_add_f64 v[90:91], v[32:33], -1.0
	v_ldexp_f64 v[24:25], v[24:25], v8
	v_add_f64 v[28:29], v[22:23], -v[28:29]
	v_add_f64 v[22:23], v[22:23], -v[90:91]
	v_add_f64 v[22:23], v[24:25], v[22:23]
	v_add_f64 v[28:29], v[24:25], v[28:29]
	v_add_f64 v[24:25], v[32:33], v[22:23]
	v_rcp_f64_e32 v[90:91], v[24:25]
	v_add_f64 v[30:31], v[26:27], v[28:29]
	v_add_f64 v[26:27], v[30:31], -v[26:27]
	v_add_f64 v[26:27], v[28:29], -v[26:27]
	v_add_f64 v[28:29], v[24:25], -v[32:33]
	v_add_f64 v[22:23], v[22:23], -v[28:29]
	v_fma_f64 v[28:29], -v[24:25], v[90:91], 1.0
	v_fmac_f64_e32 v[90:91], v[28:29], v[90:91]
	v_fma_f64 v[28:29], -v[24:25], v[90:91], 1.0
	v_fmac_f64_e32 v[90:91], v[28:29], v[90:91]
	v_mul_f64 v[28:29], v[30:31], v[90:91]
	v_mul_f64 v[32:33], v[24:25], v[28:29]
	v_fma_f64 v[92:93], v[28:29], v[24:25], -v[32:33]
	v_fmac_f64_e32 v[92:93], v[28:29], v[22:23]
	v_add_f64 v[94:95], v[32:33], v[92:93]
	v_add_f64 v[96:97], v[30:31], -v[94:95]
	v_add_f64 v[30:31], v[30:31], -v[96:97]
	;; [unrolled: 1-line block ×4, first 2 shown]
	v_add_f64 v[26:27], v[26:27], v[30:31]
	v_add_f64 v[30:31], v[32:33], -v[92:93]
	v_add_f64 v[26:27], v[30:31], v[26:27]
	v_add_f64 v[30:31], v[96:97], v[26:27]
	v_add_f64 v[32:33], v[96:97], -v[30:31]
	v_add_f64 v[26:27], v[26:27], v[32:33]
	v_mul_f64 v[32:33], v[90:91], v[30:31]
	v_mul_f64 v[92:93], v[24:25], v[32:33]
	v_fma_f64 v[24:25], v[32:33], v[24:25], -v[92:93]
	v_fmac_f64_e32 v[24:25], v[32:33], v[22:23]
	v_add_f64 v[22:23], v[92:93], v[24:25]
	v_add_f64 v[94:95], v[30:31], -v[22:23]
	v_add_f64 v[30:31], v[30:31], -v[94:95]
	;; [unrolled: 1-line block ×4, first 2 shown]
	v_add_f64 v[22:23], v[26:27], v[22:23]
	v_add_f64 v[24:25], v[92:93], -v[24:25]
	v_add_f64 v[22:23], v[24:25], v[22:23]
	v_add_f64 v[24:25], v[28:29], v[32:33]
	;; [unrolled: 1-line block ×3, first 2 shown]
	v_add_f64 v[26:27], v[24:25], -v[28:29]
	v_mul_f64 v[22:23], v[90:91], v[22:23]
	v_add_f64 v[26:27], v[32:33], -v[26:27]
	v_add_f64 v[22:23], v[26:27], v[22:23]
	v_add_f64 v[26:27], v[24:25], v[22:23]
	v_add_f64 v[24:25], v[26:27], -v[24:25]
	v_add_f64 v[22:23], v[22:23], -v[24:25]
	v_mul_f64 v[24:25], v[26:27], v[26:27]
	v_pk_mov_b32 v[28:29], v[36:37], v[36:37] op_sel:[0,1]
	v_fmac_f64_e32 v[28:29], s[24:25], v[24:25]
	v_pk_mov_b32 v[30:31], v[38:39], v[38:39] op_sel:[0,1]
	v_fmac_f64_e32 v[30:31], v[24:25], v[28:29]
	;; [unrolled: 2-line block ×6, first 2 shown]
	v_cvt_f64_i32_e32 v[28:29], v1
	v_mul_f64 v[32:33], v[28:29], s[26:27]
	v_fma_f64 v[90:91], v[28:29], s[26:27], -v[32:33]
	v_fmac_f64_e32 v[90:91], s[28:29], v[28:29]
	v_add_f64 v[28:29], v[32:33], v[90:91]
	v_add_f64 v[32:33], v[28:29], -v[32:33]
	v_mul_f64 v[24:25], v[26:27], v[24:25]
	v_add_f64 v[32:33], v[90:91], -v[32:33]
	v_ldexp_f64 v[90:91], v[26:27], 1
	v_mul_f64 v[24:25], v[24:25], v[30:31]
	v_add_f64 v[26:27], v[90:91], v[24:25]
	v_add_f64 v[30:31], v[26:27], -v[90:91]
	v_ldexp_f64 v[22:23], v[22:23], 1
	v_add_f64 v[24:25], v[24:25], -v[30:31]
	v_add_f64 v[22:23], v[22:23], v[24:25]
	v_add_f64 v[24:25], v[26:27], v[22:23]
	v_add_f64 v[26:27], v[24:25], -v[26:27]
	v_add_f64 v[22:23], v[22:23], -v[26:27]
	v_add_f64 v[26:27], v[28:29], v[24:25]
	v_add_f64 v[30:31], v[26:27], -v[28:29]
	v_add_f64 v[90:91], v[26:27], -v[30:31]
	;; [unrolled: 1-line block ×4, first 2 shown]
	v_add_f64 v[24:25], v[24:25], v[28:29]
	v_add_f64 v[28:29], v[32:33], v[22:23]
	v_add_f64 v[30:31], v[28:29], -v[32:33]
	v_add_f64 v[24:25], v[28:29], v[24:25]
	v_add_f64 v[90:91], v[28:29], -v[30:31]
	;; [unrolled: 2-line block ×3, first 2 shown]
	v_add_f64 v[22:23], v[22:23], -v[30:31]
	v_add_f64 v[26:27], v[28:29], -v[26:27]
	v_add_f64 v[22:23], v[22:23], v[32:33]
	v_add_f64 v[24:25], v[24:25], -v[26:27]
	v_add_f64 v[22:23], v[22:23], v[24:25]
	v_max_f64 v[24:25], |v[12:13]|, |v[12:13]|
	v_max_f64 v[26:27], |v[10:11]|, |v[10:11]|
	v_add_f64 v[22:23], v[28:29], v[22:23]
	v_max_f64 v[28:29], v[26:27], v[24:25]
	v_min_f64 v[24:25], v[26:27], v[24:25]
	v_div_scale_f64 v[26:27], s[2:3], v[28:29], v[28:29], v[24:25]
	v_cmp_eq_f64_e32 vcc, s[30:31], v[6:7]
	v_rcp_f64_e32 v[30:31], v[26:27]
	v_cndmask_b32_e32 v23, v23, v7, vcc
	v_cndmask_b32_e32 v22, v22, v6, vcc
	v_mul_f64 v[22:23], v[22:23], 0.5
	v_cmp_ngt_f64_e32 vcc, -1.0, v[6:7]
	v_cndmask_b32_e32 v1, v107, v23, vcc
	v_cmp_nge_f64_e32 vcc, -1.0, v[6:7]
	v_cndmask_b32_e32 v22, 0, v22, vcc
	v_cmp_neq_f64_e32 vcc, -1.0, v[6:7]
	v_fma_f64 v[6:7], -v[26:27], v[30:31], 1.0
	v_fmac_f64_e32 v[30:31], v[30:31], v[6:7]
	v_fma_f64 v[6:7], -v[26:27], v[30:31], 1.0
	v_cndmask_b32_e32 v23, v108, v1, vcc
	v_fmac_f64_e32 v[30:31], v[30:31], v[6:7]
	v_div_scale_f64 v[6:7], vcc, v[24:25], v[28:29], v[24:25]
	v_mul_f64 v[32:33], v[6:7], v[30:31]
	v_fma_f64 v[6:7], -v[26:27], v[32:33], v[6:7]
	v_pk_mov_b32 v[26:27], v[48:49], v[48:49] op_sel:[0,1]
	s_nop 0
	v_div_fmas_f64 v[6:7], v[6:7], v[30:31], v[32:33]
	v_div_fixup_f64 v[6:7], v[6:7], v[28:29], v[24:25]
	v_mul_f64 v[24:25], v[6:7], v[6:7]
	v_fmac_f64_e32 v[26:27], s[34:35], v[24:25]
	v_pk_mov_b32 v[28:29], v[50:51], v[50:51] op_sel:[0,1]
	v_fmac_f64_e32 v[28:29], v[24:25], v[26:27]
	v_pk_mov_b32 v[26:27], v[52:53], v[52:53] op_sel:[0,1]
	;; [unrolled: 2-line block ×18, first 2 shown]
	v_fmac_f64_e32 v[26:27], v[24:25], v[28:29]
	v_mul_f64 v[24:25], v[24:25], v[26:27]
	v_fmac_f64_e32 v[6:7], v[6:7], v[24:25]
	v_ashrrev_i32_e32 v24, 31, v11
	v_and_b32_e32 v26, 0x400921fb, v24
	v_and_b32_e32 v27, 0x54442d18, v24
	v_add_f64 v[24:25], -v[6:7], s[36:37]
	v_cndmask_b32_e64 v7, v7, v25, s[0:1]
	v_cndmask_b32_e64 v6, v6, v24, s[0:1]
	s_mov_b32 s38, s36
	v_cmp_gt_i32_e32 vcc, 0, v11
	v_add_f64 v[24:25], -v[6:7], s[38:39]
	v_cmp_class_f64_e64 s[2:3], v[12:13], s65
	v_cmp_class_f64_e64 s[60:61], v[10:11], s65
	v_cndmask_b32_e32 v1, v109, v110, vcc
	v_cndmask_b32_e32 v8, v111, v112, vcc
	;; [unrolled: 1-line block ×4, first 2 shown]
	v_cmp_eq_f64_e32 vcc, 0, v[12:13]
	v_bfi_b32 v8, s8, v8, v13
	v_cndmask_b32_e32 v6, v6, v27, vcc
	v_cndmask_b32_e32 v7, v7, v26, vcc
	s_and_b64 vcc, s[60:61], s[2:3]
	v_cndmask_b32_e32 v25, v7, v8, vcc
	v_cndmask_b32_e32 v24, v6, v1, vcc
.LBB168_52:                             ;   in Loop: Header=BB168_5 Depth=1
	s_or_b64 exec, exec, s[58:59]
.LBB168_53:                             ;   in Loop: Header=BB168_5 Depth=1
	s_or_b64 exec, exec, s[56:57]
.LBB168_54:                             ;   in Loop: Header=BB168_5 Depth=1
	s_andn2_saveexec_b64 s[54:55], s[54:55]
	s_cbranch_execz .LBB168_56
; %bb.55:                               ;   in Loop: Header=BB168_5 Depth=1
	v_max_f64 v[6:7], |v[12:13]|, |v[12:13]|
	v_max_f64 v[22:23], |v[10:11]|, |v[10:11]|
	v_max_f64 v[24:25], v[22:23], v[6:7]
	v_frexp_exp_i32_f64_e32 v1, v[24:25]
	v_sub_u32_e32 v8, 0, v1
	v_ldexp_f64 v[28:29], |v[12:13]|, v8
	v_ldexp_f64 v[26:27], |v[10:11]|, v8
	v_mul_f64 v[28:29], v[28:29], v[28:29]
	v_fmac_f64_e32 v[28:29], v[26:27], v[26:27]
	v_rsq_f64_e32 v[26:27], v[28:29]
	v_cmp_eq_f64_e32 vcc, 0, v[28:29]
	v_cmp_class_f64_e64 s[56:57], v[10:11], s65
	v_cmp_class_f64_e64 s[58:59], v[12:13], s65
	v_mul_f64 v[30:31], v[28:29], v[26:27]
	v_mul_f64 v[26:27], v[26:27], 0.5
	v_fma_f64 v[32:33], -v[26:27], v[30:31], 0.5
	v_fmac_f64_e32 v[30:31], v[30:31], v[32:33]
	v_fmac_f64_e32 v[26:27], v[26:27], v[32:33]
	v_fma_f64 v[32:33], -v[30:31], v[30:31], v[28:29]
	v_fmac_f64_e32 v[30:31], v[32:33], v[26:27]
	v_cndmask_b32_e32 v27, v31, v29, vcc
	v_cndmask_b32_e32 v26, v30, v28, vcc
	v_ldexp_f64 v[26:27], v[26:27], v1
	s_or_b64 vcc, s[56:57], s[58:59]
	v_cndmask_b32_e32 v29, v27, v114, vcc
	v_cndmask_b32_e64 v28, v26, 0, vcc
	v_frexp_mant_f64_e32 v[30:31], v[28:29]
	v_cmp_gt_f64_e64 s[2:3], s[22:23], v[30:31]
	v_cndmask_b32_e64 v35, v113, 2.0, s[2:3]
	v_mul_f64 v[30:31], v[30:31], v[34:35]
	v_add_f64 v[32:33], v[30:31], 1.0
	v_rcp_f64_e32 v[90:91], v[32:33]
	v_add_f64 v[94:95], v[32:33], -1.0
	v_add_f64 v[92:93], v[30:31], -1.0
	v_add_f64 v[30:31], v[30:31], -v[94:95]
	v_fma_f64 v[94:95], -v[32:33], v[90:91], 1.0
	v_fmac_f64_e32 v[90:91], v[94:95], v[90:91]
	v_fma_f64 v[94:95], -v[32:33], v[90:91], 1.0
	v_fmac_f64_e32 v[90:91], v[94:95], v[90:91]
	v_mul_f64 v[94:95], v[92:93], v[90:91]
	v_mul_f64 v[96:97], v[32:33], v[94:95]
	v_fma_f64 v[32:33], v[94:95], v[32:33], -v[96:97]
	v_fmac_f64_e32 v[32:33], v[94:95], v[30:31]
	v_add_f64 v[30:31], v[96:97], v[32:33]
	v_add_f64 v[98:99], v[92:93], -v[30:31]
	v_add_f64 v[96:97], v[30:31], -v[96:97]
	;; [unrolled: 1-line block ×5, first 2 shown]
	v_add_f64 v[30:31], v[32:33], v[30:31]
	v_add_f64 v[30:31], v[98:99], v[30:31]
	v_mul_f64 v[30:31], v[90:91], v[30:31]
	v_add_f64 v[32:33], v[94:95], v[30:31]
	v_add_f64 v[90:91], v[32:33], -v[94:95]
	v_add_f64 v[30:31], v[30:31], -v[90:91]
	v_mul_f64 v[90:91], v[32:33], v[32:33]
	v_pk_mov_b32 v[92:93], v[36:37], v[36:37] op_sel:[0,1]
	v_fmac_f64_e32 v[92:93], s[24:25], v[90:91]
	v_pk_mov_b32 v[94:95], v[38:39], v[38:39] op_sel:[0,1]
	v_fmac_f64_e32 v[94:95], v[90:91], v[92:93]
	;; [unrolled: 2-line block ×6, first 2 shown]
	v_ldexp_f64 v[92:93], v[32:33], 1
	v_mul_f64 v[32:33], v[32:33], v[90:91]
	v_mul_f64 v[32:33], v[32:33], v[94:95]
	v_add_f64 v[90:91], v[92:93], v[32:33]
	v_add_f64 v[92:93], v[90:91], -v[92:93]
	v_ldexp_f64 v[30:31], v[30:31], 1
	v_add_f64 v[32:33], v[32:33], -v[92:93]
	v_add_f64 v[30:31], v[30:31], v[32:33]
	v_frexp_exp_i32_f64_e32 v1, v[28:29]
	v_add_f64 v[32:33], v[90:91], v[30:31]
	v_subbrev_co_u32_e64 v1, s[2:3], 0, v1, s[2:3]
	v_add_f64 v[90:91], v[32:33], -v[90:91]
	v_add_f64 v[30:31], v[30:31], -v[90:91]
	v_cvt_f64_i32_e32 v[90:91], v1
	v_mul_f64 v[92:93], v[90:91], s[26:27]
	v_fma_f64 v[94:95], v[90:91], s[26:27], -v[92:93]
	v_fmac_f64_e32 v[94:95], s[28:29], v[90:91]
	v_add_f64 v[90:91], v[92:93], v[94:95]
	v_add_f64 v[92:93], v[90:91], -v[92:93]
	v_add_f64 v[92:93], v[94:95], -v[92:93]
	v_add_f64 v[94:95], v[90:91], v[32:33]
	v_add_f64 v[96:97], v[94:95], -v[90:91]
	v_add_f64 v[98:99], v[94:95], -v[96:97]
	;; [unrolled: 1-line block ×4, first 2 shown]
	v_add_f64 v[32:33], v[32:33], v[90:91]
	v_add_f64 v[90:91], v[92:93], v[30:31]
	v_add_f64 v[96:97], v[90:91], -v[92:93]
	v_add_f64 v[98:99], v[90:91], -v[96:97]
	v_add_f64 v[32:33], v[90:91], v[32:33]
	v_add_f64 v[92:93], v[92:93], -v[98:99]
	v_add_f64 v[30:31], v[30:31], -v[96:97]
	v_add_f64 v[90:91], v[94:95], v[32:33]
	v_add_f64 v[30:31], v[30:31], v[92:93]
	v_add_f64 v[92:93], v[90:91], -v[94:95]
	v_add_f64 v[32:33], v[32:33], -v[92:93]
	v_add_f64 v[30:31], v[30:31], v[32:33]
	v_add_f64 v[30:31], v[90:91], v[30:31]
	v_cmp_class_f64_e64 s[2:3], v[26:27], s65
	v_min_f64 v[6:7], v[22:23], v[6:7]
	v_cndmask_b32_e64 v1, v31, v27, s[2:3]
	v_cndmask_b32_e64 v8, v30, v26, s[2:3]
	v_div_scale_f64 v[26:27], s[2:3], v[24:25], v[24:25], v[6:7]
	v_rcp_f64_e32 v[30:31], v[26:27]
	v_cndmask_b32_e64 v8, v8, 0, vcc
	v_cndmask_b32_e32 v1, v1, v114, vcc
	v_cmp_ngt_f64_e32 vcc, 0, v[28:29]
	v_cndmask_b32_e32 v1, v107, v1, vcc
	v_cmp_nge_f64_e32 vcc, 0, v[28:29]
	v_cndmask_b32_e32 v22, 0, v8, vcc
	v_cmp_neq_f64_e32 vcc, 0, v[28:29]
	v_fma_f64 v[28:29], -v[26:27], v[30:31], 1.0
	v_fmac_f64_e32 v[30:31], v[30:31], v[28:29]
	v_fma_f64 v[28:29], -v[26:27], v[30:31], 1.0
	v_cndmask_b32_e32 v23, v108, v1, vcc
	v_fmac_f64_e32 v[30:31], v[30:31], v[28:29]
	v_div_scale_f64 v[28:29], vcc, v[6:7], v[24:25], v[6:7]
	v_mul_f64 v[32:33], v[28:29], v[30:31]
	v_fma_f64 v[26:27], -v[26:27], v[32:33], v[28:29]
	v_pk_mov_b32 v[28:29], v[50:51], v[50:51] op_sel:[0,1]
	s_nop 0
	v_div_fmas_f64 v[26:27], v[26:27], v[30:31], v[32:33]
	v_div_fixup_f64 v[6:7], v[26:27], v[24:25], v[6:7]
	v_mul_f64 v[24:25], v[6:7], v[6:7]
	v_pk_mov_b32 v[26:27], v[48:49], v[48:49] op_sel:[0,1]
	v_fmac_f64_e32 v[26:27], s[34:35], v[24:25]
	v_fmac_f64_e32 v[28:29], v[24:25], v[26:27]
	v_pk_mov_b32 v[26:27], v[52:53], v[52:53] op_sel:[0,1]
	v_fmac_f64_e32 v[26:27], v[24:25], v[28:29]
	v_pk_mov_b32 v[28:29], v[54:55], v[54:55] op_sel:[0,1]
	v_fmac_f64_e32 v[28:29], v[24:25], v[26:27]
	v_pk_mov_b32 v[26:27], v[56:57], v[56:57] op_sel:[0,1]
	v_fmac_f64_e32 v[26:27], v[24:25], v[28:29]
	v_pk_mov_b32 v[28:29], v[58:59], v[58:59] op_sel:[0,1]
	v_fmac_f64_e32 v[28:29], v[24:25], v[26:27]
	v_pk_mov_b32 v[26:27], v[60:61], v[60:61] op_sel:[0,1]
	v_fmac_f64_e32 v[26:27], v[24:25], v[28:29]
	v_pk_mov_b32 v[28:29], v[62:63], v[62:63] op_sel:[0,1]
	v_fmac_f64_e32 v[28:29], v[24:25], v[26:27]
	v_pk_mov_b32 v[26:27], v[64:65], v[64:65] op_sel:[0,1]
	v_fmac_f64_e32 v[26:27], v[24:25], v[28:29]
	v_pk_mov_b32 v[28:29], v[66:67], v[66:67] op_sel:[0,1]
	v_fmac_f64_e32 v[28:29], v[24:25], v[26:27]
	v_pk_mov_b32 v[26:27], v[68:69], v[68:69] op_sel:[0,1]
	v_fmac_f64_e32 v[26:27], v[24:25], v[28:29]
	v_pk_mov_b32 v[28:29], v[70:71], v[70:71] op_sel:[0,1]
	v_fmac_f64_e32 v[28:29], v[24:25], v[26:27]
	v_pk_mov_b32 v[26:27], v[72:73], v[72:73] op_sel:[0,1]
	v_fmac_f64_e32 v[26:27], v[24:25], v[28:29]
	v_pk_mov_b32 v[28:29], v[74:75], v[74:75] op_sel:[0,1]
	v_fmac_f64_e32 v[28:29], v[24:25], v[26:27]
	v_pk_mov_b32 v[26:27], v[76:77], v[76:77] op_sel:[0,1]
	v_fmac_f64_e32 v[26:27], v[24:25], v[28:29]
	v_pk_mov_b32 v[28:29], v[78:79], v[78:79] op_sel:[0,1]
	v_fmac_f64_e32 v[28:29], v[24:25], v[26:27]
	v_pk_mov_b32 v[26:27], v[80:81], v[80:81] op_sel:[0,1]
	v_fmac_f64_e32 v[26:27], v[24:25], v[28:29]
	v_pk_mov_b32 v[28:29], v[82:83], v[82:83] op_sel:[0,1]
	v_fmac_f64_e32 v[28:29], v[24:25], v[26:27]
	v_pk_mov_b32 v[26:27], v[84:85], v[84:85] op_sel:[0,1]
	v_fmac_f64_e32 v[26:27], v[24:25], v[28:29]
	v_mul_f64 v[24:25], v[24:25], v[26:27]
	v_fmac_f64_e32 v[6:7], v[6:7], v[24:25]
	v_ashrrev_i32_e32 v24, 31, v11
	v_and_b32_e32 v26, 0x400921fb, v24
	v_and_b32_e32 v27, 0x54442d18, v24
	v_add_f64 v[24:25], -v[6:7], s[36:37]
	v_cndmask_b32_e64 v7, v7, v25, s[0:1]
	v_cndmask_b32_e64 v6, v6, v24, s[0:1]
	s_mov_b32 s38, s36
	v_cmp_gt_i32_e32 vcc, 0, v11
	v_add_f64 v[24:25], -v[6:7], s[38:39]
	v_cndmask_b32_e32 v1, v109, v110, vcc
	v_cndmask_b32_e32 v8, v111, v112, vcc
	;; [unrolled: 1-line block ×4, first 2 shown]
	v_cmp_eq_f64_e32 vcc, 0, v[12:13]
	v_bfi_b32 v8, s8, v8, v13
	v_cndmask_b32_e32 v6, v6, v27, vcc
	v_cndmask_b32_e32 v7, v7, v26, vcc
	s_and_b64 vcc, s[56:57], s[58:59]
	v_cndmask_b32_e32 v25, v7, v8, vcc
	v_cndmask_b32_e32 v24, v6, v1, vcc
.LBB168_56:                             ;   in Loop: Header=BB168_5 Depth=1
	s_or_b64 exec, exec, s[54:55]
                                        ; implicit-def: $vgpr6_vgpr7
.LBB168_57:                             ;   in Loop: Header=BB168_5 Depth=1
	s_andn2_saveexec_b64 s[2:3], s[52:53]
	s_cbranch_execz .LBB168_63
; %bb.58:                               ;   in Loop: Header=BB168_5 Depth=1
	v_cmp_ngt_f64_e32 vcc, s[42:43], v[6:7]
                                        ; implicit-def: $vgpr22_vgpr23
	s_and_saveexec_b64 s[52:53], vcc
	s_xor_b64 s[52:53], exec, s[52:53]
	s_cbranch_execz .LBB168_60
; %bb.59:                               ;   in Loop: Header=BB168_5 Depth=1
	v_mul_f64 v[6:7], v[6:7], v[6:7]
	v_add_f64 v[22:23], v[6:7], 1.0
	v_add_f64 v[24:25], v[22:23], -1.0
	v_add_f64 v[26:27], v[24:25], -v[22:23]
	v_add_f64 v[26:27], v[26:27], 1.0
	v_add_f64 v[24:25], v[6:7], -v[24:25]
	v_add_f64 v[24:25], v[24:25], v[26:27]
	v_frexp_mant_f64_e32 v[26:27], v[22:23]
	v_frexp_exp_i32_f64_e32 v1, v[22:23]
	v_cmp_gt_f64_e32 vcc, s[22:23], v[26:27]
	v_subbrev_co_u32_e32 v1, vcc, 0, v1, vcc
	v_sub_u32_e32 v8, 0, v1
	v_ldexp_f64 v[22:23], v[22:23], v8
	v_add_f64 v[26:27], v[22:23], -1.0
	v_add_f64 v[32:33], v[22:23], 1.0
	v_add_f64 v[28:29], v[26:27], 1.0
	v_add_f64 v[90:91], v[32:33], -1.0
	v_ldexp_f64 v[24:25], v[24:25], v8
	v_add_f64 v[28:29], v[22:23], -v[28:29]
	v_add_f64 v[22:23], v[22:23], -v[90:91]
	v_add_f64 v[22:23], v[24:25], v[22:23]
	v_add_f64 v[28:29], v[24:25], v[28:29]
	;; [unrolled: 1-line block ×3, first 2 shown]
	v_rcp_f64_e32 v[90:91], v[24:25]
	v_add_f64 v[30:31], v[26:27], v[28:29]
	v_add_f64 v[26:27], v[26:27], -v[30:31]
	v_add_f64 v[26:27], v[28:29], v[26:27]
	v_add_f64 v[28:29], v[32:33], -v[24:25]
	v_add_f64 v[22:23], v[22:23], v[28:29]
	v_fma_f64 v[28:29], -v[24:25], v[90:91], 1.0
	v_fmac_f64_e32 v[90:91], v[28:29], v[90:91]
	v_fma_f64 v[28:29], -v[24:25], v[90:91], 1.0
	v_fmac_f64_e32 v[90:91], v[28:29], v[90:91]
	v_mul_f64 v[28:29], v[30:31], v[90:91]
	v_mul_f64 v[32:33], v[24:25], v[28:29]
	v_fma_f64 v[92:93], v[28:29], v[24:25], -v[32:33]
	v_fmac_f64_e32 v[92:93], v[28:29], v[22:23]
	v_add_f64 v[94:95], v[32:33], v[92:93]
	v_add_f64 v[96:97], v[30:31], -v[94:95]
	v_add_f64 v[30:31], v[30:31], -v[96:97]
	;; [unrolled: 1-line block ×4, first 2 shown]
	v_add_f64 v[26:27], v[26:27], v[30:31]
	v_add_f64 v[30:31], v[32:33], -v[92:93]
	v_add_f64 v[26:27], v[30:31], v[26:27]
	v_add_f64 v[30:31], v[96:97], v[26:27]
	v_add_f64 v[32:33], v[96:97], -v[30:31]
	v_add_f64 v[26:27], v[26:27], v[32:33]
	v_mul_f64 v[32:33], v[90:91], v[30:31]
	v_mul_f64 v[92:93], v[24:25], v[32:33]
	v_fma_f64 v[24:25], v[32:33], v[24:25], -v[92:93]
	v_fmac_f64_e32 v[24:25], v[32:33], v[22:23]
	v_add_f64 v[22:23], v[92:93], v[24:25]
	v_add_f64 v[94:95], v[30:31], -v[22:23]
	v_add_f64 v[30:31], v[30:31], -v[94:95]
	;; [unrolled: 1-line block ×4, first 2 shown]
	v_add_f64 v[22:23], v[26:27], v[22:23]
	v_add_f64 v[24:25], v[92:93], -v[24:25]
	v_add_f64 v[22:23], v[24:25], v[22:23]
	v_add_f64 v[24:25], v[28:29], v[32:33]
	;; [unrolled: 1-line block ×3, first 2 shown]
	v_add_f64 v[26:27], v[24:25], -v[28:29]
	v_mul_f64 v[22:23], v[90:91], v[22:23]
	v_add_f64 v[26:27], v[32:33], -v[26:27]
	v_add_f64 v[22:23], v[26:27], v[22:23]
	v_add_f64 v[26:27], v[24:25], v[22:23]
	v_add_f64 v[24:25], v[26:27], -v[24:25]
	v_add_f64 v[22:23], v[22:23], -v[24:25]
	v_mul_f64 v[24:25], v[26:27], v[26:27]
	v_pk_mov_b32 v[28:29], v[36:37], v[36:37] op_sel:[0,1]
	v_fmac_f64_e32 v[28:29], s[24:25], v[24:25]
	v_pk_mov_b32 v[30:31], v[38:39], v[38:39] op_sel:[0,1]
	v_fmac_f64_e32 v[30:31], v[24:25], v[28:29]
	;; [unrolled: 2-line block ×6, first 2 shown]
	v_cvt_f64_i32_e32 v[28:29], v1
	v_mul_f64 v[32:33], v[28:29], s[26:27]
	v_fma_f64 v[90:91], v[28:29], s[26:27], -v[32:33]
	v_fmac_f64_e32 v[90:91], s[28:29], v[28:29]
	v_add_f64 v[28:29], v[32:33], v[90:91]
	v_add_f64 v[32:33], v[28:29], -v[32:33]
	v_mul_f64 v[24:25], v[26:27], v[24:25]
	v_add_f64 v[32:33], v[90:91], -v[32:33]
	v_ldexp_f64 v[90:91], v[26:27], 1
	v_mul_f64 v[24:25], v[24:25], v[30:31]
	v_add_f64 v[26:27], v[90:91], v[24:25]
	v_add_f64 v[30:31], v[26:27], -v[90:91]
	v_ldexp_f64 v[22:23], v[22:23], 1
	v_add_f64 v[24:25], v[24:25], -v[30:31]
	v_add_f64 v[22:23], v[22:23], v[24:25]
	v_add_f64 v[24:25], v[26:27], v[22:23]
	v_add_f64 v[26:27], v[24:25], -v[26:27]
	v_add_f64 v[22:23], v[22:23], -v[26:27]
	v_add_f64 v[26:27], v[28:29], v[24:25]
	v_add_f64 v[30:31], v[26:27], -v[28:29]
	v_add_f64 v[90:91], v[26:27], -v[30:31]
	;; [unrolled: 1-line block ×4, first 2 shown]
	v_add_f64 v[24:25], v[24:25], v[28:29]
	v_add_f64 v[28:29], v[32:33], v[22:23]
	v_add_f64 v[30:31], v[28:29], -v[32:33]
	v_add_f64 v[24:25], v[28:29], v[24:25]
	v_add_f64 v[90:91], v[28:29], -v[30:31]
	;; [unrolled: 2-line block ×3, first 2 shown]
	v_add_f64 v[22:23], v[22:23], -v[30:31]
	v_add_f64 v[26:27], v[28:29], -v[26:27]
	v_add_f64 v[22:23], v[22:23], v[32:33]
	v_add_f64 v[24:25], v[24:25], -v[26:27]
	v_add_f64 v[22:23], v[22:23], v[24:25]
	v_max_f64 v[24:25], |v[12:13]|, |v[12:13]|
	v_max_f64 v[26:27], |v[10:11]|, |v[10:11]|
	v_add_f64 v[22:23], v[28:29], v[22:23]
	v_max_f64 v[28:29], v[26:27], v[24:25]
	v_min_f64 v[24:25], v[26:27], v[24:25]
	v_div_scale_f64 v[26:27], s[54:55], v[28:29], v[28:29], v[24:25]
	v_rcp_f64_e32 v[30:31], v[26:27]
	v_cmp_eq_f64_e32 vcc, s[30:31], v[6:7]
	v_cndmask_b32_e32 v7, v23, v7, vcc
	v_cndmask_b32_e32 v6, v22, v6, vcc
	v_mul_f64 v[22:23], v[6:7], 0.5
	v_fma_f64 v[6:7], -v[26:27], v[30:31], 1.0
	v_fmac_f64_e32 v[30:31], v[30:31], v[6:7]
	v_fma_f64 v[6:7], -v[26:27], v[30:31], 1.0
	v_fmac_f64_e32 v[30:31], v[30:31], v[6:7]
	v_div_scale_f64 v[6:7], vcc, v[24:25], v[28:29], v[24:25]
	v_mul_f64 v[32:33], v[6:7], v[30:31]
	v_fma_f64 v[6:7], -v[26:27], v[32:33], v[6:7]
	v_pk_mov_b32 v[26:27], v[48:49], v[48:49] op_sel:[0,1]
	s_nop 0
	v_div_fmas_f64 v[6:7], v[6:7], v[30:31], v[32:33]
	v_div_fixup_f64 v[6:7], v[6:7], v[28:29], v[24:25]
	v_mul_f64 v[24:25], v[6:7], v[6:7]
	v_fmac_f64_e32 v[26:27], s[34:35], v[24:25]
	v_pk_mov_b32 v[28:29], v[50:51], v[50:51] op_sel:[0,1]
	v_fmac_f64_e32 v[28:29], v[24:25], v[26:27]
	v_pk_mov_b32 v[26:27], v[52:53], v[52:53] op_sel:[0,1]
	;; [unrolled: 2-line block ×18, first 2 shown]
	v_fmac_f64_e32 v[26:27], v[24:25], v[28:29]
	v_mul_f64 v[24:25], v[24:25], v[26:27]
	v_fmac_f64_e32 v[6:7], v[6:7], v[24:25]
	v_ashrrev_i32_e32 v24, 31, v11
	v_and_b32_e32 v26, 0x400921fb, v24
	v_and_b32_e32 v27, 0x54442d18, v24
	v_add_f64 v[24:25], -v[6:7], s[36:37]
	v_cndmask_b32_e64 v7, v7, v25, s[0:1]
	v_cndmask_b32_e64 v6, v6, v24, s[0:1]
	s_mov_b32 s38, s36
	v_cmp_gt_i32_e32 vcc, 0, v11
	v_add_f64 v[24:25], -v[6:7], s[38:39]
	v_cmp_class_f64_e64 s[54:55], v[12:13], s65
	v_cmp_class_f64_e64 s[56:57], v[10:11], s65
	v_cndmask_b32_e32 v1, v109, v110, vcc
	v_cndmask_b32_e32 v8, v111, v112, vcc
	;; [unrolled: 1-line block ×4, first 2 shown]
	v_cmp_eq_f64_e32 vcc, 0, v[12:13]
	v_bfi_b32 v8, s8, v8, v13
	v_cndmask_b32_e32 v6, v6, v27, vcc
	v_cndmask_b32_e32 v7, v7, v26, vcc
	s_and_b64 vcc, s[56:57], s[54:55]
	v_cndmask_b32_e32 v25, v7, v8, vcc
	v_cndmask_b32_e32 v24, v6, v1, vcc
                                        ; implicit-def: $vgpr6_vgpr7
.LBB168_60:                             ;   in Loop: Header=BB168_5 Depth=1
	s_andn2_saveexec_b64 s[52:53], s[52:53]
	s_cbranch_execz .LBB168_62
; %bb.61:                               ;   in Loop: Header=BB168_5 Depth=1
	v_max_f64 v[22:23], |v[12:13]|, |v[12:13]|
	v_max_f64 v[24:25], |v[10:11]|, |v[10:11]|
	v_max_f64 v[26:27], v[24:25], v[22:23]
	v_min_f64 v[24:25], v[24:25], v[22:23]
	v_div_scale_f64 v[28:29], s[54:55], v[26:27], v[26:27], v[24:25]
	v_rcp_f64_e32 v[30:31], v[28:29]
	v_mul_f64 v[22:23], v[6:7], 0.5
	v_mul_f64 v[22:23], v[6:7], v[22:23]
	s_mov_b32 s38, s36
	v_fma_f64 v[6:7], -v[28:29], v[30:31], 1.0
	v_fmac_f64_e32 v[30:31], v[30:31], v[6:7]
	v_fma_f64 v[6:7], -v[28:29], v[30:31], 1.0
	v_fmac_f64_e32 v[30:31], v[30:31], v[6:7]
	v_div_scale_f64 v[6:7], vcc, v[24:25], v[26:27], v[24:25]
	v_mul_f64 v[32:33], v[6:7], v[30:31]
	v_fma_f64 v[6:7], -v[28:29], v[32:33], v[6:7]
	v_pk_mov_b32 v[28:29], v[50:51], v[50:51] op_sel:[0,1]
	s_nop 0
	v_div_fmas_f64 v[6:7], v[6:7], v[30:31], v[32:33]
	v_div_fixup_f64 v[6:7], v[6:7], v[26:27], v[24:25]
	v_mul_f64 v[24:25], v[6:7], v[6:7]
	v_pk_mov_b32 v[26:27], v[48:49], v[48:49] op_sel:[0,1]
	v_fmac_f64_e32 v[26:27], s[34:35], v[24:25]
	v_fmac_f64_e32 v[28:29], v[24:25], v[26:27]
	v_pk_mov_b32 v[26:27], v[52:53], v[52:53] op_sel:[0,1]
	v_fmac_f64_e32 v[26:27], v[24:25], v[28:29]
	v_pk_mov_b32 v[28:29], v[54:55], v[54:55] op_sel:[0,1]
	;; [unrolled: 2-line block ×17, first 2 shown]
	v_fmac_f64_e32 v[26:27], v[24:25], v[28:29]
	v_mul_f64 v[24:25], v[24:25], v[26:27]
	v_fmac_f64_e32 v[6:7], v[6:7], v[24:25]
	v_ashrrev_i32_e32 v24, 31, v11
	v_and_b32_e32 v26, 0x400921fb, v24
	v_and_b32_e32 v27, 0x54442d18, v24
	v_add_f64 v[24:25], -v[6:7], s[36:37]
	v_cndmask_b32_e64 v7, v7, v25, s[0:1]
	v_cndmask_b32_e64 v6, v6, v24, s[0:1]
	v_cmp_gt_i32_e32 vcc, 0, v11
	v_add_f64 v[24:25], -v[6:7], s[38:39]
	v_cmp_class_f64_e64 s[54:55], v[12:13], s65
	v_cmp_class_f64_e64 s[56:57], v[10:11], s65
	v_cndmask_b32_e32 v1, v109, v110, vcc
	v_cndmask_b32_e32 v8, v111, v112, vcc
	;; [unrolled: 1-line block ×4, first 2 shown]
	v_cmp_eq_f64_e32 vcc, 0, v[12:13]
	v_bfi_b32 v8, s8, v8, v13
	v_cndmask_b32_e32 v6, v6, v27, vcc
	v_cndmask_b32_e32 v7, v7, v26, vcc
	s_and_b64 vcc, s[56:57], s[54:55]
	v_cndmask_b32_e32 v25, v7, v8, vcc
	v_cndmask_b32_e32 v24, v6, v1, vcc
.LBB168_62:                             ;   in Loop: Header=BB168_5 Depth=1
	s_or_b64 exec, exec, s[52:53]
.LBB168_63:                             ;   in Loop: Header=BB168_5 Depth=1
	s_or_b64 exec, exec, s[2:3]
.LBB168_64:                             ;   in Loop: Header=BB168_5 Depth=1
	s_andn2_saveexec_b64 s[52:53], s[6:7]
	s_cbranch_execz .LBB168_66
; %bb.65:                               ;   in Loop: Header=BB168_5 Depth=1
	v_div_scale_f64 v[6:7], s[2:3], s[44:45], s[44:45], v[10:11]
	v_rcp_f64_e32 v[22:23], v[6:7]
	v_div_scale_f64 v[24:25], vcc, v[10:11], s[44:45], v[10:11]
	s_mov_b32 s38, s36
	v_fma_f64 v[26:27], -v[6:7], v[22:23], 1.0
	v_fmac_f64_e32 v[22:23], v[22:23], v[26:27]
	v_fma_f64 v[26:27], -v[6:7], v[22:23], 1.0
	v_fmac_f64_e32 v[22:23], v[22:23], v[26:27]
	v_mul_f64 v[26:27], v[24:25], v[22:23]
	v_fma_f64 v[6:7], -v[6:7], v[26:27], v[24:25]
	v_div_scale_f64 v[24:25], s[2:3], s[44:45], s[44:45], v[12:13]
	v_rcp_f64_e32 v[28:29], v[24:25]
	v_div_fmas_f64 v[6:7], v[6:7], v[22:23], v[26:27]
	v_div_fixup_f64 v[6:7], v[6:7], s[44:45], v[10:11]
	v_cmp_class_f64_e64 s[6:7], v[6:7], s65
	v_fma_f64 v[22:23], -v[24:25], v[28:29], 1.0
	v_fmac_f64_e32 v[28:29], v[28:29], v[22:23]
	v_fma_f64 v[22:23], -v[24:25], v[28:29], 1.0
	v_fmac_f64_e32 v[28:29], v[28:29], v[22:23]
	v_div_scale_f64 v[22:23], vcc, v[12:13], s[44:45], v[12:13]
	v_mul_f64 v[26:27], v[22:23], v[28:29]
	v_fma_f64 v[22:23], -v[24:25], v[26:27], v[22:23]
	s_nop 1
	v_div_fmas_f64 v[22:23], v[22:23], v[28:29], v[26:27]
	v_div_fixup_f64 v[22:23], v[22:23], s[44:45], v[12:13]
	v_max_f64 v[24:25], |v[6:7]|, |v[22:23]|
	v_frexp_exp_i32_f64_e32 v1, v[24:25]
	v_sub_u32_e32 v8, 0, v1
	v_ldexp_f64 v[26:27], |v[22:23]|, v8
	v_ldexp_f64 v[24:25], |v[6:7]|, v8
	v_mul_f64 v[26:27], v[26:27], v[26:27]
	v_fmac_f64_e32 v[26:27], v[24:25], v[24:25]
	v_rsq_f64_e32 v[24:25], v[26:27]
	v_cmp_eq_f64_e32 vcc, 0, v[26:27]
	v_cmp_o_f64_e64 s[2:3], v[6:7], v[22:23]
	v_cmp_class_f64_e64 s[54:55], v[22:23], s65
	v_mul_f64 v[28:29], v[26:27], v[24:25]
	v_mul_f64 v[24:25], v[24:25], 0.5
	v_fma_f64 v[30:31], -v[24:25], v[28:29], 0.5
	v_fmac_f64_e32 v[28:29], v[28:29], v[30:31]
	v_fmac_f64_e32 v[24:25], v[24:25], v[30:31]
	v_fma_f64 v[30:31], -v[28:29], v[28:29], v[26:27]
	v_fmac_f64_e32 v[28:29], v[30:31], v[24:25]
	v_cndmask_b32_e32 v25, v29, v27, vcc
	v_cndmask_b32_e32 v24, v28, v26, vcc
	v_ldexp_f64 v[24:25], v[24:25], v1
	v_cndmask_b32_e64 v1, 0, v24, s[2:3]
	v_cndmask_b32_e64 v8, v107, v25, s[2:3]
	s_or_b64 vcc, s[6:7], s[54:55]
	v_cndmask_b32_e32 v7, v8, v114, vcc
	v_cndmask_b32_e64 v6, v1, 0, vcc
	v_frexp_mant_f64_e32 v[22:23], v[6:7]
	v_cmp_gt_f64_e64 s[6:7], s[22:23], v[22:23]
	v_cndmask_b32_e64 v35, v113, 2.0, s[6:7]
	v_frexp_exp_i32_f64_e32 v26, v[6:7]
	v_mul_f64 v[22:23], v[22:23], v[34:35]
	v_subbrev_co_u32_e64 v35, s[6:7], 0, v26, s[6:7]
	v_add_f64 v[26:27], v[22:23], 1.0
	v_rcp_f64_e32 v[28:29], v[26:27]
	v_add_f64 v[32:33], v[26:27], -1.0
	v_add_f64 v[30:31], v[22:23], -1.0
	v_add_f64 v[22:23], v[22:23], -v[32:33]
	v_fma_f64 v[32:33], -v[26:27], v[28:29], 1.0
	v_fmac_f64_e32 v[28:29], v[32:33], v[28:29]
	v_fma_f64 v[32:33], -v[26:27], v[28:29], 1.0
	v_fmac_f64_e32 v[28:29], v[32:33], v[28:29]
	v_mul_f64 v[32:33], v[30:31], v[28:29]
	v_mul_f64 v[90:91], v[26:27], v[32:33]
	v_fma_f64 v[26:27], v[32:33], v[26:27], -v[90:91]
	v_fmac_f64_e32 v[26:27], v[32:33], v[22:23]
	v_add_f64 v[22:23], v[90:91], v[26:27]
	v_add_f64 v[92:93], v[30:31], -v[22:23]
	v_add_f64 v[90:91], v[22:23], -v[90:91]
	;; [unrolled: 1-line block ×5, first 2 shown]
	v_add_f64 v[22:23], v[26:27], v[22:23]
	v_add_f64 v[22:23], v[92:93], v[22:23]
	v_mul_f64 v[22:23], v[28:29], v[22:23]
	v_add_f64 v[26:27], v[32:33], v[22:23]
	v_add_f64 v[28:29], v[26:27], -v[32:33]
	v_add_f64 v[22:23], v[22:23], -v[28:29]
	v_mul_f64 v[28:29], v[26:27], v[26:27]
	v_pk_mov_b32 v[30:31], v[36:37], v[36:37] op_sel:[0,1]
	v_fmac_f64_e32 v[30:31], s[24:25], v[28:29]
	v_pk_mov_b32 v[32:33], v[38:39], v[38:39] op_sel:[0,1]
	v_fmac_f64_e32 v[32:33], v[28:29], v[30:31]
	;; [unrolled: 2-line block ×6, first 2 shown]
	v_ldexp_f64 v[30:31], v[26:27], 1
	v_mul_f64 v[26:27], v[26:27], v[28:29]
	v_mul_f64 v[26:27], v[26:27], v[32:33]
	v_add_f64 v[28:29], v[30:31], v[26:27]
	v_add_f64 v[30:31], v[28:29], -v[30:31]
	v_ldexp_f64 v[22:23], v[22:23], 1
	v_add_f64 v[26:27], v[26:27], -v[30:31]
	v_add_f64 v[22:23], v[22:23], v[26:27]
	v_add_f64 v[26:27], v[28:29], v[22:23]
	v_add_f64 v[28:29], v[26:27], -v[28:29]
	v_add_f64 v[22:23], v[22:23], -v[28:29]
	v_cvt_f64_i32_e32 v[28:29], v35
	v_mul_f64 v[30:31], v[28:29], s[26:27]
	v_fma_f64 v[32:33], v[28:29], s[26:27], -v[30:31]
	v_fmac_f64_e32 v[32:33], s[28:29], v[28:29]
	v_add_f64 v[28:29], v[30:31], v[32:33]
	v_add_f64 v[30:31], v[28:29], -v[30:31]
	v_add_f64 v[30:31], v[32:33], -v[30:31]
	v_add_f64 v[32:33], v[28:29], v[26:27]
	v_add_f64 v[90:91], v[32:33], -v[28:29]
	v_add_f64 v[92:93], v[32:33], -v[90:91]
	;; [unrolled: 1-line block ×4, first 2 shown]
	v_add_f64 v[26:27], v[26:27], v[28:29]
	v_add_f64 v[28:29], v[30:31], v[22:23]
	v_add_f64 v[90:91], v[28:29], -v[30:31]
	v_add_f64 v[92:93], v[28:29], -v[90:91]
	v_add_f64 v[26:27], v[28:29], v[26:27]
	v_add_f64 v[30:31], v[30:31], -v[92:93]
	v_add_f64 v[22:23], v[22:23], -v[90:91]
	v_add_f64 v[28:29], v[32:33], v[26:27]
	v_add_f64 v[22:23], v[22:23], v[30:31]
	v_add_f64 v[30:31], v[28:29], -v[32:33]
	v_add_f64 v[26:27], v[26:27], -v[30:31]
	v_and_b32_e32 v25, 0x7fffffff, v25
	v_add_f64 v[22:23], v[22:23], v[26:27]
	v_cmp_eq_f64_e64 s[6:7], s[30:31], v[24:25]
	v_add_f64 v[22:23], v[28:29], v[22:23]
	s_and_b64 s[2:3], s[2:3], s[6:7]
	v_cndmask_b32_e64 v23, v23, v8, s[2:3]
	v_cndmask_b32_e64 v22, v22, v1, s[2:3]
	v_add_f64 v[22:23], v[22:23], 1.0
	v_cndmask_b32_e64 v1, v22, 0, vcc
	v_cndmask_b32_e32 v8, v23, v114, vcc
	v_max_f64 v[22:23], |v[12:13]|, |v[12:13]|
	v_max_f64 v[24:25], |v[10:11]|, |v[10:11]|
	v_max_f64 v[26:27], v[24:25], v[22:23]
	v_min_f64 v[24:25], v[24:25], v[22:23]
	v_div_scale_f64 v[28:29], s[2:3], v[26:27], v[26:27], v[24:25]
	v_rcp_f64_e32 v[30:31], v[28:29]
	v_cmp_ngt_f64_e32 vcc, 0, v[6:7]
	v_cndmask_b32_e32 v8, v107, v8, vcc
	v_cmp_nge_f64_e32 vcc, 0, v[6:7]
	v_cndmask_b32_e32 v22, 0, v1, vcc
	v_cmp_neq_f64_e32 vcc, 0, v[6:7]
	v_fma_f64 v[6:7], -v[28:29], v[30:31], 1.0
	v_fmac_f64_e32 v[30:31], v[30:31], v[6:7]
	v_fma_f64 v[6:7], -v[28:29], v[30:31], 1.0
	v_cndmask_b32_e32 v23, v108, v8, vcc
	v_fmac_f64_e32 v[30:31], v[30:31], v[6:7]
	v_div_scale_f64 v[6:7], vcc, v[24:25], v[26:27], v[24:25]
	v_mul_f64 v[32:33], v[6:7], v[30:31]
	v_fma_f64 v[6:7], -v[28:29], v[32:33], v[6:7]
	v_pk_mov_b32 v[28:29], v[50:51], v[50:51] op_sel:[0,1]
	s_nop 0
	v_div_fmas_f64 v[6:7], v[6:7], v[30:31], v[32:33]
	v_div_fixup_f64 v[6:7], v[6:7], v[26:27], v[24:25]
	v_mul_f64 v[24:25], v[6:7], v[6:7]
	v_pk_mov_b32 v[26:27], v[48:49], v[48:49] op_sel:[0,1]
	v_fmac_f64_e32 v[26:27], s[34:35], v[24:25]
	v_fmac_f64_e32 v[28:29], v[24:25], v[26:27]
	v_pk_mov_b32 v[26:27], v[52:53], v[52:53] op_sel:[0,1]
	v_fmac_f64_e32 v[26:27], v[24:25], v[28:29]
	v_pk_mov_b32 v[28:29], v[54:55], v[54:55] op_sel:[0,1]
	;; [unrolled: 2-line block ×17, first 2 shown]
	v_fmac_f64_e32 v[26:27], v[24:25], v[28:29]
	v_mul_f64 v[24:25], v[24:25], v[26:27]
	v_fmac_f64_e32 v[6:7], v[6:7], v[24:25]
	v_ashrrev_i32_e32 v24, 31, v11
	v_and_b32_e32 v26, 0x400921fb, v24
	v_and_b32_e32 v27, 0x54442d18, v24
	v_add_f64 v[24:25], -v[6:7], s[36:37]
	v_cndmask_b32_e64 v7, v7, v25, s[0:1]
	v_cndmask_b32_e64 v6, v6, v24, s[0:1]
	v_cmp_gt_i32_e32 vcc, 0, v11
	v_add_f64 v[24:25], -v[6:7], s[38:39]
	v_cmp_class_f64_e64 s[2:3], v[12:13], s65
	v_cmp_class_f64_e64 s[6:7], v[10:11], s65
	v_cndmask_b32_e32 v1, v109, v110, vcc
	v_cndmask_b32_e32 v8, v111, v112, vcc
	;; [unrolled: 1-line block ×4, first 2 shown]
	v_cmp_eq_f64_e32 vcc, 0, v[12:13]
	v_bfi_b32 v8, s8, v8, v13
	v_cndmask_b32_e32 v6, v6, v27, vcc
	v_cndmask_b32_e32 v7, v7, v26, vcc
	s_and_b64 vcc, s[6:7], s[2:3]
	v_cndmask_b32_e32 v25, v7, v8, vcc
	v_cndmask_b32_e32 v24, v6, v1, vcc
.LBB168_66:                             ;   in Loop: Header=BB168_5 Depth=1
	s_or_b64 exec, exec, s[52:53]
.LBB168_67:                             ;   in Loop: Header=BB168_5 Depth=1
	s_andn2_saveexec_b64 s[0:1], s[50:51]
	s_cbranch_execz .LBB168_73
; %bb.68:                               ;   in Loop: Header=BB168_5 Depth=1
	v_cmp_nlt_f64_e64 s[2:3], |v[10:11]|, s[46:47]
	v_cmp_nlt_f64_e64 s[6:7], |v[12:13]|, s[46:47]
	s_or_b64 s[2:3], s[2:3], s[6:7]
                                        ; implicit-def: $vgpr6_vgpr7
	s_and_saveexec_b64 s[6:7], s[2:3]
	s_xor_b64 s[2:3], exec, s[6:7]
; %bb.69:                               ;   in Loop: Header=BB168_5 Depth=1
	v_mul_f64 v[6:7], v[12:13], v[12:13]
	v_fmac_f64_e32 v[6:7], v[10:11], v[10:11]
; %bb.70:                               ;   in Loop: Header=BB168_5 Depth=1
	s_andn2_saveexec_b64 s[2:3], s[2:3]
; %bb.71:                               ;   in Loop: Header=BB168_5 Depth=1
	v_mul_f64 v[6:7], v[10:11], 4.0
	v_mul_f64 v[10:11], v[12:13], 4.0
	v_mul_f64 v[10:11], v[10:11], v[10:11]
	v_fmac_f64_e32 v[10:11], v[6:7], v[6:7]
	v_ldexp_f64 v[6:7], v[10:11], -4
; %bb.72:                               ;   in Loop: Header=BB168_5 Depth=1
	s_or_b64 exec, exec, s[2:3]
	v_frexp_mant_f64_e32 v[10:11], v[6:7]
	v_cmp_gt_f64_e32 vcc, s[22:23], v[10:11]
	v_cndmask_b32_e64 v35, v113, 2.0, vcc
	v_mul_f64 v[10:11], v[10:11], v[34:35]
	v_add_f64 v[22:23], v[10:11], 1.0
	v_rcp_f64_e32 v[24:25], v[22:23]
	v_add_f64 v[28:29], v[22:23], -1.0
	v_add_f64 v[26:27], v[10:11], -1.0
	v_add_f64 v[10:11], v[10:11], -v[28:29]
	v_fma_f64 v[28:29], -v[22:23], v[24:25], 1.0
	v_fmac_f64_e32 v[24:25], v[28:29], v[24:25]
	v_fma_f64 v[28:29], -v[22:23], v[24:25], 1.0
	v_fmac_f64_e32 v[24:25], v[28:29], v[24:25]
	v_mul_f64 v[28:29], v[26:27], v[24:25]
	v_mul_f64 v[30:31], v[22:23], v[28:29]
	v_fma_f64 v[22:23], v[28:29], v[22:23], -v[30:31]
	v_fmac_f64_e32 v[22:23], v[28:29], v[10:11]
	v_add_f64 v[10:11], v[30:31], v[22:23]
	v_add_f64 v[32:33], v[26:27], -v[10:11]
	v_add_f64 v[30:31], v[10:11], -v[30:31]
	;; [unrolled: 1-line block ×5, first 2 shown]
	v_add_f64 v[10:11], v[22:23], v[10:11]
	v_add_f64 v[10:11], v[32:33], v[10:11]
	v_mul_f64 v[10:11], v[24:25], v[10:11]
	v_add_f64 v[22:23], v[28:29], v[10:11]
	v_add_f64 v[24:25], v[22:23], -v[28:29]
	v_add_f64 v[10:11], v[10:11], -v[24:25]
	v_mul_f64 v[24:25], v[22:23], v[22:23]
	v_pk_mov_b32 v[26:27], v[36:37], v[36:37] op_sel:[0,1]
	v_fmac_f64_e32 v[26:27], s[24:25], v[24:25]
	v_pk_mov_b32 v[28:29], v[38:39], v[38:39] op_sel:[0,1]
	v_fmac_f64_e32 v[28:29], v[24:25], v[26:27]
	;; [unrolled: 2-line block ×6, first 2 shown]
	v_ldexp_f64 v[26:27], v[22:23], 1
	v_mul_f64 v[22:23], v[22:23], v[24:25]
	v_mul_f64 v[22:23], v[22:23], v[28:29]
	v_add_f64 v[24:25], v[26:27], v[22:23]
	v_add_f64 v[26:27], v[24:25], -v[26:27]
	v_ldexp_f64 v[10:11], v[10:11], 1
	v_add_f64 v[22:23], v[22:23], -v[26:27]
	v_add_f64 v[10:11], v[10:11], v[22:23]
	v_frexp_exp_i32_f64_e32 v1, v[6:7]
	v_add_f64 v[22:23], v[24:25], v[10:11]
	v_subbrev_co_u32_e32 v1, vcc, 0, v1, vcc
	v_add_f64 v[24:25], v[22:23], -v[24:25]
	v_add_f64 v[10:11], v[10:11], -v[24:25]
	v_cvt_f64_i32_e32 v[24:25], v1
	v_mul_f64 v[26:27], v[24:25], s[26:27]
	v_fma_f64 v[28:29], v[24:25], s[26:27], -v[26:27]
	v_fmac_f64_e32 v[28:29], s[28:29], v[24:25]
	v_add_f64 v[24:25], v[26:27], v[28:29]
	v_add_f64 v[26:27], v[24:25], -v[26:27]
	v_add_f64 v[26:27], v[28:29], -v[26:27]
	v_add_f64 v[28:29], v[24:25], v[22:23]
	v_add_f64 v[30:31], v[28:29], -v[24:25]
	v_add_f64 v[32:33], v[28:29], -v[30:31]
	;; [unrolled: 1-line block ×4, first 2 shown]
	v_add_f64 v[22:23], v[22:23], v[24:25]
	v_add_f64 v[24:25], v[26:27], v[10:11]
	v_add_f64 v[30:31], v[24:25], -v[26:27]
	v_add_f64 v[32:33], v[24:25], -v[30:31]
	v_add_f64 v[22:23], v[24:25], v[22:23]
	v_add_f64 v[26:27], v[26:27], -v[32:33]
	v_add_f64 v[10:11], v[10:11], -v[30:31]
	v_add_f64 v[24:25], v[28:29], v[22:23]
	v_add_f64 v[10:11], v[10:11], v[26:27]
	v_add_f64 v[26:27], v[24:25], -v[28:29]
	v_add_f64 v[22:23], v[22:23], -v[26:27]
	v_add_f64 v[10:11], v[10:11], v[22:23]
	v_add_f64 v[10:11], v[24:25], v[10:11]
	v_cmp_class_f64_e64 vcc, v[6:7], s65
	v_cndmask_b32_e32 v1, v10, v6, vcc
	v_cndmask_b32_e32 v8, v11, v7, vcc
	v_cmp_ngt_f64_e32 vcc, 0, v[6:7]
	v_cndmask_b32_e32 v8, v107, v8, vcc
	v_cmp_nge_f64_e32 vcc, 0, v[6:7]
	v_cndmask_b32_e32 v22, 0, v1, vcc
	v_cmp_neq_f64_e32 vcc, 0, v[6:7]
	v_mov_b32_e32 v24, 0
	v_cndmask_b32_e32 v23, v108, v8, vcc
	v_mov_b32_e32 v25, 0x7ff80000
.LBB168_73:                             ;   in Loop: Header=BB168_5 Depth=1
	s_or_b64 exec, exec, s[0:1]
	s_waitcnt vmcnt(0)
	v_cmp_o_f64_e32 vcc, v[14:15], v[16:17]
                                        ; implicit-def: $vgpr26_vgpr27
	s_and_saveexec_b64 s[0:1], vcc
	s_xor_b64 s[50:51], exec, s[0:1]
	s_cbranch_execz .LBB168_101
; %bb.74:                               ;   in Loop: Header=BB168_5 Depth=1
	v_and_b32_e32 v10, 0x7fffffff, v15
	v_and_b32_e32 v1, 0x7fffffff, v17
	v_mov_b32_e32 v8, v16
	v_cmp_lt_f64_e64 s[0:1], |v[14:15]|, |v[16:17]|
	v_cndmask_b32_e64 v7, v1, v10, s[0:1]
	v_cndmask_b32_e64 v6, v8, v14, s[0:1]
	v_cmp_nlt_f64_e32 vcc, s[16:17], v[6:7]
                                        ; implicit-def: $vgpr26_vgpr27
	s_and_saveexec_b64 s[2:3], vcc
	s_xor_b64 s[6:7], exec, s[2:3]
	s_cbranch_execz .LBB168_98
; %bb.75:                               ;   in Loop: Header=BB168_5 Depth=1
	v_cndmask_b32_e64 v31, v10, v1, s[0:1]
	v_cndmask_b32_e64 v30, v14, v8, s[0:1]
	v_cmp_neq_f64_e32 vcc, 1.0, v[30:31]
                                        ; implicit-def: $vgpr26_vgpr27
	s_and_saveexec_b64 s[2:3], vcc
	s_xor_b64 s[52:53], exec, s[2:3]
	s_cbranch_execz .LBB168_91
; %bb.76:                               ;   in Loop: Header=BB168_5 Depth=1
	v_max_f64 v[10:11], v[6:7], v[6:7]
	v_max_f64 v[26:27], v[30:31], v[30:31]
	v_min_f64 v[28:29], v[26:27], v[10:11]
	v_max_f64 v[10:11], v[26:27], v[10:11]
	v_cmp_ngt_f64_e32 vcc, s[18:19], v[28:29]
	v_cmp_nlt_f64_e64 s[2:3], s[20:21], v[10:11]
	s_and_b64 s[2:3], s[2:3], vcc
                                        ; implicit-def: $vgpr26_vgpr27
	s_and_saveexec_b64 s[54:55], s[2:3]
	s_xor_b64 s[54:55], exec, s[54:55]
	s_cbranch_execz .LBB168_88
; %bb.77:                               ;   in Loop: Header=BB168_5 Depth=1
	v_cmp_le_f64_e32 vcc, 1.0, v[30:31]
                                        ; implicit-def: $vgpr26_vgpr27
	s_and_saveexec_b64 s[2:3], vcc
	s_xor_b64 s[2:3], exec, s[2:3]
	s_cbranch_execz .LBB168_79
; %bb.78:                               ;   in Loop: Header=BB168_5 Depth=1
	v_add_f64 v[10:11], v[30:31], -1.0
	v_add_f64 v[26:27], v[30:31], 1.0
	v_mul_f64 v[10:11], v[10:11], v[26:27]
	v_fmac_f64_e32 v[10:11], v[6:7], v[6:7]
	v_add_f64 v[6:7], v[10:11], 1.0
	v_add_f64 v[26:27], v[6:7], -1.0
	v_add_f64 v[28:29], v[26:27], -v[6:7]
	v_add_f64 v[28:29], v[28:29], 1.0
	v_add_f64 v[26:27], v[10:11], -v[26:27]
	v_add_f64 v[26:27], v[26:27], v[28:29]
	v_frexp_mant_f64_e32 v[28:29], v[6:7]
	v_frexp_exp_i32_f64_e32 v1, v[6:7]
	v_cmp_gt_f64_e32 vcc, s[22:23], v[28:29]
	v_subbrev_co_u32_e32 v1, vcc, 0, v1, vcc
	v_sub_u32_e32 v8, 0, v1
	v_ldexp_f64 v[6:7], v[6:7], v8
	v_add_f64 v[28:29], v[6:7], -1.0
	v_add_f64 v[90:91], v[6:7], 1.0
	v_add_f64 v[30:31], v[28:29], 1.0
	v_add_f64 v[92:93], v[90:91], -1.0
	v_ldexp_f64 v[26:27], v[26:27], v8
	v_add_f64 v[30:31], v[6:7], -v[30:31]
	v_add_f64 v[6:7], v[6:7], -v[92:93]
	v_add_f64 v[6:7], v[26:27], v[6:7]
	v_add_f64 v[30:31], v[26:27], v[30:31]
	;; [unrolled: 1-line block ×3, first 2 shown]
	v_rcp_f64_e32 v[92:93], v[26:27]
	v_add_f64 v[32:33], v[28:29], v[30:31]
	v_add_f64 v[28:29], v[32:33], -v[28:29]
	v_add_f64 v[28:29], v[30:31], -v[28:29]
	v_add_f64 v[30:31], v[26:27], -v[90:91]
	v_add_f64 v[6:7], v[6:7], -v[30:31]
	v_fma_f64 v[30:31], -v[26:27], v[92:93], 1.0
	v_fmac_f64_e32 v[92:93], v[30:31], v[92:93]
	v_fma_f64 v[30:31], -v[26:27], v[92:93], 1.0
	v_fmac_f64_e32 v[92:93], v[30:31], v[92:93]
	v_mul_f64 v[30:31], v[32:33], v[92:93]
	v_mul_f64 v[90:91], v[26:27], v[30:31]
	v_fma_f64 v[94:95], v[30:31], v[26:27], -v[90:91]
	v_fmac_f64_e32 v[94:95], v[30:31], v[6:7]
	v_add_f64 v[96:97], v[90:91], v[94:95]
	v_add_f64 v[98:99], v[32:33], -v[96:97]
	v_add_f64 v[32:33], v[32:33], -v[98:99]
	;; [unrolled: 1-line block ×4, first 2 shown]
	v_add_f64 v[28:29], v[28:29], v[32:33]
	v_add_f64 v[32:33], v[90:91], -v[94:95]
	v_add_f64 v[28:29], v[32:33], v[28:29]
	v_add_f64 v[32:33], v[98:99], v[28:29]
	v_add_f64 v[90:91], v[98:99], -v[32:33]
	v_add_f64 v[28:29], v[28:29], v[90:91]
	v_mul_f64 v[90:91], v[92:93], v[32:33]
	v_mul_f64 v[94:95], v[26:27], v[90:91]
	v_fma_f64 v[26:27], v[90:91], v[26:27], -v[94:95]
	v_fmac_f64_e32 v[26:27], v[90:91], v[6:7]
	v_add_f64 v[6:7], v[94:95], v[26:27]
	v_add_f64 v[96:97], v[32:33], -v[6:7]
	v_add_f64 v[32:33], v[32:33], -v[96:97]
	;; [unrolled: 1-line block ×4, first 2 shown]
	v_add_f64 v[6:7], v[28:29], v[6:7]
	v_add_f64 v[26:27], v[94:95], -v[26:27]
	v_add_f64 v[6:7], v[26:27], v[6:7]
	v_add_f64 v[26:27], v[30:31], v[90:91]
	;; [unrolled: 1-line block ×3, first 2 shown]
	v_add_f64 v[28:29], v[26:27], -v[30:31]
	v_mul_f64 v[6:7], v[92:93], v[6:7]
	v_add_f64 v[28:29], v[90:91], -v[28:29]
	v_add_f64 v[6:7], v[28:29], v[6:7]
	v_add_f64 v[28:29], v[26:27], v[6:7]
	v_add_f64 v[26:27], v[28:29], -v[26:27]
	v_add_f64 v[6:7], v[6:7], -v[26:27]
	v_mul_f64 v[26:27], v[28:29], v[28:29]
	v_pk_mov_b32 v[30:31], v[36:37], v[36:37] op_sel:[0,1]
	v_fmac_f64_e32 v[30:31], s[24:25], v[26:27]
	v_pk_mov_b32 v[32:33], v[38:39], v[38:39] op_sel:[0,1]
	v_fmac_f64_e32 v[32:33], v[26:27], v[30:31]
	;; [unrolled: 2-line block ×6, first 2 shown]
	v_cvt_f64_i32_e32 v[30:31], v1
	v_mul_f64 v[90:91], v[30:31], s[26:27]
	v_fma_f64 v[92:93], v[30:31], s[26:27], -v[90:91]
	v_fmac_f64_e32 v[92:93], s[28:29], v[30:31]
	v_add_f64 v[30:31], v[90:91], v[92:93]
	v_add_f64 v[90:91], v[30:31], -v[90:91]
	v_mul_f64 v[26:27], v[28:29], v[26:27]
	v_add_f64 v[90:91], v[92:93], -v[90:91]
	v_ldexp_f64 v[92:93], v[28:29], 1
	v_mul_f64 v[26:27], v[26:27], v[32:33]
	v_add_f64 v[28:29], v[92:93], v[26:27]
	v_add_f64 v[32:33], v[28:29], -v[92:93]
	v_ldexp_f64 v[6:7], v[6:7], 1
	v_add_f64 v[26:27], v[26:27], -v[32:33]
	v_add_f64 v[6:7], v[6:7], v[26:27]
	v_add_f64 v[26:27], v[28:29], v[6:7]
	v_add_f64 v[28:29], v[26:27], -v[28:29]
	v_add_f64 v[6:7], v[6:7], -v[28:29]
	v_add_f64 v[28:29], v[30:31], v[26:27]
	v_add_f64 v[32:33], v[28:29], -v[30:31]
	v_add_f64 v[92:93], v[28:29], -v[32:33]
	;; [unrolled: 1-line block ×4, first 2 shown]
	v_add_f64 v[26:27], v[26:27], v[30:31]
	v_add_f64 v[30:31], v[90:91], v[6:7]
	v_add_f64 v[32:33], v[30:31], -v[90:91]
	v_add_f64 v[26:27], v[30:31], v[26:27]
	v_add_f64 v[92:93], v[30:31], -v[32:33]
	;; [unrolled: 2-line block ×3, first 2 shown]
	v_add_f64 v[6:7], v[6:7], -v[32:33]
	v_add_f64 v[28:29], v[30:31], -v[28:29]
	v_add_f64 v[6:7], v[6:7], v[90:91]
	v_add_f64 v[26:27], v[26:27], -v[28:29]
	v_add_f64 v[6:7], v[6:7], v[26:27]
	v_max_f64 v[26:27], |v[16:17]|, |v[16:17]|
	v_max_f64 v[28:29], |v[14:15]|, |v[14:15]|
	v_add_f64 v[6:7], v[30:31], v[6:7]
	v_max_f64 v[30:31], v[28:29], v[26:27]
	v_min_f64 v[28:29], v[28:29], v[26:27]
	v_div_scale_f64 v[32:33], s[56:57], v[30:31], v[30:31], v[28:29]
	v_cmp_eq_f64_e32 vcc, s[30:31], v[10:11]
	v_rcp_f64_e32 v[90:91], v[32:33]
	v_cndmask_b32_e32 v7, v7, v11, vcc
	v_cndmask_b32_e32 v6, v6, v10, vcc
	v_mul_f64 v[6:7], v[6:7], 0.5
	v_cmp_ngt_f64_e32 vcc, -1.0, v[10:11]
	v_cndmask_b32_e32 v1, v107, v7, vcc
	v_cmp_nge_f64_e32 vcc, -1.0, v[10:11]
	v_cndmask_b32_e32 v26, 0, v6, vcc
	v_fma_f64 v[6:7], -v[32:33], v[90:91], 1.0
	v_fmac_f64_e32 v[90:91], v[90:91], v[6:7]
	v_cmp_neq_f64_e32 vcc, -1.0, v[10:11]
	v_fma_f64 v[6:7], -v[32:33], v[90:91], 1.0
	v_cndmask_b32_e32 v27, v108, v1, vcc
	v_fmac_f64_e32 v[90:91], v[90:91], v[6:7]
	v_div_scale_f64 v[6:7], vcc, v[28:29], v[30:31], v[28:29]
	v_mul_f64 v[10:11], v[6:7], v[90:91]
	v_fma_f64 v[6:7], -v[32:33], v[10:11], v[6:7]
	s_mov_b32 s38, s36
	s_nop 0
	v_div_fmas_f64 v[6:7], v[6:7], v[90:91], v[10:11]
	v_div_fixup_f64 v[6:7], v[6:7], v[30:31], v[28:29]
	v_mul_f64 v[10:11], v[6:7], v[6:7]
	v_pk_mov_b32 v[28:29], v[48:49], v[48:49] op_sel:[0,1]
	v_fmac_f64_e32 v[28:29], s[34:35], v[10:11]
	v_pk_mov_b32 v[30:31], v[50:51], v[50:51] op_sel:[0,1]
	v_fmac_f64_e32 v[30:31], v[10:11], v[28:29]
	v_pk_mov_b32 v[28:29], v[52:53], v[52:53] op_sel:[0,1]
	v_fmac_f64_e32 v[28:29], v[10:11], v[30:31]
	v_pk_mov_b32 v[30:31], v[54:55], v[54:55] op_sel:[0,1]
	v_fmac_f64_e32 v[30:31], v[10:11], v[28:29]
	v_pk_mov_b32 v[28:29], v[56:57], v[56:57] op_sel:[0,1]
	v_fmac_f64_e32 v[28:29], v[10:11], v[30:31]
	v_pk_mov_b32 v[30:31], v[58:59], v[58:59] op_sel:[0,1]
	v_fmac_f64_e32 v[30:31], v[10:11], v[28:29]
	v_pk_mov_b32 v[28:29], v[60:61], v[60:61] op_sel:[0,1]
	v_fmac_f64_e32 v[28:29], v[10:11], v[30:31]
	v_pk_mov_b32 v[30:31], v[62:63], v[62:63] op_sel:[0,1]
	v_fmac_f64_e32 v[30:31], v[10:11], v[28:29]
	v_pk_mov_b32 v[28:29], v[64:65], v[64:65] op_sel:[0,1]
	v_fmac_f64_e32 v[28:29], v[10:11], v[30:31]
	v_pk_mov_b32 v[30:31], v[66:67], v[66:67] op_sel:[0,1]
	v_fmac_f64_e32 v[30:31], v[10:11], v[28:29]
	v_pk_mov_b32 v[28:29], v[68:69], v[68:69] op_sel:[0,1]
	v_fmac_f64_e32 v[28:29], v[10:11], v[30:31]
	v_pk_mov_b32 v[30:31], v[70:71], v[70:71] op_sel:[0,1]
	v_fmac_f64_e32 v[30:31], v[10:11], v[28:29]
	v_pk_mov_b32 v[28:29], v[72:73], v[72:73] op_sel:[0,1]
	v_fmac_f64_e32 v[28:29], v[10:11], v[30:31]
	v_pk_mov_b32 v[30:31], v[74:75], v[74:75] op_sel:[0,1]
	v_fmac_f64_e32 v[30:31], v[10:11], v[28:29]
	v_pk_mov_b32 v[28:29], v[76:77], v[76:77] op_sel:[0,1]
	v_fmac_f64_e32 v[28:29], v[10:11], v[30:31]
	v_pk_mov_b32 v[30:31], v[78:79], v[78:79] op_sel:[0,1]
	v_fmac_f64_e32 v[30:31], v[10:11], v[28:29]
	v_pk_mov_b32 v[28:29], v[80:81], v[80:81] op_sel:[0,1]
	v_fmac_f64_e32 v[28:29], v[10:11], v[30:31]
	v_pk_mov_b32 v[30:31], v[82:83], v[82:83] op_sel:[0,1]
	v_fmac_f64_e32 v[30:31], v[10:11], v[28:29]
	v_pk_mov_b32 v[28:29], v[84:85], v[84:85] op_sel:[0,1]
	v_fmac_f64_e32 v[28:29], v[10:11], v[30:31]
	v_mul_f64 v[10:11], v[10:11], v[28:29]
	v_fmac_f64_e32 v[6:7], v[6:7], v[10:11]
	v_ashrrev_i32_e32 v10, 31, v15
	v_and_b32_e32 v12, 0x400921fb, v10
	v_and_b32_e32 v28, 0x54442d18, v10
	v_add_f64 v[10:11], -v[6:7], s[36:37]
	v_cndmask_b32_e64 v7, v7, v11, s[0:1]
	v_cndmask_b32_e64 v6, v6, v10, s[0:1]
	v_cmp_gt_i32_e32 vcc, 0, v15
	v_add_f64 v[10:11], -v[6:7], s[38:39]
	v_cmp_class_f64_e64 s[56:57], v[16:17], s65
	v_cmp_class_f64_e64 s[58:59], v[14:15], s65
	v_cndmask_b32_e32 v1, v109, v110, vcc
	v_cndmask_b32_e32 v8, v111, v112, vcc
	;; [unrolled: 1-line block ×4, first 2 shown]
	v_cmp_eq_f64_e32 vcc, 0, v[16:17]
	v_bfi_b32 v8, s8, v8, v17
	v_cndmask_b32_e32 v6, v6, v28, vcc
	v_cndmask_b32_e32 v7, v7, v12, vcc
	s_and_b64 vcc, s[58:59], s[56:57]
	v_cndmask_b32_e32 v29, v7, v8, vcc
	v_cndmask_b32_e32 v28, v6, v1, vcc
                                        ; implicit-def: $vgpr6_vgpr7
                                        ; implicit-def: $vgpr30_vgpr31
.LBB168_79:                             ;   in Loop: Header=BB168_5 Depth=1
	s_andn2_saveexec_b64 s[56:57], s[2:3]
	s_cbranch_execz .LBB168_87
; %bb.80:                               ;   in Loop: Header=BB168_5 Depth=1
	v_mul_f64 v[10:11], v[6:7], v[6:7]
	v_fmac_f64_e32 v[10:11], v[30:31], v[30:31]
	v_cmp_ge_f64_e32 vcc, s[40:41], v[10:11]
                                        ; implicit-def: $vgpr26_vgpr27
	s_and_saveexec_b64 s[2:3], vcc
	s_xor_b64 s[2:3], exec, s[2:3]
	s_cbranch_execz .LBB168_82
; %bb.81:                               ;   in Loop: Header=BB168_5 Depth=1
	v_frexp_mant_f64_e32 v[6:7], v[10:11]
	v_cmp_gt_f64_e32 vcc, s[22:23], v[6:7]
	v_cndmask_b32_e64 v35, v113, 2.0, vcc
	v_mul_f64 v[6:7], v[6:7], v[34:35]
	v_add_f64 v[26:27], v[6:7], 1.0
	v_rcp_f64_e32 v[28:29], v[26:27]
	v_add_f64 v[32:33], v[26:27], -1.0
	v_add_f64 v[30:31], v[6:7], -1.0
	v_add_f64 v[6:7], v[6:7], -v[32:33]
	v_fma_f64 v[32:33], -v[26:27], v[28:29], 1.0
	v_fmac_f64_e32 v[28:29], v[32:33], v[28:29]
	v_fma_f64 v[32:33], -v[26:27], v[28:29], 1.0
	v_fmac_f64_e32 v[28:29], v[32:33], v[28:29]
	v_mul_f64 v[32:33], v[30:31], v[28:29]
	v_mul_f64 v[90:91], v[26:27], v[32:33]
	v_fma_f64 v[26:27], v[32:33], v[26:27], -v[90:91]
	v_fmac_f64_e32 v[26:27], v[32:33], v[6:7]
	v_add_f64 v[6:7], v[90:91], v[26:27]
	v_add_f64 v[92:93], v[30:31], -v[6:7]
	v_add_f64 v[90:91], v[6:7], -v[90:91]
	;; [unrolled: 1-line block ×5, first 2 shown]
	v_add_f64 v[6:7], v[26:27], v[6:7]
	v_add_f64 v[6:7], v[92:93], v[6:7]
	v_mul_f64 v[6:7], v[28:29], v[6:7]
	v_add_f64 v[26:27], v[32:33], v[6:7]
	v_add_f64 v[28:29], v[26:27], -v[32:33]
	v_add_f64 v[6:7], v[6:7], -v[28:29]
	v_mul_f64 v[28:29], v[26:27], v[26:27]
	v_pk_mov_b32 v[30:31], v[36:37], v[36:37] op_sel:[0,1]
	v_fmac_f64_e32 v[30:31], s[24:25], v[28:29]
	v_pk_mov_b32 v[32:33], v[38:39], v[38:39] op_sel:[0,1]
	v_fmac_f64_e32 v[32:33], v[28:29], v[30:31]
	;; [unrolled: 2-line block ×6, first 2 shown]
	v_ldexp_f64 v[30:31], v[26:27], 1
	v_mul_f64 v[26:27], v[26:27], v[28:29]
	v_mul_f64 v[26:27], v[26:27], v[32:33]
	v_add_f64 v[28:29], v[30:31], v[26:27]
	v_add_f64 v[30:31], v[28:29], -v[30:31]
	v_ldexp_f64 v[6:7], v[6:7], 1
	v_add_f64 v[26:27], v[26:27], -v[30:31]
	v_add_f64 v[6:7], v[6:7], v[26:27]
	v_frexp_exp_i32_f64_e32 v1, v[10:11]
	v_add_f64 v[26:27], v[28:29], v[6:7]
	v_subbrev_co_u32_e32 v1, vcc, 0, v1, vcc
	v_add_f64 v[28:29], v[26:27], -v[28:29]
	v_add_f64 v[6:7], v[6:7], -v[28:29]
	v_cvt_f64_i32_e32 v[28:29], v1
	v_mul_f64 v[30:31], v[28:29], s[26:27]
	v_fma_f64 v[32:33], v[28:29], s[26:27], -v[30:31]
	v_fmac_f64_e32 v[32:33], s[28:29], v[28:29]
	v_add_f64 v[28:29], v[30:31], v[32:33]
	v_add_f64 v[30:31], v[28:29], -v[30:31]
	v_add_f64 v[30:31], v[32:33], -v[30:31]
	v_add_f64 v[32:33], v[28:29], v[26:27]
	v_add_f64 v[90:91], v[32:33], -v[28:29]
	v_add_f64 v[92:93], v[32:33], -v[90:91]
	;; [unrolled: 1-line block ×4, first 2 shown]
	v_add_f64 v[26:27], v[26:27], v[28:29]
	v_add_f64 v[28:29], v[30:31], v[6:7]
	v_add_f64 v[90:91], v[28:29], -v[30:31]
	v_add_f64 v[92:93], v[28:29], -v[90:91]
	v_add_f64 v[26:27], v[28:29], v[26:27]
	v_add_f64 v[30:31], v[30:31], -v[92:93]
	v_add_f64 v[6:7], v[6:7], -v[90:91]
	v_add_f64 v[28:29], v[32:33], v[26:27]
	v_add_f64 v[6:7], v[6:7], v[30:31]
	v_add_f64 v[30:31], v[28:29], -v[32:33]
	v_add_f64 v[26:27], v[26:27], -v[30:31]
	v_add_f64 v[6:7], v[6:7], v[26:27]
	v_add_f64 v[6:7], v[28:29], v[6:7]
	v_max_f64 v[26:27], |v[16:17]|, |v[16:17]|
	v_max_f64 v[28:29], |v[14:15]|, |v[14:15]|
	v_max_f64 v[30:31], v[28:29], v[26:27]
	v_min_f64 v[28:29], v[28:29], v[26:27]
	v_div_scale_f64 v[32:33], s[58:59], v[30:31], v[30:31], v[28:29]
	v_rcp_f64_e32 v[90:91], v[32:33]
	v_mul_f64 v[6:7], v[6:7], 0.5
	v_cmp_neq_f64_e32 vcc, 0, v[10:11]
	v_cndmask_b32_e32 v27, v108, v7, vcc
	v_cndmask_b32_e32 v26, 0, v6, vcc
	v_fma_f64 v[6:7], -v[32:33], v[90:91], 1.0
	v_fmac_f64_e32 v[90:91], v[90:91], v[6:7]
	v_fma_f64 v[6:7], -v[32:33], v[90:91], 1.0
	v_fmac_f64_e32 v[90:91], v[90:91], v[6:7]
	v_div_scale_f64 v[6:7], vcc, v[28:29], v[30:31], v[28:29]
	v_mul_f64 v[10:11], v[6:7], v[90:91]
	v_fma_f64 v[6:7], -v[32:33], v[10:11], v[6:7]
	s_mov_b32 s38, s36
	s_nop 0
	v_div_fmas_f64 v[6:7], v[6:7], v[90:91], v[10:11]
	v_div_fixup_f64 v[6:7], v[6:7], v[30:31], v[28:29]
	v_mul_f64 v[10:11], v[6:7], v[6:7]
	v_pk_mov_b32 v[28:29], v[48:49], v[48:49] op_sel:[0,1]
	v_fmac_f64_e32 v[28:29], s[34:35], v[10:11]
	v_pk_mov_b32 v[30:31], v[50:51], v[50:51] op_sel:[0,1]
	v_fmac_f64_e32 v[30:31], v[10:11], v[28:29]
	;; [unrolled: 2-line block ×19, first 2 shown]
	v_mul_f64 v[10:11], v[10:11], v[28:29]
	v_fmac_f64_e32 v[6:7], v[6:7], v[10:11]
	v_ashrrev_i32_e32 v10, 31, v15
	v_and_b32_e32 v12, 0x400921fb, v10
	v_and_b32_e32 v28, 0x54442d18, v10
	v_add_f64 v[10:11], -v[6:7], s[36:37]
	v_cndmask_b32_e64 v7, v7, v11, s[0:1]
	v_cndmask_b32_e64 v6, v6, v10, s[0:1]
	v_cmp_gt_i32_e32 vcc, 0, v15
	v_add_f64 v[10:11], -v[6:7], s[38:39]
	v_cmp_class_f64_e64 s[58:59], v[16:17], s65
	v_cmp_class_f64_e64 s[60:61], v[14:15], s65
	v_cndmask_b32_e32 v1, v109, v110, vcc
	v_cndmask_b32_e32 v8, v111, v112, vcc
	;; [unrolled: 1-line block ×4, first 2 shown]
	v_cmp_eq_f64_e32 vcc, 0, v[16:17]
	v_bfi_b32 v8, s8, v8, v17
	v_cndmask_b32_e32 v6, v6, v28, vcc
	v_cndmask_b32_e32 v7, v7, v12, vcc
	s_and_b64 vcc, s[60:61], s[58:59]
	v_cndmask_b32_e32 v29, v7, v8, vcc
	v_cndmask_b32_e32 v28, v6, v1, vcc
                                        ; implicit-def: $vgpr30_vgpr31
                                        ; implicit-def: $vgpr6_vgpr7
.LBB168_82:                             ;   in Loop: Header=BB168_5 Depth=1
	s_andn2_saveexec_b64 s[58:59], s[2:3]
	s_cbranch_execz .LBB168_86
; %bb.83:                               ;   in Loop: Header=BB168_5 Depth=1
	v_and_b32_e32 v35, 0x7ffffff8, v31
	v_and_b32_e32 v27, 0x7ffffff8, v7
	v_mov_b32_e32 v26, v34
	v_add_f64 v[10:11], v[30:31], -v[34:35]
	v_add_f64 v[6:7], v[6:7], -v[26:27]
	v_and_b32_e32 v95, -8, v11
	v_mov_b32_e32 v94, v34
	v_and_b32_e32 v97, -8, v7
	v_mov_b32_e32 v96, v34
	v_add_f64 v[32:33], v[34:35], v[34:35]
	v_add_f64 v[102:103], v[26:27], v[26:27]
	v_add_f64 v[98:99], v[10:11], -v[94:95]
	v_add_f64 v[100:101], v[6:7], -v[96:97]
	v_mul_f64 v[10:11], v[26:27], v[26:27]
	v_mul_f64 v[30:31], v[32:33], v[94:95]
	;; [unrolled: 1-line block ×5, first 2 shown]
	v_add_f64 v[94:95], v[94:95], v[94:95]
	v_add_f64 v[96:97], v[96:97], v[96:97]
	v_mul_f64 v[6:7], v[34:35], v[34:35]
	v_mul_f64 v[90:91], v[32:33], v[98:99]
	;; [unrolled: 1-line block ×7, first 2 shown]
	s_mov_b64 s[60:61], 0
.LBB168_84:                             ;   Parent Loop BB168_5 Depth=1
                                        ; =>  This Inner Loop Header: Depth=2
	v_cmp_nlt_f64_e32 vcc, v[6:7], v[10:11]
	v_cndmask_b32_e32 v103, v7, v11, vcc
	v_cndmask_b32_e32 v102, v6, v10, vcc
	v_cmp_nlt_f64_e64 s[2:3], v[102:103], v[30:31]
	v_cndmask_b32_e64 v105, v103, v31, s[2:3]
	v_cndmask_b32_e64 v104, v102, v30, s[2:3]
	v_cndmask_b32_e32 v7, v11, v7, vcc
	v_cndmask_b32_e32 v6, v10, v6, vcc
	s_and_b64 s[62:63], vcc, s[2:3]
	v_cmp_nlt_f64_e32 vcc, v[104:105], v[28:29]
	v_cndmask_b32_e64 v11, v31, v103, s[2:3]
	v_cndmask_b32_e64 v10, v30, v102, s[2:3]
	v_cndmask_b32_e32 v103, v105, v29, vcc
	v_cndmask_b32_e32 v102, v104, v28, vcc
	v_cmp_nlt_f64_e64 s[2:3], v[102:103], v[92:93]
	v_cndmask_b32_e32 v31, v29, v105, vcc
	v_cndmask_b32_e32 v30, v28, v104, vcc
	v_cndmask_b32_e64 v105, v103, v93, s[2:3]
	v_cndmask_b32_e64 v104, v102, v92, s[2:3]
	s_and_b64 s[70:71], vcc, s[2:3]
	v_cmp_nlt_f64_e32 vcc, v[104:105], v[26:27]
	v_cndmask_b32_e64 v29, v93, v103, s[2:3]
	v_cndmask_b32_e64 v28, v92, v102, s[2:3]
	v_cndmask_b32_e32 v103, v105, v27, vcc
	v_cndmask_b32_e32 v102, v104, v26, vcc
	v_cmp_nlt_f64_e64 s[2:3], v[102:103], v[90:91]
	v_cndmask_b32_e32 v93, v27, v105, vcc
	v_cndmask_b32_e32 v92, v26, v104, vcc
	v_cndmask_b32_e64 v105, v103, v91, s[2:3]
	v_cndmask_b32_e64 v104, v102, v90, s[2:3]
	;; [unrolled: 1-line block ×4, first 2 shown]
	s_and_b64 s[2:3], vcc, s[2:3]
	v_cmp_nlt_f64_e32 vcc, v[104:105], v[32:33]
	v_cndmask_b32_e32 v103, v105, v33, vcc
	v_cndmask_b32_e32 v102, v104, v32, vcc
	v_cndmask_b32_e32 v91, v33, v105, vcc
	v_cndmask_b32_e32 v90, v32, v104, vcc
	s_and_b64 s[2:3], s[2:3], vcc
	v_cmp_nlt_f64_e32 vcc, v[102:103], v[94:95]
	v_cndmask_b32_e32 v105, v103, v95, vcc
	v_cndmask_b32_e32 v104, v102, v94, vcc
	v_cndmask_b32_e32 v33, v95, v103, vcc
	v_cndmask_b32_e32 v32, v94, v102, vcc
	s_and_b64 s[2:3], s[2:3], vcc
	;; [unrolled: 6-line block ×4, first 2 shown]
	v_cmp_nlt_f64_e32 vcc, v[104:105], v[100:101]
	s_and_b64 s[2:3], s[2:3], vcc
	s_and_b64 s[2:3], s[2:3], s[70:71]
	s_and_b64 s[2:3], s[2:3], s[62:63]
	v_cndmask_b32_e32 v103, v105, v101, vcc
	v_cndmask_b32_e32 v102, v104, v100, vcc
	s_and_b64 s[2:3], exec, s[2:3]
	v_cndmask_b32_e32 v99, v101, v105, vcc
	v_cndmask_b32_e32 v98, v100, v104, vcc
	s_or_b64 s[60:61], s[2:3], s[60:61]
	v_pk_mov_b32 v[100:101], v[102:103], v[102:103] op_sel:[0,1]
	s_andn2_b64 exec, exec, s[60:61]
	s_cbranch_execnz .LBB168_84
; %bb.85:                               ;   in Loop: Header=BB168_5 Depth=1
	s_or_b64 exec, exec, s[60:61]
	v_add_f64 v[6:7], v[6:7], -1.0
	v_add_f64 v[6:7], v[6:7], v[10:11]
	v_add_f64 v[6:7], v[6:7], v[30:31]
	;; [unrolled: 1-line block ×11, first 2 shown]
	v_add_f64 v[10:11], v[6:7], 1.0
	v_add_f64 v[26:27], v[10:11], -1.0
	v_add_f64 v[28:29], v[26:27], -v[10:11]
	v_add_f64 v[28:29], v[28:29], 1.0
	v_add_f64 v[26:27], v[6:7], -v[26:27]
	v_add_f64 v[26:27], v[26:27], v[28:29]
	v_frexp_mant_f64_e32 v[28:29], v[10:11]
	v_frexp_exp_i32_f64_e32 v1, v[10:11]
	v_cmp_gt_f64_e32 vcc, s[22:23], v[28:29]
	v_subbrev_co_u32_e32 v1, vcc, 0, v1, vcc
	v_sub_u32_e32 v8, 0, v1
	v_ldexp_f64 v[10:11], v[10:11], v8
	v_add_f64 v[28:29], v[10:11], -1.0
	v_add_f64 v[90:91], v[10:11], 1.0
	v_add_f64 v[30:31], v[28:29], 1.0
	v_add_f64 v[92:93], v[90:91], -1.0
	v_ldexp_f64 v[26:27], v[26:27], v8
	v_add_f64 v[30:31], v[10:11], -v[30:31]
	v_add_f64 v[10:11], v[10:11], -v[92:93]
	v_add_f64 v[10:11], v[26:27], v[10:11]
	v_add_f64 v[30:31], v[26:27], v[30:31]
	;; [unrolled: 1-line block ×3, first 2 shown]
	v_rcp_f64_e32 v[92:93], v[26:27]
	v_add_f64 v[32:33], v[28:29], v[30:31]
	v_add_f64 v[28:29], v[32:33], -v[28:29]
	v_add_f64 v[28:29], v[30:31], -v[28:29]
	;; [unrolled: 1-line block ×4, first 2 shown]
	v_fma_f64 v[30:31], -v[26:27], v[92:93], 1.0
	v_fmac_f64_e32 v[92:93], v[30:31], v[92:93]
	v_fma_f64 v[30:31], -v[26:27], v[92:93], 1.0
	v_fmac_f64_e32 v[92:93], v[30:31], v[92:93]
	v_mul_f64 v[30:31], v[32:33], v[92:93]
	v_mul_f64 v[90:91], v[26:27], v[30:31]
	v_fma_f64 v[94:95], v[30:31], v[26:27], -v[90:91]
	v_fmac_f64_e32 v[94:95], v[30:31], v[10:11]
	v_add_f64 v[96:97], v[90:91], v[94:95]
	v_add_f64 v[98:99], v[32:33], -v[96:97]
	v_add_f64 v[32:33], v[32:33], -v[98:99]
	;; [unrolled: 1-line block ×4, first 2 shown]
	v_add_f64 v[28:29], v[28:29], v[32:33]
	v_add_f64 v[32:33], v[90:91], -v[94:95]
	v_add_f64 v[28:29], v[32:33], v[28:29]
	v_add_f64 v[32:33], v[98:99], v[28:29]
	v_add_f64 v[90:91], v[98:99], -v[32:33]
	v_add_f64 v[28:29], v[28:29], v[90:91]
	v_mul_f64 v[90:91], v[92:93], v[32:33]
	v_mul_f64 v[94:95], v[26:27], v[90:91]
	v_fma_f64 v[26:27], v[90:91], v[26:27], -v[94:95]
	v_fmac_f64_e32 v[26:27], v[90:91], v[10:11]
	v_add_f64 v[10:11], v[94:95], v[26:27]
	v_add_f64 v[96:97], v[32:33], -v[10:11]
	v_add_f64 v[32:33], v[32:33], -v[96:97]
	;; [unrolled: 1-line block ×4, first 2 shown]
	v_add_f64 v[10:11], v[28:29], v[10:11]
	v_add_f64 v[26:27], v[94:95], -v[26:27]
	v_add_f64 v[10:11], v[26:27], v[10:11]
	v_add_f64 v[26:27], v[30:31], v[90:91]
	;; [unrolled: 1-line block ×3, first 2 shown]
	v_add_f64 v[28:29], v[26:27], -v[30:31]
	v_mul_f64 v[10:11], v[92:93], v[10:11]
	v_add_f64 v[28:29], v[90:91], -v[28:29]
	v_add_f64 v[10:11], v[28:29], v[10:11]
	v_add_f64 v[28:29], v[26:27], v[10:11]
	v_add_f64 v[26:27], v[28:29], -v[26:27]
	v_add_f64 v[10:11], v[10:11], -v[26:27]
	v_mul_f64 v[26:27], v[28:29], v[28:29]
	v_pk_mov_b32 v[30:31], v[36:37], v[36:37] op_sel:[0,1]
	v_fmac_f64_e32 v[30:31], s[24:25], v[26:27]
	v_pk_mov_b32 v[32:33], v[38:39], v[38:39] op_sel:[0,1]
	v_fmac_f64_e32 v[32:33], v[26:27], v[30:31]
	;; [unrolled: 2-line block ×6, first 2 shown]
	v_cvt_f64_i32_e32 v[30:31], v1
	v_mul_f64 v[90:91], v[30:31], s[26:27]
	v_fma_f64 v[92:93], v[30:31], s[26:27], -v[90:91]
	v_fmac_f64_e32 v[92:93], s[28:29], v[30:31]
	v_add_f64 v[30:31], v[90:91], v[92:93]
	v_add_f64 v[90:91], v[30:31], -v[90:91]
	v_mul_f64 v[26:27], v[28:29], v[26:27]
	v_add_f64 v[90:91], v[92:93], -v[90:91]
	v_ldexp_f64 v[92:93], v[28:29], 1
	v_mul_f64 v[26:27], v[26:27], v[32:33]
	v_add_f64 v[28:29], v[92:93], v[26:27]
	v_add_f64 v[32:33], v[28:29], -v[92:93]
	v_ldexp_f64 v[10:11], v[10:11], 1
	v_add_f64 v[26:27], v[26:27], -v[32:33]
	v_add_f64 v[10:11], v[10:11], v[26:27]
	v_add_f64 v[26:27], v[28:29], v[10:11]
	v_add_f64 v[28:29], v[26:27], -v[28:29]
	v_add_f64 v[10:11], v[10:11], -v[28:29]
	v_add_f64 v[28:29], v[30:31], v[26:27]
	v_add_f64 v[32:33], v[28:29], -v[30:31]
	v_add_f64 v[92:93], v[28:29], -v[32:33]
	;; [unrolled: 1-line block ×4, first 2 shown]
	v_add_f64 v[26:27], v[26:27], v[30:31]
	v_add_f64 v[30:31], v[90:91], v[10:11]
	v_add_f64 v[32:33], v[30:31], -v[90:91]
	v_add_f64 v[26:27], v[30:31], v[26:27]
	v_add_f64 v[92:93], v[30:31], -v[32:33]
	;; [unrolled: 2-line block ×3, first 2 shown]
	v_add_f64 v[10:11], v[10:11], -v[32:33]
	v_add_f64 v[28:29], v[30:31], -v[28:29]
	v_add_f64 v[10:11], v[10:11], v[90:91]
	v_add_f64 v[26:27], v[26:27], -v[28:29]
	v_add_f64 v[10:11], v[10:11], v[26:27]
	v_max_f64 v[26:27], |v[16:17]|, |v[16:17]|
	v_max_f64 v[28:29], |v[14:15]|, |v[14:15]|
	v_add_f64 v[10:11], v[30:31], v[10:11]
	v_max_f64 v[30:31], v[28:29], v[26:27]
	v_min_f64 v[28:29], v[28:29], v[26:27]
	v_div_scale_f64 v[32:33], s[2:3], v[30:31], v[30:31], v[28:29]
	v_cmp_eq_f64_e32 vcc, s[30:31], v[6:7]
	v_rcp_f64_e32 v[90:91], v[32:33]
	v_cndmask_b32_e32 v11, v11, v7, vcc
	v_cndmask_b32_e32 v10, v10, v6, vcc
	v_mul_f64 v[10:11], v[10:11], 0.5
	v_cmp_ngt_f64_e32 vcc, -1.0, v[6:7]
	v_cndmask_b32_e32 v1, v107, v11, vcc
	v_cmp_nge_f64_e32 vcc, -1.0, v[6:7]
	v_cndmask_b32_e32 v26, 0, v10, vcc
	v_cmp_neq_f64_e32 vcc, -1.0, v[6:7]
	v_fma_f64 v[6:7], -v[32:33], v[90:91], 1.0
	v_fmac_f64_e32 v[90:91], v[90:91], v[6:7]
	v_fma_f64 v[6:7], -v[32:33], v[90:91], 1.0
	v_cndmask_b32_e32 v27, v108, v1, vcc
	v_fmac_f64_e32 v[90:91], v[90:91], v[6:7]
	v_div_scale_f64 v[6:7], vcc, v[28:29], v[30:31], v[28:29]
	v_mul_f64 v[10:11], v[6:7], v[90:91]
	v_fma_f64 v[6:7], -v[32:33], v[10:11], v[6:7]
	s_mov_b32 s38, s36
	s_nop 0
	v_div_fmas_f64 v[6:7], v[6:7], v[90:91], v[10:11]
	v_div_fixup_f64 v[6:7], v[6:7], v[30:31], v[28:29]
	v_mul_f64 v[10:11], v[6:7], v[6:7]
	v_pk_mov_b32 v[28:29], v[48:49], v[48:49] op_sel:[0,1]
	v_fmac_f64_e32 v[28:29], s[34:35], v[10:11]
	v_pk_mov_b32 v[30:31], v[50:51], v[50:51] op_sel:[0,1]
	v_fmac_f64_e32 v[30:31], v[10:11], v[28:29]
	;; [unrolled: 2-line block ×19, first 2 shown]
	v_mul_f64 v[10:11], v[10:11], v[28:29]
	v_fmac_f64_e32 v[6:7], v[6:7], v[10:11]
	v_ashrrev_i32_e32 v10, 31, v15
	v_and_b32_e32 v12, 0x400921fb, v10
	v_and_b32_e32 v28, 0x54442d18, v10
	v_add_f64 v[10:11], -v[6:7], s[36:37]
	v_cndmask_b32_e64 v7, v7, v11, s[0:1]
	v_cndmask_b32_e64 v6, v6, v10, s[0:1]
	v_cmp_gt_i32_e32 vcc, 0, v15
	v_add_f64 v[10:11], -v[6:7], s[38:39]
	v_cmp_class_f64_e64 s[2:3], v[16:17], s65
	v_cmp_class_f64_e64 s[60:61], v[14:15], s65
	v_cndmask_b32_e32 v1, v109, v110, vcc
	v_cndmask_b32_e32 v8, v111, v112, vcc
	;; [unrolled: 1-line block ×4, first 2 shown]
	v_cmp_eq_f64_e32 vcc, 0, v[16:17]
	v_bfi_b32 v8, s8, v8, v17
	v_cndmask_b32_e32 v6, v6, v28, vcc
	v_cndmask_b32_e32 v7, v7, v12, vcc
	s_and_b64 vcc, s[60:61], s[2:3]
	v_cndmask_b32_e32 v29, v7, v8, vcc
	v_cndmask_b32_e32 v28, v6, v1, vcc
.LBB168_86:                             ;   in Loop: Header=BB168_5 Depth=1
	s_or_b64 exec, exec, s[58:59]
.LBB168_87:                             ;   in Loop: Header=BB168_5 Depth=1
	s_or_b64 exec, exec, s[56:57]
.LBB168_88:                             ;   in Loop: Header=BB168_5 Depth=1
	s_andn2_saveexec_b64 s[54:55], s[54:55]
	s_cbranch_execz .LBB168_90
; %bb.89:                               ;   in Loop: Header=BB168_5 Depth=1
	v_max_f64 v[6:7], |v[16:17]|, |v[16:17]|
	v_max_f64 v[10:11], |v[14:15]|, |v[14:15]|
	v_max_f64 v[28:29], v[10:11], v[6:7]
	v_frexp_exp_i32_f64_e32 v1, v[28:29]
	v_sub_u32_e32 v8, 0, v1
	v_ldexp_f64 v[30:31], |v[16:17]|, v8
	v_ldexp_f64 v[26:27], |v[14:15]|, v8
	v_mul_f64 v[30:31], v[30:31], v[30:31]
	v_fmac_f64_e32 v[30:31], v[26:27], v[26:27]
	v_rsq_f64_e32 v[26:27], v[30:31]
	v_cmp_eq_f64_e32 vcc, 0, v[30:31]
	v_cmp_class_f64_e64 s[56:57], v[14:15], s65
	v_cmp_class_f64_e64 s[58:59], v[16:17], s65
	v_mul_f64 v[32:33], v[30:31], v[26:27]
	v_mul_f64 v[26:27], v[26:27], 0.5
	v_fma_f64 v[90:91], -v[26:27], v[32:33], 0.5
	v_fmac_f64_e32 v[32:33], v[32:33], v[90:91]
	v_fmac_f64_e32 v[26:27], v[26:27], v[90:91]
	v_fma_f64 v[90:91], -v[32:33], v[32:33], v[30:31]
	v_fmac_f64_e32 v[32:33], v[90:91], v[26:27]
	v_cndmask_b32_e32 v27, v33, v31, vcc
	v_cndmask_b32_e32 v26, v32, v30, vcc
	v_ldexp_f64 v[26:27], v[26:27], v1
	s_or_b64 vcc, s[56:57], s[58:59]
	v_cndmask_b32_e32 v31, v27, v114, vcc
	v_cndmask_b32_e64 v30, v26, 0, vcc
	v_frexp_mant_f64_e32 v[32:33], v[30:31]
	v_cmp_gt_f64_e64 s[2:3], s[22:23], v[32:33]
	v_cndmask_b32_e64 v35, v113, 2.0, s[2:3]
	v_mul_f64 v[32:33], v[32:33], v[34:35]
	v_add_f64 v[90:91], v[32:33], 1.0
	v_rcp_f64_e32 v[92:93], v[90:91]
	v_add_f64 v[96:97], v[90:91], -1.0
	v_add_f64 v[94:95], v[32:33], -1.0
	v_add_f64 v[32:33], v[32:33], -v[96:97]
	v_fma_f64 v[96:97], -v[90:91], v[92:93], 1.0
	v_fmac_f64_e32 v[92:93], v[96:97], v[92:93]
	v_fma_f64 v[96:97], -v[90:91], v[92:93], 1.0
	v_fmac_f64_e32 v[92:93], v[96:97], v[92:93]
	v_mul_f64 v[96:97], v[94:95], v[92:93]
	v_mul_f64 v[98:99], v[90:91], v[96:97]
	v_fma_f64 v[90:91], v[96:97], v[90:91], -v[98:99]
	v_fmac_f64_e32 v[90:91], v[96:97], v[32:33]
	v_add_f64 v[32:33], v[98:99], v[90:91]
	v_add_f64 v[100:101], v[94:95], -v[32:33]
	v_add_f64 v[98:99], v[32:33], -v[98:99]
	;; [unrolled: 1-line block ×5, first 2 shown]
	v_add_f64 v[32:33], v[90:91], v[32:33]
	v_add_f64 v[32:33], v[100:101], v[32:33]
	v_mul_f64 v[32:33], v[92:93], v[32:33]
	v_add_f64 v[90:91], v[96:97], v[32:33]
	v_add_f64 v[92:93], v[90:91], -v[96:97]
	v_add_f64 v[32:33], v[32:33], -v[92:93]
	v_mul_f64 v[92:93], v[90:91], v[90:91]
	v_pk_mov_b32 v[94:95], v[36:37], v[36:37] op_sel:[0,1]
	v_fmac_f64_e32 v[94:95], s[24:25], v[92:93]
	v_pk_mov_b32 v[96:97], v[38:39], v[38:39] op_sel:[0,1]
	v_fmac_f64_e32 v[96:97], v[92:93], v[94:95]
	;; [unrolled: 2-line block ×6, first 2 shown]
	v_ldexp_f64 v[94:95], v[90:91], 1
	v_mul_f64 v[90:91], v[90:91], v[92:93]
	v_mul_f64 v[90:91], v[90:91], v[96:97]
	v_add_f64 v[92:93], v[94:95], v[90:91]
	v_add_f64 v[94:95], v[92:93], -v[94:95]
	v_ldexp_f64 v[32:33], v[32:33], 1
	v_add_f64 v[90:91], v[90:91], -v[94:95]
	v_add_f64 v[32:33], v[32:33], v[90:91]
	v_frexp_exp_i32_f64_e32 v1, v[30:31]
	v_add_f64 v[90:91], v[92:93], v[32:33]
	v_subbrev_co_u32_e64 v1, s[2:3], 0, v1, s[2:3]
	v_add_f64 v[92:93], v[90:91], -v[92:93]
	v_add_f64 v[32:33], v[32:33], -v[92:93]
	v_cvt_f64_i32_e32 v[92:93], v1
	v_mul_f64 v[94:95], v[92:93], s[26:27]
	v_fma_f64 v[96:97], v[92:93], s[26:27], -v[94:95]
	v_fmac_f64_e32 v[96:97], s[28:29], v[92:93]
	v_add_f64 v[92:93], v[94:95], v[96:97]
	v_add_f64 v[94:95], v[92:93], -v[94:95]
	v_add_f64 v[94:95], v[96:97], -v[94:95]
	v_add_f64 v[96:97], v[92:93], v[90:91]
	v_add_f64 v[98:99], v[96:97], -v[92:93]
	v_add_f64 v[100:101], v[96:97], -v[98:99]
	;; [unrolled: 1-line block ×4, first 2 shown]
	v_add_f64 v[90:91], v[90:91], v[92:93]
	v_add_f64 v[92:93], v[94:95], v[32:33]
	v_add_f64 v[98:99], v[92:93], -v[94:95]
	v_add_f64 v[100:101], v[92:93], -v[98:99]
	v_add_f64 v[90:91], v[92:93], v[90:91]
	v_add_f64 v[94:95], v[94:95], -v[100:101]
	v_add_f64 v[32:33], v[32:33], -v[98:99]
	v_add_f64 v[92:93], v[96:97], v[90:91]
	v_add_f64 v[32:33], v[32:33], v[94:95]
	v_add_f64 v[94:95], v[92:93], -v[96:97]
	v_add_f64 v[90:91], v[90:91], -v[94:95]
	v_add_f64 v[32:33], v[32:33], v[90:91]
	v_add_f64 v[32:33], v[92:93], v[32:33]
	v_cmp_class_f64_e64 s[2:3], v[26:27], s65
	v_min_f64 v[6:7], v[10:11], v[6:7]
	v_cndmask_b32_e64 v1, v33, v27, s[2:3]
	v_cndmask_b32_e64 v8, v32, v26, s[2:3]
	v_div_scale_f64 v[10:11], s[2:3], v[28:29], v[28:29], v[6:7]
	v_rcp_f64_e32 v[32:33], v[10:11]
	v_cndmask_b32_e64 v8, v8, 0, vcc
	v_cndmask_b32_e32 v1, v1, v114, vcc
	v_cmp_ngt_f64_e32 vcc, 0, v[30:31]
	v_cndmask_b32_e32 v1, v107, v1, vcc
	v_cmp_nge_f64_e32 vcc, 0, v[30:31]
	v_cndmask_b32_e32 v26, 0, v8, vcc
	v_cmp_neq_f64_e32 vcc, 0, v[30:31]
	v_fma_f64 v[30:31], -v[10:11], v[32:33], 1.0
	v_fmac_f64_e32 v[32:33], v[32:33], v[30:31]
	v_fma_f64 v[30:31], -v[10:11], v[32:33], 1.0
	v_cndmask_b32_e32 v27, v108, v1, vcc
	v_fmac_f64_e32 v[32:33], v[32:33], v[30:31]
	v_div_scale_f64 v[30:31], vcc, v[6:7], v[28:29], v[6:7]
	v_mul_f64 v[90:91], v[30:31], v[32:33]
	v_fma_f64 v[10:11], -v[10:11], v[90:91], v[30:31]
	v_pk_mov_b32 v[30:31], v[50:51], v[50:51] op_sel:[0,1]
	s_nop 0
	v_div_fmas_f64 v[10:11], v[10:11], v[32:33], v[90:91]
	v_div_fixup_f64 v[6:7], v[10:11], v[28:29], v[6:7]
	v_mul_f64 v[10:11], v[6:7], v[6:7]
	v_pk_mov_b32 v[28:29], v[48:49], v[48:49] op_sel:[0,1]
	v_fmac_f64_e32 v[28:29], s[34:35], v[10:11]
	v_fmac_f64_e32 v[30:31], v[10:11], v[28:29]
	v_pk_mov_b32 v[28:29], v[52:53], v[52:53] op_sel:[0,1]
	v_fmac_f64_e32 v[28:29], v[10:11], v[30:31]
	v_pk_mov_b32 v[30:31], v[54:55], v[54:55] op_sel:[0,1]
	;; [unrolled: 2-line block ×17, first 2 shown]
	v_fmac_f64_e32 v[28:29], v[10:11], v[30:31]
	v_mul_f64 v[10:11], v[10:11], v[28:29]
	v_fmac_f64_e32 v[6:7], v[6:7], v[10:11]
	v_ashrrev_i32_e32 v10, 31, v15
	v_and_b32_e32 v12, 0x400921fb, v10
	v_and_b32_e32 v28, 0x54442d18, v10
	v_add_f64 v[10:11], -v[6:7], s[36:37]
	v_cndmask_b32_e64 v7, v7, v11, s[0:1]
	v_cndmask_b32_e64 v6, v6, v10, s[0:1]
	s_mov_b32 s38, s36
	v_cmp_gt_i32_e32 vcc, 0, v15
	v_add_f64 v[10:11], -v[6:7], s[38:39]
	v_cndmask_b32_e32 v1, v109, v110, vcc
	v_cndmask_b32_e32 v8, v111, v112, vcc
	;; [unrolled: 1-line block ×4, first 2 shown]
	v_cmp_eq_f64_e32 vcc, 0, v[16:17]
	v_bfi_b32 v8, s8, v8, v17
	v_cndmask_b32_e32 v6, v6, v28, vcc
	v_cndmask_b32_e32 v7, v7, v12, vcc
	s_and_b64 vcc, s[56:57], s[58:59]
	v_cndmask_b32_e32 v29, v7, v8, vcc
	v_cndmask_b32_e32 v28, v6, v1, vcc
.LBB168_90:                             ;   in Loop: Header=BB168_5 Depth=1
	s_or_b64 exec, exec, s[54:55]
                                        ; implicit-def: $vgpr6_vgpr7
.LBB168_91:                             ;   in Loop: Header=BB168_5 Depth=1
	s_andn2_saveexec_b64 s[2:3], s[52:53]
	s_cbranch_execz .LBB168_97
; %bb.92:                               ;   in Loop: Header=BB168_5 Depth=1
	v_cmp_ngt_f64_e32 vcc, s[42:43], v[6:7]
                                        ; implicit-def: $vgpr26_vgpr27
	s_and_saveexec_b64 s[52:53], vcc
	s_xor_b64 s[52:53], exec, s[52:53]
	s_cbranch_execz .LBB168_94
; %bb.93:                               ;   in Loop: Header=BB168_5 Depth=1
	v_mul_f64 v[6:7], v[6:7], v[6:7]
	v_add_f64 v[10:11], v[6:7], 1.0
	v_add_f64 v[26:27], v[10:11], -1.0
	v_add_f64 v[28:29], v[26:27], -v[10:11]
	v_add_f64 v[28:29], v[28:29], 1.0
	v_add_f64 v[26:27], v[6:7], -v[26:27]
	v_add_f64 v[26:27], v[26:27], v[28:29]
	v_frexp_mant_f64_e32 v[28:29], v[10:11]
	v_frexp_exp_i32_f64_e32 v1, v[10:11]
	v_cmp_gt_f64_e32 vcc, s[22:23], v[28:29]
	v_subbrev_co_u32_e32 v1, vcc, 0, v1, vcc
	v_sub_u32_e32 v8, 0, v1
	v_ldexp_f64 v[10:11], v[10:11], v8
	v_add_f64 v[28:29], v[10:11], -1.0
	v_add_f64 v[90:91], v[10:11], 1.0
	v_add_f64 v[30:31], v[28:29], 1.0
	v_add_f64 v[92:93], v[90:91], -1.0
	v_ldexp_f64 v[26:27], v[26:27], v8
	v_add_f64 v[30:31], v[10:11], -v[30:31]
	v_add_f64 v[10:11], v[10:11], -v[92:93]
	v_add_f64 v[10:11], v[26:27], v[10:11]
	v_add_f64 v[30:31], v[26:27], v[30:31]
	v_add_f64 v[26:27], v[90:91], v[10:11]
	v_rcp_f64_e32 v[92:93], v[26:27]
	v_add_f64 v[32:33], v[28:29], v[30:31]
	v_add_f64 v[28:29], v[28:29], -v[32:33]
	v_add_f64 v[28:29], v[30:31], v[28:29]
	v_add_f64 v[30:31], v[90:91], -v[26:27]
	v_add_f64 v[10:11], v[10:11], v[30:31]
	v_fma_f64 v[30:31], -v[26:27], v[92:93], 1.0
	v_fmac_f64_e32 v[92:93], v[30:31], v[92:93]
	v_fma_f64 v[30:31], -v[26:27], v[92:93], 1.0
	v_fmac_f64_e32 v[92:93], v[30:31], v[92:93]
	v_mul_f64 v[30:31], v[32:33], v[92:93]
	v_mul_f64 v[90:91], v[26:27], v[30:31]
	v_fma_f64 v[94:95], v[30:31], v[26:27], -v[90:91]
	v_fmac_f64_e32 v[94:95], v[30:31], v[10:11]
	v_add_f64 v[96:97], v[90:91], v[94:95]
	v_add_f64 v[98:99], v[32:33], -v[96:97]
	v_add_f64 v[32:33], v[32:33], -v[98:99]
	;; [unrolled: 1-line block ×4, first 2 shown]
	v_add_f64 v[28:29], v[28:29], v[32:33]
	v_add_f64 v[32:33], v[90:91], -v[94:95]
	v_add_f64 v[28:29], v[32:33], v[28:29]
	v_add_f64 v[32:33], v[98:99], v[28:29]
	v_add_f64 v[90:91], v[98:99], -v[32:33]
	v_add_f64 v[28:29], v[28:29], v[90:91]
	v_mul_f64 v[90:91], v[92:93], v[32:33]
	v_mul_f64 v[94:95], v[26:27], v[90:91]
	v_fma_f64 v[26:27], v[90:91], v[26:27], -v[94:95]
	v_fmac_f64_e32 v[26:27], v[90:91], v[10:11]
	v_add_f64 v[10:11], v[94:95], v[26:27]
	v_add_f64 v[96:97], v[32:33], -v[10:11]
	v_add_f64 v[32:33], v[32:33], -v[96:97]
	;; [unrolled: 1-line block ×4, first 2 shown]
	v_add_f64 v[10:11], v[28:29], v[10:11]
	v_add_f64 v[26:27], v[94:95], -v[26:27]
	v_add_f64 v[10:11], v[26:27], v[10:11]
	v_add_f64 v[26:27], v[30:31], v[90:91]
	;; [unrolled: 1-line block ×3, first 2 shown]
	v_add_f64 v[28:29], v[26:27], -v[30:31]
	v_mul_f64 v[10:11], v[92:93], v[10:11]
	v_add_f64 v[28:29], v[90:91], -v[28:29]
	v_add_f64 v[10:11], v[28:29], v[10:11]
	v_add_f64 v[28:29], v[26:27], v[10:11]
	v_add_f64 v[26:27], v[28:29], -v[26:27]
	v_add_f64 v[10:11], v[10:11], -v[26:27]
	v_mul_f64 v[26:27], v[28:29], v[28:29]
	v_pk_mov_b32 v[30:31], v[36:37], v[36:37] op_sel:[0,1]
	v_fmac_f64_e32 v[30:31], s[24:25], v[26:27]
	v_pk_mov_b32 v[32:33], v[38:39], v[38:39] op_sel:[0,1]
	v_fmac_f64_e32 v[32:33], v[26:27], v[30:31]
	;; [unrolled: 2-line block ×6, first 2 shown]
	v_cvt_f64_i32_e32 v[30:31], v1
	v_mul_f64 v[90:91], v[30:31], s[26:27]
	v_fma_f64 v[92:93], v[30:31], s[26:27], -v[90:91]
	v_fmac_f64_e32 v[92:93], s[28:29], v[30:31]
	v_add_f64 v[30:31], v[90:91], v[92:93]
	v_add_f64 v[90:91], v[30:31], -v[90:91]
	v_mul_f64 v[26:27], v[28:29], v[26:27]
	v_add_f64 v[90:91], v[92:93], -v[90:91]
	v_ldexp_f64 v[92:93], v[28:29], 1
	v_mul_f64 v[26:27], v[26:27], v[32:33]
	v_add_f64 v[28:29], v[92:93], v[26:27]
	v_add_f64 v[32:33], v[28:29], -v[92:93]
	v_ldexp_f64 v[10:11], v[10:11], 1
	v_add_f64 v[26:27], v[26:27], -v[32:33]
	v_add_f64 v[10:11], v[10:11], v[26:27]
	v_add_f64 v[26:27], v[28:29], v[10:11]
	v_add_f64 v[28:29], v[26:27], -v[28:29]
	v_add_f64 v[10:11], v[10:11], -v[28:29]
	v_add_f64 v[28:29], v[30:31], v[26:27]
	v_add_f64 v[32:33], v[28:29], -v[30:31]
	v_add_f64 v[92:93], v[28:29], -v[32:33]
	;; [unrolled: 1-line block ×4, first 2 shown]
	v_add_f64 v[26:27], v[26:27], v[30:31]
	v_add_f64 v[30:31], v[90:91], v[10:11]
	v_add_f64 v[32:33], v[30:31], -v[90:91]
	v_add_f64 v[26:27], v[30:31], v[26:27]
	v_add_f64 v[92:93], v[30:31], -v[32:33]
	;; [unrolled: 2-line block ×3, first 2 shown]
	v_add_f64 v[10:11], v[10:11], -v[32:33]
	v_add_f64 v[28:29], v[30:31], -v[28:29]
	v_add_f64 v[10:11], v[10:11], v[90:91]
	v_add_f64 v[26:27], v[26:27], -v[28:29]
	v_add_f64 v[10:11], v[10:11], v[26:27]
	v_max_f64 v[26:27], |v[16:17]|, |v[16:17]|
	v_max_f64 v[28:29], |v[14:15]|, |v[14:15]|
	v_add_f64 v[10:11], v[30:31], v[10:11]
	v_max_f64 v[30:31], v[28:29], v[26:27]
	v_min_f64 v[28:29], v[28:29], v[26:27]
	v_div_scale_f64 v[32:33], s[54:55], v[30:31], v[30:31], v[28:29]
	v_rcp_f64_e32 v[90:91], v[32:33]
	v_cmp_eq_f64_e32 vcc, s[30:31], v[6:7]
	v_cndmask_b32_e32 v7, v11, v7, vcc
	v_cndmask_b32_e32 v6, v10, v6, vcc
	v_mul_f64 v[26:27], v[6:7], 0.5
	v_fma_f64 v[6:7], -v[32:33], v[90:91], 1.0
	v_fmac_f64_e32 v[90:91], v[90:91], v[6:7]
	v_fma_f64 v[6:7], -v[32:33], v[90:91], 1.0
	v_fmac_f64_e32 v[90:91], v[90:91], v[6:7]
	v_div_scale_f64 v[6:7], vcc, v[28:29], v[30:31], v[28:29]
	v_mul_f64 v[10:11], v[6:7], v[90:91]
	v_fma_f64 v[6:7], -v[32:33], v[10:11], v[6:7]
	s_mov_b32 s38, s36
	s_nop 0
	v_div_fmas_f64 v[6:7], v[6:7], v[90:91], v[10:11]
	v_div_fixup_f64 v[6:7], v[6:7], v[30:31], v[28:29]
	v_mul_f64 v[10:11], v[6:7], v[6:7]
	v_pk_mov_b32 v[28:29], v[48:49], v[48:49] op_sel:[0,1]
	v_fmac_f64_e32 v[28:29], s[34:35], v[10:11]
	v_pk_mov_b32 v[30:31], v[50:51], v[50:51] op_sel:[0,1]
	v_fmac_f64_e32 v[30:31], v[10:11], v[28:29]
	;; [unrolled: 2-line block ×19, first 2 shown]
	v_mul_f64 v[10:11], v[10:11], v[28:29]
	v_fmac_f64_e32 v[6:7], v[6:7], v[10:11]
	v_ashrrev_i32_e32 v10, 31, v15
	v_and_b32_e32 v12, 0x400921fb, v10
	v_and_b32_e32 v28, 0x54442d18, v10
	v_add_f64 v[10:11], -v[6:7], s[36:37]
	v_cndmask_b32_e64 v7, v7, v11, s[0:1]
	v_cndmask_b32_e64 v6, v6, v10, s[0:1]
	v_cmp_gt_i32_e32 vcc, 0, v15
	v_add_f64 v[10:11], -v[6:7], s[38:39]
	v_cmp_class_f64_e64 s[54:55], v[16:17], s65
	v_cmp_class_f64_e64 s[56:57], v[14:15], s65
	v_cndmask_b32_e32 v1, v109, v110, vcc
	v_cndmask_b32_e32 v8, v111, v112, vcc
	;; [unrolled: 1-line block ×4, first 2 shown]
	v_cmp_eq_f64_e32 vcc, 0, v[16:17]
	v_bfi_b32 v8, s8, v8, v17
	v_cndmask_b32_e32 v6, v6, v28, vcc
	v_cndmask_b32_e32 v7, v7, v12, vcc
	s_and_b64 vcc, s[56:57], s[54:55]
	v_cndmask_b32_e32 v29, v7, v8, vcc
	v_cndmask_b32_e32 v28, v6, v1, vcc
                                        ; implicit-def: $vgpr6_vgpr7
.LBB168_94:                             ;   in Loop: Header=BB168_5 Depth=1
	s_andn2_saveexec_b64 s[52:53], s[52:53]
	s_cbranch_execz .LBB168_96
; %bb.95:                               ;   in Loop: Header=BB168_5 Depth=1
	v_max_f64 v[10:11], |v[16:17]|, |v[16:17]|
	v_max_f64 v[26:27], |v[14:15]|, |v[14:15]|
	v_max_f64 v[28:29], v[26:27], v[10:11]
	v_min_f64 v[10:11], v[26:27], v[10:11]
	v_div_scale_f64 v[30:31], s[54:55], v[28:29], v[28:29], v[10:11]
	v_rcp_f64_e32 v[32:33], v[30:31]
	v_mul_f64 v[26:27], v[6:7], 0.5
	v_mul_f64 v[26:27], v[6:7], v[26:27]
	s_mov_b32 s38, s36
	v_fma_f64 v[6:7], -v[30:31], v[32:33], 1.0
	v_fmac_f64_e32 v[32:33], v[32:33], v[6:7]
	v_fma_f64 v[6:7], -v[30:31], v[32:33], 1.0
	v_fmac_f64_e32 v[32:33], v[32:33], v[6:7]
	v_div_scale_f64 v[6:7], vcc, v[10:11], v[28:29], v[10:11]
	v_mul_f64 v[90:91], v[6:7], v[32:33]
	v_fma_f64 v[6:7], -v[30:31], v[90:91], v[6:7]
	v_pk_mov_b32 v[30:31], v[50:51], v[50:51] op_sel:[0,1]
	s_nop 0
	v_div_fmas_f64 v[6:7], v[6:7], v[32:33], v[90:91]
	v_div_fixup_f64 v[6:7], v[6:7], v[28:29], v[10:11]
	v_mul_f64 v[10:11], v[6:7], v[6:7]
	v_pk_mov_b32 v[28:29], v[48:49], v[48:49] op_sel:[0,1]
	v_fmac_f64_e32 v[28:29], s[34:35], v[10:11]
	v_fmac_f64_e32 v[30:31], v[10:11], v[28:29]
	v_pk_mov_b32 v[28:29], v[52:53], v[52:53] op_sel:[0,1]
	v_fmac_f64_e32 v[28:29], v[10:11], v[30:31]
	v_pk_mov_b32 v[30:31], v[54:55], v[54:55] op_sel:[0,1]
	;; [unrolled: 2-line block ×17, first 2 shown]
	v_fmac_f64_e32 v[28:29], v[10:11], v[30:31]
	v_mul_f64 v[10:11], v[10:11], v[28:29]
	v_fmac_f64_e32 v[6:7], v[6:7], v[10:11]
	v_ashrrev_i32_e32 v10, 31, v15
	v_and_b32_e32 v12, 0x400921fb, v10
	v_and_b32_e32 v28, 0x54442d18, v10
	v_add_f64 v[10:11], -v[6:7], s[36:37]
	v_cndmask_b32_e64 v7, v7, v11, s[0:1]
	v_cndmask_b32_e64 v6, v6, v10, s[0:1]
	v_cmp_gt_i32_e32 vcc, 0, v15
	v_add_f64 v[10:11], -v[6:7], s[38:39]
	v_cmp_class_f64_e64 s[54:55], v[16:17], s65
	v_cmp_class_f64_e64 s[56:57], v[14:15], s65
	v_cndmask_b32_e32 v1, v109, v110, vcc
	v_cndmask_b32_e32 v8, v111, v112, vcc
	;; [unrolled: 1-line block ×4, first 2 shown]
	v_cmp_eq_f64_e32 vcc, 0, v[16:17]
	v_bfi_b32 v8, s8, v8, v17
	v_cndmask_b32_e32 v6, v6, v28, vcc
	v_cndmask_b32_e32 v7, v7, v12, vcc
	s_and_b64 vcc, s[56:57], s[54:55]
	v_cndmask_b32_e32 v29, v7, v8, vcc
	v_cndmask_b32_e32 v28, v6, v1, vcc
.LBB168_96:                             ;   in Loop: Header=BB168_5 Depth=1
	s_or_b64 exec, exec, s[52:53]
.LBB168_97:                             ;   in Loop: Header=BB168_5 Depth=1
	s_or_b64 exec, exec, s[2:3]
.LBB168_98:                             ;   in Loop: Header=BB168_5 Depth=1
	s_andn2_saveexec_b64 s[52:53], s[6:7]
	s_cbranch_execz .LBB168_100
; %bb.99:                               ;   in Loop: Header=BB168_5 Depth=1
	v_div_scale_f64 v[6:7], s[2:3], s[44:45], s[44:45], v[14:15]
	v_rcp_f64_e32 v[10:11], v[6:7]
	v_div_scale_f64 v[26:27], vcc, v[14:15], s[44:45], v[14:15]
	s_mov_b32 s38, s36
	v_fma_f64 v[28:29], -v[6:7], v[10:11], 1.0
	v_fmac_f64_e32 v[10:11], v[10:11], v[28:29]
	v_fma_f64 v[28:29], -v[6:7], v[10:11], 1.0
	v_fmac_f64_e32 v[10:11], v[10:11], v[28:29]
	v_mul_f64 v[28:29], v[26:27], v[10:11]
	v_fma_f64 v[6:7], -v[6:7], v[28:29], v[26:27]
	v_div_scale_f64 v[26:27], s[2:3], s[44:45], s[44:45], v[16:17]
	v_rcp_f64_e32 v[30:31], v[26:27]
	v_div_fmas_f64 v[6:7], v[6:7], v[10:11], v[28:29]
	v_div_fixup_f64 v[6:7], v[6:7], s[44:45], v[14:15]
	v_cmp_class_f64_e64 s[6:7], v[6:7], s65
	v_fma_f64 v[10:11], -v[26:27], v[30:31], 1.0
	v_fmac_f64_e32 v[30:31], v[30:31], v[10:11]
	v_fma_f64 v[10:11], -v[26:27], v[30:31], 1.0
	v_fmac_f64_e32 v[30:31], v[30:31], v[10:11]
	v_div_scale_f64 v[10:11], vcc, v[16:17], s[44:45], v[16:17]
	v_mul_f64 v[28:29], v[10:11], v[30:31]
	v_fma_f64 v[10:11], -v[26:27], v[28:29], v[10:11]
	s_nop 1
	v_div_fmas_f64 v[10:11], v[10:11], v[30:31], v[28:29]
	v_div_fixup_f64 v[10:11], v[10:11], s[44:45], v[16:17]
	v_max_f64 v[26:27], |v[6:7]|, |v[10:11]|
	v_frexp_exp_i32_f64_e32 v1, v[26:27]
	v_sub_u32_e32 v8, 0, v1
	v_ldexp_f64 v[28:29], |v[10:11]|, v8
	v_ldexp_f64 v[26:27], |v[6:7]|, v8
	v_mul_f64 v[28:29], v[28:29], v[28:29]
	v_fmac_f64_e32 v[28:29], v[26:27], v[26:27]
	v_rsq_f64_e32 v[26:27], v[28:29]
	v_cmp_eq_f64_e32 vcc, 0, v[28:29]
	v_cmp_o_f64_e64 s[2:3], v[6:7], v[10:11]
	v_cmp_class_f64_e64 s[54:55], v[10:11], s65
	v_mul_f64 v[30:31], v[28:29], v[26:27]
	v_mul_f64 v[26:27], v[26:27], 0.5
	v_fma_f64 v[32:33], -v[26:27], v[30:31], 0.5
	v_fmac_f64_e32 v[30:31], v[30:31], v[32:33]
	v_fmac_f64_e32 v[26:27], v[26:27], v[32:33]
	v_fma_f64 v[32:33], -v[30:31], v[30:31], v[28:29]
	v_fmac_f64_e32 v[30:31], v[32:33], v[26:27]
	v_cndmask_b32_e32 v27, v31, v29, vcc
	v_cndmask_b32_e32 v26, v30, v28, vcc
	v_ldexp_f64 v[26:27], v[26:27], v1
	v_cndmask_b32_e64 v1, 0, v26, s[2:3]
	v_cndmask_b32_e64 v8, v107, v27, s[2:3]
	s_or_b64 vcc, s[6:7], s[54:55]
	v_cndmask_b32_e32 v7, v8, v114, vcc
	v_cndmask_b32_e64 v6, v1, 0, vcc
	v_frexp_mant_f64_e32 v[10:11], v[6:7]
	v_cmp_gt_f64_e64 s[6:7], s[22:23], v[10:11]
	v_cndmask_b32_e64 v35, v113, 2.0, s[6:7]
	v_mul_f64 v[10:11], v[10:11], v[34:35]
	v_add_f64 v[28:29], v[10:11], 1.0
	v_rcp_f64_e32 v[30:31], v[28:29]
	v_add_f64 v[90:91], v[28:29], -1.0
	v_add_f64 v[32:33], v[10:11], -1.0
	v_add_f64 v[10:11], v[10:11], -v[90:91]
	v_fma_f64 v[90:91], -v[28:29], v[30:31], 1.0
	v_fmac_f64_e32 v[30:31], v[90:91], v[30:31]
	v_fma_f64 v[90:91], -v[28:29], v[30:31], 1.0
	v_fmac_f64_e32 v[30:31], v[90:91], v[30:31]
	v_mul_f64 v[90:91], v[32:33], v[30:31]
	v_mul_f64 v[92:93], v[28:29], v[90:91]
	v_fma_f64 v[28:29], v[90:91], v[28:29], -v[92:93]
	v_fmac_f64_e32 v[28:29], v[90:91], v[10:11]
	v_add_f64 v[10:11], v[92:93], v[28:29]
	v_add_f64 v[94:95], v[32:33], -v[10:11]
	v_add_f64 v[92:93], v[10:11], -v[92:93]
	;; [unrolled: 1-line block ×5, first 2 shown]
	v_add_f64 v[10:11], v[28:29], v[10:11]
	v_add_f64 v[10:11], v[94:95], v[10:11]
	v_mul_f64 v[10:11], v[30:31], v[10:11]
	v_add_f64 v[28:29], v[90:91], v[10:11]
	v_add_f64 v[30:31], v[28:29], -v[90:91]
	v_add_f64 v[10:11], v[10:11], -v[30:31]
	v_mul_f64 v[30:31], v[28:29], v[28:29]
	v_pk_mov_b32 v[32:33], v[36:37], v[36:37] op_sel:[0,1]
	v_fmac_f64_e32 v[32:33], s[24:25], v[30:31]
	v_pk_mov_b32 v[90:91], v[38:39], v[38:39] op_sel:[0,1]
	v_fmac_f64_e32 v[90:91], v[30:31], v[32:33]
	;; [unrolled: 2-line block ×6, first 2 shown]
	v_ldexp_f64 v[32:33], v[28:29], 1
	v_mul_f64 v[28:29], v[28:29], v[30:31]
	v_mul_f64 v[28:29], v[28:29], v[90:91]
	v_add_f64 v[30:31], v[32:33], v[28:29]
	v_add_f64 v[32:33], v[30:31], -v[32:33]
	v_ldexp_f64 v[10:11], v[10:11], 1
	v_add_f64 v[28:29], v[28:29], -v[32:33]
	v_add_f64 v[10:11], v[10:11], v[28:29]
	v_frexp_exp_i32_f64_e32 v12, v[6:7]
	v_add_f64 v[28:29], v[30:31], v[10:11]
	v_subbrev_co_u32_e64 v12, s[6:7], 0, v12, s[6:7]
	v_add_f64 v[30:31], v[28:29], -v[30:31]
	v_add_f64 v[10:11], v[10:11], -v[30:31]
	v_cvt_f64_i32_e32 v[30:31], v12
	v_mul_f64 v[32:33], v[30:31], s[26:27]
	v_fma_f64 v[90:91], v[30:31], s[26:27], -v[32:33]
	v_fmac_f64_e32 v[90:91], s[28:29], v[30:31]
	v_add_f64 v[30:31], v[32:33], v[90:91]
	v_add_f64 v[32:33], v[30:31], -v[32:33]
	v_add_f64 v[32:33], v[90:91], -v[32:33]
	v_add_f64 v[90:91], v[30:31], v[28:29]
	v_add_f64 v[92:93], v[90:91], -v[30:31]
	v_add_f64 v[94:95], v[90:91], -v[92:93]
	;; [unrolled: 1-line block ×4, first 2 shown]
	v_add_f64 v[28:29], v[28:29], v[30:31]
	v_add_f64 v[30:31], v[32:33], v[10:11]
	v_add_f64 v[92:93], v[30:31], -v[32:33]
	v_add_f64 v[94:95], v[30:31], -v[92:93]
	v_add_f64 v[28:29], v[30:31], v[28:29]
	v_add_f64 v[32:33], v[32:33], -v[94:95]
	v_add_f64 v[10:11], v[10:11], -v[92:93]
	v_add_f64 v[30:31], v[90:91], v[28:29]
	v_add_f64 v[10:11], v[10:11], v[32:33]
	v_add_f64 v[32:33], v[30:31], -v[90:91]
	v_add_f64 v[28:29], v[28:29], -v[32:33]
	v_and_b32_e32 v27, 0x7fffffff, v27
	v_add_f64 v[10:11], v[10:11], v[28:29]
	v_cmp_eq_f64_e64 s[6:7], s[30:31], v[26:27]
	v_add_f64 v[10:11], v[30:31], v[10:11]
	s_and_b64 s[2:3], s[2:3], s[6:7]
	v_cndmask_b32_e64 v11, v11, v8, s[2:3]
	v_cndmask_b32_e64 v10, v10, v1, s[2:3]
	v_add_f64 v[10:11], v[10:11], 1.0
	v_cndmask_b32_e64 v1, v10, 0, vcc
	v_cndmask_b32_e32 v8, v11, v114, vcc
	v_max_f64 v[10:11], |v[16:17]|, |v[16:17]|
	v_max_f64 v[26:27], |v[14:15]|, |v[14:15]|
	v_max_f64 v[28:29], v[26:27], v[10:11]
	v_min_f64 v[10:11], v[26:27], v[10:11]
	v_div_scale_f64 v[30:31], s[2:3], v[28:29], v[28:29], v[10:11]
	v_rcp_f64_e32 v[32:33], v[30:31]
	v_cmp_ngt_f64_e32 vcc, 0, v[6:7]
	v_cndmask_b32_e32 v8, v107, v8, vcc
	v_cmp_nge_f64_e32 vcc, 0, v[6:7]
	v_cndmask_b32_e32 v26, 0, v1, vcc
	v_cmp_neq_f64_e32 vcc, 0, v[6:7]
	v_fma_f64 v[6:7], -v[30:31], v[32:33], 1.0
	v_fmac_f64_e32 v[32:33], v[32:33], v[6:7]
	v_fma_f64 v[6:7], -v[30:31], v[32:33], 1.0
	v_cndmask_b32_e32 v27, v108, v8, vcc
	v_fmac_f64_e32 v[32:33], v[32:33], v[6:7]
	v_div_scale_f64 v[6:7], vcc, v[10:11], v[28:29], v[10:11]
	v_mul_f64 v[90:91], v[6:7], v[32:33]
	v_fma_f64 v[6:7], -v[30:31], v[90:91], v[6:7]
	v_pk_mov_b32 v[30:31], v[50:51], v[50:51] op_sel:[0,1]
	s_nop 0
	v_div_fmas_f64 v[6:7], v[6:7], v[32:33], v[90:91]
	v_div_fixup_f64 v[6:7], v[6:7], v[28:29], v[10:11]
	v_mul_f64 v[10:11], v[6:7], v[6:7]
	v_pk_mov_b32 v[28:29], v[48:49], v[48:49] op_sel:[0,1]
	v_fmac_f64_e32 v[28:29], s[34:35], v[10:11]
	v_fmac_f64_e32 v[30:31], v[10:11], v[28:29]
	v_pk_mov_b32 v[28:29], v[52:53], v[52:53] op_sel:[0,1]
	v_fmac_f64_e32 v[28:29], v[10:11], v[30:31]
	v_pk_mov_b32 v[30:31], v[54:55], v[54:55] op_sel:[0,1]
	;; [unrolled: 2-line block ×17, first 2 shown]
	v_fmac_f64_e32 v[28:29], v[10:11], v[30:31]
	v_mul_f64 v[10:11], v[10:11], v[28:29]
	v_fmac_f64_e32 v[6:7], v[6:7], v[10:11]
	v_ashrrev_i32_e32 v10, 31, v15
	v_and_b32_e32 v12, 0x400921fb, v10
	v_and_b32_e32 v28, 0x54442d18, v10
	v_add_f64 v[10:11], -v[6:7], s[36:37]
	v_cndmask_b32_e64 v7, v7, v11, s[0:1]
	v_cndmask_b32_e64 v6, v6, v10, s[0:1]
	v_cmp_gt_i32_e32 vcc, 0, v15
	v_add_f64 v[10:11], -v[6:7], s[38:39]
	v_cmp_class_f64_e64 s[2:3], v[16:17], s65
	v_cmp_class_f64_e64 s[6:7], v[14:15], s65
	v_cndmask_b32_e32 v1, v109, v110, vcc
	v_cndmask_b32_e32 v8, v111, v112, vcc
	;; [unrolled: 1-line block ×4, first 2 shown]
	v_cmp_eq_f64_e32 vcc, 0, v[16:17]
	v_bfi_b32 v8, s8, v8, v17
	v_cndmask_b32_e32 v6, v6, v28, vcc
	v_cndmask_b32_e32 v7, v7, v12, vcc
	s_and_b64 vcc, s[6:7], s[2:3]
	v_cndmask_b32_e32 v29, v7, v8, vcc
	v_cndmask_b32_e32 v28, v6, v1, vcc
.LBB168_100:                            ;   in Loop: Header=BB168_5 Depth=1
	s_or_b64 exec, exec, s[52:53]
.LBB168_101:                            ;   in Loop: Header=BB168_5 Depth=1
	s_andn2_saveexec_b64 s[0:1], s[50:51]
	s_cbranch_execz .LBB168_107
; %bb.102:                              ;   in Loop: Header=BB168_5 Depth=1
	v_cmp_nlt_f64_e64 s[2:3], |v[14:15]|, s[46:47]
	v_cmp_nlt_f64_e64 s[6:7], |v[16:17]|, s[46:47]
	s_or_b64 s[2:3], s[2:3], s[6:7]
                                        ; implicit-def: $vgpr6_vgpr7
	s_and_saveexec_b64 s[6:7], s[2:3]
	s_xor_b64 s[2:3], exec, s[6:7]
; %bb.103:                              ;   in Loop: Header=BB168_5 Depth=1
	v_mul_f64 v[6:7], v[16:17], v[16:17]
	v_fmac_f64_e32 v[6:7], v[14:15], v[14:15]
; %bb.104:                              ;   in Loop: Header=BB168_5 Depth=1
	s_andn2_saveexec_b64 s[2:3], s[2:3]
; %bb.105:                              ;   in Loop: Header=BB168_5 Depth=1
	v_mul_f64 v[10:11], v[16:17], 4.0
	v_mul_f64 v[6:7], v[14:15], 4.0
	v_mul_f64 v[10:11], v[10:11], v[10:11]
	v_fmac_f64_e32 v[10:11], v[6:7], v[6:7]
	v_ldexp_f64 v[6:7], v[10:11], -4
; %bb.106:                              ;   in Loop: Header=BB168_5 Depth=1
	s_or_b64 exec, exec, s[2:3]
	v_frexp_mant_f64_e32 v[10:11], v[6:7]
	v_cmp_gt_f64_e32 vcc, s[22:23], v[10:11]
	v_cndmask_b32_e64 v35, v113, 2.0, vcc
	v_mul_f64 v[10:11], v[10:11], v[34:35]
	v_add_f64 v[14:15], v[10:11], 1.0
	v_rcp_f64_e32 v[26:27], v[14:15]
	v_add_f64 v[30:31], v[14:15], -1.0
	v_add_f64 v[28:29], v[10:11], -1.0
	v_add_f64 v[10:11], v[10:11], -v[30:31]
	v_fma_f64 v[30:31], -v[14:15], v[26:27], 1.0
	v_fmac_f64_e32 v[26:27], v[30:31], v[26:27]
	v_fma_f64 v[30:31], -v[14:15], v[26:27], 1.0
	v_fmac_f64_e32 v[26:27], v[30:31], v[26:27]
	v_mul_f64 v[30:31], v[28:29], v[26:27]
	v_mul_f64 v[32:33], v[14:15], v[30:31]
	v_fma_f64 v[14:15], v[30:31], v[14:15], -v[32:33]
	v_fmac_f64_e32 v[14:15], v[30:31], v[10:11]
	v_add_f64 v[10:11], v[32:33], v[14:15]
	v_add_f64 v[90:91], v[28:29], -v[10:11]
	v_add_f64 v[32:33], v[10:11], -v[32:33]
	;; [unrolled: 1-line block ×5, first 2 shown]
	v_add_f64 v[10:11], v[14:15], v[10:11]
	v_add_f64 v[10:11], v[90:91], v[10:11]
	v_mul_f64 v[10:11], v[26:27], v[10:11]
	v_add_f64 v[14:15], v[30:31], v[10:11]
	v_add_f64 v[26:27], v[14:15], -v[30:31]
	v_add_f64 v[10:11], v[10:11], -v[26:27]
	v_mul_f64 v[26:27], v[14:15], v[14:15]
	v_pk_mov_b32 v[28:29], v[36:37], v[36:37] op_sel:[0,1]
	v_fmac_f64_e32 v[28:29], s[24:25], v[26:27]
	v_pk_mov_b32 v[30:31], v[38:39], v[38:39] op_sel:[0,1]
	v_fmac_f64_e32 v[30:31], v[26:27], v[28:29]
	;; [unrolled: 2-line block ×6, first 2 shown]
	v_ldexp_f64 v[28:29], v[14:15], 1
	v_mul_f64 v[14:15], v[14:15], v[26:27]
	v_mul_f64 v[14:15], v[14:15], v[30:31]
	v_add_f64 v[26:27], v[28:29], v[14:15]
	v_add_f64 v[28:29], v[26:27], -v[28:29]
	v_ldexp_f64 v[10:11], v[10:11], 1
	v_add_f64 v[14:15], v[14:15], -v[28:29]
	v_add_f64 v[10:11], v[10:11], v[14:15]
	v_frexp_exp_i32_f64_e32 v1, v[6:7]
	v_add_f64 v[14:15], v[26:27], v[10:11]
	v_subbrev_co_u32_e32 v1, vcc, 0, v1, vcc
	v_add_f64 v[26:27], v[14:15], -v[26:27]
	v_add_f64 v[10:11], v[10:11], -v[26:27]
	v_cvt_f64_i32_e32 v[26:27], v1
	v_mul_f64 v[28:29], v[26:27], s[26:27]
	v_fma_f64 v[30:31], v[26:27], s[26:27], -v[28:29]
	v_fmac_f64_e32 v[30:31], s[28:29], v[26:27]
	v_add_f64 v[26:27], v[28:29], v[30:31]
	v_add_f64 v[28:29], v[26:27], -v[28:29]
	v_add_f64 v[28:29], v[30:31], -v[28:29]
	v_add_f64 v[30:31], v[26:27], v[14:15]
	v_add_f64 v[32:33], v[30:31], -v[26:27]
	v_add_f64 v[90:91], v[30:31], -v[32:33]
	;; [unrolled: 1-line block ×4, first 2 shown]
	v_add_f64 v[14:15], v[14:15], v[26:27]
	v_add_f64 v[26:27], v[28:29], v[10:11]
	v_add_f64 v[32:33], v[26:27], -v[28:29]
	v_add_f64 v[90:91], v[26:27], -v[32:33]
	v_add_f64 v[14:15], v[26:27], v[14:15]
	v_add_f64 v[28:29], v[28:29], -v[90:91]
	v_add_f64 v[10:11], v[10:11], -v[32:33]
	v_add_f64 v[26:27], v[30:31], v[14:15]
	v_add_f64 v[10:11], v[10:11], v[28:29]
	v_add_f64 v[28:29], v[26:27], -v[30:31]
	v_add_f64 v[14:15], v[14:15], -v[28:29]
	v_add_f64 v[10:11], v[10:11], v[14:15]
	v_add_f64 v[10:11], v[26:27], v[10:11]
	v_cmp_class_f64_e64 vcc, v[6:7], s65
	v_cndmask_b32_e32 v1, v10, v6, vcc
	v_cndmask_b32_e32 v8, v11, v7, vcc
	v_cmp_ngt_f64_e32 vcc, 0, v[6:7]
	v_cndmask_b32_e32 v8, v107, v8, vcc
	v_cmp_nge_f64_e32 vcc, 0, v[6:7]
	v_cndmask_b32_e32 v26, 0, v1, vcc
	v_cmp_neq_f64_e32 vcc, 0, v[6:7]
	v_mov_b32_e32 v28, 0
	v_cndmask_b32_e32 v27, v108, v8, vcc
	v_mov_b32_e32 v29, 0x7ff80000
.LBB168_107:                            ;   in Loop: Header=BB168_5 Depth=1
	s_or_b64 exec, exec, s[0:1]
	v_cmp_o_f64_e32 vcc, v[2:3], v[4:5]
                                        ; implicit-def: $vgpr30_vgpr31
	s_and_saveexec_b64 s[0:1], vcc
	s_xor_b64 s[50:51], exec, s[0:1]
	s_cbranch_execz .LBB168_135
; %bb.108:                              ;   in Loop: Header=BB168_5 Depth=1
	v_and_b32_e32 v10, 0x7fffffff, v3
	v_and_b32_e32 v1, 0x7fffffff, v5
	v_mov_b32_e32 v8, v4
	v_cmp_lt_f64_e64 s[0:1], |v[2:3]|, |v[4:5]|
	v_cndmask_b32_e64 v7, v1, v10, s[0:1]
	v_cndmask_b32_e64 v6, v8, v2, s[0:1]
	v_cmp_nlt_f64_e32 vcc, s[16:17], v[6:7]
                                        ; implicit-def: $vgpr30_vgpr31
	s_and_saveexec_b64 s[2:3], vcc
	s_xor_b64 s[6:7], exec, s[2:3]
	s_cbranch_execz .LBB168_132
; %bb.109:                              ;   in Loop: Header=BB168_5 Depth=1
	v_cndmask_b32_e64 v15, v10, v1, s[0:1]
	v_cndmask_b32_e64 v14, v2, v8, s[0:1]
	v_cmp_neq_f64_e32 vcc, 1.0, v[14:15]
                                        ; implicit-def: $vgpr30_vgpr31
	s_and_saveexec_b64 s[2:3], vcc
	s_xor_b64 s[52:53], exec, s[2:3]
	s_cbranch_execz .LBB168_125
; %bb.110:                              ;   in Loop: Header=BB168_5 Depth=1
	v_max_f64 v[10:11], v[6:7], v[6:7]
	v_max_f64 v[30:31], v[14:15], v[14:15]
	v_min_f64 v[32:33], v[30:31], v[10:11]
	v_max_f64 v[10:11], v[30:31], v[10:11]
	v_cmp_ngt_f64_e32 vcc, s[18:19], v[32:33]
	v_cmp_nlt_f64_e64 s[2:3], s[20:21], v[10:11]
	s_and_b64 s[2:3], s[2:3], vcc
                                        ; implicit-def: $vgpr30_vgpr31
	s_and_saveexec_b64 s[54:55], s[2:3]
	s_xor_b64 s[54:55], exec, s[54:55]
	s_cbranch_execz .LBB168_122
; %bb.111:                              ;   in Loop: Header=BB168_5 Depth=1
	v_cmp_le_f64_e32 vcc, 1.0, v[14:15]
                                        ; implicit-def: $vgpr30_vgpr31
	s_and_saveexec_b64 s[2:3], vcc
	s_xor_b64 s[2:3], exec, s[2:3]
	s_cbranch_execz .LBB168_113
; %bb.112:                              ;   in Loop: Header=BB168_5 Depth=1
	v_add_f64 v[10:11], v[14:15], -1.0
	v_add_f64 v[14:15], v[14:15], 1.0
	v_mul_f64 v[10:11], v[10:11], v[14:15]
	v_fmac_f64_e32 v[10:11], v[6:7], v[6:7]
	v_add_f64 v[6:7], v[10:11], 1.0
	v_add_f64 v[14:15], v[6:7], -1.0
	v_add_f64 v[30:31], v[14:15], -v[6:7]
	v_add_f64 v[30:31], v[30:31], 1.0
	v_add_f64 v[14:15], v[10:11], -v[14:15]
	v_add_f64 v[14:15], v[14:15], v[30:31]
	v_frexp_mant_f64_e32 v[30:31], v[6:7]
	v_frexp_exp_i32_f64_e32 v1, v[6:7]
	v_cmp_gt_f64_e32 vcc, s[22:23], v[30:31]
	v_subbrev_co_u32_e32 v1, vcc, 0, v1, vcc
	v_sub_u32_e32 v8, 0, v1
	v_ldexp_f64 v[6:7], v[6:7], v8
	v_add_f64 v[30:31], v[6:7], -1.0
	v_add_f64 v[92:93], v[6:7], 1.0
	v_add_f64 v[32:33], v[30:31], 1.0
	v_add_f64 v[94:95], v[92:93], -1.0
	v_ldexp_f64 v[14:15], v[14:15], v8
	v_add_f64 v[32:33], v[6:7], -v[32:33]
	v_add_f64 v[6:7], v[6:7], -v[94:95]
	v_add_f64 v[6:7], v[14:15], v[6:7]
	v_add_f64 v[32:33], v[14:15], v[32:33]
	;; [unrolled: 1-line block ×3, first 2 shown]
	v_rcp_f64_e32 v[94:95], v[14:15]
	v_add_f64 v[90:91], v[30:31], v[32:33]
	v_add_f64 v[30:31], v[90:91], -v[30:31]
	v_add_f64 v[30:31], v[32:33], -v[30:31]
	;; [unrolled: 1-line block ×4, first 2 shown]
	v_fma_f64 v[32:33], -v[14:15], v[94:95], 1.0
	v_fmac_f64_e32 v[94:95], v[32:33], v[94:95]
	v_fma_f64 v[32:33], -v[14:15], v[94:95], 1.0
	v_fmac_f64_e32 v[94:95], v[32:33], v[94:95]
	v_mul_f64 v[32:33], v[90:91], v[94:95]
	v_mul_f64 v[92:93], v[14:15], v[32:33]
	v_fma_f64 v[96:97], v[32:33], v[14:15], -v[92:93]
	v_fmac_f64_e32 v[96:97], v[32:33], v[6:7]
	v_add_f64 v[98:99], v[92:93], v[96:97]
	v_add_f64 v[100:101], v[90:91], -v[98:99]
	v_add_f64 v[90:91], v[90:91], -v[100:101]
	;; [unrolled: 1-line block ×4, first 2 shown]
	v_add_f64 v[30:31], v[30:31], v[90:91]
	v_add_f64 v[90:91], v[92:93], -v[96:97]
	v_add_f64 v[30:31], v[90:91], v[30:31]
	v_add_f64 v[90:91], v[100:101], v[30:31]
	v_add_f64 v[92:93], v[100:101], -v[90:91]
	v_add_f64 v[30:31], v[30:31], v[92:93]
	v_mul_f64 v[92:93], v[94:95], v[90:91]
	v_mul_f64 v[96:97], v[14:15], v[92:93]
	v_fma_f64 v[14:15], v[92:93], v[14:15], -v[96:97]
	v_fmac_f64_e32 v[14:15], v[92:93], v[6:7]
	v_add_f64 v[6:7], v[96:97], v[14:15]
	v_add_f64 v[98:99], v[90:91], -v[6:7]
	v_add_f64 v[90:91], v[90:91], -v[98:99]
	;; [unrolled: 1-line block ×4, first 2 shown]
	v_add_f64 v[6:7], v[30:31], v[6:7]
	v_add_f64 v[14:15], v[96:97], -v[14:15]
	v_add_f64 v[6:7], v[14:15], v[6:7]
	v_add_f64 v[14:15], v[32:33], v[92:93]
	;; [unrolled: 1-line block ×3, first 2 shown]
	v_add_f64 v[30:31], v[14:15], -v[32:33]
	v_mul_f64 v[6:7], v[94:95], v[6:7]
	v_add_f64 v[30:31], v[92:93], -v[30:31]
	v_add_f64 v[6:7], v[30:31], v[6:7]
	v_add_f64 v[30:31], v[14:15], v[6:7]
	v_add_f64 v[14:15], v[30:31], -v[14:15]
	v_add_f64 v[6:7], v[6:7], -v[14:15]
	v_mul_f64 v[14:15], v[30:31], v[30:31]
	v_pk_mov_b32 v[32:33], v[36:37], v[36:37] op_sel:[0,1]
	v_fmac_f64_e32 v[32:33], s[24:25], v[14:15]
	v_pk_mov_b32 v[90:91], v[38:39], v[38:39] op_sel:[0,1]
	v_fmac_f64_e32 v[90:91], v[14:15], v[32:33]
	;; [unrolled: 2-line block ×6, first 2 shown]
	v_cvt_f64_i32_e32 v[32:33], v1
	v_mul_f64 v[92:93], v[32:33], s[26:27]
	v_fma_f64 v[94:95], v[32:33], s[26:27], -v[92:93]
	v_fmac_f64_e32 v[94:95], s[28:29], v[32:33]
	v_add_f64 v[32:33], v[92:93], v[94:95]
	v_add_f64 v[92:93], v[32:33], -v[92:93]
	v_mul_f64 v[14:15], v[30:31], v[14:15]
	v_add_f64 v[92:93], v[94:95], -v[92:93]
	v_ldexp_f64 v[94:95], v[30:31], 1
	v_mul_f64 v[14:15], v[14:15], v[90:91]
	v_add_f64 v[30:31], v[94:95], v[14:15]
	v_add_f64 v[90:91], v[30:31], -v[94:95]
	v_ldexp_f64 v[6:7], v[6:7], 1
	v_add_f64 v[14:15], v[14:15], -v[90:91]
	v_add_f64 v[6:7], v[6:7], v[14:15]
	v_add_f64 v[14:15], v[30:31], v[6:7]
	v_add_f64 v[30:31], v[14:15], -v[30:31]
	v_add_f64 v[6:7], v[6:7], -v[30:31]
	v_add_f64 v[30:31], v[32:33], v[14:15]
	v_add_f64 v[90:91], v[30:31], -v[32:33]
	v_add_f64 v[94:95], v[30:31], -v[90:91]
	;; [unrolled: 1-line block ×4, first 2 shown]
	v_add_f64 v[14:15], v[14:15], v[32:33]
	v_add_f64 v[32:33], v[92:93], v[6:7]
	v_add_f64 v[90:91], v[32:33], -v[92:93]
	v_add_f64 v[14:15], v[32:33], v[14:15]
	v_add_f64 v[94:95], v[32:33], -v[90:91]
	;; [unrolled: 2-line block ×3, first 2 shown]
	v_add_f64 v[6:7], v[6:7], -v[90:91]
	v_add_f64 v[30:31], v[32:33], -v[30:31]
	v_add_f64 v[6:7], v[6:7], v[92:93]
	v_add_f64 v[14:15], v[14:15], -v[30:31]
	v_add_f64 v[6:7], v[6:7], v[14:15]
	v_max_f64 v[14:15], |v[4:5]|, |v[4:5]|
	v_max_f64 v[30:31], |v[2:3]|, |v[2:3]|
	v_add_f64 v[6:7], v[32:33], v[6:7]
	v_max_f64 v[32:33], v[30:31], v[14:15]
	v_min_f64 v[14:15], v[30:31], v[14:15]
	v_div_scale_f64 v[90:91], s[56:57], v[32:33], v[32:33], v[14:15]
	v_cmp_eq_f64_e32 vcc, s[30:31], v[10:11]
	v_rcp_f64_e32 v[92:93], v[90:91]
	v_cndmask_b32_e32 v7, v7, v11, vcc
	v_cndmask_b32_e32 v6, v6, v10, vcc
	v_mul_f64 v[6:7], v[6:7], 0.5
	v_cmp_ngt_f64_e32 vcc, -1.0, v[10:11]
	v_cndmask_b32_e32 v1, v107, v7, vcc
	v_cmp_nge_f64_e32 vcc, -1.0, v[10:11]
	v_cndmask_b32_e32 v30, 0, v6, vcc
	v_fma_f64 v[6:7], -v[90:91], v[92:93], 1.0
	v_fmac_f64_e32 v[92:93], v[92:93], v[6:7]
	v_cmp_neq_f64_e32 vcc, -1.0, v[10:11]
	v_fma_f64 v[6:7], -v[90:91], v[92:93], 1.0
	v_cndmask_b32_e32 v31, v108, v1, vcc
	v_fmac_f64_e32 v[92:93], v[92:93], v[6:7]
	v_div_scale_f64 v[6:7], vcc, v[14:15], v[32:33], v[14:15]
	v_mul_f64 v[10:11], v[6:7], v[92:93]
	v_fma_f64 v[6:7], -v[90:91], v[10:11], v[6:7]
	s_mov_b32 s38, s36
	s_nop 0
	v_div_fmas_f64 v[6:7], v[6:7], v[92:93], v[10:11]
	v_div_fixup_f64 v[6:7], v[6:7], v[32:33], v[14:15]
	v_mul_f64 v[10:11], v[6:7], v[6:7]
	v_pk_mov_b32 v[14:15], v[48:49], v[48:49] op_sel:[0,1]
	v_fmac_f64_e32 v[14:15], s[34:35], v[10:11]
	v_pk_mov_b32 v[32:33], v[50:51], v[50:51] op_sel:[0,1]
	v_fmac_f64_e32 v[32:33], v[10:11], v[14:15]
	v_pk_mov_b32 v[14:15], v[52:53], v[52:53] op_sel:[0,1]
	v_fmac_f64_e32 v[14:15], v[10:11], v[32:33]
	v_pk_mov_b32 v[32:33], v[54:55], v[54:55] op_sel:[0,1]
	v_fmac_f64_e32 v[32:33], v[10:11], v[14:15]
	v_pk_mov_b32 v[14:15], v[56:57], v[56:57] op_sel:[0,1]
	v_fmac_f64_e32 v[14:15], v[10:11], v[32:33]
	v_pk_mov_b32 v[32:33], v[58:59], v[58:59] op_sel:[0,1]
	v_fmac_f64_e32 v[32:33], v[10:11], v[14:15]
	v_pk_mov_b32 v[14:15], v[60:61], v[60:61] op_sel:[0,1]
	v_fmac_f64_e32 v[14:15], v[10:11], v[32:33]
	v_pk_mov_b32 v[32:33], v[62:63], v[62:63] op_sel:[0,1]
	v_fmac_f64_e32 v[32:33], v[10:11], v[14:15]
	v_pk_mov_b32 v[14:15], v[64:65], v[64:65] op_sel:[0,1]
	v_fmac_f64_e32 v[14:15], v[10:11], v[32:33]
	v_pk_mov_b32 v[32:33], v[66:67], v[66:67] op_sel:[0,1]
	v_fmac_f64_e32 v[32:33], v[10:11], v[14:15]
	v_pk_mov_b32 v[14:15], v[68:69], v[68:69] op_sel:[0,1]
	v_fmac_f64_e32 v[14:15], v[10:11], v[32:33]
	v_pk_mov_b32 v[32:33], v[70:71], v[70:71] op_sel:[0,1]
	v_fmac_f64_e32 v[32:33], v[10:11], v[14:15]
	v_pk_mov_b32 v[14:15], v[72:73], v[72:73] op_sel:[0,1]
	v_fmac_f64_e32 v[14:15], v[10:11], v[32:33]
	v_pk_mov_b32 v[32:33], v[74:75], v[74:75] op_sel:[0,1]
	v_fmac_f64_e32 v[32:33], v[10:11], v[14:15]
	v_pk_mov_b32 v[14:15], v[76:77], v[76:77] op_sel:[0,1]
	v_fmac_f64_e32 v[14:15], v[10:11], v[32:33]
	v_pk_mov_b32 v[32:33], v[78:79], v[78:79] op_sel:[0,1]
	v_fmac_f64_e32 v[32:33], v[10:11], v[14:15]
	v_pk_mov_b32 v[14:15], v[80:81], v[80:81] op_sel:[0,1]
	v_fmac_f64_e32 v[14:15], v[10:11], v[32:33]
	v_pk_mov_b32 v[32:33], v[82:83], v[82:83] op_sel:[0,1]
	v_fmac_f64_e32 v[32:33], v[10:11], v[14:15]
	v_pk_mov_b32 v[14:15], v[84:85], v[84:85] op_sel:[0,1]
	v_fmac_f64_e32 v[14:15], v[10:11], v[32:33]
	v_mul_f64 v[10:11], v[10:11], v[14:15]
	v_fmac_f64_e32 v[6:7], v[6:7], v[10:11]
	v_ashrrev_i32_e32 v10, 31, v3
	v_and_b32_e32 v12, 0x400921fb, v10
	v_and_b32_e32 v14, 0x54442d18, v10
	v_add_f64 v[10:11], -v[6:7], s[36:37]
	v_cndmask_b32_e64 v7, v7, v11, s[0:1]
	v_cndmask_b32_e64 v6, v6, v10, s[0:1]
	v_cmp_gt_i32_e32 vcc, 0, v3
	v_add_f64 v[10:11], -v[6:7], s[38:39]
	v_cmp_class_f64_e64 s[56:57], v[4:5], s65
	v_cmp_class_f64_e64 s[58:59], v[2:3], s65
	v_cndmask_b32_e32 v1, v109, v110, vcc
	v_cndmask_b32_e32 v8, v111, v112, vcc
	;; [unrolled: 1-line block ×4, first 2 shown]
	v_cmp_eq_f64_e32 vcc, 0, v[4:5]
	v_bfi_b32 v8, s8, v8, v5
	v_cndmask_b32_e32 v6, v6, v14, vcc
	v_cndmask_b32_e32 v7, v7, v12, vcc
	s_and_b64 vcc, s[58:59], s[56:57]
	v_cndmask_b32_e32 v33, v7, v8, vcc
	v_cndmask_b32_e32 v32, v6, v1, vcc
                                        ; implicit-def: $vgpr6_vgpr7
                                        ; implicit-def: $vgpr14_vgpr15
.LBB168_113:                            ;   in Loop: Header=BB168_5 Depth=1
	s_andn2_saveexec_b64 s[56:57], s[2:3]
	s_cbranch_execz .LBB168_121
; %bb.114:                              ;   in Loop: Header=BB168_5 Depth=1
	v_mul_f64 v[10:11], v[6:7], v[6:7]
	v_fmac_f64_e32 v[10:11], v[14:15], v[14:15]
	v_cmp_ge_f64_e32 vcc, s[40:41], v[10:11]
                                        ; implicit-def: $vgpr30_vgpr31
	s_and_saveexec_b64 s[2:3], vcc
	s_xor_b64 s[2:3], exec, s[2:3]
	s_cbranch_execz .LBB168_116
; %bb.115:                              ;   in Loop: Header=BB168_5 Depth=1
	v_frexp_mant_f64_e32 v[6:7], v[10:11]
	v_cmp_gt_f64_e32 vcc, s[22:23], v[6:7]
	v_cndmask_b32_e64 v35, v113, 2.0, vcc
	v_mul_f64 v[6:7], v[6:7], v[34:35]
	v_add_f64 v[14:15], v[6:7], 1.0
	v_rcp_f64_e32 v[30:31], v[14:15]
	v_add_f64 v[90:91], v[14:15], -1.0
	v_add_f64 v[32:33], v[6:7], -1.0
	v_add_f64 v[6:7], v[6:7], -v[90:91]
	v_fma_f64 v[90:91], -v[14:15], v[30:31], 1.0
	v_fmac_f64_e32 v[30:31], v[90:91], v[30:31]
	v_fma_f64 v[90:91], -v[14:15], v[30:31], 1.0
	v_fmac_f64_e32 v[30:31], v[90:91], v[30:31]
	v_mul_f64 v[90:91], v[32:33], v[30:31]
	v_mul_f64 v[92:93], v[14:15], v[90:91]
	v_fma_f64 v[14:15], v[90:91], v[14:15], -v[92:93]
	v_fmac_f64_e32 v[14:15], v[90:91], v[6:7]
	v_add_f64 v[6:7], v[92:93], v[14:15]
	v_add_f64 v[94:95], v[32:33], -v[6:7]
	v_add_f64 v[92:93], v[6:7], -v[92:93]
	;; [unrolled: 1-line block ×5, first 2 shown]
	v_add_f64 v[6:7], v[14:15], v[6:7]
	v_add_f64 v[6:7], v[94:95], v[6:7]
	v_mul_f64 v[6:7], v[30:31], v[6:7]
	v_add_f64 v[14:15], v[90:91], v[6:7]
	v_add_f64 v[30:31], v[14:15], -v[90:91]
	v_add_f64 v[6:7], v[6:7], -v[30:31]
	v_mul_f64 v[30:31], v[14:15], v[14:15]
	v_pk_mov_b32 v[32:33], v[36:37], v[36:37] op_sel:[0,1]
	v_fmac_f64_e32 v[32:33], s[24:25], v[30:31]
	v_pk_mov_b32 v[90:91], v[38:39], v[38:39] op_sel:[0,1]
	v_fmac_f64_e32 v[90:91], v[30:31], v[32:33]
	;; [unrolled: 2-line block ×6, first 2 shown]
	v_ldexp_f64 v[32:33], v[14:15], 1
	v_mul_f64 v[14:15], v[14:15], v[30:31]
	v_mul_f64 v[14:15], v[14:15], v[90:91]
	v_add_f64 v[30:31], v[32:33], v[14:15]
	v_add_f64 v[32:33], v[30:31], -v[32:33]
	v_ldexp_f64 v[6:7], v[6:7], 1
	v_add_f64 v[14:15], v[14:15], -v[32:33]
	v_add_f64 v[6:7], v[6:7], v[14:15]
	v_frexp_exp_i32_f64_e32 v1, v[10:11]
	v_add_f64 v[14:15], v[30:31], v[6:7]
	v_subbrev_co_u32_e32 v1, vcc, 0, v1, vcc
	v_add_f64 v[30:31], v[14:15], -v[30:31]
	v_add_f64 v[6:7], v[6:7], -v[30:31]
	v_cvt_f64_i32_e32 v[30:31], v1
	v_mul_f64 v[32:33], v[30:31], s[26:27]
	v_fma_f64 v[90:91], v[30:31], s[26:27], -v[32:33]
	v_fmac_f64_e32 v[90:91], s[28:29], v[30:31]
	v_add_f64 v[30:31], v[32:33], v[90:91]
	v_add_f64 v[32:33], v[30:31], -v[32:33]
	v_add_f64 v[32:33], v[90:91], -v[32:33]
	v_add_f64 v[90:91], v[30:31], v[14:15]
	v_add_f64 v[92:93], v[90:91], -v[30:31]
	v_add_f64 v[94:95], v[90:91], -v[92:93]
	;; [unrolled: 1-line block ×4, first 2 shown]
	v_add_f64 v[14:15], v[14:15], v[30:31]
	v_add_f64 v[30:31], v[32:33], v[6:7]
	v_add_f64 v[92:93], v[30:31], -v[32:33]
	v_add_f64 v[94:95], v[30:31], -v[92:93]
	v_add_f64 v[14:15], v[30:31], v[14:15]
	v_add_f64 v[32:33], v[32:33], -v[94:95]
	v_add_f64 v[6:7], v[6:7], -v[92:93]
	v_add_f64 v[30:31], v[90:91], v[14:15]
	v_add_f64 v[6:7], v[6:7], v[32:33]
	v_add_f64 v[32:33], v[30:31], -v[90:91]
	v_add_f64 v[14:15], v[14:15], -v[32:33]
	v_add_f64 v[6:7], v[6:7], v[14:15]
	v_add_f64 v[6:7], v[30:31], v[6:7]
	v_max_f64 v[14:15], |v[4:5]|, |v[4:5]|
	v_max_f64 v[30:31], |v[2:3]|, |v[2:3]|
	v_max_f64 v[32:33], v[30:31], v[14:15]
	v_min_f64 v[14:15], v[30:31], v[14:15]
	v_div_scale_f64 v[90:91], s[58:59], v[32:33], v[32:33], v[14:15]
	v_rcp_f64_e32 v[92:93], v[90:91]
	v_mul_f64 v[6:7], v[6:7], 0.5
	v_cmp_neq_f64_e32 vcc, 0, v[10:11]
	v_cndmask_b32_e32 v31, v108, v7, vcc
	v_cndmask_b32_e32 v30, 0, v6, vcc
	v_fma_f64 v[6:7], -v[90:91], v[92:93], 1.0
	v_fmac_f64_e32 v[92:93], v[92:93], v[6:7]
	v_fma_f64 v[6:7], -v[90:91], v[92:93], 1.0
	v_fmac_f64_e32 v[92:93], v[92:93], v[6:7]
	v_div_scale_f64 v[6:7], vcc, v[14:15], v[32:33], v[14:15]
	v_mul_f64 v[10:11], v[6:7], v[92:93]
	v_fma_f64 v[6:7], -v[90:91], v[10:11], v[6:7]
	s_mov_b32 s38, s36
	s_nop 0
	v_div_fmas_f64 v[6:7], v[6:7], v[92:93], v[10:11]
	v_div_fixup_f64 v[6:7], v[6:7], v[32:33], v[14:15]
	v_mul_f64 v[10:11], v[6:7], v[6:7]
	v_pk_mov_b32 v[14:15], v[48:49], v[48:49] op_sel:[0,1]
	v_fmac_f64_e32 v[14:15], s[34:35], v[10:11]
	v_pk_mov_b32 v[32:33], v[50:51], v[50:51] op_sel:[0,1]
	v_fmac_f64_e32 v[32:33], v[10:11], v[14:15]
	;; [unrolled: 2-line block ×19, first 2 shown]
	v_mul_f64 v[10:11], v[10:11], v[14:15]
	v_fmac_f64_e32 v[6:7], v[6:7], v[10:11]
	v_ashrrev_i32_e32 v10, 31, v3
	v_and_b32_e32 v12, 0x400921fb, v10
	v_and_b32_e32 v14, 0x54442d18, v10
	v_add_f64 v[10:11], -v[6:7], s[36:37]
	v_cndmask_b32_e64 v7, v7, v11, s[0:1]
	v_cndmask_b32_e64 v6, v6, v10, s[0:1]
	v_cmp_gt_i32_e32 vcc, 0, v3
	v_add_f64 v[10:11], -v[6:7], s[38:39]
	v_cmp_class_f64_e64 s[58:59], v[4:5], s65
	v_cmp_class_f64_e64 s[60:61], v[2:3], s65
	v_cndmask_b32_e32 v1, v109, v110, vcc
	v_cndmask_b32_e32 v8, v111, v112, vcc
	;; [unrolled: 1-line block ×4, first 2 shown]
	v_cmp_eq_f64_e32 vcc, 0, v[4:5]
	v_bfi_b32 v8, s8, v8, v5
	v_cndmask_b32_e32 v6, v6, v14, vcc
	v_cndmask_b32_e32 v7, v7, v12, vcc
	s_and_b64 vcc, s[60:61], s[58:59]
	v_cndmask_b32_e32 v33, v7, v8, vcc
	v_cndmask_b32_e32 v32, v6, v1, vcc
                                        ; implicit-def: $vgpr14_vgpr15
                                        ; implicit-def: $vgpr6_vgpr7
.LBB168_116:                            ;   in Loop: Header=BB168_5 Depth=1
	s_andn2_saveexec_b64 s[58:59], s[2:3]
	s_cbranch_execz .LBB168_120
; %bb.117:                              ;   in Loop: Header=BB168_5 Depth=1
	v_and_b32_e32 v35, 0x7ffffff8, v15
	v_add_f64 v[10:11], v[14:15], -v[34:35]
	v_and_b32_e32 v15, 0x7ffffff8, v7
	v_mov_b32_e32 v14, v34
	v_add_f64 v[6:7], v[6:7], -v[14:15]
	v_and_b32_e32 v97, -8, v11
	v_mov_b32_e32 v96, v34
	v_and_b32_e32 v99, -8, v7
	v_mov_b32_e32 v98, v34
	v_add_f64 v[90:91], v[34:35], v[34:35]
	v_add_f64 v[104:105], v[14:15], v[14:15]
	v_add_f64 v[100:101], v[10:11], -v[96:97]
	v_add_f64 v[102:103], v[6:7], -v[98:99]
	v_mul_f64 v[10:11], v[14:15], v[14:15]
	v_mul_f64 v[32:33], v[90:91], v[96:97]
	;; [unrolled: 1-line block ×5, first 2 shown]
	v_add_f64 v[96:97], v[96:97], v[96:97]
	v_add_f64 v[98:99], v[98:99], v[98:99]
	v_mul_f64 v[6:7], v[34:35], v[34:35]
	v_mul_f64 v[92:93], v[90:91], v[100:101]
	;; [unrolled: 1-line block ×7, first 2 shown]
	s_mov_b64 s[60:61], 0
.LBB168_118:                            ;   Parent Loop BB168_5 Depth=1
                                        ; =>  This Inner Loop Header: Depth=2
	v_cmp_nlt_f64_e32 vcc, v[6:7], v[10:11]
	v_cndmask_b32_e32 v105, v7, v11, vcc
	v_cndmask_b32_e32 v104, v6, v10, vcc
	v_cmp_nlt_f64_e64 s[2:3], v[104:105], v[32:33]
	v_cndmask_b32_e64 v117, v105, v33, s[2:3]
	v_cndmask_b32_e64 v116, v104, v32, s[2:3]
	v_cndmask_b32_e32 v7, v11, v7, vcc
	v_cndmask_b32_e32 v6, v10, v6, vcc
	s_and_b64 s[62:63], vcc, s[2:3]
	v_cmp_nlt_f64_e32 vcc, v[116:117], v[30:31]
	v_cndmask_b32_e64 v11, v33, v105, s[2:3]
	v_cndmask_b32_e64 v10, v32, v104, s[2:3]
	v_cndmask_b32_e32 v105, v117, v31, vcc
	v_cndmask_b32_e32 v104, v116, v30, vcc
	v_cmp_nlt_f64_e64 s[2:3], v[104:105], v[94:95]
	v_cndmask_b32_e32 v33, v31, v117, vcc
	v_cndmask_b32_e32 v32, v30, v116, vcc
	v_cndmask_b32_e64 v117, v105, v95, s[2:3]
	v_cndmask_b32_e64 v116, v104, v94, s[2:3]
	s_and_b64 s[70:71], vcc, s[2:3]
	v_cmp_nlt_f64_e32 vcc, v[116:117], v[14:15]
	v_cndmask_b32_e64 v31, v95, v105, s[2:3]
	v_cndmask_b32_e64 v30, v94, v104, s[2:3]
	v_cndmask_b32_e32 v105, v117, v15, vcc
	v_cndmask_b32_e32 v104, v116, v14, vcc
	v_cmp_nlt_f64_e64 s[2:3], v[104:105], v[92:93]
	v_cndmask_b32_e32 v95, v15, v117, vcc
	v_cndmask_b32_e32 v94, v14, v116, vcc
	v_cndmask_b32_e64 v117, v105, v93, s[2:3]
	v_cndmask_b32_e64 v116, v104, v92, s[2:3]
	;; [unrolled: 1-line block ×4, first 2 shown]
	s_and_b64 s[2:3], vcc, s[2:3]
	v_cmp_nlt_f64_e32 vcc, v[116:117], v[90:91]
	v_cndmask_b32_e32 v105, v117, v91, vcc
	v_cndmask_b32_e32 v104, v116, v90, vcc
	v_cndmask_b32_e32 v93, v91, v117, vcc
	v_cndmask_b32_e32 v92, v90, v116, vcc
	s_and_b64 s[2:3], s[2:3], vcc
	v_cmp_nlt_f64_e32 vcc, v[104:105], v[96:97]
	v_cndmask_b32_e32 v117, v105, v97, vcc
	v_cndmask_b32_e32 v116, v104, v96, vcc
	v_cndmask_b32_e32 v91, v97, v105, vcc
	v_cndmask_b32_e32 v90, v96, v104, vcc
	s_and_b64 s[2:3], s[2:3], vcc
	;; [unrolled: 6-line block ×4, first 2 shown]
	v_cmp_nlt_f64_e32 vcc, v[116:117], v[102:103]
	s_and_b64 s[2:3], s[2:3], vcc
	s_and_b64 s[2:3], s[2:3], s[70:71]
	s_and_b64 s[2:3], s[2:3], s[62:63]
	v_cndmask_b32_e32 v105, v117, v103, vcc
	v_cndmask_b32_e32 v104, v116, v102, vcc
	s_and_b64 s[2:3], exec, s[2:3]
	v_cndmask_b32_e32 v101, v103, v117, vcc
	v_cndmask_b32_e32 v100, v102, v116, vcc
	s_or_b64 s[60:61], s[2:3], s[60:61]
	v_pk_mov_b32 v[102:103], v[104:105], v[104:105] op_sel:[0,1]
	s_andn2_b64 exec, exec, s[60:61]
	s_cbranch_execnz .LBB168_118
; %bb.119:                              ;   in Loop: Header=BB168_5 Depth=1
	s_or_b64 exec, exec, s[60:61]
	v_add_f64 v[6:7], v[6:7], -1.0
	v_add_f64 v[6:7], v[6:7], v[10:11]
	v_add_f64 v[6:7], v[6:7], v[32:33]
	;; [unrolled: 1-line block ×11, first 2 shown]
	v_add_f64 v[10:11], v[6:7], 1.0
	v_add_f64 v[14:15], v[10:11], -1.0
	v_add_f64 v[30:31], v[14:15], -v[10:11]
	v_add_f64 v[30:31], v[30:31], 1.0
	v_add_f64 v[14:15], v[6:7], -v[14:15]
	v_add_f64 v[14:15], v[14:15], v[30:31]
	v_frexp_mant_f64_e32 v[30:31], v[10:11]
	v_frexp_exp_i32_f64_e32 v1, v[10:11]
	v_cmp_gt_f64_e32 vcc, s[22:23], v[30:31]
	v_subbrev_co_u32_e32 v1, vcc, 0, v1, vcc
	v_sub_u32_e32 v8, 0, v1
	v_ldexp_f64 v[10:11], v[10:11], v8
	v_add_f64 v[30:31], v[10:11], -1.0
	v_add_f64 v[92:93], v[10:11], 1.0
	v_add_f64 v[32:33], v[30:31], 1.0
	v_add_f64 v[94:95], v[92:93], -1.0
	v_ldexp_f64 v[14:15], v[14:15], v8
	v_add_f64 v[32:33], v[10:11], -v[32:33]
	v_add_f64 v[10:11], v[10:11], -v[94:95]
	v_add_f64 v[10:11], v[14:15], v[10:11]
	v_add_f64 v[32:33], v[14:15], v[32:33]
	;; [unrolled: 1-line block ×3, first 2 shown]
	v_rcp_f64_e32 v[94:95], v[14:15]
	v_add_f64 v[90:91], v[30:31], v[32:33]
	v_add_f64 v[30:31], v[90:91], -v[30:31]
	v_add_f64 v[30:31], v[32:33], -v[30:31]
	;; [unrolled: 1-line block ×4, first 2 shown]
	v_fma_f64 v[32:33], -v[14:15], v[94:95], 1.0
	v_fmac_f64_e32 v[94:95], v[32:33], v[94:95]
	v_fma_f64 v[32:33], -v[14:15], v[94:95], 1.0
	v_fmac_f64_e32 v[94:95], v[32:33], v[94:95]
	v_mul_f64 v[32:33], v[90:91], v[94:95]
	v_mul_f64 v[92:93], v[14:15], v[32:33]
	v_fma_f64 v[96:97], v[32:33], v[14:15], -v[92:93]
	v_fmac_f64_e32 v[96:97], v[32:33], v[10:11]
	v_add_f64 v[98:99], v[92:93], v[96:97]
	v_add_f64 v[100:101], v[90:91], -v[98:99]
	v_add_f64 v[90:91], v[90:91], -v[100:101]
	v_add_f64 v[92:93], v[98:99], -v[92:93]
	v_add_f64 v[90:91], v[90:91], -v[98:99]
	v_add_f64 v[30:31], v[30:31], v[90:91]
	v_add_f64 v[90:91], v[92:93], -v[96:97]
	v_add_f64 v[30:31], v[90:91], v[30:31]
	v_add_f64 v[90:91], v[100:101], v[30:31]
	v_add_f64 v[92:93], v[100:101], -v[90:91]
	v_add_f64 v[30:31], v[30:31], v[92:93]
	v_mul_f64 v[92:93], v[94:95], v[90:91]
	v_mul_f64 v[96:97], v[14:15], v[92:93]
	v_fma_f64 v[14:15], v[92:93], v[14:15], -v[96:97]
	v_fmac_f64_e32 v[14:15], v[92:93], v[10:11]
	v_add_f64 v[10:11], v[96:97], v[14:15]
	v_add_f64 v[98:99], v[90:91], -v[10:11]
	v_add_f64 v[90:91], v[90:91], -v[98:99]
	;; [unrolled: 1-line block ×4, first 2 shown]
	v_add_f64 v[10:11], v[30:31], v[10:11]
	v_add_f64 v[14:15], v[96:97], -v[14:15]
	v_add_f64 v[10:11], v[14:15], v[10:11]
	v_add_f64 v[14:15], v[32:33], v[92:93]
	;; [unrolled: 1-line block ×3, first 2 shown]
	v_add_f64 v[30:31], v[14:15], -v[32:33]
	v_mul_f64 v[10:11], v[94:95], v[10:11]
	v_add_f64 v[30:31], v[92:93], -v[30:31]
	v_add_f64 v[10:11], v[30:31], v[10:11]
	v_add_f64 v[30:31], v[14:15], v[10:11]
	v_add_f64 v[14:15], v[30:31], -v[14:15]
	v_add_f64 v[10:11], v[10:11], -v[14:15]
	v_mul_f64 v[14:15], v[30:31], v[30:31]
	v_pk_mov_b32 v[32:33], v[36:37], v[36:37] op_sel:[0,1]
	v_fmac_f64_e32 v[32:33], s[24:25], v[14:15]
	v_pk_mov_b32 v[90:91], v[38:39], v[38:39] op_sel:[0,1]
	v_fmac_f64_e32 v[90:91], v[14:15], v[32:33]
	;; [unrolled: 2-line block ×6, first 2 shown]
	v_cvt_f64_i32_e32 v[32:33], v1
	v_mul_f64 v[92:93], v[32:33], s[26:27]
	v_fma_f64 v[94:95], v[32:33], s[26:27], -v[92:93]
	v_fmac_f64_e32 v[94:95], s[28:29], v[32:33]
	v_add_f64 v[32:33], v[92:93], v[94:95]
	v_add_f64 v[92:93], v[32:33], -v[92:93]
	v_mul_f64 v[14:15], v[30:31], v[14:15]
	v_add_f64 v[92:93], v[94:95], -v[92:93]
	v_ldexp_f64 v[94:95], v[30:31], 1
	v_mul_f64 v[14:15], v[14:15], v[90:91]
	v_add_f64 v[30:31], v[94:95], v[14:15]
	v_add_f64 v[90:91], v[30:31], -v[94:95]
	v_ldexp_f64 v[10:11], v[10:11], 1
	v_add_f64 v[14:15], v[14:15], -v[90:91]
	v_add_f64 v[10:11], v[10:11], v[14:15]
	v_add_f64 v[14:15], v[30:31], v[10:11]
	v_add_f64 v[30:31], v[14:15], -v[30:31]
	v_add_f64 v[10:11], v[10:11], -v[30:31]
	v_add_f64 v[30:31], v[32:33], v[14:15]
	v_add_f64 v[90:91], v[30:31], -v[32:33]
	v_add_f64 v[94:95], v[30:31], -v[90:91]
	;; [unrolled: 1-line block ×4, first 2 shown]
	v_add_f64 v[14:15], v[14:15], v[32:33]
	v_add_f64 v[32:33], v[92:93], v[10:11]
	v_add_f64 v[90:91], v[32:33], -v[92:93]
	v_add_f64 v[14:15], v[32:33], v[14:15]
	v_add_f64 v[94:95], v[32:33], -v[90:91]
	;; [unrolled: 2-line block ×3, first 2 shown]
	v_add_f64 v[10:11], v[10:11], -v[90:91]
	v_add_f64 v[30:31], v[32:33], -v[30:31]
	v_add_f64 v[10:11], v[10:11], v[92:93]
	v_add_f64 v[14:15], v[14:15], -v[30:31]
	v_add_f64 v[10:11], v[10:11], v[14:15]
	v_max_f64 v[14:15], |v[4:5]|, |v[4:5]|
	v_max_f64 v[30:31], |v[2:3]|, |v[2:3]|
	v_add_f64 v[10:11], v[32:33], v[10:11]
	v_max_f64 v[32:33], v[30:31], v[14:15]
	v_min_f64 v[14:15], v[30:31], v[14:15]
	v_div_scale_f64 v[90:91], s[2:3], v[32:33], v[32:33], v[14:15]
	v_cmp_eq_f64_e32 vcc, s[30:31], v[6:7]
	v_rcp_f64_e32 v[92:93], v[90:91]
	v_cndmask_b32_e32 v11, v11, v7, vcc
	v_cndmask_b32_e32 v10, v10, v6, vcc
	v_mul_f64 v[10:11], v[10:11], 0.5
	v_cmp_ngt_f64_e32 vcc, -1.0, v[6:7]
	v_cndmask_b32_e32 v1, v107, v11, vcc
	v_cmp_nge_f64_e32 vcc, -1.0, v[6:7]
	v_cndmask_b32_e32 v30, 0, v10, vcc
	v_cmp_neq_f64_e32 vcc, -1.0, v[6:7]
	v_fma_f64 v[6:7], -v[90:91], v[92:93], 1.0
	v_fmac_f64_e32 v[92:93], v[92:93], v[6:7]
	v_fma_f64 v[6:7], -v[90:91], v[92:93], 1.0
	v_cndmask_b32_e32 v31, v108, v1, vcc
	v_fmac_f64_e32 v[92:93], v[92:93], v[6:7]
	v_div_scale_f64 v[6:7], vcc, v[14:15], v[32:33], v[14:15]
	v_mul_f64 v[10:11], v[6:7], v[92:93]
	v_fma_f64 v[6:7], -v[90:91], v[10:11], v[6:7]
	s_mov_b32 s38, s36
	s_nop 0
	v_div_fmas_f64 v[6:7], v[6:7], v[92:93], v[10:11]
	v_div_fixup_f64 v[6:7], v[6:7], v[32:33], v[14:15]
	v_mul_f64 v[10:11], v[6:7], v[6:7]
	v_pk_mov_b32 v[14:15], v[48:49], v[48:49] op_sel:[0,1]
	v_fmac_f64_e32 v[14:15], s[34:35], v[10:11]
	v_pk_mov_b32 v[32:33], v[50:51], v[50:51] op_sel:[0,1]
	v_fmac_f64_e32 v[32:33], v[10:11], v[14:15]
	v_pk_mov_b32 v[14:15], v[52:53], v[52:53] op_sel:[0,1]
	v_fmac_f64_e32 v[14:15], v[10:11], v[32:33]
	v_pk_mov_b32 v[32:33], v[54:55], v[54:55] op_sel:[0,1]
	v_fmac_f64_e32 v[32:33], v[10:11], v[14:15]
	v_pk_mov_b32 v[14:15], v[56:57], v[56:57] op_sel:[0,1]
	v_fmac_f64_e32 v[14:15], v[10:11], v[32:33]
	v_pk_mov_b32 v[32:33], v[58:59], v[58:59] op_sel:[0,1]
	v_fmac_f64_e32 v[32:33], v[10:11], v[14:15]
	v_pk_mov_b32 v[14:15], v[60:61], v[60:61] op_sel:[0,1]
	v_fmac_f64_e32 v[14:15], v[10:11], v[32:33]
	v_pk_mov_b32 v[32:33], v[62:63], v[62:63] op_sel:[0,1]
	v_fmac_f64_e32 v[32:33], v[10:11], v[14:15]
	v_pk_mov_b32 v[14:15], v[64:65], v[64:65] op_sel:[0,1]
	v_fmac_f64_e32 v[14:15], v[10:11], v[32:33]
	v_pk_mov_b32 v[32:33], v[66:67], v[66:67] op_sel:[0,1]
	v_fmac_f64_e32 v[32:33], v[10:11], v[14:15]
	v_pk_mov_b32 v[14:15], v[68:69], v[68:69] op_sel:[0,1]
	v_fmac_f64_e32 v[14:15], v[10:11], v[32:33]
	v_pk_mov_b32 v[32:33], v[70:71], v[70:71] op_sel:[0,1]
	v_fmac_f64_e32 v[32:33], v[10:11], v[14:15]
	v_pk_mov_b32 v[14:15], v[72:73], v[72:73] op_sel:[0,1]
	v_fmac_f64_e32 v[14:15], v[10:11], v[32:33]
	v_pk_mov_b32 v[32:33], v[74:75], v[74:75] op_sel:[0,1]
	v_fmac_f64_e32 v[32:33], v[10:11], v[14:15]
	v_pk_mov_b32 v[14:15], v[76:77], v[76:77] op_sel:[0,1]
	v_fmac_f64_e32 v[14:15], v[10:11], v[32:33]
	v_pk_mov_b32 v[32:33], v[78:79], v[78:79] op_sel:[0,1]
	v_fmac_f64_e32 v[32:33], v[10:11], v[14:15]
	v_pk_mov_b32 v[14:15], v[80:81], v[80:81] op_sel:[0,1]
	v_fmac_f64_e32 v[14:15], v[10:11], v[32:33]
	v_pk_mov_b32 v[32:33], v[82:83], v[82:83] op_sel:[0,1]
	v_fmac_f64_e32 v[32:33], v[10:11], v[14:15]
	v_pk_mov_b32 v[14:15], v[84:85], v[84:85] op_sel:[0,1]
	v_fmac_f64_e32 v[14:15], v[10:11], v[32:33]
	v_mul_f64 v[10:11], v[10:11], v[14:15]
	v_fmac_f64_e32 v[6:7], v[6:7], v[10:11]
	v_ashrrev_i32_e32 v10, 31, v3
	v_and_b32_e32 v12, 0x400921fb, v10
	v_and_b32_e32 v14, 0x54442d18, v10
	v_add_f64 v[10:11], -v[6:7], s[36:37]
	v_cndmask_b32_e64 v7, v7, v11, s[0:1]
	v_cndmask_b32_e64 v6, v6, v10, s[0:1]
	v_cmp_gt_i32_e32 vcc, 0, v3
	v_add_f64 v[10:11], -v[6:7], s[38:39]
	v_cmp_class_f64_e64 s[2:3], v[4:5], s65
	v_cmp_class_f64_e64 s[60:61], v[2:3], s65
	v_cndmask_b32_e32 v1, v109, v110, vcc
	v_cndmask_b32_e32 v8, v111, v112, vcc
	;; [unrolled: 1-line block ×4, first 2 shown]
	v_cmp_eq_f64_e32 vcc, 0, v[4:5]
	v_bfi_b32 v8, s8, v8, v5
	v_cndmask_b32_e32 v6, v6, v14, vcc
	v_cndmask_b32_e32 v7, v7, v12, vcc
	s_and_b64 vcc, s[60:61], s[2:3]
	v_cndmask_b32_e32 v33, v7, v8, vcc
	v_cndmask_b32_e32 v32, v6, v1, vcc
.LBB168_120:                            ;   in Loop: Header=BB168_5 Depth=1
	s_or_b64 exec, exec, s[58:59]
.LBB168_121:                            ;   in Loop: Header=BB168_5 Depth=1
	s_or_b64 exec, exec, s[56:57]
.LBB168_122:                            ;   in Loop: Header=BB168_5 Depth=1
	s_andn2_saveexec_b64 s[54:55], s[54:55]
	s_cbranch_execz .LBB168_124
; %bb.123:                              ;   in Loop: Header=BB168_5 Depth=1
	v_max_f64 v[6:7], |v[4:5]|, |v[4:5]|
	v_max_f64 v[10:11], |v[2:3]|, |v[2:3]|
	v_max_f64 v[14:15], v[10:11], v[6:7]
	v_frexp_exp_i32_f64_e32 v1, v[14:15]
	v_sub_u32_e32 v8, 0, v1
	v_ldexp_f64 v[32:33], |v[4:5]|, v8
	v_ldexp_f64 v[30:31], |v[2:3]|, v8
	v_mul_f64 v[32:33], v[32:33], v[32:33]
	v_fmac_f64_e32 v[32:33], v[30:31], v[30:31]
	v_rsq_f64_e32 v[30:31], v[32:33]
	v_cmp_eq_f64_e32 vcc, 0, v[32:33]
	v_cmp_class_f64_e64 s[56:57], v[2:3], s65
	v_cmp_class_f64_e64 s[58:59], v[4:5], s65
	v_mul_f64 v[90:91], v[32:33], v[30:31]
	v_mul_f64 v[30:31], v[30:31], 0.5
	v_fma_f64 v[92:93], -v[30:31], v[90:91], 0.5
	v_fmac_f64_e32 v[90:91], v[90:91], v[92:93]
	v_fmac_f64_e32 v[30:31], v[30:31], v[92:93]
	v_fma_f64 v[92:93], -v[90:91], v[90:91], v[32:33]
	v_fmac_f64_e32 v[90:91], v[92:93], v[30:31]
	v_cndmask_b32_e32 v31, v91, v33, vcc
	v_cndmask_b32_e32 v30, v90, v32, vcc
	v_ldexp_f64 v[30:31], v[30:31], v1
	s_or_b64 vcc, s[56:57], s[58:59]
	v_cndmask_b32_e32 v33, v31, v114, vcc
	v_cndmask_b32_e64 v32, v30, 0, vcc
	v_frexp_mant_f64_e32 v[90:91], v[32:33]
	v_cmp_gt_f64_e64 s[2:3], s[22:23], v[90:91]
	v_cndmask_b32_e64 v35, v113, 2.0, s[2:3]
	v_mul_f64 v[90:91], v[90:91], v[34:35]
	v_add_f64 v[92:93], v[90:91], 1.0
	v_rcp_f64_e32 v[94:95], v[92:93]
	v_add_f64 v[98:99], v[92:93], -1.0
	v_add_f64 v[96:97], v[90:91], -1.0
	v_add_f64 v[90:91], v[90:91], -v[98:99]
	v_fma_f64 v[98:99], -v[92:93], v[94:95], 1.0
	v_fmac_f64_e32 v[94:95], v[98:99], v[94:95]
	v_fma_f64 v[98:99], -v[92:93], v[94:95], 1.0
	v_fmac_f64_e32 v[94:95], v[98:99], v[94:95]
	v_mul_f64 v[98:99], v[96:97], v[94:95]
	v_mul_f64 v[100:101], v[92:93], v[98:99]
	v_fma_f64 v[92:93], v[98:99], v[92:93], -v[100:101]
	v_fmac_f64_e32 v[92:93], v[98:99], v[90:91]
	v_add_f64 v[90:91], v[100:101], v[92:93]
	v_add_f64 v[102:103], v[96:97], -v[90:91]
	v_add_f64 v[100:101], v[90:91], -v[100:101]
	;; [unrolled: 1-line block ×5, first 2 shown]
	v_add_f64 v[90:91], v[92:93], v[90:91]
	v_add_f64 v[90:91], v[102:103], v[90:91]
	v_mul_f64 v[90:91], v[94:95], v[90:91]
	v_add_f64 v[92:93], v[98:99], v[90:91]
	v_add_f64 v[94:95], v[92:93], -v[98:99]
	v_add_f64 v[90:91], v[90:91], -v[94:95]
	v_mul_f64 v[94:95], v[92:93], v[92:93]
	v_pk_mov_b32 v[96:97], v[36:37], v[36:37] op_sel:[0,1]
	v_fmac_f64_e32 v[96:97], s[24:25], v[94:95]
	v_pk_mov_b32 v[98:99], v[38:39], v[38:39] op_sel:[0,1]
	v_fmac_f64_e32 v[98:99], v[94:95], v[96:97]
	;; [unrolled: 2-line block ×6, first 2 shown]
	v_ldexp_f64 v[96:97], v[92:93], 1
	v_mul_f64 v[92:93], v[92:93], v[94:95]
	v_mul_f64 v[92:93], v[92:93], v[98:99]
	v_add_f64 v[94:95], v[96:97], v[92:93]
	v_add_f64 v[96:97], v[94:95], -v[96:97]
	v_ldexp_f64 v[90:91], v[90:91], 1
	v_add_f64 v[92:93], v[92:93], -v[96:97]
	v_add_f64 v[90:91], v[90:91], v[92:93]
	v_frexp_exp_i32_f64_e32 v1, v[32:33]
	v_add_f64 v[92:93], v[94:95], v[90:91]
	v_subbrev_co_u32_e64 v1, s[2:3], 0, v1, s[2:3]
	v_add_f64 v[94:95], v[92:93], -v[94:95]
	v_add_f64 v[90:91], v[90:91], -v[94:95]
	v_cvt_f64_i32_e32 v[94:95], v1
	v_mul_f64 v[96:97], v[94:95], s[26:27]
	v_fma_f64 v[98:99], v[94:95], s[26:27], -v[96:97]
	v_fmac_f64_e32 v[98:99], s[28:29], v[94:95]
	v_add_f64 v[94:95], v[96:97], v[98:99]
	v_add_f64 v[96:97], v[94:95], -v[96:97]
	v_add_f64 v[96:97], v[98:99], -v[96:97]
	v_add_f64 v[98:99], v[94:95], v[92:93]
	v_add_f64 v[100:101], v[98:99], -v[94:95]
	v_add_f64 v[102:103], v[98:99], -v[100:101]
	;; [unrolled: 1-line block ×4, first 2 shown]
	v_add_f64 v[92:93], v[92:93], v[94:95]
	v_add_f64 v[94:95], v[96:97], v[90:91]
	v_add_f64 v[100:101], v[94:95], -v[96:97]
	v_add_f64 v[102:103], v[94:95], -v[100:101]
	v_add_f64 v[92:93], v[94:95], v[92:93]
	v_add_f64 v[96:97], v[96:97], -v[102:103]
	v_add_f64 v[90:91], v[90:91], -v[100:101]
	v_add_f64 v[94:95], v[98:99], v[92:93]
	v_add_f64 v[90:91], v[90:91], v[96:97]
	v_add_f64 v[96:97], v[94:95], -v[98:99]
	v_add_f64 v[92:93], v[92:93], -v[96:97]
	v_add_f64 v[90:91], v[90:91], v[92:93]
	v_add_f64 v[90:91], v[94:95], v[90:91]
	v_cmp_class_f64_e64 s[2:3], v[30:31], s65
	v_min_f64 v[6:7], v[10:11], v[6:7]
	v_cndmask_b32_e64 v1, v91, v31, s[2:3]
	v_cndmask_b32_e64 v8, v90, v30, s[2:3]
	v_div_scale_f64 v[10:11], s[2:3], v[14:15], v[14:15], v[6:7]
	v_rcp_f64_e32 v[90:91], v[10:11]
	v_cndmask_b32_e64 v8, v8, 0, vcc
	v_cndmask_b32_e32 v1, v1, v114, vcc
	v_cmp_ngt_f64_e32 vcc, 0, v[32:33]
	v_cndmask_b32_e32 v1, v107, v1, vcc
	v_cmp_nge_f64_e32 vcc, 0, v[32:33]
	v_cndmask_b32_e32 v30, 0, v8, vcc
	v_cmp_neq_f64_e32 vcc, 0, v[32:33]
	v_fma_f64 v[32:33], -v[10:11], v[90:91], 1.0
	v_fmac_f64_e32 v[90:91], v[90:91], v[32:33]
	v_fma_f64 v[32:33], -v[10:11], v[90:91], 1.0
	v_cndmask_b32_e32 v31, v108, v1, vcc
	v_fmac_f64_e32 v[90:91], v[90:91], v[32:33]
	v_div_scale_f64 v[32:33], vcc, v[6:7], v[14:15], v[6:7]
	v_mul_f64 v[92:93], v[32:33], v[90:91]
	v_fma_f64 v[10:11], -v[10:11], v[92:93], v[32:33]
	v_pk_mov_b32 v[32:33], v[50:51], v[50:51] op_sel:[0,1]
	s_nop 0
	v_div_fmas_f64 v[10:11], v[10:11], v[90:91], v[92:93]
	v_div_fixup_f64 v[6:7], v[10:11], v[14:15], v[6:7]
	v_mul_f64 v[10:11], v[6:7], v[6:7]
	v_pk_mov_b32 v[14:15], v[48:49], v[48:49] op_sel:[0,1]
	v_fmac_f64_e32 v[14:15], s[34:35], v[10:11]
	v_fmac_f64_e32 v[32:33], v[10:11], v[14:15]
	v_pk_mov_b32 v[14:15], v[52:53], v[52:53] op_sel:[0,1]
	v_fmac_f64_e32 v[14:15], v[10:11], v[32:33]
	v_pk_mov_b32 v[32:33], v[54:55], v[54:55] op_sel:[0,1]
	;; [unrolled: 2-line block ×17, first 2 shown]
	v_fmac_f64_e32 v[14:15], v[10:11], v[32:33]
	v_mul_f64 v[10:11], v[10:11], v[14:15]
	v_fmac_f64_e32 v[6:7], v[6:7], v[10:11]
	v_ashrrev_i32_e32 v10, 31, v3
	v_and_b32_e32 v12, 0x400921fb, v10
	v_and_b32_e32 v14, 0x54442d18, v10
	v_add_f64 v[10:11], -v[6:7], s[36:37]
	v_cndmask_b32_e64 v7, v7, v11, s[0:1]
	v_cndmask_b32_e64 v6, v6, v10, s[0:1]
	s_mov_b32 s38, s36
	v_cmp_gt_i32_e32 vcc, 0, v3
	v_add_f64 v[10:11], -v[6:7], s[38:39]
	v_cndmask_b32_e32 v1, v109, v110, vcc
	v_cndmask_b32_e32 v8, v111, v112, vcc
	;; [unrolled: 1-line block ×4, first 2 shown]
	v_cmp_eq_f64_e32 vcc, 0, v[4:5]
	v_bfi_b32 v8, s8, v8, v5
	v_cndmask_b32_e32 v6, v6, v14, vcc
	v_cndmask_b32_e32 v7, v7, v12, vcc
	s_and_b64 vcc, s[56:57], s[58:59]
	v_cndmask_b32_e32 v33, v7, v8, vcc
	v_cndmask_b32_e32 v32, v6, v1, vcc
.LBB168_124:                            ;   in Loop: Header=BB168_5 Depth=1
	s_or_b64 exec, exec, s[54:55]
                                        ; implicit-def: $vgpr6_vgpr7
.LBB168_125:                            ;   in Loop: Header=BB168_5 Depth=1
	s_andn2_saveexec_b64 s[2:3], s[52:53]
	s_cbranch_execz .LBB168_131
; %bb.126:                              ;   in Loop: Header=BB168_5 Depth=1
	v_cmp_ngt_f64_e32 vcc, s[42:43], v[6:7]
                                        ; implicit-def: $vgpr30_vgpr31
	s_and_saveexec_b64 s[52:53], vcc
	s_xor_b64 s[52:53], exec, s[52:53]
	s_cbranch_execz .LBB168_128
; %bb.127:                              ;   in Loop: Header=BB168_5 Depth=1
	v_mul_f64 v[6:7], v[6:7], v[6:7]
	v_add_f64 v[10:11], v[6:7], 1.0
	v_add_f64 v[14:15], v[10:11], -1.0
	v_add_f64 v[30:31], v[14:15], -v[10:11]
	v_add_f64 v[30:31], v[30:31], 1.0
	v_add_f64 v[14:15], v[6:7], -v[14:15]
	v_add_f64 v[14:15], v[14:15], v[30:31]
	v_frexp_mant_f64_e32 v[30:31], v[10:11]
	v_frexp_exp_i32_f64_e32 v1, v[10:11]
	v_cmp_gt_f64_e32 vcc, s[22:23], v[30:31]
	v_subbrev_co_u32_e32 v1, vcc, 0, v1, vcc
	v_sub_u32_e32 v8, 0, v1
	v_ldexp_f64 v[10:11], v[10:11], v8
	v_add_f64 v[30:31], v[10:11], -1.0
	v_add_f64 v[92:93], v[10:11], 1.0
	v_add_f64 v[32:33], v[30:31], 1.0
	v_add_f64 v[94:95], v[92:93], -1.0
	v_ldexp_f64 v[14:15], v[14:15], v8
	v_add_f64 v[32:33], v[10:11], -v[32:33]
	v_add_f64 v[10:11], v[10:11], -v[94:95]
	v_add_f64 v[10:11], v[14:15], v[10:11]
	v_add_f64 v[32:33], v[14:15], v[32:33]
	;; [unrolled: 1-line block ×3, first 2 shown]
	v_rcp_f64_e32 v[94:95], v[14:15]
	v_add_f64 v[90:91], v[30:31], v[32:33]
	v_add_f64 v[30:31], v[30:31], -v[90:91]
	v_add_f64 v[30:31], v[32:33], v[30:31]
	v_add_f64 v[32:33], v[92:93], -v[14:15]
	v_add_f64 v[10:11], v[10:11], v[32:33]
	v_fma_f64 v[32:33], -v[14:15], v[94:95], 1.0
	v_fmac_f64_e32 v[94:95], v[32:33], v[94:95]
	v_fma_f64 v[32:33], -v[14:15], v[94:95], 1.0
	v_fmac_f64_e32 v[94:95], v[32:33], v[94:95]
	v_mul_f64 v[32:33], v[90:91], v[94:95]
	v_mul_f64 v[92:93], v[14:15], v[32:33]
	v_fma_f64 v[96:97], v[32:33], v[14:15], -v[92:93]
	v_fmac_f64_e32 v[96:97], v[32:33], v[10:11]
	v_add_f64 v[98:99], v[92:93], v[96:97]
	v_add_f64 v[100:101], v[90:91], -v[98:99]
	v_add_f64 v[90:91], v[90:91], -v[100:101]
	;; [unrolled: 1-line block ×4, first 2 shown]
	v_add_f64 v[30:31], v[30:31], v[90:91]
	v_add_f64 v[90:91], v[92:93], -v[96:97]
	v_add_f64 v[30:31], v[90:91], v[30:31]
	v_add_f64 v[90:91], v[100:101], v[30:31]
	v_add_f64 v[92:93], v[100:101], -v[90:91]
	v_add_f64 v[30:31], v[30:31], v[92:93]
	v_mul_f64 v[92:93], v[94:95], v[90:91]
	v_mul_f64 v[96:97], v[14:15], v[92:93]
	v_fma_f64 v[14:15], v[92:93], v[14:15], -v[96:97]
	v_fmac_f64_e32 v[14:15], v[92:93], v[10:11]
	v_add_f64 v[10:11], v[96:97], v[14:15]
	v_add_f64 v[98:99], v[90:91], -v[10:11]
	v_add_f64 v[90:91], v[90:91], -v[98:99]
	;; [unrolled: 1-line block ×4, first 2 shown]
	v_add_f64 v[10:11], v[30:31], v[10:11]
	v_add_f64 v[14:15], v[96:97], -v[14:15]
	v_add_f64 v[10:11], v[14:15], v[10:11]
	v_add_f64 v[14:15], v[32:33], v[92:93]
	;; [unrolled: 1-line block ×3, first 2 shown]
	v_add_f64 v[30:31], v[14:15], -v[32:33]
	v_mul_f64 v[10:11], v[94:95], v[10:11]
	v_add_f64 v[30:31], v[92:93], -v[30:31]
	v_add_f64 v[10:11], v[30:31], v[10:11]
	v_add_f64 v[30:31], v[14:15], v[10:11]
	v_add_f64 v[14:15], v[30:31], -v[14:15]
	v_add_f64 v[10:11], v[10:11], -v[14:15]
	v_mul_f64 v[14:15], v[30:31], v[30:31]
	v_pk_mov_b32 v[32:33], v[36:37], v[36:37] op_sel:[0,1]
	v_fmac_f64_e32 v[32:33], s[24:25], v[14:15]
	v_pk_mov_b32 v[90:91], v[38:39], v[38:39] op_sel:[0,1]
	v_fmac_f64_e32 v[90:91], v[14:15], v[32:33]
	v_pk_mov_b32 v[32:33], v[40:41], v[40:41] op_sel:[0,1]
	v_fmac_f64_e32 v[32:33], v[14:15], v[90:91]
	v_pk_mov_b32 v[90:91], v[42:43], v[42:43] op_sel:[0,1]
	v_fmac_f64_e32 v[90:91], v[14:15], v[32:33]
	v_pk_mov_b32 v[32:33], v[44:45], v[44:45] op_sel:[0,1]
	v_fmac_f64_e32 v[32:33], v[14:15], v[90:91]
	v_pk_mov_b32 v[90:91], v[46:47], v[46:47] op_sel:[0,1]
	v_fmac_f64_e32 v[90:91], v[14:15], v[32:33]
	v_cvt_f64_i32_e32 v[32:33], v1
	v_mul_f64 v[92:93], v[32:33], s[26:27]
	v_fma_f64 v[94:95], v[32:33], s[26:27], -v[92:93]
	v_fmac_f64_e32 v[94:95], s[28:29], v[32:33]
	v_add_f64 v[32:33], v[92:93], v[94:95]
	v_add_f64 v[92:93], v[32:33], -v[92:93]
	v_mul_f64 v[14:15], v[30:31], v[14:15]
	v_add_f64 v[92:93], v[94:95], -v[92:93]
	v_ldexp_f64 v[94:95], v[30:31], 1
	v_mul_f64 v[14:15], v[14:15], v[90:91]
	v_add_f64 v[30:31], v[94:95], v[14:15]
	v_add_f64 v[90:91], v[30:31], -v[94:95]
	v_ldexp_f64 v[10:11], v[10:11], 1
	v_add_f64 v[14:15], v[14:15], -v[90:91]
	v_add_f64 v[10:11], v[10:11], v[14:15]
	v_add_f64 v[14:15], v[30:31], v[10:11]
	v_add_f64 v[30:31], v[14:15], -v[30:31]
	v_add_f64 v[10:11], v[10:11], -v[30:31]
	v_add_f64 v[30:31], v[32:33], v[14:15]
	v_add_f64 v[90:91], v[30:31], -v[32:33]
	v_add_f64 v[94:95], v[30:31], -v[90:91]
	;; [unrolled: 1-line block ×4, first 2 shown]
	v_add_f64 v[14:15], v[14:15], v[32:33]
	v_add_f64 v[32:33], v[92:93], v[10:11]
	v_add_f64 v[90:91], v[32:33], -v[92:93]
	v_add_f64 v[14:15], v[32:33], v[14:15]
	v_add_f64 v[94:95], v[32:33], -v[90:91]
	;; [unrolled: 2-line block ×3, first 2 shown]
	v_add_f64 v[10:11], v[10:11], -v[90:91]
	v_add_f64 v[30:31], v[32:33], -v[30:31]
	v_add_f64 v[10:11], v[10:11], v[92:93]
	v_add_f64 v[14:15], v[14:15], -v[30:31]
	v_add_f64 v[10:11], v[10:11], v[14:15]
	v_max_f64 v[14:15], |v[4:5]|, |v[4:5]|
	v_max_f64 v[30:31], |v[2:3]|, |v[2:3]|
	v_add_f64 v[10:11], v[32:33], v[10:11]
	v_max_f64 v[32:33], v[30:31], v[14:15]
	v_min_f64 v[14:15], v[30:31], v[14:15]
	v_div_scale_f64 v[90:91], s[54:55], v[32:33], v[32:33], v[14:15]
	v_rcp_f64_e32 v[92:93], v[90:91]
	v_cmp_eq_f64_e32 vcc, s[30:31], v[6:7]
	v_cndmask_b32_e32 v7, v11, v7, vcc
	v_cndmask_b32_e32 v6, v10, v6, vcc
	v_mul_f64 v[30:31], v[6:7], 0.5
	v_fma_f64 v[6:7], -v[90:91], v[92:93], 1.0
	v_fmac_f64_e32 v[92:93], v[92:93], v[6:7]
	v_fma_f64 v[6:7], -v[90:91], v[92:93], 1.0
	v_fmac_f64_e32 v[92:93], v[92:93], v[6:7]
	v_div_scale_f64 v[6:7], vcc, v[14:15], v[32:33], v[14:15]
	v_mul_f64 v[10:11], v[6:7], v[92:93]
	v_fma_f64 v[6:7], -v[90:91], v[10:11], v[6:7]
	s_mov_b32 s38, s36
	s_nop 0
	v_div_fmas_f64 v[6:7], v[6:7], v[92:93], v[10:11]
	v_div_fixup_f64 v[6:7], v[6:7], v[32:33], v[14:15]
	v_mul_f64 v[10:11], v[6:7], v[6:7]
	v_pk_mov_b32 v[14:15], v[48:49], v[48:49] op_sel:[0,1]
	v_fmac_f64_e32 v[14:15], s[34:35], v[10:11]
	v_pk_mov_b32 v[32:33], v[50:51], v[50:51] op_sel:[0,1]
	v_fmac_f64_e32 v[32:33], v[10:11], v[14:15]
	;; [unrolled: 2-line block ×19, first 2 shown]
	v_mul_f64 v[10:11], v[10:11], v[14:15]
	v_fmac_f64_e32 v[6:7], v[6:7], v[10:11]
	v_ashrrev_i32_e32 v10, 31, v3
	v_and_b32_e32 v12, 0x400921fb, v10
	v_and_b32_e32 v14, 0x54442d18, v10
	v_add_f64 v[10:11], -v[6:7], s[36:37]
	v_cndmask_b32_e64 v7, v7, v11, s[0:1]
	v_cndmask_b32_e64 v6, v6, v10, s[0:1]
	v_cmp_gt_i32_e32 vcc, 0, v3
	v_add_f64 v[10:11], -v[6:7], s[38:39]
	v_cmp_class_f64_e64 s[54:55], v[4:5], s65
	v_cmp_class_f64_e64 s[56:57], v[2:3], s65
	v_cndmask_b32_e32 v1, v109, v110, vcc
	v_cndmask_b32_e32 v8, v111, v112, vcc
	;; [unrolled: 1-line block ×4, first 2 shown]
	v_cmp_eq_f64_e32 vcc, 0, v[4:5]
	v_bfi_b32 v8, s8, v8, v5
	v_cndmask_b32_e32 v6, v6, v14, vcc
	v_cndmask_b32_e32 v7, v7, v12, vcc
	s_and_b64 vcc, s[56:57], s[54:55]
	v_cndmask_b32_e32 v33, v7, v8, vcc
	v_cndmask_b32_e32 v32, v6, v1, vcc
                                        ; implicit-def: $vgpr6_vgpr7
.LBB168_128:                            ;   in Loop: Header=BB168_5 Depth=1
	s_andn2_saveexec_b64 s[52:53], s[52:53]
	s_cbranch_execz .LBB168_130
; %bb.129:                              ;   in Loop: Header=BB168_5 Depth=1
	v_max_f64 v[10:11], |v[4:5]|, |v[4:5]|
	v_max_f64 v[14:15], |v[2:3]|, |v[2:3]|
	v_max_f64 v[32:33], v[14:15], v[10:11]
	v_min_f64 v[10:11], v[14:15], v[10:11]
	v_div_scale_f64 v[14:15], s[54:55], v[32:33], v[32:33], v[10:11]
	v_rcp_f64_e32 v[90:91], v[14:15]
	v_mul_f64 v[30:31], v[6:7], 0.5
	v_mul_f64 v[30:31], v[6:7], v[30:31]
	s_mov_b32 s38, s36
	v_fma_f64 v[6:7], -v[14:15], v[90:91], 1.0
	v_fmac_f64_e32 v[90:91], v[90:91], v[6:7]
	v_fma_f64 v[6:7], -v[14:15], v[90:91], 1.0
	v_fmac_f64_e32 v[90:91], v[90:91], v[6:7]
	v_div_scale_f64 v[6:7], vcc, v[10:11], v[32:33], v[10:11]
	v_mul_f64 v[92:93], v[6:7], v[90:91]
	v_fma_f64 v[6:7], -v[14:15], v[92:93], v[6:7]
	v_pk_mov_b32 v[14:15], v[48:49], v[48:49] op_sel:[0,1]
	s_nop 0
	v_div_fmas_f64 v[6:7], v[6:7], v[90:91], v[92:93]
	v_div_fixup_f64 v[6:7], v[6:7], v[32:33], v[10:11]
	v_mul_f64 v[10:11], v[6:7], v[6:7]
	v_fmac_f64_e32 v[14:15], s[34:35], v[10:11]
	v_pk_mov_b32 v[32:33], v[50:51], v[50:51] op_sel:[0,1]
	v_fmac_f64_e32 v[32:33], v[10:11], v[14:15]
	v_pk_mov_b32 v[14:15], v[52:53], v[52:53] op_sel:[0,1]
	;; [unrolled: 2-line block ×18, first 2 shown]
	v_fmac_f64_e32 v[14:15], v[10:11], v[32:33]
	v_mul_f64 v[10:11], v[10:11], v[14:15]
	v_fmac_f64_e32 v[6:7], v[6:7], v[10:11]
	v_ashrrev_i32_e32 v10, 31, v3
	v_and_b32_e32 v12, 0x400921fb, v10
	v_and_b32_e32 v14, 0x54442d18, v10
	v_add_f64 v[10:11], -v[6:7], s[36:37]
	v_cndmask_b32_e64 v7, v7, v11, s[0:1]
	v_cndmask_b32_e64 v6, v6, v10, s[0:1]
	v_cmp_gt_i32_e32 vcc, 0, v3
	v_add_f64 v[10:11], -v[6:7], s[38:39]
	v_cmp_class_f64_e64 s[54:55], v[4:5], s65
	v_cmp_class_f64_e64 s[56:57], v[2:3], s65
	v_cndmask_b32_e32 v1, v109, v110, vcc
	v_cndmask_b32_e32 v8, v111, v112, vcc
	;; [unrolled: 1-line block ×4, first 2 shown]
	v_cmp_eq_f64_e32 vcc, 0, v[4:5]
	v_bfi_b32 v8, s8, v8, v5
	v_cndmask_b32_e32 v6, v6, v14, vcc
	v_cndmask_b32_e32 v7, v7, v12, vcc
	s_and_b64 vcc, s[56:57], s[54:55]
	v_cndmask_b32_e32 v33, v7, v8, vcc
	v_cndmask_b32_e32 v32, v6, v1, vcc
.LBB168_130:                            ;   in Loop: Header=BB168_5 Depth=1
	s_or_b64 exec, exec, s[52:53]
.LBB168_131:                            ;   in Loop: Header=BB168_5 Depth=1
	s_or_b64 exec, exec, s[2:3]
.LBB168_132:                            ;   in Loop: Header=BB168_5 Depth=1
	s_andn2_saveexec_b64 s[52:53], s[6:7]
	s_cbranch_execz .LBB168_134
; %bb.133:                              ;   in Loop: Header=BB168_5 Depth=1
	v_div_scale_f64 v[6:7], s[2:3], s[44:45], s[44:45], v[2:3]
	v_rcp_f64_e32 v[10:11], v[6:7]
	v_div_scale_f64 v[14:15], vcc, v[2:3], s[44:45], v[2:3]
	s_mov_b32 s38, s36
	v_fma_f64 v[30:31], -v[6:7], v[10:11], 1.0
	v_fmac_f64_e32 v[10:11], v[10:11], v[30:31]
	v_fma_f64 v[30:31], -v[6:7], v[10:11], 1.0
	v_fmac_f64_e32 v[10:11], v[10:11], v[30:31]
	v_mul_f64 v[30:31], v[14:15], v[10:11]
	v_fma_f64 v[6:7], -v[6:7], v[30:31], v[14:15]
	v_div_scale_f64 v[14:15], s[2:3], s[44:45], s[44:45], v[4:5]
	v_rcp_f64_e32 v[32:33], v[14:15]
	v_div_fmas_f64 v[6:7], v[6:7], v[10:11], v[30:31]
	v_div_fixup_f64 v[6:7], v[6:7], s[44:45], v[2:3]
	v_cmp_class_f64_e64 s[6:7], v[6:7], s65
	v_fma_f64 v[10:11], -v[14:15], v[32:33], 1.0
	v_fmac_f64_e32 v[32:33], v[32:33], v[10:11]
	v_fma_f64 v[10:11], -v[14:15], v[32:33], 1.0
	v_fmac_f64_e32 v[32:33], v[32:33], v[10:11]
	v_div_scale_f64 v[10:11], vcc, v[4:5], s[44:45], v[4:5]
	v_mul_f64 v[30:31], v[10:11], v[32:33]
	v_fma_f64 v[10:11], -v[14:15], v[30:31], v[10:11]
	s_nop 1
	v_div_fmas_f64 v[10:11], v[10:11], v[32:33], v[30:31]
	v_div_fixup_f64 v[10:11], v[10:11], s[44:45], v[4:5]
	v_max_f64 v[14:15], |v[6:7]|, |v[10:11]|
	v_frexp_exp_i32_f64_e32 v1, v[14:15]
	v_sub_u32_e32 v8, 0, v1
	v_ldexp_f64 v[30:31], |v[10:11]|, v8
	v_ldexp_f64 v[14:15], |v[6:7]|, v8
	v_mul_f64 v[30:31], v[30:31], v[30:31]
	v_fmac_f64_e32 v[30:31], v[14:15], v[14:15]
	v_rsq_f64_e32 v[14:15], v[30:31]
	v_cmp_eq_f64_e32 vcc, 0, v[30:31]
	v_cmp_o_f64_e64 s[2:3], v[6:7], v[10:11]
	v_cmp_class_f64_e64 s[54:55], v[10:11], s65
	v_mul_f64 v[32:33], v[30:31], v[14:15]
	v_mul_f64 v[14:15], v[14:15], 0.5
	v_fma_f64 v[90:91], -v[14:15], v[32:33], 0.5
	v_fmac_f64_e32 v[32:33], v[32:33], v[90:91]
	v_fmac_f64_e32 v[14:15], v[14:15], v[90:91]
	v_fma_f64 v[90:91], -v[32:33], v[32:33], v[30:31]
	v_fmac_f64_e32 v[32:33], v[90:91], v[14:15]
	v_cndmask_b32_e32 v15, v33, v31, vcc
	v_cndmask_b32_e32 v14, v32, v30, vcc
	v_ldexp_f64 v[14:15], v[14:15], v1
	v_cndmask_b32_e64 v1, 0, v14, s[2:3]
	v_cndmask_b32_e64 v8, v107, v15, s[2:3]
	s_or_b64 vcc, s[6:7], s[54:55]
	v_cndmask_b32_e32 v7, v8, v114, vcc
	v_cndmask_b32_e64 v6, v1, 0, vcc
	v_frexp_mant_f64_e32 v[10:11], v[6:7]
	v_cmp_gt_f64_e64 s[6:7], s[22:23], v[10:11]
	v_cndmask_b32_e64 v35, v113, 2.0, s[6:7]
	v_mul_f64 v[10:11], v[10:11], v[34:35]
	v_add_f64 v[30:31], v[10:11], 1.0
	v_rcp_f64_e32 v[32:33], v[30:31]
	v_add_f64 v[92:93], v[30:31], -1.0
	v_add_f64 v[90:91], v[10:11], -1.0
	v_add_f64 v[10:11], v[10:11], -v[92:93]
	v_fma_f64 v[92:93], -v[30:31], v[32:33], 1.0
	v_fmac_f64_e32 v[32:33], v[92:93], v[32:33]
	v_fma_f64 v[92:93], -v[30:31], v[32:33], 1.0
	v_fmac_f64_e32 v[32:33], v[92:93], v[32:33]
	v_mul_f64 v[92:93], v[90:91], v[32:33]
	v_mul_f64 v[94:95], v[30:31], v[92:93]
	v_fma_f64 v[30:31], v[92:93], v[30:31], -v[94:95]
	v_fmac_f64_e32 v[30:31], v[92:93], v[10:11]
	v_add_f64 v[10:11], v[94:95], v[30:31]
	v_add_f64 v[96:97], v[90:91], -v[10:11]
	v_add_f64 v[94:95], v[10:11], -v[94:95]
	;; [unrolled: 1-line block ×5, first 2 shown]
	v_add_f64 v[10:11], v[30:31], v[10:11]
	v_add_f64 v[10:11], v[96:97], v[10:11]
	v_mul_f64 v[10:11], v[32:33], v[10:11]
	v_add_f64 v[30:31], v[92:93], v[10:11]
	v_add_f64 v[32:33], v[30:31], -v[92:93]
	v_add_f64 v[10:11], v[10:11], -v[32:33]
	v_mul_f64 v[32:33], v[30:31], v[30:31]
	v_pk_mov_b32 v[90:91], v[36:37], v[36:37] op_sel:[0,1]
	v_fmac_f64_e32 v[90:91], s[24:25], v[32:33]
	v_pk_mov_b32 v[92:93], v[38:39], v[38:39] op_sel:[0,1]
	v_fmac_f64_e32 v[92:93], v[32:33], v[90:91]
	;; [unrolled: 2-line block ×6, first 2 shown]
	v_ldexp_f64 v[90:91], v[30:31], 1
	v_mul_f64 v[30:31], v[30:31], v[32:33]
	v_mul_f64 v[30:31], v[30:31], v[92:93]
	v_add_f64 v[32:33], v[90:91], v[30:31]
	v_add_f64 v[90:91], v[32:33], -v[90:91]
	v_ldexp_f64 v[10:11], v[10:11], 1
	v_add_f64 v[30:31], v[30:31], -v[90:91]
	v_add_f64 v[10:11], v[10:11], v[30:31]
	v_frexp_exp_i32_f64_e32 v12, v[6:7]
	v_add_f64 v[30:31], v[32:33], v[10:11]
	v_subbrev_co_u32_e64 v12, s[6:7], 0, v12, s[6:7]
	v_add_f64 v[32:33], v[30:31], -v[32:33]
	v_add_f64 v[10:11], v[10:11], -v[32:33]
	v_cvt_f64_i32_e32 v[32:33], v12
	v_mul_f64 v[90:91], v[32:33], s[26:27]
	v_fma_f64 v[92:93], v[32:33], s[26:27], -v[90:91]
	v_fmac_f64_e32 v[92:93], s[28:29], v[32:33]
	v_add_f64 v[32:33], v[90:91], v[92:93]
	v_add_f64 v[90:91], v[32:33], -v[90:91]
	v_add_f64 v[90:91], v[92:93], -v[90:91]
	v_add_f64 v[92:93], v[32:33], v[30:31]
	v_add_f64 v[94:95], v[92:93], -v[32:33]
	v_add_f64 v[96:97], v[92:93], -v[94:95]
	;; [unrolled: 1-line block ×4, first 2 shown]
	v_add_f64 v[30:31], v[30:31], v[32:33]
	v_add_f64 v[32:33], v[90:91], v[10:11]
	v_add_f64 v[94:95], v[32:33], -v[90:91]
	v_add_f64 v[96:97], v[32:33], -v[94:95]
	v_add_f64 v[30:31], v[32:33], v[30:31]
	v_add_f64 v[90:91], v[90:91], -v[96:97]
	v_add_f64 v[10:11], v[10:11], -v[94:95]
	v_add_f64 v[32:33], v[92:93], v[30:31]
	v_add_f64 v[10:11], v[10:11], v[90:91]
	v_add_f64 v[90:91], v[32:33], -v[92:93]
	v_add_f64 v[30:31], v[30:31], -v[90:91]
	v_and_b32_e32 v15, 0x7fffffff, v15
	v_add_f64 v[10:11], v[10:11], v[30:31]
	v_cmp_eq_f64_e64 s[6:7], s[30:31], v[14:15]
	v_add_f64 v[10:11], v[32:33], v[10:11]
	s_and_b64 s[2:3], s[2:3], s[6:7]
	v_cndmask_b32_e64 v11, v11, v8, s[2:3]
	v_cndmask_b32_e64 v10, v10, v1, s[2:3]
	v_add_f64 v[10:11], v[10:11], 1.0
	v_cndmask_b32_e64 v1, v10, 0, vcc
	v_cndmask_b32_e32 v8, v11, v114, vcc
	v_max_f64 v[10:11], |v[4:5]|, |v[4:5]|
	v_max_f64 v[14:15], |v[2:3]|, |v[2:3]|
	v_max_f64 v[32:33], v[14:15], v[10:11]
	v_min_f64 v[10:11], v[14:15], v[10:11]
	v_div_scale_f64 v[14:15], s[2:3], v[32:33], v[32:33], v[10:11]
	v_rcp_f64_e32 v[90:91], v[14:15]
	v_cmp_ngt_f64_e32 vcc, 0, v[6:7]
	v_cndmask_b32_e32 v8, v107, v8, vcc
	v_cmp_nge_f64_e32 vcc, 0, v[6:7]
	v_cndmask_b32_e32 v30, 0, v1, vcc
	v_cmp_neq_f64_e32 vcc, 0, v[6:7]
	v_fma_f64 v[6:7], -v[14:15], v[90:91], 1.0
	v_fmac_f64_e32 v[90:91], v[90:91], v[6:7]
	v_fma_f64 v[6:7], -v[14:15], v[90:91], 1.0
	v_cndmask_b32_e32 v31, v108, v8, vcc
	v_fmac_f64_e32 v[90:91], v[90:91], v[6:7]
	v_div_scale_f64 v[6:7], vcc, v[10:11], v[32:33], v[10:11]
	v_mul_f64 v[92:93], v[6:7], v[90:91]
	v_fma_f64 v[6:7], -v[14:15], v[92:93], v[6:7]
	v_pk_mov_b32 v[14:15], v[48:49], v[48:49] op_sel:[0,1]
	s_nop 0
	v_div_fmas_f64 v[6:7], v[6:7], v[90:91], v[92:93]
	v_div_fixup_f64 v[6:7], v[6:7], v[32:33], v[10:11]
	v_mul_f64 v[10:11], v[6:7], v[6:7]
	v_fmac_f64_e32 v[14:15], s[34:35], v[10:11]
	v_pk_mov_b32 v[32:33], v[50:51], v[50:51] op_sel:[0,1]
	v_fmac_f64_e32 v[32:33], v[10:11], v[14:15]
	v_pk_mov_b32 v[14:15], v[52:53], v[52:53] op_sel:[0,1]
	;; [unrolled: 2-line block ×18, first 2 shown]
	v_fmac_f64_e32 v[14:15], v[10:11], v[32:33]
	v_mul_f64 v[10:11], v[10:11], v[14:15]
	v_fmac_f64_e32 v[6:7], v[6:7], v[10:11]
	v_ashrrev_i32_e32 v10, 31, v3
	v_and_b32_e32 v12, 0x400921fb, v10
	v_and_b32_e32 v14, 0x54442d18, v10
	v_add_f64 v[10:11], -v[6:7], s[36:37]
	v_cndmask_b32_e64 v7, v7, v11, s[0:1]
	v_cndmask_b32_e64 v6, v6, v10, s[0:1]
	v_cmp_gt_i32_e32 vcc, 0, v3
	v_add_f64 v[10:11], -v[6:7], s[38:39]
	v_cmp_class_f64_e64 s[2:3], v[4:5], s65
	v_cmp_class_f64_e64 s[6:7], v[2:3], s65
	v_cndmask_b32_e32 v1, v109, v110, vcc
	v_cndmask_b32_e32 v8, v111, v112, vcc
	;; [unrolled: 1-line block ×4, first 2 shown]
	v_cmp_eq_f64_e32 vcc, 0, v[4:5]
	v_bfi_b32 v8, s8, v8, v5
	v_cndmask_b32_e32 v6, v6, v14, vcc
	v_cndmask_b32_e32 v7, v7, v12, vcc
	s_and_b64 vcc, s[6:7], s[2:3]
	v_cndmask_b32_e32 v33, v7, v8, vcc
	v_cndmask_b32_e32 v32, v6, v1, vcc
.LBB168_134:                            ;   in Loop: Header=BB168_5 Depth=1
	s_or_b64 exec, exec, s[52:53]
.LBB168_135:                            ;   in Loop: Header=BB168_5 Depth=1
	s_andn2_saveexec_b64 s[0:1], s[50:51]
	s_cbranch_execz .LBB168_4
; %bb.136:                              ;   in Loop: Header=BB168_5 Depth=1
	v_cmp_nlt_f64_e64 s[2:3], |v[2:3]|, s[46:47]
	v_cmp_nlt_f64_e64 s[6:7], |v[4:5]|, s[46:47]
	s_or_b64 s[2:3], s[2:3], s[6:7]
                                        ; implicit-def: $vgpr6_vgpr7
	s_and_saveexec_b64 s[6:7], s[2:3]
	s_xor_b64 s[2:3], exec, s[6:7]
; %bb.137:                              ;   in Loop: Header=BB168_5 Depth=1
	v_mul_f64 v[6:7], v[4:5], v[4:5]
	v_fmac_f64_e32 v[6:7], v[2:3], v[2:3]
; %bb.138:                              ;   in Loop: Header=BB168_5 Depth=1
	s_andn2_saveexec_b64 s[2:3], s[2:3]
	s_cbranch_execz .LBB168_3
; %bb.139:                              ;   in Loop: Header=BB168_5 Depth=1
	v_mul_f64 v[6:7], v[4:5], 4.0
	v_mul_f64 v[2:3], v[2:3], 4.0
	v_mul_f64 v[6:7], v[6:7], v[6:7]
	v_fmac_f64_e32 v[6:7], v[2:3], v[2:3]
	v_ldexp_f64 v[6:7], v[6:7], -4
	s_branch .LBB168_3
.LBB168_140:
	s_or_b64 exec, exec, s[10:11]
	s_mov_b64 s[0:1], 0
.LBB168_141:
	s_andn2_b64 vcc, exec, s[0:1]
	s_cbranch_vccnz .LBB168_297
; %bb.142:
	v_cmp_lt_i64_e64 s[0:1], s[14:15], 1
	s_and_b64 vcc, exec, s[0:1]
	s_cbranch_vccnz .LBB168_297
; %bb.143:
	s_load_dword s0, s[4:5], 0xc5c
	v_mov_b32_e32 v2, 0x10000
	v_mov_b32_e32 v3, 0
	v_cmp_lt_u64_e32 vcc, s[14:15], v[2:3]
	s_mov_b32 s2, 0
	s_waitcnt lgkmcnt(0)
	s_and_b32 s69, s0, 0xffff
	s_and_b64 s[0:1], vcc, exec
	s_mov_b32 s20, 0x85ebc8a0
	s_mov_b32 s22, 0x4ad4b81f
	;; [unrolled: 1-line block ×14, first 2 shown]
	s_cselect_b32 s17, s15, 0
	s_cselect_b32 s16, s14, 0x10000
	s_lshl_b32 s70, s69, 1
	s_mul_i32 s71, s69, 3
	s_mov_b32 s72, s2
	s_lshl_b32 s73, s69, 2
	s_mov_b64 s[18:19], 0
	v_mov_b32_e32 v110, s2
	v_mov_b32_e32 v111, s2
	s_brev_b32 s74, -2
	s_mov_b32 s21, 0x7fd1ccf3
	s_mov_b32 s23, 0x358dee7a
	;; [unrolled: 1-line block ×9, first 2 shown]
	s_movk_i32 s75, 0x204
	s_mov_b32 s41, 0x3ff921fb
	s_mov_b32 s43, 0x400921fb
	s_mov_b32 s45, 0x3fe66666
	s_mov_b32 s47, 0x20ca2fe7
	s_mov_b32 s49, 0x4005bf0a
	s_brev_b32 s51, 4
	v_mov_b32_e32 v34, 0x6b47b09a
	v_mov_b32_e32 v35, 0x3fc38538
	;; [unrolled: 1-line block ×59, first 2 shown]
	s_branch .LBB168_145
.LBB168_144:                            ;   in Loop: Header=BB168_145 Depth=1
	s_or_b64 exec, exec, s[0:1]
	s_add_u32 s18, s18, s73
	s_addc_u32 s19, s19, 0
	v_pk_mov_b32 v[2:3], s[14:15], s[14:15] op_sel:[0,1]
	v_cmp_ge_i64_e32 vcc, s[18:19], v[2:3]
	v_mov_b32_e32 v2, 0xffff
	v_mov_b32_e32 v3, 0
	v_cmp_gt_u64_e64 s[0:1], s[18:19], v[2:3]
	s_or_b64 s[0:1], vcc, s[0:1]
	s_and_b64 vcc, exec, s[0:1]
	s_cbranch_vccnz .LBB168_297
.LBB168_145:                            ; =>This Loop Header: Depth=1
                                        ;     Child Loop BB168_164 Depth 2
                                        ;     Child Loop BB168_198 Depth 2
	;; [unrolled: 1-line block ×4, first 2 shown]
	v_mov_b32_e32 v1, s19
	v_add_co_u32_e32 v86, vcc, s18, v0
	v_addc_co_u32_e32 v87, vcc, 0, v1, vcc
	v_pk_mov_b32 v[4:5], 0, 0
	v_cmp_gt_u64_e64 s[0:1], s[16:17], v[86:87]
	v_pk_mov_b32 v[8:9], v[4:5], v[4:5] op_sel:[0,1]
	v_pk_mov_b32 v[6:7], v[4:5], v[4:5] op_sel:[0,1]
	s_and_saveexec_b64 s[2:3], s[0:1]
	s_cbranch_execz .LBB168_147
; %bb.146:                              ;   in Loop: Header=BB168_145 Depth=1
	v_lshlrev_b64 v[2:3], 4, v[86:87]
	v_mov_b32_e32 v1, s66
	v_add_co_u32_e32 v2, vcc, s33, v2
	v_addc_co_u32_e32 v3, vcc, v1, v3, vcc
	global_load_dwordx4 v[6:9], v[2:3], off
.LBB168_147:                            ;   in Loop: Header=BB168_145 Depth=1
	s_or_b64 exec, exec, s[2:3]
	v_add_co_u32_e32 v88, vcc, s69, v86
	v_addc_co_u32_e32 v89, vcc, v87, v110, vcc
	v_cmp_gt_u64_e64 s[2:3], s[16:17], v[88:89]
	v_pk_mov_b32 v[2:3], v[4:5], v[4:5] op_sel:[0,1]
	s_and_saveexec_b64 s[4:5], s[2:3]
	s_cbranch_execz .LBB168_149
; %bb.148:                              ;   in Loop: Header=BB168_145 Depth=1
	v_lshlrev_b64 v[2:3], 4, v[88:89]
	v_mov_b32_e32 v1, s66
	v_add_co_u32_e32 v2, vcc, s33, v2
	v_addc_co_u32_e32 v3, vcc, v1, v3, vcc
	global_load_dwordx4 v[2:5], v[2:3], off
.LBB168_149:                            ;   in Loop: Header=BB168_145 Depth=1
	s_or_b64 exec, exec, s[4:5]
	v_add_co_u32_e32 v90, vcc, s70, v86
	v_addc_co_u32_e32 v91, vcc, v87, v111, vcc
	v_pk_mov_b32 v[12:13], 0, 0
	v_cmp_gt_u64_e64 s[4:5], s[16:17], v[90:91]
	v_pk_mov_b32 v[16:17], v[12:13], v[12:13] op_sel:[0,1]
	v_pk_mov_b32 v[14:15], v[12:13], v[12:13] op_sel:[0,1]
	s_and_saveexec_b64 s[6:7], s[4:5]
	s_cbranch_execz .LBB168_151
; %bb.150:                              ;   in Loop: Header=BB168_145 Depth=1
	v_lshlrev_b64 v[10:11], 4, v[90:91]
	v_mov_b32_e32 v1, s66
	v_add_co_u32_e32 v10, vcc, s33, v10
	v_addc_co_u32_e32 v11, vcc, v1, v11, vcc
	global_load_dwordx4 v[14:17], v[10:11], off
.LBB168_151:                            ;   in Loop: Header=BB168_145 Depth=1
	s_or_b64 exec, exec, s[6:7]
	v_mov_b32_e32 v1, s72
	v_add_co_u32_e32 v92, vcc, s71, v86
	v_addc_co_u32_e32 v93, vcc, v87, v1, vcc
	v_cmp_gt_u64_e64 s[6:7], s[16:17], v[92:93]
	v_pk_mov_b32 v[10:11], v[12:13], v[12:13] op_sel:[0,1]
	s_and_saveexec_b64 s[8:9], s[6:7]
	s_cbranch_execz .LBB168_153
; %bb.152:                              ;   in Loop: Header=BB168_145 Depth=1
	v_lshlrev_b64 v[10:11], 4, v[92:93]
	v_mov_b32_e32 v1, s66
	v_add_co_u32_e32 v10, vcc, s33, v10
	v_addc_co_u32_e32 v11, vcc, v1, v11, vcc
	global_load_dwordx4 v[10:13], v[10:11], off
.LBB168_153:                            ;   in Loop: Header=BB168_145 Depth=1
	s_or_b64 exec, exec, s[8:9]
	s_waitcnt vmcnt(0)
	v_cmp_o_f64_e32 vcc, v[6:7], v[8:9]
                                        ; implicit-def: $vgpr18_vgpr19
	s_and_saveexec_b64 s[8:9], vcc
	s_xor_b64 s[52:53], exec, s[8:9]
	s_cbranch_execz .LBB168_181
; %bb.154:                              ;   in Loop: Header=BB168_145 Depth=1
	v_and_b32_e32 v21, 0x7fffffff, v7
	v_and_b32_e32 v1, 0x7fffffff, v9
	v_mov_b32_e32 v20, v8
	v_cmp_lt_f64_e64 s[8:9], |v[6:7]|, |v[8:9]|
	v_cndmask_b32_e64 v23, v1, v21, s[8:9]
	v_cndmask_b32_e64 v22, v20, v6, s[8:9]
	v_cmp_nlt_f64_e32 vcc, s[20:21], v[22:23]
                                        ; implicit-def: $vgpr18_vgpr19
	s_and_saveexec_b64 s[10:11], vcc
	s_xor_b64 s[12:13], exec, s[10:11]
	s_cbranch_execz .LBB168_178
; %bb.155:                              ;   in Loop: Header=BB168_145 Depth=1
	v_cndmask_b32_e64 v25, v21, v1, s[8:9]
	v_cndmask_b32_e64 v24, v6, v20, s[8:9]
	v_cmp_neq_f64_e32 vcc, 1.0, v[24:25]
                                        ; implicit-def: $vgpr18_vgpr19
	s_and_saveexec_b64 s[10:11], vcc
	s_xor_b64 s[54:55], exec, s[10:11]
	s_cbranch_execz .LBB168_171
; %bb.156:                              ;   in Loop: Header=BB168_145 Depth=1
	v_max_f64 v[18:19], v[22:23], v[22:23]
	v_max_f64 v[20:21], v[24:25], v[24:25]
	v_min_f64 v[26:27], v[20:21], v[18:19]
	v_max_f64 v[18:19], v[20:21], v[18:19]
	v_cmp_ngt_f64_e32 vcc, s[22:23], v[26:27]
	v_cmp_nlt_f64_e64 s[10:11], s[24:25], v[18:19]
	s_and_b64 s[10:11], s[10:11], vcc
                                        ; implicit-def: $vgpr18_vgpr19
	s_and_saveexec_b64 s[56:57], s[10:11]
	s_xor_b64 s[56:57], exec, s[56:57]
	s_cbranch_execz .LBB168_168
; %bb.157:                              ;   in Loop: Header=BB168_145 Depth=1
	v_cmp_le_f64_e32 vcc, 1.0, v[24:25]
                                        ; implicit-def: $vgpr18_vgpr19
	s_and_saveexec_b64 s[10:11], vcc
	s_xor_b64 s[10:11], exec, s[10:11]
	s_cbranch_execz .LBB168_159
; %bb.158:                              ;   in Loop: Header=BB168_145 Depth=1
	v_add_f64 v[18:19], v[24:25], -1.0
	v_add_f64 v[20:21], v[24:25], 1.0
	v_mul_f64 v[20:21], v[18:19], v[20:21]
	v_fmac_f64_e32 v[20:21], v[22:23], v[22:23]
	v_add_f64 v[18:19], v[20:21], 1.0
	v_add_f64 v[22:23], v[18:19], -1.0
	v_add_f64 v[24:25], v[22:23], -v[18:19]
	v_add_f64 v[24:25], v[24:25], 1.0
	v_add_f64 v[22:23], v[20:21], -v[22:23]
	v_add_f64 v[22:23], v[22:23], v[24:25]
	v_frexp_mant_f64_e32 v[24:25], v[18:19]
	v_frexp_exp_i32_f64_e32 v1, v[18:19]
	v_cmp_gt_f64_e32 vcc, s[26:27], v[24:25]
	v_subbrev_co_u32_e32 v1, vcc, 0, v1, vcc
	v_sub_u32_e32 v24, 0, v1
	v_ldexp_f64 v[18:19], v[18:19], v24
	v_ldexp_f64 v[22:23], v[22:23], v24
	v_add_f64 v[24:25], v[18:19], -1.0
	v_add_f64 v[30:31], v[18:19], 1.0
	v_add_f64 v[26:27], v[24:25], 1.0
	v_add_f64 v[32:33], v[30:31], -1.0
	v_add_f64 v[26:27], v[18:19], -v[26:27]
	v_add_f64 v[18:19], v[18:19], -v[32:33]
	v_add_f64 v[18:19], v[22:23], v[18:19]
	v_add_f64 v[26:27], v[22:23], v[26:27]
	;; [unrolled: 1-line block ×3, first 2 shown]
	v_rcp_f64_e32 v[32:33], v[22:23]
	v_add_f64 v[28:29], v[24:25], v[26:27]
	v_add_f64 v[24:25], v[28:29], -v[24:25]
	v_add_f64 v[24:25], v[26:27], -v[24:25]
	;; [unrolled: 1-line block ×4, first 2 shown]
	v_fma_f64 v[26:27], -v[22:23], v[32:33], 1.0
	v_fmac_f64_e32 v[32:33], v[26:27], v[32:33]
	v_fma_f64 v[26:27], -v[22:23], v[32:33], 1.0
	v_fmac_f64_e32 v[32:33], v[26:27], v[32:33]
	v_mul_f64 v[26:27], v[28:29], v[32:33]
	v_mul_f64 v[30:31], v[22:23], v[26:27]
	v_fma_f64 v[94:95], v[26:27], v[22:23], -v[30:31]
	v_fmac_f64_e32 v[94:95], v[26:27], v[18:19]
	v_add_f64 v[96:97], v[30:31], v[94:95]
	v_add_f64 v[98:99], v[28:29], -v[96:97]
	v_add_f64 v[28:29], v[28:29], -v[98:99]
	;; [unrolled: 1-line block ×4, first 2 shown]
	v_add_f64 v[24:25], v[24:25], v[28:29]
	v_add_f64 v[28:29], v[30:31], -v[94:95]
	v_add_f64 v[24:25], v[28:29], v[24:25]
	v_add_f64 v[28:29], v[98:99], v[24:25]
	v_add_f64 v[30:31], v[98:99], -v[28:29]
	v_add_f64 v[24:25], v[24:25], v[30:31]
	v_mul_f64 v[30:31], v[32:33], v[28:29]
	v_mul_f64 v[94:95], v[22:23], v[30:31]
	v_fma_f64 v[22:23], v[30:31], v[22:23], -v[94:95]
	v_fmac_f64_e32 v[22:23], v[30:31], v[18:19]
	v_add_f64 v[18:19], v[94:95], v[22:23]
	v_add_f64 v[96:97], v[28:29], -v[18:19]
	v_add_f64 v[28:29], v[28:29], -v[96:97]
	;; [unrolled: 1-line block ×4, first 2 shown]
	v_add_f64 v[18:19], v[24:25], v[18:19]
	v_add_f64 v[22:23], v[94:95], -v[22:23]
	v_add_f64 v[18:19], v[22:23], v[18:19]
	v_add_f64 v[22:23], v[26:27], v[30:31]
	v_add_f64 v[18:19], v[96:97], v[18:19]
	v_add_f64 v[24:25], v[22:23], -v[26:27]
	v_mul_f64 v[18:19], v[32:33], v[18:19]
	v_add_f64 v[24:25], v[30:31], -v[24:25]
	v_add_f64 v[18:19], v[24:25], v[18:19]
	v_add_f64 v[24:25], v[22:23], v[18:19]
	v_add_f64 v[22:23], v[24:25], -v[22:23]
	v_add_f64 v[18:19], v[18:19], -v[22:23]
	v_mul_f64 v[22:23], v[24:25], v[24:25]
	v_pk_mov_b32 v[26:27], v[34:35], v[34:35] op_sel:[0,1]
	v_fmac_f64_e32 v[26:27], s[28:29], v[22:23]
	v_pk_mov_b32 v[28:29], v[36:37], v[36:37] op_sel:[0,1]
	v_fmac_f64_e32 v[28:29], v[22:23], v[26:27]
	v_pk_mov_b32 v[26:27], v[38:39], v[38:39] op_sel:[0,1]
	v_fmac_f64_e32 v[26:27], v[22:23], v[28:29]
	v_pk_mov_b32 v[28:29], v[40:41], v[40:41] op_sel:[0,1]
	v_fmac_f64_e32 v[28:29], v[22:23], v[26:27]
	v_pk_mov_b32 v[26:27], v[42:43], v[42:43] op_sel:[0,1]
	v_fmac_f64_e32 v[26:27], v[22:23], v[28:29]
	v_pk_mov_b32 v[28:29], v[44:45], v[44:45] op_sel:[0,1]
	v_fmac_f64_e32 v[28:29], v[22:23], v[26:27]
	v_cvt_f64_i32_e32 v[26:27], v1
	v_mul_f64 v[30:31], v[26:27], s[30:31]
	v_fma_f64 v[32:33], v[26:27], s[30:31], -v[30:31]
	v_fmac_f64_e32 v[32:33], s[34:35], v[26:27]
	v_add_f64 v[26:27], v[30:31], v[32:33]
	v_add_f64 v[30:31], v[26:27], -v[30:31]
	v_mul_f64 v[22:23], v[24:25], v[22:23]
	v_add_f64 v[30:31], v[32:33], -v[30:31]
	v_ldexp_f64 v[32:33], v[24:25], 1
	v_mul_f64 v[22:23], v[22:23], v[28:29]
	v_add_f64 v[24:25], v[32:33], v[22:23]
	v_add_f64 v[28:29], v[24:25], -v[32:33]
	v_ldexp_f64 v[18:19], v[18:19], 1
	v_add_f64 v[22:23], v[22:23], -v[28:29]
	v_add_f64 v[18:19], v[18:19], v[22:23]
	v_add_f64 v[22:23], v[24:25], v[18:19]
	v_add_f64 v[24:25], v[22:23], -v[24:25]
	v_add_f64 v[18:19], v[18:19], -v[24:25]
	v_add_f64 v[24:25], v[26:27], v[22:23]
	v_add_f64 v[28:29], v[24:25], -v[26:27]
	v_add_f64 v[32:33], v[24:25], -v[28:29]
	v_add_f64 v[26:27], v[26:27], -v[32:33]
	v_add_f64 v[22:23], v[22:23], -v[28:29]
	v_add_f64 v[22:23], v[22:23], v[26:27]
	v_add_f64 v[26:27], v[30:31], v[18:19]
	v_add_f64 v[28:29], v[26:27], -v[30:31]
	v_add_f64 v[22:23], v[26:27], v[22:23]
	v_add_f64 v[32:33], v[26:27], -v[28:29]
	;; [unrolled: 2-line block ×3, first 2 shown]
	v_add_f64 v[18:19], v[18:19], -v[28:29]
	v_add_f64 v[24:25], v[26:27], -v[24:25]
	v_add_f64 v[18:19], v[18:19], v[30:31]
	v_add_f64 v[22:23], v[22:23], -v[24:25]
	v_add_f64 v[18:19], v[18:19], v[22:23]
	v_max_f64 v[22:23], |v[8:9]|, |v[8:9]|
	v_max_f64 v[24:25], |v[6:7]|, |v[6:7]|
	v_add_f64 v[18:19], v[26:27], v[18:19]
	v_max_f64 v[26:27], v[24:25], v[22:23]
	v_min_f64 v[22:23], v[24:25], v[22:23]
	v_div_scale_f64 v[24:25], s[58:59], v[26:27], v[26:27], v[22:23]
	v_cmp_eq_f64_e32 vcc, s[36:37], v[20:21]
	v_rcp_f64_e32 v[28:29], v[24:25]
	v_cndmask_b32_e32 v19, v19, v21, vcc
	v_cndmask_b32_e32 v18, v18, v20, vcc
	v_mul_f64 v[18:19], v[18:19], 0.5
	v_cmp_ngt_f64_e32 vcc, -1.0, v[20:21]
	v_cndmask_b32_e32 v1, v112, v19, vcc
	v_cmp_nge_f64_e32 vcc, -1.0, v[20:21]
	v_cndmask_b32_e32 v18, 0, v18, vcc
	v_cmp_neq_f64_e32 vcc, -1.0, v[20:21]
	v_fma_f64 v[20:21], -v[24:25], v[28:29], 1.0
	v_fmac_f64_e32 v[28:29], v[28:29], v[20:21]
	v_fma_f64 v[20:21], -v[24:25], v[28:29], 1.0
	v_cndmask_b32_e32 v19, v113, v1, vcc
	v_fmac_f64_e32 v[28:29], v[28:29], v[20:21]
	v_div_scale_f64 v[20:21], vcc, v[22:23], v[26:27], v[22:23]
	v_mul_f64 v[30:31], v[20:21], v[28:29]
	v_fma_f64 v[20:21], -v[24:25], v[30:31], v[20:21]
	v_pk_mov_b32 v[24:25], v[46:47], v[46:47] op_sel:[0,1]
	s_nop 0
	v_div_fmas_f64 v[20:21], v[20:21], v[28:29], v[30:31]
	v_div_fixup_f64 v[20:21], v[20:21], v[26:27], v[22:23]
	v_mul_f64 v[22:23], v[20:21], v[20:21]
	v_fmac_f64_e32 v[24:25], s[38:39], v[22:23]
	v_pk_mov_b32 v[26:27], v[48:49], v[48:49] op_sel:[0,1]
	v_fmac_f64_e32 v[26:27], v[22:23], v[24:25]
	v_pk_mov_b32 v[24:25], v[50:51], v[50:51] op_sel:[0,1]
	v_fmac_f64_e32 v[24:25], v[22:23], v[26:27]
	v_pk_mov_b32 v[26:27], v[52:53], v[52:53] op_sel:[0,1]
	v_fmac_f64_e32 v[26:27], v[22:23], v[24:25]
	v_pk_mov_b32 v[24:25], v[54:55], v[54:55] op_sel:[0,1]
	v_fmac_f64_e32 v[24:25], v[22:23], v[26:27]
	v_pk_mov_b32 v[26:27], v[56:57], v[56:57] op_sel:[0,1]
	v_fmac_f64_e32 v[26:27], v[22:23], v[24:25]
	v_pk_mov_b32 v[24:25], v[58:59], v[58:59] op_sel:[0,1]
	v_fmac_f64_e32 v[24:25], v[22:23], v[26:27]
	v_pk_mov_b32 v[26:27], v[60:61], v[60:61] op_sel:[0,1]
	v_fmac_f64_e32 v[26:27], v[22:23], v[24:25]
	v_pk_mov_b32 v[24:25], v[62:63], v[62:63] op_sel:[0,1]
	v_fmac_f64_e32 v[24:25], v[22:23], v[26:27]
	v_pk_mov_b32 v[26:27], v[64:65], v[64:65] op_sel:[0,1]
	v_fmac_f64_e32 v[26:27], v[22:23], v[24:25]
	v_pk_mov_b32 v[24:25], v[66:67], v[66:67] op_sel:[0,1]
	v_fmac_f64_e32 v[24:25], v[22:23], v[26:27]
	v_pk_mov_b32 v[26:27], v[68:69], v[68:69] op_sel:[0,1]
	v_fmac_f64_e32 v[26:27], v[22:23], v[24:25]
	v_pk_mov_b32 v[24:25], v[70:71], v[70:71] op_sel:[0,1]
	v_fmac_f64_e32 v[24:25], v[22:23], v[26:27]
	v_pk_mov_b32 v[26:27], v[72:73], v[72:73] op_sel:[0,1]
	v_fmac_f64_e32 v[26:27], v[22:23], v[24:25]
	v_pk_mov_b32 v[24:25], v[74:75], v[74:75] op_sel:[0,1]
	v_fmac_f64_e32 v[24:25], v[22:23], v[26:27]
	v_pk_mov_b32 v[26:27], v[76:77], v[76:77] op_sel:[0,1]
	v_fmac_f64_e32 v[26:27], v[22:23], v[24:25]
	v_pk_mov_b32 v[24:25], v[78:79], v[78:79] op_sel:[0,1]
	v_fmac_f64_e32 v[24:25], v[22:23], v[26:27]
	v_pk_mov_b32 v[26:27], v[80:81], v[80:81] op_sel:[0,1]
	v_fmac_f64_e32 v[26:27], v[22:23], v[24:25]
	v_pk_mov_b32 v[24:25], v[82:83], v[82:83] op_sel:[0,1]
	v_fmac_f64_e32 v[24:25], v[22:23], v[26:27]
	v_cmp_gt_i32_e32 vcc, 0, v7
	v_mul_f64 v[22:23], v[22:23], v[24:25]
	v_cmp_class_f64_e64 s[60:61], v[6:7], s75
	v_cndmask_b32_e32 v6, v116, v117, vcc
	v_fmac_f64_e32 v[20:21], v[20:21], v[22:23]
	v_bfi_b32 v22, s74, v6, v9
	v_ashrrev_i32_e32 v6, 31, v7
	v_and_b32_e32 v23, 0x400921fb, v6
	v_and_b32_e32 v24, 0x54442d18, v6
	v_add_f64 v[6:7], -v[20:21], s[40:41]
	v_cndmask_b32_e64 v7, v21, v7, s[8:9]
	v_cndmask_b32_e64 v6, v20, v6, s[8:9]
	s_mov_b32 s42, s40
	v_add_f64 v[20:21], -v[6:7], s[42:43]
	v_cmp_class_f64_e64 s[58:59], v[8:9], s75
	v_cndmask_b32_e32 v1, v114, v115, vcc
	v_cndmask_b32_e32 v7, v7, v21, vcc
	;; [unrolled: 1-line block ×3, first 2 shown]
	v_cmp_eq_f64_e32 vcc, 0, v[8:9]
	v_cndmask_b32_e32 v6, v6, v24, vcc
	v_cndmask_b32_e32 v7, v7, v23, vcc
	s_and_b64 vcc, s[58:59], s[60:61]
	v_cndmask_b32_e32 v21, v7, v22, vcc
	v_cndmask_b32_e32 v20, v6, v1, vcc
                                        ; implicit-def: $vgpr22_vgpr23
                                        ; implicit-def: $vgpr24_vgpr25
.LBB168_159:                            ;   in Loop: Header=BB168_145 Depth=1
	s_andn2_saveexec_b64 s[58:59], s[10:11]
	s_cbranch_execz .LBB168_167
; %bb.160:                              ;   in Loop: Header=BB168_145 Depth=1
	v_mul_f64 v[20:21], v[22:23], v[22:23]
	v_fmac_f64_e32 v[20:21], v[24:25], v[24:25]
	v_cmp_ge_f64_e32 vcc, s[44:45], v[20:21]
                                        ; implicit-def: $vgpr18_vgpr19
	s_and_saveexec_b64 s[10:11], vcc
	s_xor_b64 s[10:11], exec, s[10:11]
	s_cbranch_execz .LBB168_162
; %bb.161:                              ;   in Loop: Header=BB168_145 Depth=1
	v_frexp_mant_f64_e32 v[18:19], v[20:21]
	v_cmp_gt_f64_e32 vcc, s[26:27], v[18:19]
	v_cndmask_b32_e64 v85, v118, 2.0, vcc
	v_mul_f64 v[18:19], v[18:19], v[84:85]
	v_add_f64 v[22:23], v[18:19], 1.0
	v_rcp_f64_e32 v[24:25], v[22:23]
	v_add_f64 v[28:29], v[22:23], -1.0
	v_add_f64 v[26:27], v[18:19], -1.0
	v_add_f64 v[18:19], v[18:19], -v[28:29]
	v_fma_f64 v[28:29], -v[22:23], v[24:25], 1.0
	v_fmac_f64_e32 v[24:25], v[28:29], v[24:25]
	v_fma_f64 v[28:29], -v[22:23], v[24:25], 1.0
	v_fmac_f64_e32 v[24:25], v[28:29], v[24:25]
	v_mul_f64 v[28:29], v[26:27], v[24:25]
	v_mul_f64 v[30:31], v[22:23], v[28:29]
	v_fma_f64 v[22:23], v[28:29], v[22:23], -v[30:31]
	v_fmac_f64_e32 v[22:23], v[28:29], v[18:19]
	v_add_f64 v[18:19], v[30:31], v[22:23]
	v_add_f64 v[32:33], v[26:27], -v[18:19]
	v_add_f64 v[30:31], v[18:19], -v[30:31]
	;; [unrolled: 1-line block ×5, first 2 shown]
	v_add_f64 v[18:19], v[22:23], v[18:19]
	v_add_f64 v[18:19], v[32:33], v[18:19]
	v_mul_f64 v[18:19], v[24:25], v[18:19]
	v_add_f64 v[22:23], v[28:29], v[18:19]
	v_add_f64 v[24:25], v[22:23], -v[28:29]
	v_add_f64 v[18:19], v[18:19], -v[24:25]
	v_mul_f64 v[24:25], v[22:23], v[22:23]
	v_pk_mov_b32 v[26:27], v[34:35], v[34:35] op_sel:[0,1]
	v_fmac_f64_e32 v[26:27], s[28:29], v[24:25]
	v_pk_mov_b32 v[28:29], v[36:37], v[36:37] op_sel:[0,1]
	v_fmac_f64_e32 v[28:29], v[24:25], v[26:27]
	;; [unrolled: 2-line block ×6, first 2 shown]
	v_ldexp_f64 v[26:27], v[22:23], 1
	v_mul_f64 v[22:23], v[22:23], v[24:25]
	v_mul_f64 v[22:23], v[22:23], v[28:29]
	v_add_f64 v[24:25], v[26:27], v[22:23]
	v_add_f64 v[26:27], v[24:25], -v[26:27]
	v_ldexp_f64 v[18:19], v[18:19], 1
	v_add_f64 v[22:23], v[22:23], -v[26:27]
	v_add_f64 v[18:19], v[18:19], v[22:23]
	v_frexp_exp_i32_f64_e32 v1, v[20:21]
	v_add_f64 v[22:23], v[24:25], v[18:19]
	v_subbrev_co_u32_e32 v1, vcc, 0, v1, vcc
	v_add_f64 v[24:25], v[22:23], -v[24:25]
	v_add_f64 v[18:19], v[18:19], -v[24:25]
	v_cvt_f64_i32_e32 v[24:25], v1
	v_mul_f64 v[26:27], v[24:25], s[30:31]
	v_fma_f64 v[28:29], v[24:25], s[30:31], -v[26:27]
	v_fmac_f64_e32 v[28:29], s[34:35], v[24:25]
	v_add_f64 v[24:25], v[26:27], v[28:29]
	v_add_f64 v[26:27], v[24:25], -v[26:27]
	v_add_f64 v[26:27], v[28:29], -v[26:27]
	v_add_f64 v[28:29], v[24:25], v[22:23]
	v_add_f64 v[30:31], v[28:29], -v[24:25]
	v_add_f64 v[32:33], v[28:29], -v[30:31]
	v_add_f64 v[24:25], v[24:25], -v[32:33]
	v_add_f64 v[22:23], v[22:23], -v[30:31]
	v_add_f64 v[22:23], v[22:23], v[24:25]
	v_add_f64 v[24:25], v[26:27], v[18:19]
	v_add_f64 v[30:31], v[24:25], -v[26:27]
	v_add_f64 v[32:33], v[24:25], -v[30:31]
	v_add_f64 v[22:23], v[24:25], v[22:23]
	v_add_f64 v[26:27], v[26:27], -v[32:33]
	v_add_f64 v[18:19], v[18:19], -v[30:31]
	v_add_f64 v[24:25], v[28:29], v[22:23]
	v_add_f64 v[18:19], v[18:19], v[26:27]
	v_add_f64 v[26:27], v[24:25], -v[28:29]
	v_add_f64 v[22:23], v[22:23], -v[26:27]
	v_add_f64 v[18:19], v[18:19], v[22:23]
	v_add_f64 v[18:19], v[24:25], v[18:19]
	v_max_f64 v[22:23], |v[8:9]|, |v[8:9]|
	v_max_f64 v[24:25], |v[6:7]|, |v[6:7]|
	v_max_f64 v[26:27], v[24:25], v[22:23]
	v_min_f64 v[22:23], v[24:25], v[22:23]
	v_div_scale_f64 v[24:25], s[60:61], v[26:27], v[26:27], v[22:23]
	v_rcp_f64_e32 v[28:29], v[24:25]
	v_cmp_neq_f64_e32 vcc, 0, v[20:21]
	v_mul_f64 v[18:19], v[18:19], 0.5
	v_cndmask_b32_e32 v19, v113, v19, vcc
	v_fma_f64 v[20:21], -v[24:25], v[28:29], 1.0
	v_fmac_f64_e32 v[28:29], v[28:29], v[20:21]
	v_fma_f64 v[20:21], -v[24:25], v[28:29], 1.0
	v_cndmask_b32_e32 v18, 0, v18, vcc
	v_fmac_f64_e32 v[28:29], v[28:29], v[20:21]
	v_div_scale_f64 v[20:21], vcc, v[22:23], v[26:27], v[22:23]
	v_mul_f64 v[30:31], v[20:21], v[28:29]
	v_fma_f64 v[20:21], -v[24:25], v[30:31], v[20:21]
	v_pk_mov_b32 v[24:25], v[46:47], v[46:47] op_sel:[0,1]
	s_nop 0
	v_div_fmas_f64 v[20:21], v[20:21], v[28:29], v[30:31]
	v_div_fixup_f64 v[20:21], v[20:21], v[26:27], v[22:23]
	v_mul_f64 v[22:23], v[20:21], v[20:21]
	v_fmac_f64_e32 v[24:25], s[38:39], v[22:23]
	v_pk_mov_b32 v[26:27], v[48:49], v[48:49] op_sel:[0,1]
	v_fmac_f64_e32 v[26:27], v[22:23], v[24:25]
	v_pk_mov_b32 v[24:25], v[50:51], v[50:51] op_sel:[0,1]
	;; [unrolled: 2-line block ×18, first 2 shown]
	v_fmac_f64_e32 v[24:25], v[22:23], v[26:27]
	v_cmp_gt_i32_e32 vcc, 0, v7
	v_mul_f64 v[22:23], v[22:23], v[24:25]
	v_cmp_class_f64_e64 s[62:63], v[6:7], s75
	v_cndmask_b32_e32 v6, v116, v117, vcc
	v_fmac_f64_e32 v[20:21], v[20:21], v[22:23]
	v_bfi_b32 v22, s74, v6, v9
	v_ashrrev_i32_e32 v6, 31, v7
	v_and_b32_e32 v23, 0x400921fb, v6
	v_and_b32_e32 v24, 0x54442d18, v6
	v_add_f64 v[6:7], -v[20:21], s[40:41]
	v_cndmask_b32_e64 v7, v21, v7, s[8:9]
	v_cndmask_b32_e64 v6, v20, v6, s[8:9]
	s_mov_b32 s42, s40
	v_add_f64 v[20:21], -v[6:7], s[42:43]
	v_cmp_class_f64_e64 s[60:61], v[8:9], s75
	v_cndmask_b32_e32 v1, v114, v115, vcc
	v_cndmask_b32_e32 v7, v7, v21, vcc
	;; [unrolled: 1-line block ×3, first 2 shown]
	v_cmp_eq_f64_e32 vcc, 0, v[8:9]
	v_cndmask_b32_e32 v6, v6, v24, vcc
	v_cndmask_b32_e32 v7, v7, v23, vcc
	s_and_b64 vcc, s[60:61], s[62:63]
	v_cndmask_b32_e32 v21, v7, v22, vcc
	v_cndmask_b32_e32 v20, v6, v1, vcc
                                        ; implicit-def: $vgpr24_vgpr25
                                        ; implicit-def: $vgpr22_vgpr23
.LBB168_162:                            ;   in Loop: Header=BB168_145 Depth=1
	s_andn2_saveexec_b64 s[60:61], s[10:11]
	s_cbranch_execz .LBB168_166
; %bb.163:                              ;   in Loop: Header=BB168_145 Depth=1
	v_and_b32_e32 v85, 0x7ffffff8, v25
	v_add_f64 v[18:19], v[24:25], -v[84:85]
	v_and_b32_e32 v95, -8, v19
	v_mov_b32_e32 v94, v84
	v_and_b32_e32 v25, 0x7ffffff8, v23
	v_mov_b32_e32 v24, v84
	v_add_f64 v[98:99], v[18:19], -v[94:95]
	v_add_f64 v[18:19], v[22:23], -v[24:25]
	v_and_b32_e32 v97, -8, v19
	v_mov_b32_e32 v96, v84
	v_add_f64 v[28:29], v[84:85], v[84:85]
	v_add_f64 v[102:103], v[24:25], v[24:25]
	v_add_f64 v[100:101], v[18:19], -v[96:97]
	v_mul_f64 v[20:21], v[24:25], v[24:25]
	v_mul_f64 v[26:27], v[28:29], v[94:95]
	;; [unrolled: 1-line block ×5, first 2 shown]
	v_add_f64 v[94:95], v[94:95], v[94:95]
	v_add_f64 v[96:97], v[96:97], v[96:97]
	v_mul_f64 v[18:19], v[84:85], v[84:85]
	v_mul_f64 v[30:31], v[28:29], v[98:99]
	;; [unrolled: 1-line block ×7, first 2 shown]
	s_mov_b64 s[62:63], 0
.LBB168_164:                            ;   Parent Loop BB168_145 Depth=1
                                        ; =>  This Inner Loop Header: Depth=2
	v_cmp_nlt_f64_e32 vcc, v[18:19], v[20:21]
	v_cndmask_b32_e32 v103, v19, v21, vcc
	v_cndmask_b32_e32 v102, v18, v20, vcc
	v_cmp_nlt_f64_e64 s[10:11], v[102:103], v[26:27]
	v_cndmask_b32_e64 v105, v103, v27, s[10:11]
	v_cndmask_b32_e64 v104, v102, v26, s[10:11]
	v_cndmask_b32_e32 v19, v21, v19, vcc
	v_cndmask_b32_e32 v18, v20, v18, vcc
	s_and_b64 s[64:65], vcc, s[10:11]
	v_cmp_nlt_f64_e32 vcc, v[104:105], v[24:25]
	v_cndmask_b32_e64 v21, v27, v103, s[10:11]
	v_cndmask_b32_e64 v20, v26, v102, s[10:11]
	v_cndmask_b32_e32 v103, v105, v25, vcc
	v_cndmask_b32_e32 v102, v104, v24, vcc
	v_cmp_nlt_f64_e64 s[10:11], v[102:103], v[32:33]
	v_cndmask_b32_e32 v27, v25, v105, vcc
	v_cndmask_b32_e32 v26, v24, v104, vcc
	v_cndmask_b32_e64 v105, v103, v33, s[10:11]
	v_cndmask_b32_e64 v104, v102, v32, s[10:11]
	s_and_b64 s[76:77], vcc, s[10:11]
	v_cmp_nlt_f64_e32 vcc, v[104:105], v[22:23]
	v_cndmask_b32_e64 v25, v33, v103, s[10:11]
	v_cndmask_b32_e64 v24, v32, v102, s[10:11]
	v_cndmask_b32_e32 v103, v105, v23, vcc
	v_cndmask_b32_e32 v102, v104, v22, vcc
	v_cmp_nlt_f64_e64 s[10:11], v[102:103], v[30:31]
	v_cndmask_b32_e32 v33, v23, v105, vcc
	v_cndmask_b32_e32 v32, v22, v104, vcc
	v_cndmask_b32_e64 v105, v103, v31, s[10:11]
	v_cndmask_b32_e64 v104, v102, v30, s[10:11]
	;; [unrolled: 1-line block ×4, first 2 shown]
	s_and_b64 s[10:11], vcc, s[10:11]
	v_cmp_nlt_f64_e32 vcc, v[104:105], v[28:29]
	v_cndmask_b32_e32 v103, v105, v29, vcc
	v_cndmask_b32_e32 v102, v104, v28, vcc
	v_cndmask_b32_e32 v31, v29, v105, vcc
	v_cndmask_b32_e32 v30, v28, v104, vcc
	s_and_b64 s[10:11], s[10:11], vcc
	v_cmp_nlt_f64_e32 vcc, v[102:103], v[94:95]
	v_cndmask_b32_e32 v105, v103, v95, vcc
	v_cndmask_b32_e32 v104, v102, v94, vcc
	v_cndmask_b32_e32 v29, v95, v103, vcc
	v_cndmask_b32_e32 v28, v94, v102, vcc
	s_and_b64 s[10:11], s[10:11], vcc
	;; [unrolled: 6-line block ×4, first 2 shown]
	v_cmp_nlt_f64_e32 vcc, v[104:105], v[100:101]
	s_and_b64 s[10:11], s[10:11], vcc
	s_and_b64 s[10:11], s[10:11], s[76:77]
	s_and_b64 s[10:11], s[10:11], s[64:65]
	v_cndmask_b32_e32 v103, v105, v101, vcc
	v_cndmask_b32_e32 v102, v104, v100, vcc
	s_and_b64 s[10:11], exec, s[10:11]
	v_cndmask_b32_e32 v99, v101, v105, vcc
	v_cndmask_b32_e32 v98, v100, v104, vcc
	s_or_b64 s[62:63], s[10:11], s[62:63]
	v_pk_mov_b32 v[100:101], v[102:103], v[102:103] op_sel:[0,1]
	s_andn2_b64 exec, exec, s[62:63]
	s_cbranch_execnz .LBB168_164
; %bb.165:                              ;   in Loop: Header=BB168_145 Depth=1
	s_or_b64 exec, exec, s[62:63]
	v_add_f64 v[18:19], v[18:19], -1.0
	v_add_f64 v[18:19], v[18:19], v[20:21]
	v_add_f64 v[18:19], v[18:19], v[26:27]
	;; [unrolled: 1-line block ×11, first 2 shown]
	v_add_f64 v[18:19], v[20:21], 1.0
	v_add_f64 v[22:23], v[18:19], -1.0
	v_add_f64 v[24:25], v[22:23], -v[18:19]
	v_add_f64 v[24:25], v[24:25], 1.0
	v_add_f64 v[22:23], v[20:21], -v[22:23]
	v_add_f64 v[22:23], v[22:23], v[24:25]
	v_frexp_mant_f64_e32 v[24:25], v[18:19]
	v_frexp_exp_i32_f64_e32 v1, v[18:19]
	v_cmp_gt_f64_e32 vcc, s[26:27], v[24:25]
	v_subbrev_co_u32_e32 v1, vcc, 0, v1, vcc
	v_sub_u32_e32 v24, 0, v1
	v_ldexp_f64 v[18:19], v[18:19], v24
	v_ldexp_f64 v[22:23], v[22:23], v24
	v_add_f64 v[24:25], v[18:19], -1.0
	v_add_f64 v[30:31], v[18:19], 1.0
	v_add_f64 v[26:27], v[24:25], 1.0
	v_add_f64 v[32:33], v[30:31], -1.0
	v_add_f64 v[26:27], v[18:19], -v[26:27]
	v_add_f64 v[18:19], v[18:19], -v[32:33]
	v_add_f64 v[18:19], v[22:23], v[18:19]
	v_add_f64 v[26:27], v[22:23], v[26:27]
	;; [unrolled: 1-line block ×3, first 2 shown]
	v_rcp_f64_e32 v[32:33], v[22:23]
	v_add_f64 v[28:29], v[24:25], v[26:27]
	v_add_f64 v[24:25], v[28:29], -v[24:25]
	v_add_f64 v[24:25], v[26:27], -v[24:25]
	;; [unrolled: 1-line block ×4, first 2 shown]
	v_fma_f64 v[26:27], -v[22:23], v[32:33], 1.0
	v_fmac_f64_e32 v[32:33], v[26:27], v[32:33]
	v_fma_f64 v[26:27], -v[22:23], v[32:33], 1.0
	v_fmac_f64_e32 v[32:33], v[26:27], v[32:33]
	v_mul_f64 v[26:27], v[28:29], v[32:33]
	v_mul_f64 v[30:31], v[22:23], v[26:27]
	v_fma_f64 v[94:95], v[26:27], v[22:23], -v[30:31]
	v_fmac_f64_e32 v[94:95], v[26:27], v[18:19]
	v_add_f64 v[96:97], v[30:31], v[94:95]
	v_add_f64 v[98:99], v[28:29], -v[96:97]
	v_add_f64 v[28:29], v[28:29], -v[98:99]
	;; [unrolled: 1-line block ×4, first 2 shown]
	v_add_f64 v[24:25], v[24:25], v[28:29]
	v_add_f64 v[28:29], v[30:31], -v[94:95]
	v_add_f64 v[24:25], v[28:29], v[24:25]
	v_add_f64 v[28:29], v[98:99], v[24:25]
	v_add_f64 v[30:31], v[98:99], -v[28:29]
	v_add_f64 v[24:25], v[24:25], v[30:31]
	v_mul_f64 v[30:31], v[32:33], v[28:29]
	v_mul_f64 v[94:95], v[22:23], v[30:31]
	v_fma_f64 v[22:23], v[30:31], v[22:23], -v[94:95]
	v_fmac_f64_e32 v[22:23], v[30:31], v[18:19]
	v_add_f64 v[18:19], v[94:95], v[22:23]
	v_add_f64 v[96:97], v[28:29], -v[18:19]
	v_add_f64 v[28:29], v[28:29], -v[96:97]
	;; [unrolled: 1-line block ×4, first 2 shown]
	v_add_f64 v[18:19], v[24:25], v[18:19]
	v_add_f64 v[22:23], v[94:95], -v[22:23]
	v_add_f64 v[18:19], v[22:23], v[18:19]
	v_add_f64 v[22:23], v[26:27], v[30:31]
	v_add_f64 v[18:19], v[96:97], v[18:19]
	v_add_f64 v[24:25], v[22:23], -v[26:27]
	v_mul_f64 v[18:19], v[32:33], v[18:19]
	v_add_f64 v[24:25], v[30:31], -v[24:25]
	v_add_f64 v[18:19], v[24:25], v[18:19]
	v_add_f64 v[24:25], v[22:23], v[18:19]
	v_add_f64 v[22:23], v[24:25], -v[22:23]
	v_add_f64 v[18:19], v[18:19], -v[22:23]
	v_mul_f64 v[22:23], v[24:25], v[24:25]
	v_pk_mov_b32 v[26:27], v[34:35], v[34:35] op_sel:[0,1]
	v_fmac_f64_e32 v[26:27], s[28:29], v[22:23]
	v_pk_mov_b32 v[28:29], v[36:37], v[36:37] op_sel:[0,1]
	v_fmac_f64_e32 v[28:29], v[22:23], v[26:27]
	;; [unrolled: 2-line block ×6, first 2 shown]
	v_cvt_f64_i32_e32 v[26:27], v1
	v_mul_f64 v[30:31], v[26:27], s[30:31]
	v_fma_f64 v[32:33], v[26:27], s[30:31], -v[30:31]
	v_fmac_f64_e32 v[32:33], s[34:35], v[26:27]
	v_add_f64 v[26:27], v[30:31], v[32:33]
	v_add_f64 v[30:31], v[26:27], -v[30:31]
	v_mul_f64 v[22:23], v[24:25], v[22:23]
	v_add_f64 v[30:31], v[32:33], -v[30:31]
	v_ldexp_f64 v[32:33], v[24:25], 1
	v_mul_f64 v[22:23], v[22:23], v[28:29]
	v_add_f64 v[24:25], v[32:33], v[22:23]
	v_add_f64 v[28:29], v[24:25], -v[32:33]
	v_ldexp_f64 v[18:19], v[18:19], 1
	v_add_f64 v[22:23], v[22:23], -v[28:29]
	v_add_f64 v[18:19], v[18:19], v[22:23]
	v_add_f64 v[22:23], v[24:25], v[18:19]
	v_add_f64 v[24:25], v[22:23], -v[24:25]
	v_add_f64 v[18:19], v[18:19], -v[24:25]
	v_add_f64 v[24:25], v[26:27], v[22:23]
	v_add_f64 v[28:29], v[24:25], -v[26:27]
	v_add_f64 v[32:33], v[24:25], -v[28:29]
	;; [unrolled: 1-line block ×4, first 2 shown]
	v_add_f64 v[22:23], v[22:23], v[26:27]
	v_add_f64 v[26:27], v[30:31], v[18:19]
	v_add_f64 v[28:29], v[26:27], -v[30:31]
	v_add_f64 v[22:23], v[26:27], v[22:23]
	v_add_f64 v[32:33], v[26:27], -v[28:29]
	;; [unrolled: 2-line block ×3, first 2 shown]
	v_add_f64 v[18:19], v[18:19], -v[28:29]
	v_add_f64 v[24:25], v[26:27], -v[24:25]
	v_add_f64 v[18:19], v[18:19], v[30:31]
	v_add_f64 v[22:23], v[22:23], -v[24:25]
	v_add_f64 v[18:19], v[18:19], v[22:23]
	v_max_f64 v[22:23], |v[8:9]|, |v[8:9]|
	v_max_f64 v[24:25], |v[6:7]|, |v[6:7]|
	v_add_f64 v[18:19], v[26:27], v[18:19]
	v_max_f64 v[26:27], v[24:25], v[22:23]
	v_min_f64 v[22:23], v[24:25], v[22:23]
	v_div_scale_f64 v[24:25], s[10:11], v[26:27], v[26:27], v[22:23]
	v_cmp_eq_f64_e32 vcc, s[36:37], v[20:21]
	v_rcp_f64_e32 v[28:29], v[24:25]
	v_cndmask_b32_e32 v19, v19, v21, vcc
	v_cndmask_b32_e32 v18, v18, v20, vcc
	v_mul_f64 v[18:19], v[18:19], 0.5
	v_cmp_ngt_f64_e32 vcc, -1.0, v[20:21]
	v_cndmask_b32_e32 v1, v112, v19, vcc
	v_cmp_nge_f64_e32 vcc, -1.0, v[20:21]
	v_cndmask_b32_e32 v18, 0, v18, vcc
	v_cmp_neq_f64_e32 vcc, -1.0, v[20:21]
	v_fma_f64 v[20:21], -v[24:25], v[28:29], 1.0
	v_fmac_f64_e32 v[28:29], v[28:29], v[20:21]
	v_fma_f64 v[20:21], -v[24:25], v[28:29], 1.0
	v_cndmask_b32_e32 v19, v113, v1, vcc
	v_fmac_f64_e32 v[28:29], v[28:29], v[20:21]
	v_div_scale_f64 v[20:21], vcc, v[22:23], v[26:27], v[22:23]
	v_mul_f64 v[30:31], v[20:21], v[28:29]
	v_fma_f64 v[20:21], -v[24:25], v[30:31], v[20:21]
	v_pk_mov_b32 v[24:25], v[46:47], v[46:47] op_sel:[0,1]
	s_nop 0
	v_div_fmas_f64 v[20:21], v[20:21], v[28:29], v[30:31]
	v_div_fixup_f64 v[20:21], v[20:21], v[26:27], v[22:23]
	v_mul_f64 v[22:23], v[20:21], v[20:21]
	v_fmac_f64_e32 v[24:25], s[38:39], v[22:23]
	v_pk_mov_b32 v[26:27], v[48:49], v[48:49] op_sel:[0,1]
	v_fmac_f64_e32 v[26:27], v[22:23], v[24:25]
	v_pk_mov_b32 v[24:25], v[50:51], v[50:51] op_sel:[0,1]
	v_fmac_f64_e32 v[24:25], v[22:23], v[26:27]
	v_pk_mov_b32 v[26:27], v[52:53], v[52:53] op_sel:[0,1]
	v_fmac_f64_e32 v[26:27], v[22:23], v[24:25]
	v_pk_mov_b32 v[24:25], v[54:55], v[54:55] op_sel:[0,1]
	v_fmac_f64_e32 v[24:25], v[22:23], v[26:27]
	v_pk_mov_b32 v[26:27], v[56:57], v[56:57] op_sel:[0,1]
	v_fmac_f64_e32 v[26:27], v[22:23], v[24:25]
	v_pk_mov_b32 v[24:25], v[58:59], v[58:59] op_sel:[0,1]
	v_fmac_f64_e32 v[24:25], v[22:23], v[26:27]
	v_pk_mov_b32 v[26:27], v[60:61], v[60:61] op_sel:[0,1]
	v_fmac_f64_e32 v[26:27], v[22:23], v[24:25]
	v_pk_mov_b32 v[24:25], v[62:63], v[62:63] op_sel:[0,1]
	v_fmac_f64_e32 v[24:25], v[22:23], v[26:27]
	v_pk_mov_b32 v[26:27], v[64:65], v[64:65] op_sel:[0,1]
	v_fmac_f64_e32 v[26:27], v[22:23], v[24:25]
	v_pk_mov_b32 v[24:25], v[66:67], v[66:67] op_sel:[0,1]
	v_fmac_f64_e32 v[24:25], v[22:23], v[26:27]
	v_pk_mov_b32 v[26:27], v[68:69], v[68:69] op_sel:[0,1]
	v_fmac_f64_e32 v[26:27], v[22:23], v[24:25]
	v_pk_mov_b32 v[24:25], v[70:71], v[70:71] op_sel:[0,1]
	v_fmac_f64_e32 v[24:25], v[22:23], v[26:27]
	v_pk_mov_b32 v[26:27], v[72:73], v[72:73] op_sel:[0,1]
	v_fmac_f64_e32 v[26:27], v[22:23], v[24:25]
	v_pk_mov_b32 v[24:25], v[74:75], v[74:75] op_sel:[0,1]
	v_fmac_f64_e32 v[24:25], v[22:23], v[26:27]
	v_pk_mov_b32 v[26:27], v[76:77], v[76:77] op_sel:[0,1]
	v_fmac_f64_e32 v[26:27], v[22:23], v[24:25]
	v_pk_mov_b32 v[24:25], v[78:79], v[78:79] op_sel:[0,1]
	v_fmac_f64_e32 v[24:25], v[22:23], v[26:27]
	v_pk_mov_b32 v[26:27], v[80:81], v[80:81] op_sel:[0,1]
	v_fmac_f64_e32 v[26:27], v[22:23], v[24:25]
	v_pk_mov_b32 v[24:25], v[82:83], v[82:83] op_sel:[0,1]
	v_fmac_f64_e32 v[24:25], v[22:23], v[26:27]
	v_cmp_gt_i32_e32 vcc, 0, v7
	v_mul_f64 v[22:23], v[22:23], v[24:25]
	v_cmp_class_f64_e64 s[62:63], v[6:7], s75
	v_cndmask_b32_e32 v6, v116, v117, vcc
	v_fmac_f64_e32 v[20:21], v[20:21], v[22:23]
	v_bfi_b32 v22, s74, v6, v9
	v_ashrrev_i32_e32 v6, 31, v7
	v_and_b32_e32 v23, 0x400921fb, v6
	v_and_b32_e32 v24, 0x54442d18, v6
	v_add_f64 v[6:7], -v[20:21], s[40:41]
	v_cndmask_b32_e64 v7, v21, v7, s[8:9]
	v_cndmask_b32_e64 v6, v20, v6, s[8:9]
	s_mov_b32 s42, s40
	v_add_f64 v[20:21], -v[6:7], s[42:43]
	v_cmp_class_f64_e64 s[10:11], v[8:9], s75
	v_cndmask_b32_e32 v1, v114, v115, vcc
	v_cndmask_b32_e32 v7, v7, v21, vcc
	v_cndmask_b32_e32 v6, v6, v20, vcc
	v_cmp_eq_f64_e32 vcc, 0, v[8:9]
	v_cndmask_b32_e32 v6, v6, v24, vcc
	v_cndmask_b32_e32 v7, v7, v23, vcc
	s_and_b64 vcc, s[10:11], s[62:63]
	v_cndmask_b32_e32 v21, v7, v22, vcc
	v_cndmask_b32_e32 v20, v6, v1, vcc
.LBB168_166:                            ;   in Loop: Header=BB168_145 Depth=1
	s_or_b64 exec, exec, s[60:61]
.LBB168_167:                            ;   in Loop: Header=BB168_145 Depth=1
	s_or_b64 exec, exec, s[58:59]
.LBB168_168:                            ;   in Loop: Header=BB168_145 Depth=1
	s_andn2_saveexec_b64 s[56:57], s[56:57]
	s_cbranch_execz .LBB168_170
; %bb.169:                              ;   in Loop: Header=BB168_145 Depth=1
	v_max_f64 v[18:19], |v[8:9]|, |v[8:9]|
	v_max_f64 v[20:21], |v[6:7]|, |v[6:7]|
	v_max_f64 v[22:23], v[20:21], v[18:19]
	v_frexp_exp_i32_f64_e32 v1, v[22:23]
	v_sub_u32_e32 v26, 0, v1
	v_ldexp_f64 v[24:25], |v[6:7]|, v26
	v_ldexp_f64 v[26:27], |v[8:9]|, v26
	v_mul_f64 v[26:27], v[26:27], v[26:27]
	v_fmac_f64_e32 v[26:27], v[24:25], v[24:25]
	v_rsq_f64_e32 v[24:25], v[26:27]
	v_cmp_eq_f64_e32 vcc, 0, v[26:27]
	v_cmp_class_f64_e64 s[58:59], v[6:7], s75
	v_cmp_class_f64_e64 s[60:61], v[8:9], s75
	v_mul_f64 v[28:29], v[26:27], v[24:25]
	v_mul_f64 v[24:25], v[24:25], 0.5
	v_fma_f64 v[30:31], -v[24:25], v[28:29], 0.5
	v_fmac_f64_e32 v[28:29], v[28:29], v[30:31]
	v_fmac_f64_e32 v[24:25], v[24:25], v[30:31]
	v_fma_f64 v[30:31], -v[28:29], v[28:29], v[26:27]
	v_fmac_f64_e32 v[28:29], v[30:31], v[24:25]
	v_cndmask_b32_e32 v25, v29, v27, vcc
	v_cndmask_b32_e32 v24, v28, v26, vcc
	v_ldexp_f64 v[24:25], v[24:25], v1
	s_or_b64 vcc, s[60:61], s[58:59]
	v_cndmask_b32_e32 v27, v25, v119, vcc
	v_cndmask_b32_e64 v26, v24, 0, vcc
	v_frexp_mant_f64_e32 v[28:29], v[26:27]
	v_cmp_gt_f64_e64 s[10:11], s[26:27], v[28:29]
	v_cndmask_b32_e64 v85, v118, 2.0, s[10:11]
	v_mul_f64 v[28:29], v[28:29], v[84:85]
	v_add_f64 v[30:31], v[28:29], 1.0
	v_rcp_f64_e32 v[32:33], v[30:31]
	v_add_f64 v[96:97], v[30:31], -1.0
	v_add_f64 v[94:95], v[28:29], -1.0
	v_add_f64 v[28:29], v[28:29], -v[96:97]
	v_fma_f64 v[96:97], -v[30:31], v[32:33], 1.0
	v_fmac_f64_e32 v[32:33], v[96:97], v[32:33]
	v_fma_f64 v[96:97], -v[30:31], v[32:33], 1.0
	v_fmac_f64_e32 v[32:33], v[96:97], v[32:33]
	v_mul_f64 v[96:97], v[94:95], v[32:33]
	v_mul_f64 v[98:99], v[30:31], v[96:97]
	v_fma_f64 v[30:31], v[96:97], v[30:31], -v[98:99]
	v_fmac_f64_e32 v[30:31], v[96:97], v[28:29]
	v_add_f64 v[28:29], v[98:99], v[30:31]
	v_add_f64 v[100:101], v[94:95], -v[28:29]
	v_add_f64 v[98:99], v[28:29], -v[98:99]
	;; [unrolled: 1-line block ×5, first 2 shown]
	v_add_f64 v[28:29], v[30:31], v[28:29]
	v_add_f64 v[28:29], v[100:101], v[28:29]
	v_mul_f64 v[28:29], v[32:33], v[28:29]
	v_add_f64 v[30:31], v[96:97], v[28:29]
	v_add_f64 v[32:33], v[30:31], -v[96:97]
	v_add_f64 v[28:29], v[28:29], -v[32:33]
	v_mul_f64 v[32:33], v[30:31], v[30:31]
	v_pk_mov_b32 v[94:95], v[34:35], v[34:35] op_sel:[0,1]
	v_fmac_f64_e32 v[94:95], s[28:29], v[32:33]
	v_pk_mov_b32 v[96:97], v[36:37], v[36:37] op_sel:[0,1]
	v_fmac_f64_e32 v[96:97], v[32:33], v[94:95]
	;; [unrolled: 2-line block ×6, first 2 shown]
	v_ldexp_f64 v[94:95], v[30:31], 1
	v_mul_f64 v[30:31], v[30:31], v[32:33]
	v_mul_f64 v[30:31], v[30:31], v[96:97]
	v_add_f64 v[32:33], v[94:95], v[30:31]
	v_add_f64 v[94:95], v[32:33], -v[94:95]
	v_ldexp_f64 v[28:29], v[28:29], 1
	v_add_f64 v[30:31], v[30:31], -v[94:95]
	v_add_f64 v[28:29], v[28:29], v[30:31]
	v_frexp_exp_i32_f64_e32 v1, v[26:27]
	v_add_f64 v[30:31], v[32:33], v[28:29]
	v_subbrev_co_u32_e64 v1, s[10:11], 0, v1, s[10:11]
	v_add_f64 v[32:33], v[30:31], -v[32:33]
	v_add_f64 v[28:29], v[28:29], -v[32:33]
	v_cvt_f64_i32_e32 v[32:33], v1
	v_mul_f64 v[94:95], v[32:33], s[30:31]
	v_fma_f64 v[96:97], v[32:33], s[30:31], -v[94:95]
	v_fmac_f64_e32 v[96:97], s[34:35], v[32:33]
	v_add_f64 v[32:33], v[94:95], v[96:97]
	v_add_f64 v[94:95], v[32:33], -v[94:95]
	v_add_f64 v[94:95], v[96:97], -v[94:95]
	v_add_f64 v[96:97], v[32:33], v[30:31]
	v_add_f64 v[98:99], v[96:97], -v[32:33]
	v_add_f64 v[100:101], v[96:97], -v[98:99]
	v_add_f64 v[32:33], v[32:33], -v[100:101]
	v_add_f64 v[30:31], v[30:31], -v[98:99]
	v_add_f64 v[30:31], v[30:31], v[32:33]
	v_add_f64 v[32:33], v[94:95], v[28:29]
	v_add_f64 v[98:99], v[32:33], -v[94:95]
	v_add_f64 v[100:101], v[32:33], -v[98:99]
	v_add_f64 v[30:31], v[32:33], v[30:31]
	v_add_f64 v[94:95], v[94:95], -v[100:101]
	v_add_f64 v[28:29], v[28:29], -v[98:99]
	v_add_f64 v[32:33], v[96:97], v[30:31]
	v_add_f64 v[28:29], v[28:29], v[94:95]
	v_add_f64 v[94:95], v[32:33], -v[96:97]
	v_add_f64 v[30:31], v[30:31], -v[94:95]
	v_add_f64 v[28:29], v[28:29], v[30:31]
	v_add_f64 v[28:29], v[32:33], v[28:29]
	v_cmp_class_f64_e64 s[10:11], v[24:25], s75
	v_min_f64 v[20:21], v[20:21], v[18:19]
	v_cndmask_b32_e64 v1, v29, v25, s[10:11]
	v_cndmask_b32_e64 v6, v28, v24, s[10:11]
	v_div_scale_f64 v[24:25], s[10:11], v[22:23], v[22:23], v[20:21]
	v_rcp_f64_e32 v[28:29], v[24:25]
	v_cndmask_b32_e64 v6, v6, 0, vcc
	v_cndmask_b32_e32 v1, v1, v119, vcc
	v_cmp_ngt_f64_e32 vcc, 0, v[26:27]
	v_cndmask_b32_e32 v1, v112, v1, vcc
	v_cmp_nge_f64_e32 vcc, 0, v[26:27]
	v_cndmask_b32_e32 v18, 0, v6, vcc
	v_cmp_neq_f64_e32 vcc, 0, v[26:27]
	v_fma_f64 v[26:27], -v[24:25], v[28:29], 1.0
	v_fmac_f64_e32 v[28:29], v[28:29], v[26:27]
	v_fma_f64 v[26:27], -v[24:25], v[28:29], 1.0
	v_cndmask_b32_e32 v19, v113, v1, vcc
	v_fmac_f64_e32 v[28:29], v[28:29], v[26:27]
	v_div_scale_f64 v[26:27], vcc, v[20:21], v[22:23], v[20:21]
	v_mul_f64 v[30:31], v[26:27], v[28:29]
	v_fma_f64 v[24:25], -v[24:25], v[30:31], v[26:27]
	v_pk_mov_b32 v[26:27], v[48:49], v[48:49] op_sel:[0,1]
	s_nop 0
	v_div_fmas_f64 v[24:25], v[24:25], v[28:29], v[30:31]
	v_div_fixup_f64 v[20:21], v[24:25], v[22:23], v[20:21]
	v_mul_f64 v[22:23], v[20:21], v[20:21]
	v_pk_mov_b32 v[24:25], v[46:47], v[46:47] op_sel:[0,1]
	v_fmac_f64_e32 v[24:25], s[38:39], v[22:23]
	v_fmac_f64_e32 v[26:27], v[22:23], v[24:25]
	v_pk_mov_b32 v[24:25], v[50:51], v[50:51] op_sel:[0,1]
	v_fmac_f64_e32 v[24:25], v[22:23], v[26:27]
	v_pk_mov_b32 v[26:27], v[52:53], v[52:53] op_sel:[0,1]
	;; [unrolled: 2-line block ×17, first 2 shown]
	v_fmac_f64_e32 v[24:25], v[22:23], v[26:27]
	v_cmp_gt_i32_e32 vcc, 0, v7
	v_mul_f64 v[22:23], v[22:23], v[24:25]
	v_cndmask_b32_e32 v6, v116, v117, vcc
	v_fmac_f64_e32 v[20:21], v[20:21], v[22:23]
	v_bfi_b32 v22, s74, v6, v9
	v_ashrrev_i32_e32 v6, 31, v7
	v_and_b32_e32 v23, 0x400921fb, v6
	v_and_b32_e32 v24, 0x54442d18, v6
	v_add_f64 v[6:7], -v[20:21], s[40:41]
	v_cndmask_b32_e64 v7, v21, v7, s[8:9]
	v_cndmask_b32_e64 v6, v20, v6, s[8:9]
	s_mov_b32 s42, s40
	v_add_f64 v[20:21], -v[6:7], s[42:43]
	v_cndmask_b32_e32 v1, v114, v115, vcc
	v_cndmask_b32_e32 v7, v7, v21, vcc
	;; [unrolled: 1-line block ×3, first 2 shown]
	v_cmp_eq_f64_e32 vcc, 0, v[8:9]
	v_cndmask_b32_e32 v6, v6, v24, vcc
	v_cndmask_b32_e32 v7, v7, v23, vcc
	s_and_b64 vcc, s[60:61], s[58:59]
	v_cndmask_b32_e32 v21, v7, v22, vcc
	v_cndmask_b32_e32 v20, v6, v1, vcc
.LBB168_170:                            ;   in Loop: Header=BB168_145 Depth=1
	s_or_b64 exec, exec, s[56:57]
                                        ; implicit-def: $vgpr22_vgpr23
.LBB168_171:                            ;   in Loop: Header=BB168_145 Depth=1
	s_andn2_saveexec_b64 s[10:11], s[54:55]
	s_cbranch_execz .LBB168_177
; %bb.172:                              ;   in Loop: Header=BB168_145 Depth=1
	v_cmp_ngt_f64_e32 vcc, s[46:47], v[22:23]
                                        ; implicit-def: $vgpr18_vgpr19
	s_and_saveexec_b64 s[54:55], vcc
	s_xor_b64 s[54:55], exec, s[54:55]
	s_cbranch_execz .LBB168_174
; %bb.173:                              ;   in Loop: Header=BB168_145 Depth=1
	v_mul_f64 v[18:19], v[22:23], v[22:23]
	v_add_f64 v[20:21], v[18:19], 1.0
	v_add_f64 v[22:23], v[20:21], -1.0
	v_add_f64 v[24:25], v[22:23], -v[20:21]
	v_add_f64 v[24:25], v[24:25], 1.0
	v_add_f64 v[22:23], v[18:19], -v[22:23]
	v_add_f64 v[22:23], v[22:23], v[24:25]
	v_frexp_mant_f64_e32 v[24:25], v[20:21]
	v_frexp_exp_i32_f64_e32 v1, v[20:21]
	v_cmp_gt_f64_e32 vcc, s[26:27], v[24:25]
	v_subbrev_co_u32_e32 v1, vcc, 0, v1, vcc
	v_sub_u32_e32 v24, 0, v1
	v_ldexp_f64 v[20:21], v[20:21], v24
	v_ldexp_f64 v[22:23], v[22:23], v24
	v_add_f64 v[24:25], v[20:21], -1.0
	v_add_f64 v[30:31], v[20:21], 1.0
	v_add_f64 v[26:27], v[24:25], 1.0
	v_add_f64 v[32:33], v[30:31], -1.0
	v_add_f64 v[26:27], v[20:21], -v[26:27]
	v_add_f64 v[20:21], v[20:21], -v[32:33]
	v_add_f64 v[20:21], v[22:23], v[20:21]
	v_add_f64 v[26:27], v[22:23], v[26:27]
	;; [unrolled: 1-line block ×3, first 2 shown]
	v_rcp_f64_e32 v[32:33], v[22:23]
	v_add_f64 v[28:29], v[24:25], v[26:27]
	v_add_f64 v[24:25], v[24:25], -v[28:29]
	v_add_f64 v[24:25], v[26:27], v[24:25]
	v_add_f64 v[26:27], v[30:31], -v[22:23]
	v_add_f64 v[20:21], v[20:21], v[26:27]
	v_fma_f64 v[26:27], -v[22:23], v[32:33], 1.0
	v_fmac_f64_e32 v[32:33], v[26:27], v[32:33]
	v_fma_f64 v[26:27], -v[22:23], v[32:33], 1.0
	v_fmac_f64_e32 v[32:33], v[26:27], v[32:33]
	v_mul_f64 v[26:27], v[28:29], v[32:33]
	v_mul_f64 v[30:31], v[22:23], v[26:27]
	v_fma_f64 v[94:95], v[26:27], v[22:23], -v[30:31]
	v_fmac_f64_e32 v[94:95], v[26:27], v[20:21]
	v_add_f64 v[96:97], v[30:31], v[94:95]
	v_add_f64 v[98:99], v[28:29], -v[96:97]
	v_add_f64 v[28:29], v[28:29], -v[98:99]
	;; [unrolled: 1-line block ×4, first 2 shown]
	v_add_f64 v[24:25], v[24:25], v[28:29]
	v_add_f64 v[28:29], v[30:31], -v[94:95]
	v_add_f64 v[24:25], v[28:29], v[24:25]
	v_add_f64 v[28:29], v[98:99], v[24:25]
	v_add_f64 v[30:31], v[98:99], -v[28:29]
	v_add_f64 v[24:25], v[24:25], v[30:31]
	v_mul_f64 v[30:31], v[32:33], v[28:29]
	v_mul_f64 v[94:95], v[22:23], v[30:31]
	v_fma_f64 v[22:23], v[30:31], v[22:23], -v[94:95]
	v_fmac_f64_e32 v[22:23], v[30:31], v[20:21]
	v_add_f64 v[20:21], v[94:95], v[22:23]
	v_add_f64 v[96:97], v[28:29], -v[20:21]
	v_add_f64 v[28:29], v[28:29], -v[96:97]
	;; [unrolled: 1-line block ×4, first 2 shown]
	v_add_f64 v[20:21], v[24:25], v[20:21]
	v_add_f64 v[22:23], v[94:95], -v[22:23]
	v_add_f64 v[20:21], v[22:23], v[20:21]
	v_add_f64 v[22:23], v[26:27], v[30:31]
	;; [unrolled: 1-line block ×3, first 2 shown]
	v_add_f64 v[24:25], v[22:23], -v[26:27]
	v_mul_f64 v[20:21], v[32:33], v[20:21]
	v_add_f64 v[24:25], v[30:31], -v[24:25]
	v_add_f64 v[20:21], v[24:25], v[20:21]
	v_add_f64 v[24:25], v[22:23], v[20:21]
	v_add_f64 v[22:23], v[24:25], -v[22:23]
	v_add_f64 v[20:21], v[20:21], -v[22:23]
	v_mul_f64 v[22:23], v[24:25], v[24:25]
	v_pk_mov_b32 v[26:27], v[34:35], v[34:35] op_sel:[0,1]
	v_fmac_f64_e32 v[26:27], s[28:29], v[22:23]
	v_pk_mov_b32 v[28:29], v[36:37], v[36:37] op_sel:[0,1]
	v_fmac_f64_e32 v[28:29], v[22:23], v[26:27]
	;; [unrolled: 2-line block ×6, first 2 shown]
	v_cvt_f64_i32_e32 v[26:27], v1
	v_mul_f64 v[30:31], v[26:27], s[30:31]
	v_fma_f64 v[32:33], v[26:27], s[30:31], -v[30:31]
	v_fmac_f64_e32 v[32:33], s[34:35], v[26:27]
	v_add_f64 v[26:27], v[30:31], v[32:33]
	v_add_f64 v[30:31], v[26:27], -v[30:31]
	v_mul_f64 v[22:23], v[24:25], v[22:23]
	v_add_f64 v[30:31], v[32:33], -v[30:31]
	v_ldexp_f64 v[32:33], v[24:25], 1
	v_mul_f64 v[22:23], v[22:23], v[28:29]
	v_add_f64 v[24:25], v[32:33], v[22:23]
	v_add_f64 v[28:29], v[24:25], -v[32:33]
	v_ldexp_f64 v[20:21], v[20:21], 1
	v_add_f64 v[22:23], v[22:23], -v[28:29]
	v_add_f64 v[20:21], v[20:21], v[22:23]
	v_add_f64 v[22:23], v[24:25], v[20:21]
	v_add_f64 v[24:25], v[22:23], -v[24:25]
	v_add_f64 v[20:21], v[20:21], -v[24:25]
	v_add_f64 v[24:25], v[26:27], v[22:23]
	v_add_f64 v[28:29], v[24:25], -v[26:27]
	v_add_f64 v[32:33], v[24:25], -v[28:29]
	;; [unrolled: 1-line block ×4, first 2 shown]
	v_add_f64 v[22:23], v[22:23], v[26:27]
	v_add_f64 v[26:27], v[30:31], v[20:21]
	v_add_f64 v[28:29], v[26:27], -v[30:31]
	v_add_f64 v[22:23], v[26:27], v[22:23]
	v_add_f64 v[32:33], v[26:27], -v[28:29]
	;; [unrolled: 2-line block ×3, first 2 shown]
	v_add_f64 v[20:21], v[20:21], -v[28:29]
	v_add_f64 v[24:25], v[26:27], -v[24:25]
	v_add_f64 v[20:21], v[20:21], v[30:31]
	v_add_f64 v[22:23], v[22:23], -v[24:25]
	v_add_f64 v[20:21], v[20:21], v[22:23]
	v_max_f64 v[22:23], |v[8:9]|, |v[8:9]|
	v_max_f64 v[24:25], |v[6:7]|, |v[6:7]|
	v_add_f64 v[20:21], v[26:27], v[20:21]
	v_max_f64 v[26:27], v[24:25], v[22:23]
	v_min_f64 v[22:23], v[24:25], v[22:23]
	v_div_scale_f64 v[24:25], s[56:57], v[26:27], v[26:27], v[22:23]
	v_rcp_f64_e32 v[28:29], v[24:25]
	v_cmp_eq_f64_e32 vcc, s[36:37], v[18:19]
	v_cndmask_b32_e32 v19, v21, v19, vcc
	v_cndmask_b32_e32 v18, v20, v18, vcc
	v_fma_f64 v[20:21], -v[24:25], v[28:29], 1.0
	v_fmac_f64_e32 v[28:29], v[28:29], v[20:21]
	v_fma_f64 v[20:21], -v[24:25], v[28:29], 1.0
	v_fmac_f64_e32 v[28:29], v[28:29], v[20:21]
	v_div_scale_f64 v[20:21], vcc, v[22:23], v[26:27], v[22:23]
	v_mul_f64 v[30:31], v[20:21], v[28:29]
	v_fma_f64 v[20:21], -v[24:25], v[30:31], v[20:21]
	v_pk_mov_b32 v[24:25], v[46:47], v[46:47] op_sel:[0,1]
	s_nop 0
	v_div_fmas_f64 v[20:21], v[20:21], v[28:29], v[30:31]
	v_div_fixup_f64 v[20:21], v[20:21], v[26:27], v[22:23]
	v_mul_f64 v[22:23], v[20:21], v[20:21]
	v_fmac_f64_e32 v[24:25], s[38:39], v[22:23]
	v_pk_mov_b32 v[26:27], v[48:49], v[48:49] op_sel:[0,1]
	v_fmac_f64_e32 v[26:27], v[22:23], v[24:25]
	v_pk_mov_b32 v[24:25], v[50:51], v[50:51] op_sel:[0,1]
	v_fmac_f64_e32 v[24:25], v[22:23], v[26:27]
	v_pk_mov_b32 v[26:27], v[52:53], v[52:53] op_sel:[0,1]
	v_fmac_f64_e32 v[26:27], v[22:23], v[24:25]
	v_pk_mov_b32 v[24:25], v[54:55], v[54:55] op_sel:[0,1]
	v_fmac_f64_e32 v[24:25], v[22:23], v[26:27]
	v_pk_mov_b32 v[26:27], v[56:57], v[56:57] op_sel:[0,1]
	v_fmac_f64_e32 v[26:27], v[22:23], v[24:25]
	v_pk_mov_b32 v[24:25], v[58:59], v[58:59] op_sel:[0,1]
	v_fmac_f64_e32 v[24:25], v[22:23], v[26:27]
	v_pk_mov_b32 v[26:27], v[60:61], v[60:61] op_sel:[0,1]
	v_fmac_f64_e32 v[26:27], v[22:23], v[24:25]
	v_pk_mov_b32 v[24:25], v[62:63], v[62:63] op_sel:[0,1]
	v_fmac_f64_e32 v[24:25], v[22:23], v[26:27]
	v_pk_mov_b32 v[26:27], v[64:65], v[64:65] op_sel:[0,1]
	v_fmac_f64_e32 v[26:27], v[22:23], v[24:25]
	v_pk_mov_b32 v[24:25], v[66:67], v[66:67] op_sel:[0,1]
	v_fmac_f64_e32 v[24:25], v[22:23], v[26:27]
	v_pk_mov_b32 v[26:27], v[68:69], v[68:69] op_sel:[0,1]
	v_fmac_f64_e32 v[26:27], v[22:23], v[24:25]
	v_pk_mov_b32 v[24:25], v[70:71], v[70:71] op_sel:[0,1]
	v_fmac_f64_e32 v[24:25], v[22:23], v[26:27]
	v_pk_mov_b32 v[26:27], v[72:73], v[72:73] op_sel:[0,1]
	v_fmac_f64_e32 v[26:27], v[22:23], v[24:25]
	v_pk_mov_b32 v[24:25], v[74:75], v[74:75] op_sel:[0,1]
	v_fmac_f64_e32 v[24:25], v[22:23], v[26:27]
	v_pk_mov_b32 v[26:27], v[76:77], v[76:77] op_sel:[0,1]
	v_fmac_f64_e32 v[26:27], v[22:23], v[24:25]
	v_pk_mov_b32 v[24:25], v[78:79], v[78:79] op_sel:[0,1]
	v_fmac_f64_e32 v[24:25], v[22:23], v[26:27]
	v_pk_mov_b32 v[26:27], v[80:81], v[80:81] op_sel:[0,1]
	v_fmac_f64_e32 v[26:27], v[22:23], v[24:25]
	v_pk_mov_b32 v[24:25], v[82:83], v[82:83] op_sel:[0,1]
	v_fmac_f64_e32 v[24:25], v[22:23], v[26:27]
	v_cmp_gt_i32_e32 vcc, 0, v7
	v_mul_f64 v[22:23], v[22:23], v[24:25]
	v_cmp_class_f64_e64 s[58:59], v[6:7], s75
	v_cndmask_b32_e32 v6, v116, v117, vcc
	v_fmac_f64_e32 v[20:21], v[20:21], v[22:23]
	v_bfi_b32 v22, s74, v6, v9
	v_ashrrev_i32_e32 v6, 31, v7
	v_and_b32_e32 v23, 0x400921fb, v6
	v_and_b32_e32 v24, 0x54442d18, v6
	v_add_f64 v[6:7], -v[20:21], s[40:41]
	v_cndmask_b32_e64 v7, v21, v7, s[8:9]
	v_cndmask_b32_e64 v6, v20, v6, s[8:9]
	s_mov_b32 s42, s40
	v_add_f64 v[20:21], -v[6:7], s[42:43]
	v_cmp_class_f64_e64 s[56:57], v[8:9], s75
	v_cndmask_b32_e32 v1, v114, v115, vcc
	v_cndmask_b32_e32 v7, v7, v21, vcc
	;; [unrolled: 1-line block ×3, first 2 shown]
	v_cmp_eq_f64_e32 vcc, 0, v[8:9]
	v_cndmask_b32_e32 v6, v6, v24, vcc
	v_cndmask_b32_e32 v7, v7, v23, vcc
	s_and_b64 vcc, s[56:57], s[58:59]
	v_mul_f64 v[18:19], v[18:19], 0.5
	v_cndmask_b32_e32 v21, v7, v22, vcc
	v_cndmask_b32_e32 v20, v6, v1, vcc
                                        ; implicit-def: $vgpr22_vgpr23
.LBB168_174:                            ;   in Loop: Header=BB168_145 Depth=1
	s_andn2_saveexec_b64 s[54:55], s[54:55]
	s_cbranch_execz .LBB168_176
; %bb.175:                              ;   in Loop: Header=BB168_145 Depth=1
	v_max_f64 v[18:19], |v[8:9]|, |v[8:9]|
	v_max_f64 v[20:21], |v[6:7]|, |v[6:7]|
	v_max_f64 v[24:25], v[20:21], v[18:19]
	v_min_f64 v[20:21], v[20:21], v[18:19]
	v_div_scale_f64 v[26:27], s[56:57], v[24:25], v[24:25], v[20:21]
	v_rcp_f64_e32 v[28:29], v[26:27]
	v_mul_f64 v[18:19], v[22:23], 0.5
	v_mul_f64 v[18:19], v[22:23], v[18:19]
	v_cmp_class_f64_e64 s[58:59], v[6:7], s75
	v_fma_f64 v[22:23], -v[26:27], v[28:29], 1.0
	v_fmac_f64_e32 v[28:29], v[28:29], v[22:23]
	v_fma_f64 v[22:23], -v[26:27], v[28:29], 1.0
	v_fmac_f64_e32 v[28:29], v[28:29], v[22:23]
	v_div_scale_f64 v[22:23], vcc, v[20:21], v[24:25], v[20:21]
	v_mul_f64 v[30:31], v[22:23], v[28:29]
	v_fma_f64 v[22:23], -v[26:27], v[30:31], v[22:23]
	v_pk_mov_b32 v[26:27], v[48:49], v[48:49] op_sel:[0,1]
	s_nop 0
	v_div_fmas_f64 v[22:23], v[22:23], v[28:29], v[30:31]
	v_div_fixup_f64 v[20:21], v[22:23], v[24:25], v[20:21]
	v_mul_f64 v[22:23], v[20:21], v[20:21]
	v_pk_mov_b32 v[24:25], v[46:47], v[46:47] op_sel:[0,1]
	v_fmac_f64_e32 v[24:25], s[38:39], v[22:23]
	v_fmac_f64_e32 v[26:27], v[22:23], v[24:25]
	v_pk_mov_b32 v[24:25], v[50:51], v[50:51] op_sel:[0,1]
	v_fmac_f64_e32 v[24:25], v[22:23], v[26:27]
	v_pk_mov_b32 v[26:27], v[52:53], v[52:53] op_sel:[0,1]
	;; [unrolled: 2-line block ×17, first 2 shown]
	v_fmac_f64_e32 v[24:25], v[22:23], v[26:27]
	v_cmp_gt_i32_e32 vcc, 0, v7
	v_mul_f64 v[22:23], v[22:23], v[24:25]
	v_cndmask_b32_e32 v6, v116, v117, vcc
	v_fmac_f64_e32 v[20:21], v[20:21], v[22:23]
	v_bfi_b32 v22, s74, v6, v9
	v_ashrrev_i32_e32 v6, 31, v7
	v_and_b32_e32 v23, 0x400921fb, v6
	v_and_b32_e32 v24, 0x54442d18, v6
	v_add_f64 v[6:7], -v[20:21], s[40:41]
	v_cndmask_b32_e64 v7, v21, v7, s[8:9]
	v_cndmask_b32_e64 v6, v20, v6, s[8:9]
	s_mov_b32 s42, s40
	v_add_f64 v[20:21], -v[6:7], s[42:43]
	v_cmp_class_f64_e64 s[56:57], v[8:9], s75
	v_cndmask_b32_e32 v1, v114, v115, vcc
	v_cndmask_b32_e32 v7, v7, v21, vcc
	;; [unrolled: 1-line block ×3, first 2 shown]
	v_cmp_eq_f64_e32 vcc, 0, v[8:9]
	v_cndmask_b32_e32 v6, v6, v24, vcc
	v_cndmask_b32_e32 v7, v7, v23, vcc
	s_and_b64 vcc, s[56:57], s[58:59]
	v_cndmask_b32_e32 v21, v7, v22, vcc
	v_cndmask_b32_e32 v20, v6, v1, vcc
.LBB168_176:                            ;   in Loop: Header=BB168_145 Depth=1
	s_or_b64 exec, exec, s[54:55]
.LBB168_177:                            ;   in Loop: Header=BB168_145 Depth=1
	s_or_b64 exec, exec, s[10:11]
.LBB168_178:                            ;   in Loop: Header=BB168_145 Depth=1
	s_andn2_saveexec_b64 s[54:55], s[12:13]
	s_cbranch_execz .LBB168_180
; %bb.179:                              ;   in Loop: Header=BB168_145 Depth=1
	v_div_scale_f64 v[18:19], s[10:11], s[48:49], s[48:49], v[6:7]
	v_rcp_f64_e32 v[20:21], v[18:19]
	v_div_scale_f64 v[22:23], vcc, v[6:7], s[48:49], v[6:7]
	s_mov_b32 s42, s40
	v_fma_f64 v[24:25], -v[18:19], v[20:21], 1.0
	v_fmac_f64_e32 v[20:21], v[20:21], v[24:25]
	v_fma_f64 v[24:25], -v[18:19], v[20:21], 1.0
	v_fmac_f64_e32 v[20:21], v[20:21], v[24:25]
	v_mul_f64 v[24:25], v[22:23], v[20:21]
	v_fma_f64 v[18:19], -v[18:19], v[24:25], v[22:23]
	v_div_scale_f64 v[22:23], s[10:11], s[48:49], s[48:49], v[8:9]
	v_rcp_f64_e32 v[26:27], v[22:23]
	v_div_fmas_f64 v[18:19], v[18:19], v[20:21], v[24:25]
	v_div_fixup_f64 v[18:19], v[18:19], s[48:49], v[6:7]
	v_cmp_class_f64_e64 s[12:13], v[18:19], s75
	v_fma_f64 v[20:21], -v[22:23], v[26:27], 1.0
	v_fmac_f64_e32 v[26:27], v[26:27], v[20:21]
	v_fma_f64 v[20:21], -v[22:23], v[26:27], 1.0
	v_fmac_f64_e32 v[26:27], v[26:27], v[20:21]
	v_div_scale_f64 v[20:21], vcc, v[8:9], s[48:49], v[8:9]
	v_mul_f64 v[24:25], v[20:21], v[26:27]
	v_fma_f64 v[20:21], -v[22:23], v[24:25], v[20:21]
	s_nop 1
	v_div_fmas_f64 v[20:21], v[20:21], v[26:27], v[24:25]
	v_div_fixup_f64 v[20:21], v[20:21], s[48:49], v[8:9]
	v_max_f64 v[22:23], |v[18:19]|, |v[20:21]|
	v_frexp_exp_i32_f64_e32 v1, v[22:23]
	v_sub_u32_e32 v24, 0, v1
	v_ldexp_f64 v[22:23], |v[18:19]|, v24
	v_ldexp_f64 v[24:25], |v[20:21]|, v24
	v_mul_f64 v[24:25], v[24:25], v[24:25]
	v_fmac_f64_e32 v[24:25], v[22:23], v[22:23]
	v_rsq_f64_e32 v[22:23], v[24:25]
	v_cmp_eq_f64_e32 vcc, 0, v[24:25]
	v_cmp_o_f64_e64 s[10:11], v[18:19], v[20:21]
	v_cmp_class_f64_e64 s[56:57], v[20:21], s75
	v_mul_f64 v[26:27], v[24:25], v[22:23]
	v_mul_f64 v[22:23], v[22:23], 0.5
	v_fma_f64 v[28:29], -v[22:23], v[26:27], 0.5
	v_fmac_f64_e32 v[26:27], v[26:27], v[28:29]
	v_fmac_f64_e32 v[22:23], v[22:23], v[28:29]
	v_fma_f64 v[28:29], -v[26:27], v[26:27], v[24:25]
	v_fmac_f64_e32 v[26:27], v[28:29], v[22:23]
	v_cndmask_b32_e32 v23, v27, v25, vcc
	v_cndmask_b32_e32 v22, v26, v24, vcc
	v_ldexp_f64 v[22:23], v[22:23], v1
	v_cndmask_b32_e64 v1, 0, v22, s[10:11]
	v_cndmask_b32_e64 v96, v112, v23, s[10:11]
	s_or_b64 vcc, s[56:57], s[12:13]
	v_cndmask_b32_e32 v21, v96, v119, vcc
	v_cndmask_b32_e64 v20, v1, 0, vcc
	v_frexp_mant_f64_e32 v[18:19], v[20:21]
	v_cmp_gt_f64_e64 s[12:13], s[26:27], v[18:19]
	v_cndmask_b32_e64 v85, v118, 2.0, s[12:13]
	v_frexp_exp_i32_f64_e32 v24, v[20:21]
	v_mul_f64 v[18:19], v[18:19], v[84:85]
	v_subbrev_co_u32_e64 v85, s[12:13], 0, v24, s[12:13]
	v_add_f64 v[24:25], v[18:19], 1.0
	v_rcp_f64_e32 v[26:27], v[24:25]
	v_add_f64 v[30:31], v[24:25], -1.0
	v_add_f64 v[28:29], v[18:19], -1.0
	v_add_f64 v[18:19], v[18:19], -v[30:31]
	v_fma_f64 v[30:31], -v[24:25], v[26:27], 1.0
	v_fmac_f64_e32 v[26:27], v[30:31], v[26:27]
	v_fma_f64 v[30:31], -v[24:25], v[26:27], 1.0
	v_fmac_f64_e32 v[26:27], v[30:31], v[26:27]
	v_mul_f64 v[30:31], v[28:29], v[26:27]
	v_mul_f64 v[32:33], v[24:25], v[30:31]
	v_fma_f64 v[24:25], v[30:31], v[24:25], -v[32:33]
	v_fmac_f64_e32 v[24:25], v[30:31], v[18:19]
	v_add_f64 v[18:19], v[32:33], v[24:25]
	v_add_f64 v[94:95], v[28:29], -v[18:19]
	v_add_f64 v[32:33], v[18:19], -v[32:33]
	v_add_f64 v[28:29], v[28:29], -v[94:95]
	v_add_f64 v[18:19], v[28:29], -v[18:19]
	v_add_f64 v[24:25], v[32:33], -v[24:25]
	v_add_f64 v[18:19], v[24:25], v[18:19]
	v_add_f64 v[18:19], v[94:95], v[18:19]
	v_mul_f64 v[18:19], v[26:27], v[18:19]
	v_add_f64 v[24:25], v[30:31], v[18:19]
	v_add_f64 v[26:27], v[24:25], -v[30:31]
	v_add_f64 v[18:19], v[18:19], -v[26:27]
	v_mul_f64 v[26:27], v[24:25], v[24:25]
	v_pk_mov_b32 v[28:29], v[34:35], v[34:35] op_sel:[0,1]
	v_fmac_f64_e32 v[28:29], s[28:29], v[26:27]
	v_pk_mov_b32 v[30:31], v[36:37], v[36:37] op_sel:[0,1]
	v_fmac_f64_e32 v[30:31], v[26:27], v[28:29]
	;; [unrolled: 2-line block ×6, first 2 shown]
	v_ldexp_f64 v[28:29], v[24:25], 1
	v_mul_f64 v[24:25], v[24:25], v[26:27]
	v_mul_f64 v[24:25], v[24:25], v[30:31]
	v_add_f64 v[26:27], v[28:29], v[24:25]
	v_add_f64 v[28:29], v[26:27], -v[28:29]
	v_ldexp_f64 v[18:19], v[18:19], 1
	v_add_f64 v[24:25], v[24:25], -v[28:29]
	v_add_f64 v[18:19], v[18:19], v[24:25]
	v_add_f64 v[24:25], v[26:27], v[18:19]
	v_add_f64 v[26:27], v[24:25], -v[26:27]
	v_add_f64 v[18:19], v[18:19], -v[26:27]
	v_cvt_f64_i32_e32 v[26:27], v85
	v_mul_f64 v[28:29], v[26:27], s[30:31]
	v_fma_f64 v[30:31], v[26:27], s[30:31], -v[28:29]
	v_fmac_f64_e32 v[30:31], s[34:35], v[26:27]
	v_add_f64 v[26:27], v[28:29], v[30:31]
	v_add_f64 v[28:29], v[26:27], -v[28:29]
	v_add_f64 v[28:29], v[30:31], -v[28:29]
	v_add_f64 v[30:31], v[26:27], v[24:25]
	v_add_f64 v[32:33], v[30:31], -v[26:27]
	v_add_f64 v[94:95], v[30:31], -v[32:33]
	;; [unrolled: 1-line block ×4, first 2 shown]
	v_add_f64 v[24:25], v[24:25], v[26:27]
	v_add_f64 v[26:27], v[28:29], v[18:19]
	v_add_f64 v[32:33], v[26:27], -v[28:29]
	v_add_f64 v[94:95], v[26:27], -v[32:33]
	v_add_f64 v[24:25], v[26:27], v[24:25]
	v_add_f64 v[28:29], v[28:29], -v[94:95]
	v_add_f64 v[18:19], v[18:19], -v[32:33]
	v_add_f64 v[26:27], v[30:31], v[24:25]
	v_add_f64 v[18:19], v[18:19], v[28:29]
	v_add_f64 v[28:29], v[26:27], -v[30:31]
	v_add_f64 v[24:25], v[24:25], -v[28:29]
	v_and_b32_e32 v23, 0x7fffffff, v23
	v_add_f64 v[18:19], v[18:19], v[24:25]
	v_cmp_eq_f64_e64 s[12:13], s[36:37], v[22:23]
	v_add_f64 v[18:19], v[26:27], v[18:19]
	s_and_b64 s[10:11], s[10:11], s[12:13]
	v_cndmask_b32_e64 v19, v19, v96, s[10:11]
	v_cndmask_b32_e64 v18, v18, v1, s[10:11]
	v_add_f64 v[18:19], v[18:19], 1.0
	v_cndmask_b32_e64 v1, v18, 0, vcc
	v_cndmask_b32_e32 v18, v19, v119, vcc
	v_cmp_ngt_f64_e32 vcc, 0, v[20:21]
	v_cndmask_b32_e32 v30, v112, v18, vcc
	v_max_f64 v[18:19], |v[8:9]|, |v[8:9]|
	v_max_f64 v[22:23], |v[6:7]|, |v[6:7]|
	v_max_f64 v[24:25], v[22:23], v[18:19]
	v_min_f64 v[22:23], v[22:23], v[18:19]
	v_div_scale_f64 v[26:27], s[10:11], v[24:25], v[24:25], v[22:23]
	v_rcp_f64_e32 v[28:29], v[26:27]
	v_cmp_nge_f64_e32 vcc, 0, v[20:21]
	v_cndmask_b32_e32 v18, 0, v1, vcc
	v_cmp_neq_f64_e32 vcc, 0, v[20:21]
	v_fma_f64 v[20:21], -v[26:27], v[28:29], 1.0
	v_fmac_f64_e32 v[28:29], v[28:29], v[20:21]
	v_fma_f64 v[20:21], -v[26:27], v[28:29], 1.0
	v_cndmask_b32_e32 v19, v113, v30, vcc
	v_fmac_f64_e32 v[28:29], v[28:29], v[20:21]
	v_div_scale_f64 v[20:21], vcc, v[22:23], v[24:25], v[22:23]
	v_mul_f64 v[30:31], v[20:21], v[28:29]
	v_fma_f64 v[20:21], -v[26:27], v[30:31], v[20:21]
	v_pk_mov_b32 v[26:27], v[48:49], v[48:49] op_sel:[0,1]
	s_nop 0
	v_div_fmas_f64 v[20:21], v[20:21], v[28:29], v[30:31]
	v_div_fixup_f64 v[20:21], v[20:21], v[24:25], v[22:23]
	v_mul_f64 v[22:23], v[20:21], v[20:21]
	v_pk_mov_b32 v[24:25], v[46:47], v[46:47] op_sel:[0,1]
	v_fmac_f64_e32 v[24:25], s[38:39], v[22:23]
	v_fmac_f64_e32 v[26:27], v[22:23], v[24:25]
	v_pk_mov_b32 v[24:25], v[50:51], v[50:51] op_sel:[0,1]
	v_fmac_f64_e32 v[24:25], v[22:23], v[26:27]
	v_pk_mov_b32 v[26:27], v[52:53], v[52:53] op_sel:[0,1]
	;; [unrolled: 2-line block ×17, first 2 shown]
	v_fmac_f64_e32 v[24:25], v[22:23], v[26:27]
	v_cmp_gt_i32_e32 vcc, 0, v7
	v_mul_f64 v[22:23], v[22:23], v[24:25]
	v_cmp_class_f64_e64 s[12:13], v[6:7], s75
	v_cndmask_b32_e32 v6, v116, v117, vcc
	v_fmac_f64_e32 v[20:21], v[20:21], v[22:23]
	v_bfi_b32 v22, s74, v6, v9
	v_ashrrev_i32_e32 v6, 31, v7
	v_and_b32_e32 v23, 0x400921fb, v6
	v_and_b32_e32 v24, 0x54442d18, v6
	v_add_f64 v[6:7], -v[20:21], s[40:41]
	v_cndmask_b32_e64 v7, v21, v7, s[8:9]
	v_cndmask_b32_e64 v6, v20, v6, s[8:9]
	v_add_f64 v[20:21], -v[6:7], s[42:43]
	v_cmp_class_f64_e64 s[10:11], v[8:9], s75
	v_cndmask_b32_e32 v1, v114, v115, vcc
	v_cndmask_b32_e32 v7, v7, v21, vcc
	v_cndmask_b32_e32 v6, v6, v20, vcc
	v_cmp_eq_f64_e32 vcc, 0, v[8:9]
	v_cndmask_b32_e32 v6, v6, v24, vcc
	v_cndmask_b32_e32 v7, v7, v23, vcc
	s_and_b64 vcc, s[10:11], s[12:13]
	v_cndmask_b32_e32 v21, v7, v22, vcc
	v_cndmask_b32_e32 v20, v6, v1, vcc
.LBB168_180:                            ;   in Loop: Header=BB168_145 Depth=1
	s_or_b64 exec, exec, s[54:55]
.LBB168_181:                            ;   in Loop: Header=BB168_145 Depth=1
	s_andn2_saveexec_b64 s[8:9], s[52:53]
	s_cbranch_execz .LBB168_187
; %bb.182:                              ;   in Loop: Header=BB168_145 Depth=1
	v_cmp_nlt_f64_e64 s[10:11], |v[6:7]|, s[50:51]
	v_cmp_nlt_f64_e64 s[12:13], |v[8:9]|, s[50:51]
	s_or_b64 s[10:11], s[12:13], s[10:11]
                                        ; implicit-def: $vgpr20_vgpr21
	s_and_saveexec_b64 s[12:13], s[10:11]
	s_xor_b64 s[10:11], exec, s[12:13]
; %bb.183:                              ;   in Loop: Header=BB168_145 Depth=1
	v_mul_f64 v[20:21], v[6:7], v[6:7]
	v_fmac_f64_e32 v[20:21], v[8:9], v[8:9]
; %bb.184:                              ;   in Loop: Header=BB168_145 Depth=1
	s_andn2_saveexec_b64 s[10:11], s[10:11]
; %bb.185:                              ;   in Loop: Header=BB168_145 Depth=1
	v_mul_f64 v[6:7], v[6:7], 4.0
	v_mul_f64 v[18:19], v[8:9], 4.0
	v_mul_f64 v[6:7], v[6:7], v[6:7]
	v_fmac_f64_e32 v[6:7], v[18:19], v[18:19]
	v_ldexp_f64 v[20:21], v[6:7], -4
; %bb.186:                              ;   in Loop: Header=BB168_145 Depth=1
	s_or_b64 exec, exec, s[10:11]
	v_frexp_mant_f64_e32 v[6:7], v[20:21]
	v_cmp_gt_f64_e32 vcc, s[26:27], v[6:7]
	v_cndmask_b32_e64 v85, v118, 2.0, vcc
	v_mul_f64 v[6:7], v[6:7], v[84:85]
	v_add_f64 v[18:19], v[6:7], 1.0
	v_rcp_f64_e32 v[22:23], v[18:19]
	v_add_f64 v[26:27], v[18:19], -1.0
	v_add_f64 v[24:25], v[6:7], -1.0
	v_add_f64 v[6:7], v[6:7], -v[26:27]
	v_fma_f64 v[26:27], -v[18:19], v[22:23], 1.0
	v_fmac_f64_e32 v[22:23], v[26:27], v[22:23]
	v_fma_f64 v[26:27], -v[18:19], v[22:23], 1.0
	v_fmac_f64_e32 v[22:23], v[26:27], v[22:23]
	v_mul_f64 v[26:27], v[24:25], v[22:23]
	v_mul_f64 v[28:29], v[18:19], v[26:27]
	v_fma_f64 v[18:19], v[26:27], v[18:19], -v[28:29]
	v_fmac_f64_e32 v[18:19], v[26:27], v[6:7]
	v_add_f64 v[6:7], v[28:29], v[18:19]
	v_add_f64 v[30:31], v[24:25], -v[6:7]
	v_add_f64 v[28:29], v[6:7], -v[28:29]
	v_add_f64 v[24:25], v[24:25], -v[30:31]
	v_add_f64 v[6:7], v[24:25], -v[6:7]
	v_add_f64 v[18:19], v[28:29], -v[18:19]
	v_add_f64 v[6:7], v[18:19], v[6:7]
	v_add_f64 v[6:7], v[30:31], v[6:7]
	v_mul_f64 v[6:7], v[22:23], v[6:7]
	v_add_f64 v[18:19], v[26:27], v[6:7]
	v_add_f64 v[22:23], v[18:19], -v[26:27]
	v_add_f64 v[6:7], v[6:7], -v[22:23]
	v_mul_f64 v[22:23], v[18:19], v[18:19]
	v_pk_mov_b32 v[24:25], v[34:35], v[34:35] op_sel:[0,1]
	v_fmac_f64_e32 v[24:25], s[28:29], v[22:23]
	v_pk_mov_b32 v[26:27], v[36:37], v[36:37] op_sel:[0,1]
	v_fmac_f64_e32 v[26:27], v[22:23], v[24:25]
	;; [unrolled: 2-line block ×6, first 2 shown]
	v_ldexp_f64 v[24:25], v[18:19], 1
	v_mul_f64 v[18:19], v[18:19], v[22:23]
	v_mul_f64 v[18:19], v[18:19], v[26:27]
	v_add_f64 v[22:23], v[24:25], v[18:19]
	v_add_f64 v[24:25], v[22:23], -v[24:25]
	v_ldexp_f64 v[6:7], v[6:7], 1
	v_add_f64 v[18:19], v[18:19], -v[24:25]
	v_add_f64 v[6:7], v[6:7], v[18:19]
	v_frexp_exp_i32_f64_e32 v1, v[20:21]
	v_add_f64 v[18:19], v[22:23], v[6:7]
	v_subbrev_co_u32_e32 v1, vcc, 0, v1, vcc
	v_add_f64 v[22:23], v[18:19], -v[22:23]
	v_add_f64 v[6:7], v[6:7], -v[22:23]
	v_cvt_f64_i32_e32 v[22:23], v1
	v_mul_f64 v[24:25], v[22:23], s[30:31]
	v_fma_f64 v[26:27], v[22:23], s[30:31], -v[24:25]
	v_fmac_f64_e32 v[26:27], s[34:35], v[22:23]
	v_add_f64 v[22:23], v[24:25], v[26:27]
	v_add_f64 v[24:25], v[22:23], -v[24:25]
	v_add_f64 v[24:25], v[26:27], -v[24:25]
	v_add_f64 v[26:27], v[22:23], v[18:19]
	v_add_f64 v[28:29], v[26:27], -v[22:23]
	v_add_f64 v[30:31], v[26:27], -v[28:29]
	;; [unrolled: 1-line block ×4, first 2 shown]
	v_add_f64 v[18:19], v[18:19], v[22:23]
	v_add_f64 v[22:23], v[24:25], v[6:7]
	v_add_f64 v[28:29], v[22:23], -v[24:25]
	v_add_f64 v[30:31], v[22:23], -v[28:29]
	v_add_f64 v[18:19], v[22:23], v[18:19]
	v_add_f64 v[24:25], v[24:25], -v[30:31]
	v_add_f64 v[6:7], v[6:7], -v[28:29]
	v_add_f64 v[22:23], v[26:27], v[18:19]
	v_add_f64 v[6:7], v[6:7], v[24:25]
	v_add_f64 v[24:25], v[22:23], -v[26:27]
	v_add_f64 v[18:19], v[18:19], -v[24:25]
	v_add_f64 v[6:7], v[6:7], v[18:19]
	v_add_f64 v[6:7], v[22:23], v[6:7]
	v_cmp_class_f64_e64 vcc, v[20:21], s75
	v_cndmask_b32_e32 v1, v6, v20, vcc
	v_cndmask_b32_e32 v6, v7, v21, vcc
	v_cmp_ngt_f64_e32 vcc, 0, v[20:21]
	v_cndmask_b32_e32 v6, v112, v6, vcc
	v_cmp_nge_f64_e32 vcc, 0, v[20:21]
	v_cndmask_b32_e32 v18, 0, v1, vcc
	v_cmp_neq_f64_e32 vcc, 0, v[20:21]
	v_mov_b32_e32 v20, 0
	v_cndmask_b32_e32 v19, v113, v6, vcc
	v_mov_b32_e32 v21, 0x7ff80000
.LBB168_187:                            ;   in Loop: Header=BB168_145 Depth=1
	s_or_b64 exec, exec, s[8:9]
	v_cmp_o_f64_e32 vcc, v[2:3], v[4:5]
                                        ; implicit-def: $vgpr22_vgpr23
	s_and_saveexec_b64 s[8:9], vcc
	s_xor_b64 s[52:53], exec, s[8:9]
	s_cbranch_execz .LBB168_215
; %bb.188:                              ;   in Loop: Header=BB168_145 Depth=1
	v_and_b32_e32 v24, 0x7fffffff, v3
	v_and_b32_e32 v1, 0x7fffffff, v5
	v_mov_b32_e32 v8, v4
	v_cmp_lt_f64_e64 s[8:9], |v[2:3]|, |v[4:5]|
	v_cndmask_b32_e64 v7, v1, v24, s[8:9]
	v_cndmask_b32_e64 v6, v8, v2, s[8:9]
	v_cmp_nlt_f64_e32 vcc, s[20:21], v[6:7]
                                        ; implicit-def: $vgpr22_vgpr23
	s_and_saveexec_b64 s[10:11], vcc
	s_xor_b64 s[12:13], exec, s[10:11]
	s_cbranch_execz .LBB168_212
; %bb.189:                              ;   in Loop: Header=BB168_145 Depth=1
	v_cndmask_b32_e64 v27, v24, v1, s[8:9]
	v_cndmask_b32_e64 v26, v2, v8, s[8:9]
	v_cmp_neq_f64_e32 vcc, 1.0, v[26:27]
                                        ; implicit-def: $vgpr22_vgpr23
	s_and_saveexec_b64 s[10:11], vcc
	s_xor_b64 s[54:55], exec, s[10:11]
	s_cbranch_execz .LBB168_205
; %bb.190:                              ;   in Loop: Header=BB168_145 Depth=1
	v_max_f64 v[22:23], v[6:7], v[6:7]
	v_max_f64 v[24:25], v[26:27], v[26:27]
	v_min_f64 v[28:29], v[24:25], v[22:23]
	v_max_f64 v[22:23], v[24:25], v[22:23]
	v_cmp_ngt_f64_e32 vcc, s[22:23], v[28:29]
	v_cmp_nlt_f64_e64 s[10:11], s[24:25], v[22:23]
	s_and_b64 s[10:11], s[10:11], vcc
                                        ; implicit-def: $vgpr22_vgpr23
	s_and_saveexec_b64 s[56:57], s[10:11]
	s_xor_b64 s[56:57], exec, s[56:57]
	s_cbranch_execz .LBB168_202
; %bb.191:                              ;   in Loop: Header=BB168_145 Depth=1
	v_cmp_le_f64_e32 vcc, 1.0, v[26:27]
                                        ; implicit-def: $vgpr22_vgpr23
	s_and_saveexec_b64 s[10:11], vcc
	s_xor_b64 s[10:11], exec, s[10:11]
	s_cbranch_execz .LBB168_193
; %bb.192:                              ;   in Loop: Header=BB168_145 Depth=1
	v_add_f64 v[22:23], v[26:27], -1.0
	v_add_f64 v[24:25], v[26:27], 1.0
	v_mul_f64 v[24:25], v[22:23], v[24:25]
	v_fmac_f64_e32 v[24:25], v[6:7], v[6:7]
	v_add_f64 v[6:7], v[24:25], 1.0
	v_add_f64 v[22:23], v[6:7], -1.0
	v_add_f64 v[26:27], v[22:23], -v[6:7]
	v_add_f64 v[26:27], v[26:27], 1.0
	v_add_f64 v[22:23], v[24:25], -v[22:23]
	v_add_f64 v[22:23], v[22:23], v[26:27]
	v_frexp_mant_f64_e32 v[26:27], v[6:7]
	v_frexp_exp_i32_f64_e32 v1, v[6:7]
	v_cmp_gt_f64_e32 vcc, s[26:27], v[26:27]
	v_subbrev_co_u32_e32 v1, vcc, 0, v1, vcc
	v_sub_u32_e32 v8, 0, v1
	v_ldexp_f64 v[6:7], v[6:7], v8
	v_add_f64 v[26:27], v[6:7], -1.0
	v_add_f64 v[32:33], v[6:7], 1.0
	v_add_f64 v[28:29], v[26:27], 1.0
	v_add_f64 v[94:95], v[32:33], -1.0
	v_ldexp_f64 v[22:23], v[22:23], v8
	v_add_f64 v[28:29], v[6:7], -v[28:29]
	v_add_f64 v[6:7], v[6:7], -v[94:95]
	v_add_f64 v[6:7], v[22:23], v[6:7]
	v_add_f64 v[28:29], v[22:23], v[28:29]
	;; [unrolled: 1-line block ×3, first 2 shown]
	v_rcp_f64_e32 v[94:95], v[22:23]
	v_add_f64 v[30:31], v[26:27], v[28:29]
	v_add_f64 v[26:27], v[30:31], -v[26:27]
	v_add_f64 v[26:27], v[28:29], -v[26:27]
	;; [unrolled: 1-line block ×4, first 2 shown]
	v_fma_f64 v[28:29], -v[22:23], v[94:95], 1.0
	v_fmac_f64_e32 v[94:95], v[28:29], v[94:95]
	v_fma_f64 v[28:29], -v[22:23], v[94:95], 1.0
	v_fmac_f64_e32 v[94:95], v[28:29], v[94:95]
	v_mul_f64 v[28:29], v[30:31], v[94:95]
	v_mul_f64 v[32:33], v[22:23], v[28:29]
	v_fma_f64 v[96:97], v[28:29], v[22:23], -v[32:33]
	v_fmac_f64_e32 v[96:97], v[28:29], v[6:7]
	v_add_f64 v[98:99], v[32:33], v[96:97]
	v_add_f64 v[100:101], v[30:31], -v[98:99]
	v_add_f64 v[30:31], v[30:31], -v[100:101]
	;; [unrolled: 1-line block ×4, first 2 shown]
	v_add_f64 v[26:27], v[26:27], v[30:31]
	v_add_f64 v[30:31], v[32:33], -v[96:97]
	v_add_f64 v[26:27], v[30:31], v[26:27]
	v_add_f64 v[30:31], v[100:101], v[26:27]
	v_add_f64 v[32:33], v[100:101], -v[30:31]
	v_add_f64 v[26:27], v[26:27], v[32:33]
	v_mul_f64 v[32:33], v[94:95], v[30:31]
	v_mul_f64 v[96:97], v[22:23], v[32:33]
	v_fma_f64 v[22:23], v[32:33], v[22:23], -v[96:97]
	v_fmac_f64_e32 v[22:23], v[32:33], v[6:7]
	v_add_f64 v[6:7], v[96:97], v[22:23]
	v_add_f64 v[98:99], v[30:31], -v[6:7]
	v_add_f64 v[30:31], v[30:31], -v[98:99]
	;; [unrolled: 1-line block ×4, first 2 shown]
	v_add_f64 v[6:7], v[26:27], v[6:7]
	v_add_f64 v[22:23], v[96:97], -v[22:23]
	v_add_f64 v[6:7], v[22:23], v[6:7]
	v_add_f64 v[22:23], v[28:29], v[32:33]
	;; [unrolled: 1-line block ×3, first 2 shown]
	v_add_f64 v[26:27], v[22:23], -v[28:29]
	v_mul_f64 v[6:7], v[94:95], v[6:7]
	v_add_f64 v[26:27], v[32:33], -v[26:27]
	v_add_f64 v[6:7], v[26:27], v[6:7]
	v_add_f64 v[26:27], v[22:23], v[6:7]
	v_add_f64 v[22:23], v[26:27], -v[22:23]
	v_add_f64 v[6:7], v[6:7], -v[22:23]
	v_mul_f64 v[22:23], v[26:27], v[26:27]
	v_pk_mov_b32 v[28:29], v[34:35], v[34:35] op_sel:[0,1]
	v_fmac_f64_e32 v[28:29], s[28:29], v[22:23]
	v_pk_mov_b32 v[30:31], v[36:37], v[36:37] op_sel:[0,1]
	v_fmac_f64_e32 v[30:31], v[22:23], v[28:29]
	;; [unrolled: 2-line block ×6, first 2 shown]
	v_cvt_f64_i32_e32 v[28:29], v1
	v_mul_f64 v[32:33], v[28:29], s[30:31]
	v_fma_f64 v[94:95], v[28:29], s[30:31], -v[32:33]
	v_fmac_f64_e32 v[94:95], s[34:35], v[28:29]
	v_add_f64 v[28:29], v[32:33], v[94:95]
	v_add_f64 v[32:33], v[28:29], -v[32:33]
	v_mul_f64 v[22:23], v[26:27], v[22:23]
	v_add_f64 v[32:33], v[94:95], -v[32:33]
	v_ldexp_f64 v[94:95], v[26:27], 1
	v_mul_f64 v[22:23], v[22:23], v[30:31]
	v_add_f64 v[26:27], v[94:95], v[22:23]
	v_add_f64 v[30:31], v[26:27], -v[94:95]
	v_ldexp_f64 v[6:7], v[6:7], 1
	v_add_f64 v[22:23], v[22:23], -v[30:31]
	v_add_f64 v[6:7], v[6:7], v[22:23]
	v_add_f64 v[22:23], v[26:27], v[6:7]
	v_add_f64 v[26:27], v[22:23], -v[26:27]
	v_add_f64 v[6:7], v[6:7], -v[26:27]
	v_add_f64 v[26:27], v[28:29], v[22:23]
	v_add_f64 v[30:31], v[26:27], -v[28:29]
	v_add_f64 v[94:95], v[26:27], -v[30:31]
	;; [unrolled: 1-line block ×4, first 2 shown]
	v_add_f64 v[22:23], v[22:23], v[28:29]
	v_add_f64 v[28:29], v[32:33], v[6:7]
	v_add_f64 v[30:31], v[28:29], -v[32:33]
	v_add_f64 v[22:23], v[28:29], v[22:23]
	v_add_f64 v[94:95], v[28:29], -v[30:31]
	;; [unrolled: 2-line block ×3, first 2 shown]
	v_add_f64 v[6:7], v[6:7], -v[30:31]
	v_add_f64 v[26:27], v[28:29], -v[26:27]
	v_add_f64 v[6:7], v[6:7], v[32:33]
	v_add_f64 v[22:23], v[22:23], -v[26:27]
	v_add_f64 v[6:7], v[6:7], v[22:23]
	v_max_f64 v[22:23], |v[4:5]|, |v[4:5]|
	v_max_f64 v[26:27], |v[2:3]|, |v[2:3]|
	v_add_f64 v[6:7], v[28:29], v[6:7]
	v_max_f64 v[28:29], v[26:27], v[22:23]
	v_min_f64 v[26:27], v[26:27], v[22:23]
	v_div_scale_f64 v[30:31], s[58:59], v[28:29], v[28:29], v[26:27]
	v_cmp_eq_f64_e32 vcc, s[36:37], v[24:25]
	v_rcp_f64_e32 v[32:33], v[30:31]
	v_cndmask_b32_e32 v7, v7, v25, vcc
	v_cndmask_b32_e32 v6, v6, v24, vcc
	v_mul_f64 v[6:7], v[6:7], 0.5
	v_cmp_ngt_f64_e32 vcc, -1.0, v[24:25]
	v_cndmask_b32_e32 v1, v112, v7, vcc
	v_cmp_nge_f64_e32 vcc, -1.0, v[24:25]
	v_cndmask_b32_e32 v22, 0, v6, vcc
	v_fma_f64 v[6:7], -v[30:31], v[32:33], 1.0
	v_fmac_f64_e32 v[32:33], v[32:33], v[6:7]
	v_cmp_neq_f64_e32 vcc, -1.0, v[24:25]
	v_fma_f64 v[6:7], -v[30:31], v[32:33], 1.0
	v_cndmask_b32_e32 v23, v113, v1, vcc
	v_fmac_f64_e32 v[32:33], v[32:33], v[6:7]
	v_div_scale_f64 v[6:7], vcc, v[26:27], v[28:29], v[26:27]
	v_mul_f64 v[24:25], v[6:7], v[32:33]
	v_fma_f64 v[6:7], -v[30:31], v[24:25], v[6:7]
	v_cmp_class_f64_e64 s[60:61], v[2:3], s75
	s_nop 0
	v_div_fmas_f64 v[6:7], v[6:7], v[32:33], v[24:25]
	v_div_fixup_f64 v[6:7], v[6:7], v[28:29], v[26:27]
	v_mul_f64 v[24:25], v[6:7], v[6:7]
	v_pk_mov_b32 v[26:27], v[46:47], v[46:47] op_sel:[0,1]
	v_fmac_f64_e32 v[26:27], s[38:39], v[24:25]
	v_pk_mov_b32 v[28:29], v[48:49], v[48:49] op_sel:[0,1]
	v_fmac_f64_e32 v[28:29], v[24:25], v[26:27]
	;; [unrolled: 2-line block ×19, first 2 shown]
	v_cmp_gt_i32_e32 vcc, 0, v3
	v_mul_f64 v[24:25], v[24:25], v[26:27]
	v_cndmask_b32_e32 v2, v116, v117, vcc
	v_fmac_f64_e32 v[6:7], v[6:7], v[24:25]
	v_bfi_b32 v8, s74, v2, v5
	v_ashrrev_i32_e32 v2, 31, v3
	v_and_b32_e32 v24, 0x400921fb, v2
	v_and_b32_e32 v25, 0x54442d18, v2
	v_add_f64 v[2:3], -v[6:7], s[40:41]
	v_cndmask_b32_e64 v3, v7, v3, s[8:9]
	v_cndmask_b32_e64 v2, v6, v2, s[8:9]
	s_mov_b32 s42, s40
	v_add_f64 v[6:7], -v[2:3], s[42:43]
	v_cmp_class_f64_e64 s[58:59], v[4:5], s75
	v_cndmask_b32_e32 v1, v114, v115, vcc
	v_cndmask_b32_e32 v3, v3, v7, vcc
	;; [unrolled: 1-line block ×3, first 2 shown]
	v_cmp_eq_f64_e32 vcc, 0, v[4:5]
	v_cndmask_b32_e32 v2, v2, v25, vcc
	v_cndmask_b32_e32 v3, v3, v24, vcc
	s_and_b64 vcc, s[58:59], s[60:61]
	v_cndmask_b32_e32 v25, v3, v8, vcc
	v_cndmask_b32_e32 v24, v2, v1, vcc
                                        ; implicit-def: $vgpr6_vgpr7
                                        ; implicit-def: $vgpr26_vgpr27
.LBB168_193:                            ;   in Loop: Header=BB168_145 Depth=1
	s_andn2_saveexec_b64 s[58:59], s[10:11]
	s_cbranch_execz .LBB168_201
; %bb.194:                              ;   in Loop: Header=BB168_145 Depth=1
	v_mul_f64 v[24:25], v[6:7], v[6:7]
	v_fmac_f64_e32 v[24:25], v[26:27], v[26:27]
	v_cmp_ge_f64_e32 vcc, s[44:45], v[24:25]
                                        ; implicit-def: $vgpr22_vgpr23
	s_and_saveexec_b64 s[10:11], vcc
	s_xor_b64 s[10:11], exec, s[10:11]
	s_cbranch_execz .LBB168_196
; %bb.195:                              ;   in Loop: Header=BB168_145 Depth=1
	v_frexp_mant_f64_e32 v[6:7], v[24:25]
	v_cmp_gt_f64_e32 vcc, s[26:27], v[6:7]
	v_cndmask_b32_e64 v85, v118, 2.0, vcc
	v_mul_f64 v[6:7], v[6:7], v[84:85]
	v_add_f64 v[22:23], v[6:7], 1.0
	v_rcp_f64_e32 v[26:27], v[22:23]
	v_add_f64 v[30:31], v[22:23], -1.0
	v_add_f64 v[28:29], v[6:7], -1.0
	v_add_f64 v[6:7], v[6:7], -v[30:31]
	v_fma_f64 v[30:31], -v[22:23], v[26:27], 1.0
	v_fmac_f64_e32 v[26:27], v[30:31], v[26:27]
	v_fma_f64 v[30:31], -v[22:23], v[26:27], 1.0
	v_fmac_f64_e32 v[26:27], v[30:31], v[26:27]
	v_mul_f64 v[30:31], v[28:29], v[26:27]
	v_mul_f64 v[32:33], v[22:23], v[30:31]
	v_fma_f64 v[22:23], v[30:31], v[22:23], -v[32:33]
	v_fmac_f64_e32 v[22:23], v[30:31], v[6:7]
	v_add_f64 v[6:7], v[32:33], v[22:23]
	v_add_f64 v[94:95], v[28:29], -v[6:7]
	v_add_f64 v[32:33], v[6:7], -v[32:33]
	v_add_f64 v[28:29], v[28:29], -v[94:95]
	v_add_f64 v[6:7], v[28:29], -v[6:7]
	v_add_f64 v[22:23], v[32:33], -v[22:23]
	v_add_f64 v[6:7], v[22:23], v[6:7]
	v_add_f64 v[6:7], v[94:95], v[6:7]
	v_mul_f64 v[6:7], v[26:27], v[6:7]
	v_add_f64 v[22:23], v[30:31], v[6:7]
	v_add_f64 v[26:27], v[22:23], -v[30:31]
	v_add_f64 v[6:7], v[6:7], -v[26:27]
	v_mul_f64 v[26:27], v[22:23], v[22:23]
	v_pk_mov_b32 v[28:29], v[34:35], v[34:35] op_sel:[0,1]
	v_fmac_f64_e32 v[28:29], s[28:29], v[26:27]
	v_pk_mov_b32 v[30:31], v[36:37], v[36:37] op_sel:[0,1]
	v_fmac_f64_e32 v[30:31], v[26:27], v[28:29]
	;; [unrolled: 2-line block ×6, first 2 shown]
	v_ldexp_f64 v[28:29], v[22:23], 1
	v_mul_f64 v[22:23], v[22:23], v[26:27]
	v_mul_f64 v[22:23], v[22:23], v[30:31]
	v_add_f64 v[26:27], v[28:29], v[22:23]
	v_add_f64 v[28:29], v[26:27], -v[28:29]
	v_ldexp_f64 v[6:7], v[6:7], 1
	v_add_f64 v[22:23], v[22:23], -v[28:29]
	v_add_f64 v[6:7], v[6:7], v[22:23]
	v_frexp_exp_i32_f64_e32 v1, v[24:25]
	v_add_f64 v[22:23], v[26:27], v[6:7]
	v_subbrev_co_u32_e32 v1, vcc, 0, v1, vcc
	v_add_f64 v[26:27], v[22:23], -v[26:27]
	v_add_f64 v[6:7], v[6:7], -v[26:27]
	v_cvt_f64_i32_e32 v[26:27], v1
	v_mul_f64 v[28:29], v[26:27], s[30:31]
	v_fma_f64 v[30:31], v[26:27], s[30:31], -v[28:29]
	v_fmac_f64_e32 v[30:31], s[34:35], v[26:27]
	v_add_f64 v[26:27], v[28:29], v[30:31]
	v_add_f64 v[28:29], v[26:27], -v[28:29]
	v_add_f64 v[28:29], v[30:31], -v[28:29]
	v_add_f64 v[30:31], v[26:27], v[22:23]
	v_add_f64 v[32:33], v[30:31], -v[26:27]
	v_add_f64 v[94:95], v[30:31], -v[32:33]
	v_add_f64 v[26:27], v[26:27], -v[94:95]
	v_add_f64 v[22:23], v[22:23], -v[32:33]
	v_add_f64 v[22:23], v[22:23], v[26:27]
	v_add_f64 v[26:27], v[28:29], v[6:7]
	v_add_f64 v[32:33], v[26:27], -v[28:29]
	v_add_f64 v[94:95], v[26:27], -v[32:33]
	v_add_f64 v[22:23], v[26:27], v[22:23]
	v_add_f64 v[28:29], v[28:29], -v[94:95]
	v_add_f64 v[6:7], v[6:7], -v[32:33]
	v_add_f64 v[26:27], v[30:31], v[22:23]
	v_add_f64 v[6:7], v[6:7], v[28:29]
	v_add_f64 v[28:29], v[26:27], -v[30:31]
	v_add_f64 v[22:23], v[22:23], -v[28:29]
	v_add_f64 v[6:7], v[6:7], v[22:23]
	v_add_f64 v[6:7], v[26:27], v[6:7]
	v_max_f64 v[22:23], |v[4:5]|, |v[4:5]|
	v_max_f64 v[26:27], |v[2:3]|, |v[2:3]|
	v_max_f64 v[28:29], v[26:27], v[22:23]
	v_min_f64 v[26:27], v[26:27], v[22:23]
	v_div_scale_f64 v[30:31], s[60:61], v[28:29], v[28:29], v[26:27]
	v_rcp_f64_e32 v[32:33], v[30:31]
	v_mul_f64 v[6:7], v[6:7], 0.5
	v_cmp_neq_f64_e32 vcc, 0, v[24:25]
	v_cndmask_b32_e32 v23, v113, v7, vcc
	v_cndmask_b32_e32 v22, 0, v6, vcc
	v_fma_f64 v[6:7], -v[30:31], v[32:33], 1.0
	v_fmac_f64_e32 v[32:33], v[32:33], v[6:7]
	v_fma_f64 v[6:7], -v[30:31], v[32:33], 1.0
	v_fmac_f64_e32 v[32:33], v[32:33], v[6:7]
	v_div_scale_f64 v[6:7], vcc, v[26:27], v[28:29], v[26:27]
	v_mul_f64 v[24:25], v[6:7], v[32:33]
	v_fma_f64 v[6:7], -v[30:31], v[24:25], v[6:7]
	v_cmp_class_f64_e64 s[62:63], v[2:3], s75
	s_nop 0
	v_div_fmas_f64 v[6:7], v[6:7], v[32:33], v[24:25]
	v_div_fixup_f64 v[6:7], v[6:7], v[28:29], v[26:27]
	v_mul_f64 v[24:25], v[6:7], v[6:7]
	v_pk_mov_b32 v[26:27], v[46:47], v[46:47] op_sel:[0,1]
	v_fmac_f64_e32 v[26:27], s[38:39], v[24:25]
	v_pk_mov_b32 v[28:29], v[48:49], v[48:49] op_sel:[0,1]
	v_fmac_f64_e32 v[28:29], v[24:25], v[26:27]
	;; [unrolled: 2-line block ×19, first 2 shown]
	v_cmp_gt_i32_e32 vcc, 0, v3
	v_mul_f64 v[24:25], v[24:25], v[26:27]
	v_cndmask_b32_e32 v2, v116, v117, vcc
	v_fmac_f64_e32 v[6:7], v[6:7], v[24:25]
	v_bfi_b32 v8, s74, v2, v5
	v_ashrrev_i32_e32 v2, 31, v3
	v_and_b32_e32 v24, 0x400921fb, v2
	v_and_b32_e32 v25, 0x54442d18, v2
	v_add_f64 v[2:3], -v[6:7], s[40:41]
	v_cndmask_b32_e64 v3, v7, v3, s[8:9]
	v_cndmask_b32_e64 v2, v6, v2, s[8:9]
	s_mov_b32 s42, s40
	v_add_f64 v[6:7], -v[2:3], s[42:43]
	v_cmp_class_f64_e64 s[60:61], v[4:5], s75
	v_cndmask_b32_e32 v1, v114, v115, vcc
	v_cndmask_b32_e32 v3, v3, v7, vcc
	;; [unrolled: 1-line block ×3, first 2 shown]
	v_cmp_eq_f64_e32 vcc, 0, v[4:5]
	v_cndmask_b32_e32 v2, v2, v25, vcc
	v_cndmask_b32_e32 v3, v3, v24, vcc
	s_and_b64 vcc, s[60:61], s[62:63]
	v_cndmask_b32_e32 v25, v3, v8, vcc
	v_cndmask_b32_e32 v24, v2, v1, vcc
                                        ; implicit-def: $vgpr26_vgpr27
                                        ; implicit-def: $vgpr6_vgpr7
.LBB168_196:                            ;   in Loop: Header=BB168_145 Depth=1
	s_andn2_saveexec_b64 s[60:61], s[10:11]
	s_cbranch_execz .LBB168_200
; %bb.197:                              ;   in Loop: Header=BB168_145 Depth=1
	v_and_b32_e32 v85, 0x7ffffff8, v27
	v_and_b32_e32 v25, 0x7ffffff8, v7
	v_mov_b32_e32 v24, v84
	v_add_f64 v[22:23], v[26:27], -v[84:85]
	v_add_f64 v[6:7], v[6:7], -v[24:25]
	v_and_b32_e32 v97, -8, v23
	v_mov_b32_e32 v96, v84
	v_and_b32_e32 v99, -8, v7
	v_mov_b32_e32 v98, v84
	v_add_f64 v[30:31], v[84:85], v[84:85]
	v_add_f64 v[104:105], v[24:25], v[24:25]
	v_add_f64 v[100:101], v[22:23], -v[96:97]
	v_add_f64 v[102:103], v[6:7], -v[98:99]
	v_mul_f64 v[22:23], v[24:25], v[24:25]
	v_mul_f64 v[28:29], v[30:31], v[96:97]
	;; [unrolled: 1-line block ×5, first 2 shown]
	v_add_f64 v[96:97], v[96:97], v[96:97]
	v_add_f64 v[98:99], v[98:99], v[98:99]
	v_mul_f64 v[6:7], v[84:85], v[84:85]
	v_mul_f64 v[32:33], v[30:31], v[100:101]
	v_mul_f64 v[30:31], v[104:105], v[102:103]
	v_mul_f64 v[96:97], v[96:97], v[100:101]
	v_mul_f64 v[98:99], v[98:99], v[102:103]
	v_mul_f64 v[100:101], v[100:101], v[100:101]
	v_mul_f64 v[102:103], v[102:103], v[102:103]
	s_mov_b64 s[62:63], 0
.LBB168_198:                            ;   Parent Loop BB168_145 Depth=1
                                        ; =>  This Inner Loop Header: Depth=2
	v_cmp_nlt_f64_e32 vcc, v[6:7], v[22:23]
	v_cndmask_b32_e32 v105, v7, v23, vcc
	v_cndmask_b32_e32 v104, v6, v22, vcc
	v_cmp_nlt_f64_e64 s[10:11], v[104:105], v[28:29]
	v_cndmask_b32_e64 v107, v105, v29, s[10:11]
	v_cndmask_b32_e64 v106, v104, v28, s[10:11]
	v_cndmask_b32_e32 v7, v23, v7, vcc
	v_cndmask_b32_e32 v6, v22, v6, vcc
	s_and_b64 s[64:65], vcc, s[10:11]
	v_cmp_nlt_f64_e32 vcc, v[106:107], v[26:27]
	v_cndmask_b32_e64 v23, v29, v105, s[10:11]
	v_cndmask_b32_e64 v22, v28, v104, s[10:11]
	v_cndmask_b32_e32 v105, v107, v27, vcc
	v_cndmask_b32_e32 v104, v106, v26, vcc
	v_cmp_nlt_f64_e64 s[10:11], v[104:105], v[94:95]
	v_cndmask_b32_e32 v29, v27, v107, vcc
	v_cndmask_b32_e32 v28, v26, v106, vcc
	v_cndmask_b32_e64 v107, v105, v95, s[10:11]
	v_cndmask_b32_e64 v106, v104, v94, s[10:11]
	s_and_b64 s[76:77], vcc, s[10:11]
	v_cmp_nlt_f64_e32 vcc, v[106:107], v[24:25]
	v_cndmask_b32_e64 v27, v95, v105, s[10:11]
	v_cndmask_b32_e64 v26, v94, v104, s[10:11]
	v_cndmask_b32_e32 v105, v107, v25, vcc
	v_cndmask_b32_e32 v104, v106, v24, vcc
	v_cmp_nlt_f64_e64 s[10:11], v[104:105], v[32:33]
	v_cndmask_b32_e32 v95, v25, v107, vcc
	v_cndmask_b32_e32 v94, v24, v106, vcc
	v_cndmask_b32_e64 v107, v105, v33, s[10:11]
	v_cndmask_b32_e64 v106, v104, v32, s[10:11]
	;; [unrolled: 1-line block ×4, first 2 shown]
	s_and_b64 s[10:11], vcc, s[10:11]
	v_cmp_nlt_f64_e32 vcc, v[106:107], v[30:31]
	v_cndmask_b32_e32 v105, v107, v31, vcc
	v_cndmask_b32_e32 v104, v106, v30, vcc
	v_cndmask_b32_e32 v33, v31, v107, vcc
	v_cndmask_b32_e32 v32, v30, v106, vcc
	s_and_b64 s[10:11], s[10:11], vcc
	v_cmp_nlt_f64_e32 vcc, v[104:105], v[96:97]
	v_cndmask_b32_e32 v107, v105, v97, vcc
	v_cndmask_b32_e32 v106, v104, v96, vcc
	v_cndmask_b32_e32 v31, v97, v105, vcc
	v_cndmask_b32_e32 v30, v96, v104, vcc
	s_and_b64 s[10:11], s[10:11], vcc
	;; [unrolled: 6-line block ×4, first 2 shown]
	v_cmp_nlt_f64_e32 vcc, v[106:107], v[102:103]
	s_and_b64 s[10:11], s[10:11], vcc
	s_and_b64 s[10:11], s[10:11], s[76:77]
	s_and_b64 s[10:11], s[10:11], s[64:65]
	v_cndmask_b32_e32 v105, v107, v103, vcc
	v_cndmask_b32_e32 v104, v106, v102, vcc
	s_and_b64 s[10:11], exec, s[10:11]
	v_cndmask_b32_e32 v101, v103, v107, vcc
	v_cndmask_b32_e32 v100, v102, v106, vcc
	s_or_b64 s[62:63], s[10:11], s[62:63]
	v_pk_mov_b32 v[102:103], v[104:105], v[104:105] op_sel:[0,1]
	s_andn2_b64 exec, exec, s[62:63]
	s_cbranch_execnz .LBB168_198
; %bb.199:                              ;   in Loop: Header=BB168_145 Depth=1
	s_or_b64 exec, exec, s[62:63]
	v_add_f64 v[6:7], v[6:7], -1.0
	v_add_f64 v[6:7], v[6:7], v[22:23]
	v_add_f64 v[6:7], v[6:7], v[28:29]
	v_add_f64 v[6:7], v[6:7], v[26:27]
	v_add_f64 v[6:7], v[6:7], v[94:95]
	v_add_f64 v[6:7], v[6:7], v[24:25]
	v_add_f64 v[6:7], v[6:7], v[32:33]
	v_add_f64 v[6:7], v[6:7], v[30:31]
	v_add_f64 v[6:7], v[6:7], v[96:97]
	v_add_f64 v[6:7], v[6:7], v[98:99]
	v_add_f64 v[6:7], v[6:7], v[100:101]
	v_add_f64 v[6:7], v[104:105], v[6:7]
	v_add_f64 v[22:23], v[6:7], 1.0
	v_add_f64 v[24:25], v[22:23], -1.0
	v_add_f64 v[26:27], v[24:25], -v[22:23]
	v_add_f64 v[26:27], v[26:27], 1.0
	v_add_f64 v[24:25], v[6:7], -v[24:25]
	v_add_f64 v[24:25], v[24:25], v[26:27]
	v_frexp_mant_f64_e32 v[26:27], v[22:23]
	v_frexp_exp_i32_f64_e32 v1, v[22:23]
	v_cmp_gt_f64_e32 vcc, s[26:27], v[26:27]
	v_subbrev_co_u32_e32 v1, vcc, 0, v1, vcc
	v_sub_u32_e32 v8, 0, v1
	v_ldexp_f64 v[22:23], v[22:23], v8
	v_add_f64 v[26:27], v[22:23], -1.0
	v_add_f64 v[32:33], v[22:23], 1.0
	v_add_f64 v[28:29], v[26:27], 1.0
	v_add_f64 v[94:95], v[32:33], -1.0
	v_ldexp_f64 v[24:25], v[24:25], v8
	v_add_f64 v[28:29], v[22:23], -v[28:29]
	v_add_f64 v[22:23], v[22:23], -v[94:95]
	v_add_f64 v[22:23], v[24:25], v[22:23]
	v_add_f64 v[28:29], v[24:25], v[28:29]
	v_add_f64 v[24:25], v[32:33], v[22:23]
	v_rcp_f64_e32 v[94:95], v[24:25]
	v_add_f64 v[30:31], v[26:27], v[28:29]
	v_add_f64 v[26:27], v[30:31], -v[26:27]
	v_add_f64 v[26:27], v[28:29], -v[26:27]
	;; [unrolled: 1-line block ×4, first 2 shown]
	v_fma_f64 v[28:29], -v[24:25], v[94:95], 1.0
	v_fmac_f64_e32 v[94:95], v[28:29], v[94:95]
	v_fma_f64 v[28:29], -v[24:25], v[94:95], 1.0
	v_fmac_f64_e32 v[94:95], v[28:29], v[94:95]
	v_mul_f64 v[28:29], v[30:31], v[94:95]
	v_mul_f64 v[32:33], v[24:25], v[28:29]
	v_fma_f64 v[96:97], v[28:29], v[24:25], -v[32:33]
	v_fmac_f64_e32 v[96:97], v[28:29], v[22:23]
	v_add_f64 v[98:99], v[32:33], v[96:97]
	v_add_f64 v[100:101], v[30:31], -v[98:99]
	v_add_f64 v[30:31], v[30:31], -v[100:101]
	v_add_f64 v[32:33], v[98:99], -v[32:33]
	v_add_f64 v[30:31], v[30:31], -v[98:99]
	v_add_f64 v[26:27], v[26:27], v[30:31]
	v_add_f64 v[30:31], v[32:33], -v[96:97]
	v_add_f64 v[26:27], v[30:31], v[26:27]
	v_add_f64 v[30:31], v[100:101], v[26:27]
	v_add_f64 v[32:33], v[100:101], -v[30:31]
	v_add_f64 v[26:27], v[26:27], v[32:33]
	v_mul_f64 v[32:33], v[94:95], v[30:31]
	v_mul_f64 v[96:97], v[24:25], v[32:33]
	v_fma_f64 v[24:25], v[32:33], v[24:25], -v[96:97]
	v_fmac_f64_e32 v[24:25], v[32:33], v[22:23]
	v_add_f64 v[22:23], v[96:97], v[24:25]
	v_add_f64 v[98:99], v[30:31], -v[22:23]
	v_add_f64 v[30:31], v[30:31], -v[98:99]
	;; [unrolled: 1-line block ×4, first 2 shown]
	v_add_f64 v[22:23], v[26:27], v[22:23]
	v_add_f64 v[24:25], v[96:97], -v[24:25]
	v_add_f64 v[22:23], v[24:25], v[22:23]
	v_add_f64 v[24:25], v[28:29], v[32:33]
	;; [unrolled: 1-line block ×3, first 2 shown]
	v_add_f64 v[26:27], v[24:25], -v[28:29]
	v_mul_f64 v[22:23], v[94:95], v[22:23]
	v_add_f64 v[26:27], v[32:33], -v[26:27]
	v_add_f64 v[22:23], v[26:27], v[22:23]
	v_add_f64 v[26:27], v[24:25], v[22:23]
	v_add_f64 v[24:25], v[26:27], -v[24:25]
	v_add_f64 v[22:23], v[22:23], -v[24:25]
	v_mul_f64 v[24:25], v[26:27], v[26:27]
	v_pk_mov_b32 v[28:29], v[34:35], v[34:35] op_sel:[0,1]
	v_fmac_f64_e32 v[28:29], s[28:29], v[24:25]
	v_pk_mov_b32 v[30:31], v[36:37], v[36:37] op_sel:[0,1]
	v_fmac_f64_e32 v[30:31], v[24:25], v[28:29]
	;; [unrolled: 2-line block ×6, first 2 shown]
	v_cvt_f64_i32_e32 v[28:29], v1
	v_mul_f64 v[32:33], v[28:29], s[30:31]
	v_fma_f64 v[94:95], v[28:29], s[30:31], -v[32:33]
	v_fmac_f64_e32 v[94:95], s[34:35], v[28:29]
	v_add_f64 v[28:29], v[32:33], v[94:95]
	v_add_f64 v[32:33], v[28:29], -v[32:33]
	v_mul_f64 v[24:25], v[26:27], v[24:25]
	v_add_f64 v[32:33], v[94:95], -v[32:33]
	v_ldexp_f64 v[94:95], v[26:27], 1
	v_mul_f64 v[24:25], v[24:25], v[30:31]
	v_add_f64 v[26:27], v[94:95], v[24:25]
	v_add_f64 v[30:31], v[26:27], -v[94:95]
	v_ldexp_f64 v[22:23], v[22:23], 1
	v_add_f64 v[24:25], v[24:25], -v[30:31]
	v_add_f64 v[22:23], v[22:23], v[24:25]
	v_add_f64 v[24:25], v[26:27], v[22:23]
	v_add_f64 v[26:27], v[24:25], -v[26:27]
	v_add_f64 v[22:23], v[22:23], -v[26:27]
	v_add_f64 v[26:27], v[28:29], v[24:25]
	v_add_f64 v[30:31], v[26:27], -v[28:29]
	v_add_f64 v[94:95], v[26:27], -v[30:31]
	;; [unrolled: 1-line block ×4, first 2 shown]
	v_add_f64 v[24:25], v[24:25], v[28:29]
	v_add_f64 v[28:29], v[32:33], v[22:23]
	v_add_f64 v[30:31], v[28:29], -v[32:33]
	v_add_f64 v[24:25], v[28:29], v[24:25]
	v_add_f64 v[94:95], v[28:29], -v[30:31]
	;; [unrolled: 2-line block ×3, first 2 shown]
	v_add_f64 v[22:23], v[22:23], -v[30:31]
	v_add_f64 v[26:27], v[28:29], -v[26:27]
	v_add_f64 v[22:23], v[22:23], v[32:33]
	v_add_f64 v[24:25], v[24:25], -v[26:27]
	v_add_f64 v[22:23], v[22:23], v[24:25]
	v_max_f64 v[24:25], |v[4:5]|, |v[4:5]|
	v_max_f64 v[26:27], |v[2:3]|, |v[2:3]|
	v_add_f64 v[22:23], v[28:29], v[22:23]
	v_max_f64 v[28:29], v[26:27], v[24:25]
	v_min_f64 v[24:25], v[26:27], v[24:25]
	v_div_scale_f64 v[26:27], s[10:11], v[28:29], v[28:29], v[24:25]
	v_cmp_eq_f64_e32 vcc, s[36:37], v[6:7]
	v_rcp_f64_e32 v[30:31], v[26:27]
	v_cndmask_b32_e32 v23, v23, v7, vcc
	v_cndmask_b32_e32 v22, v22, v6, vcc
	v_mul_f64 v[22:23], v[22:23], 0.5
	v_cmp_ngt_f64_e32 vcc, -1.0, v[6:7]
	v_cndmask_b32_e32 v1, v112, v23, vcc
	v_cmp_nge_f64_e32 vcc, -1.0, v[6:7]
	v_cndmask_b32_e32 v22, 0, v22, vcc
	v_cmp_neq_f64_e32 vcc, -1.0, v[6:7]
	v_fma_f64 v[6:7], -v[26:27], v[30:31], 1.0
	v_fmac_f64_e32 v[30:31], v[30:31], v[6:7]
	v_fma_f64 v[6:7], -v[26:27], v[30:31], 1.0
	v_cndmask_b32_e32 v23, v113, v1, vcc
	v_fmac_f64_e32 v[30:31], v[30:31], v[6:7]
	v_div_scale_f64 v[6:7], vcc, v[24:25], v[28:29], v[24:25]
	v_mul_f64 v[32:33], v[6:7], v[30:31]
	v_fma_f64 v[6:7], -v[26:27], v[32:33], v[6:7]
	v_pk_mov_b32 v[26:27], v[46:47], v[46:47] op_sel:[0,1]
	s_nop 0
	v_div_fmas_f64 v[6:7], v[6:7], v[30:31], v[32:33]
	v_div_fixup_f64 v[6:7], v[6:7], v[28:29], v[24:25]
	v_mul_f64 v[24:25], v[6:7], v[6:7]
	v_fmac_f64_e32 v[26:27], s[38:39], v[24:25]
	v_pk_mov_b32 v[28:29], v[48:49], v[48:49] op_sel:[0,1]
	v_fmac_f64_e32 v[28:29], v[24:25], v[26:27]
	v_pk_mov_b32 v[26:27], v[50:51], v[50:51] op_sel:[0,1]
	;; [unrolled: 2-line block ×18, first 2 shown]
	v_fmac_f64_e32 v[26:27], v[24:25], v[28:29]
	v_cmp_gt_i32_e32 vcc, 0, v3
	v_mul_f64 v[24:25], v[24:25], v[26:27]
	v_cmp_class_f64_e64 s[62:63], v[2:3], s75
	v_cndmask_b32_e32 v2, v116, v117, vcc
	v_fmac_f64_e32 v[6:7], v[6:7], v[24:25]
	v_bfi_b32 v8, s74, v2, v5
	v_ashrrev_i32_e32 v2, 31, v3
	v_and_b32_e32 v24, 0x400921fb, v2
	v_and_b32_e32 v25, 0x54442d18, v2
	v_add_f64 v[2:3], -v[6:7], s[40:41]
	v_cndmask_b32_e64 v3, v7, v3, s[8:9]
	v_cndmask_b32_e64 v2, v6, v2, s[8:9]
	s_mov_b32 s42, s40
	v_add_f64 v[6:7], -v[2:3], s[42:43]
	v_cmp_class_f64_e64 s[10:11], v[4:5], s75
	v_cndmask_b32_e32 v1, v114, v115, vcc
	v_cndmask_b32_e32 v3, v3, v7, vcc
	;; [unrolled: 1-line block ×3, first 2 shown]
	v_cmp_eq_f64_e32 vcc, 0, v[4:5]
	v_cndmask_b32_e32 v2, v2, v25, vcc
	v_cndmask_b32_e32 v3, v3, v24, vcc
	s_and_b64 vcc, s[10:11], s[62:63]
	v_cndmask_b32_e32 v25, v3, v8, vcc
	v_cndmask_b32_e32 v24, v2, v1, vcc
.LBB168_200:                            ;   in Loop: Header=BB168_145 Depth=1
	s_or_b64 exec, exec, s[60:61]
.LBB168_201:                            ;   in Loop: Header=BB168_145 Depth=1
	s_or_b64 exec, exec, s[58:59]
.LBB168_202:                            ;   in Loop: Header=BB168_145 Depth=1
	s_andn2_saveexec_b64 s[56:57], s[56:57]
	s_cbranch_execz .LBB168_204
; %bb.203:                              ;   in Loop: Header=BB168_145 Depth=1
	v_max_f64 v[6:7], |v[4:5]|, |v[4:5]|
	v_max_f64 v[22:23], |v[2:3]|, |v[2:3]|
	v_max_f64 v[24:25], v[22:23], v[6:7]
	v_frexp_exp_i32_f64_e32 v1, v[24:25]
	v_sub_u32_e32 v8, 0, v1
	v_ldexp_f64 v[28:29], |v[4:5]|, v8
	v_ldexp_f64 v[26:27], |v[2:3]|, v8
	v_mul_f64 v[28:29], v[28:29], v[28:29]
	v_fmac_f64_e32 v[28:29], v[26:27], v[26:27]
	v_rsq_f64_e32 v[26:27], v[28:29]
	v_cmp_eq_f64_e32 vcc, 0, v[28:29]
	v_cmp_class_f64_e64 s[58:59], v[2:3], s75
	v_cmp_class_f64_e64 s[60:61], v[4:5], s75
	v_mul_f64 v[30:31], v[28:29], v[26:27]
	v_mul_f64 v[26:27], v[26:27], 0.5
	v_fma_f64 v[32:33], -v[26:27], v[30:31], 0.5
	v_fmac_f64_e32 v[30:31], v[30:31], v[32:33]
	v_fmac_f64_e32 v[26:27], v[26:27], v[32:33]
	v_fma_f64 v[32:33], -v[30:31], v[30:31], v[28:29]
	v_fmac_f64_e32 v[30:31], v[32:33], v[26:27]
	v_cndmask_b32_e32 v27, v31, v29, vcc
	v_cndmask_b32_e32 v26, v30, v28, vcc
	v_ldexp_f64 v[26:27], v[26:27], v1
	s_or_b64 vcc, s[60:61], s[58:59]
	v_cndmask_b32_e32 v29, v27, v119, vcc
	v_cndmask_b32_e64 v28, v26, 0, vcc
	v_frexp_mant_f64_e32 v[30:31], v[28:29]
	v_cmp_gt_f64_e64 s[10:11], s[26:27], v[30:31]
	v_cndmask_b32_e64 v85, v118, 2.0, s[10:11]
	v_mul_f64 v[30:31], v[30:31], v[84:85]
	v_add_f64 v[32:33], v[30:31], 1.0
	v_rcp_f64_e32 v[94:95], v[32:33]
	v_add_f64 v[98:99], v[32:33], -1.0
	v_add_f64 v[96:97], v[30:31], -1.0
	v_add_f64 v[30:31], v[30:31], -v[98:99]
	v_fma_f64 v[98:99], -v[32:33], v[94:95], 1.0
	v_fmac_f64_e32 v[94:95], v[98:99], v[94:95]
	v_fma_f64 v[98:99], -v[32:33], v[94:95], 1.0
	v_fmac_f64_e32 v[94:95], v[98:99], v[94:95]
	v_mul_f64 v[98:99], v[96:97], v[94:95]
	v_mul_f64 v[100:101], v[32:33], v[98:99]
	v_fma_f64 v[32:33], v[98:99], v[32:33], -v[100:101]
	v_fmac_f64_e32 v[32:33], v[98:99], v[30:31]
	v_add_f64 v[30:31], v[100:101], v[32:33]
	v_add_f64 v[102:103], v[96:97], -v[30:31]
	v_add_f64 v[100:101], v[30:31], -v[100:101]
	;; [unrolled: 1-line block ×5, first 2 shown]
	v_add_f64 v[30:31], v[32:33], v[30:31]
	v_add_f64 v[30:31], v[102:103], v[30:31]
	v_mul_f64 v[30:31], v[94:95], v[30:31]
	v_add_f64 v[32:33], v[98:99], v[30:31]
	v_add_f64 v[94:95], v[32:33], -v[98:99]
	v_add_f64 v[30:31], v[30:31], -v[94:95]
	v_mul_f64 v[94:95], v[32:33], v[32:33]
	v_pk_mov_b32 v[96:97], v[34:35], v[34:35] op_sel:[0,1]
	v_fmac_f64_e32 v[96:97], s[28:29], v[94:95]
	v_pk_mov_b32 v[98:99], v[36:37], v[36:37] op_sel:[0,1]
	v_fmac_f64_e32 v[98:99], v[94:95], v[96:97]
	;; [unrolled: 2-line block ×6, first 2 shown]
	v_ldexp_f64 v[96:97], v[32:33], 1
	v_mul_f64 v[32:33], v[32:33], v[94:95]
	v_mul_f64 v[32:33], v[32:33], v[98:99]
	v_add_f64 v[94:95], v[96:97], v[32:33]
	v_add_f64 v[96:97], v[94:95], -v[96:97]
	v_ldexp_f64 v[30:31], v[30:31], 1
	v_add_f64 v[32:33], v[32:33], -v[96:97]
	v_add_f64 v[30:31], v[30:31], v[32:33]
	v_frexp_exp_i32_f64_e32 v1, v[28:29]
	v_add_f64 v[32:33], v[94:95], v[30:31]
	v_subbrev_co_u32_e64 v1, s[10:11], 0, v1, s[10:11]
	v_add_f64 v[94:95], v[32:33], -v[94:95]
	v_add_f64 v[30:31], v[30:31], -v[94:95]
	v_cvt_f64_i32_e32 v[94:95], v1
	v_mul_f64 v[96:97], v[94:95], s[30:31]
	v_fma_f64 v[98:99], v[94:95], s[30:31], -v[96:97]
	v_fmac_f64_e32 v[98:99], s[34:35], v[94:95]
	v_add_f64 v[94:95], v[96:97], v[98:99]
	v_add_f64 v[96:97], v[94:95], -v[96:97]
	v_add_f64 v[96:97], v[98:99], -v[96:97]
	v_add_f64 v[98:99], v[94:95], v[32:33]
	v_add_f64 v[100:101], v[98:99], -v[94:95]
	v_add_f64 v[102:103], v[98:99], -v[100:101]
	;; [unrolled: 1-line block ×4, first 2 shown]
	v_add_f64 v[32:33], v[32:33], v[94:95]
	v_add_f64 v[94:95], v[96:97], v[30:31]
	v_add_f64 v[100:101], v[94:95], -v[96:97]
	v_add_f64 v[102:103], v[94:95], -v[100:101]
	v_add_f64 v[32:33], v[94:95], v[32:33]
	v_add_f64 v[96:97], v[96:97], -v[102:103]
	v_add_f64 v[30:31], v[30:31], -v[100:101]
	v_add_f64 v[94:95], v[98:99], v[32:33]
	v_add_f64 v[30:31], v[30:31], v[96:97]
	v_add_f64 v[96:97], v[94:95], -v[98:99]
	v_add_f64 v[32:33], v[32:33], -v[96:97]
	v_add_f64 v[30:31], v[30:31], v[32:33]
	v_add_f64 v[30:31], v[94:95], v[30:31]
	v_cmp_class_f64_e64 s[10:11], v[26:27], s75
	v_min_f64 v[6:7], v[22:23], v[6:7]
	v_cndmask_b32_e64 v1, v31, v27, s[10:11]
	v_cndmask_b32_e64 v2, v30, v26, s[10:11]
	v_div_scale_f64 v[26:27], s[10:11], v[24:25], v[24:25], v[6:7]
	v_rcp_f64_e32 v[30:31], v[26:27]
	v_cndmask_b32_e64 v2, v2, 0, vcc
	v_cndmask_b32_e32 v1, v1, v119, vcc
	v_cmp_ngt_f64_e32 vcc, 0, v[28:29]
	v_cndmask_b32_e32 v1, v112, v1, vcc
	v_cmp_nge_f64_e32 vcc, 0, v[28:29]
	v_cndmask_b32_e32 v22, 0, v2, vcc
	v_cmp_neq_f64_e32 vcc, 0, v[28:29]
	v_fma_f64 v[28:29], -v[26:27], v[30:31], 1.0
	v_fmac_f64_e32 v[30:31], v[30:31], v[28:29]
	v_fma_f64 v[28:29], -v[26:27], v[30:31], 1.0
	v_cndmask_b32_e32 v23, v113, v1, vcc
	v_fmac_f64_e32 v[30:31], v[30:31], v[28:29]
	v_div_scale_f64 v[28:29], vcc, v[6:7], v[24:25], v[6:7]
	v_mul_f64 v[32:33], v[28:29], v[30:31]
	v_fma_f64 v[26:27], -v[26:27], v[32:33], v[28:29]
	v_pk_mov_b32 v[28:29], v[48:49], v[48:49] op_sel:[0,1]
	s_nop 0
	v_div_fmas_f64 v[26:27], v[26:27], v[30:31], v[32:33]
	v_div_fixup_f64 v[6:7], v[26:27], v[24:25], v[6:7]
	v_mul_f64 v[24:25], v[6:7], v[6:7]
	v_pk_mov_b32 v[26:27], v[46:47], v[46:47] op_sel:[0,1]
	v_fmac_f64_e32 v[26:27], s[38:39], v[24:25]
	v_fmac_f64_e32 v[28:29], v[24:25], v[26:27]
	v_pk_mov_b32 v[26:27], v[50:51], v[50:51] op_sel:[0,1]
	v_fmac_f64_e32 v[26:27], v[24:25], v[28:29]
	v_pk_mov_b32 v[28:29], v[52:53], v[52:53] op_sel:[0,1]
	;; [unrolled: 2-line block ×17, first 2 shown]
	v_fmac_f64_e32 v[26:27], v[24:25], v[28:29]
	v_cmp_gt_i32_e32 vcc, 0, v3
	v_mul_f64 v[24:25], v[24:25], v[26:27]
	v_cndmask_b32_e32 v2, v116, v117, vcc
	v_fmac_f64_e32 v[6:7], v[6:7], v[24:25]
	v_bfi_b32 v8, s74, v2, v5
	v_ashrrev_i32_e32 v2, 31, v3
	v_and_b32_e32 v24, 0x400921fb, v2
	v_and_b32_e32 v25, 0x54442d18, v2
	v_add_f64 v[2:3], -v[6:7], s[40:41]
	v_cndmask_b32_e64 v3, v7, v3, s[8:9]
	v_cndmask_b32_e64 v2, v6, v2, s[8:9]
	s_mov_b32 s42, s40
	v_add_f64 v[6:7], -v[2:3], s[42:43]
	v_cndmask_b32_e32 v1, v114, v115, vcc
	v_cndmask_b32_e32 v3, v3, v7, vcc
	;; [unrolled: 1-line block ×3, first 2 shown]
	v_cmp_eq_f64_e32 vcc, 0, v[4:5]
	v_cndmask_b32_e32 v2, v2, v25, vcc
	v_cndmask_b32_e32 v3, v3, v24, vcc
	s_and_b64 vcc, s[60:61], s[58:59]
	v_cndmask_b32_e32 v25, v3, v8, vcc
	v_cndmask_b32_e32 v24, v2, v1, vcc
.LBB168_204:                            ;   in Loop: Header=BB168_145 Depth=1
	s_or_b64 exec, exec, s[56:57]
                                        ; implicit-def: $vgpr6_vgpr7
.LBB168_205:                            ;   in Loop: Header=BB168_145 Depth=1
	s_andn2_saveexec_b64 s[10:11], s[54:55]
	s_cbranch_execz .LBB168_211
; %bb.206:                              ;   in Loop: Header=BB168_145 Depth=1
	v_cmp_ngt_f64_e32 vcc, s[46:47], v[6:7]
                                        ; implicit-def: $vgpr22_vgpr23
	s_and_saveexec_b64 s[54:55], vcc
	s_xor_b64 s[54:55], exec, s[54:55]
	s_cbranch_execz .LBB168_208
; %bb.207:                              ;   in Loop: Header=BB168_145 Depth=1
	v_mul_f64 v[6:7], v[6:7], v[6:7]
	v_add_f64 v[22:23], v[6:7], 1.0
	v_add_f64 v[24:25], v[22:23], -1.0
	v_add_f64 v[26:27], v[24:25], -v[22:23]
	v_add_f64 v[26:27], v[26:27], 1.0
	v_add_f64 v[24:25], v[6:7], -v[24:25]
	v_add_f64 v[24:25], v[24:25], v[26:27]
	v_frexp_mant_f64_e32 v[26:27], v[22:23]
	v_frexp_exp_i32_f64_e32 v1, v[22:23]
	v_cmp_gt_f64_e32 vcc, s[26:27], v[26:27]
	v_subbrev_co_u32_e32 v1, vcc, 0, v1, vcc
	v_sub_u32_e32 v8, 0, v1
	v_ldexp_f64 v[22:23], v[22:23], v8
	v_add_f64 v[26:27], v[22:23], -1.0
	v_add_f64 v[32:33], v[22:23], 1.0
	v_add_f64 v[28:29], v[26:27], 1.0
	v_add_f64 v[94:95], v[32:33], -1.0
	v_ldexp_f64 v[24:25], v[24:25], v8
	v_add_f64 v[28:29], v[22:23], -v[28:29]
	v_add_f64 v[22:23], v[22:23], -v[94:95]
	v_add_f64 v[22:23], v[24:25], v[22:23]
	v_add_f64 v[28:29], v[24:25], v[28:29]
	;; [unrolled: 1-line block ×3, first 2 shown]
	v_rcp_f64_e32 v[94:95], v[24:25]
	v_add_f64 v[30:31], v[26:27], v[28:29]
	v_add_f64 v[26:27], v[26:27], -v[30:31]
	v_add_f64 v[26:27], v[28:29], v[26:27]
	v_add_f64 v[28:29], v[32:33], -v[24:25]
	v_add_f64 v[22:23], v[22:23], v[28:29]
	v_fma_f64 v[28:29], -v[24:25], v[94:95], 1.0
	v_fmac_f64_e32 v[94:95], v[28:29], v[94:95]
	v_fma_f64 v[28:29], -v[24:25], v[94:95], 1.0
	v_fmac_f64_e32 v[94:95], v[28:29], v[94:95]
	v_mul_f64 v[28:29], v[30:31], v[94:95]
	v_mul_f64 v[32:33], v[24:25], v[28:29]
	v_fma_f64 v[96:97], v[28:29], v[24:25], -v[32:33]
	v_fmac_f64_e32 v[96:97], v[28:29], v[22:23]
	v_add_f64 v[98:99], v[32:33], v[96:97]
	v_add_f64 v[100:101], v[30:31], -v[98:99]
	v_add_f64 v[30:31], v[30:31], -v[100:101]
	;; [unrolled: 1-line block ×4, first 2 shown]
	v_add_f64 v[26:27], v[26:27], v[30:31]
	v_add_f64 v[30:31], v[32:33], -v[96:97]
	v_add_f64 v[26:27], v[30:31], v[26:27]
	v_add_f64 v[30:31], v[100:101], v[26:27]
	v_add_f64 v[32:33], v[100:101], -v[30:31]
	v_add_f64 v[26:27], v[26:27], v[32:33]
	v_mul_f64 v[32:33], v[94:95], v[30:31]
	v_mul_f64 v[96:97], v[24:25], v[32:33]
	v_fma_f64 v[24:25], v[32:33], v[24:25], -v[96:97]
	v_fmac_f64_e32 v[24:25], v[32:33], v[22:23]
	v_add_f64 v[22:23], v[96:97], v[24:25]
	v_add_f64 v[98:99], v[30:31], -v[22:23]
	v_add_f64 v[30:31], v[30:31], -v[98:99]
	;; [unrolled: 1-line block ×4, first 2 shown]
	v_add_f64 v[22:23], v[26:27], v[22:23]
	v_add_f64 v[24:25], v[96:97], -v[24:25]
	v_add_f64 v[22:23], v[24:25], v[22:23]
	v_add_f64 v[24:25], v[28:29], v[32:33]
	;; [unrolled: 1-line block ×3, first 2 shown]
	v_add_f64 v[26:27], v[24:25], -v[28:29]
	v_mul_f64 v[22:23], v[94:95], v[22:23]
	v_add_f64 v[26:27], v[32:33], -v[26:27]
	v_add_f64 v[22:23], v[26:27], v[22:23]
	v_add_f64 v[26:27], v[24:25], v[22:23]
	v_add_f64 v[24:25], v[26:27], -v[24:25]
	v_add_f64 v[22:23], v[22:23], -v[24:25]
	v_mul_f64 v[24:25], v[26:27], v[26:27]
	v_pk_mov_b32 v[28:29], v[34:35], v[34:35] op_sel:[0,1]
	v_fmac_f64_e32 v[28:29], s[28:29], v[24:25]
	v_pk_mov_b32 v[30:31], v[36:37], v[36:37] op_sel:[0,1]
	v_fmac_f64_e32 v[30:31], v[24:25], v[28:29]
	;; [unrolled: 2-line block ×6, first 2 shown]
	v_cvt_f64_i32_e32 v[28:29], v1
	v_mul_f64 v[32:33], v[28:29], s[30:31]
	v_fma_f64 v[94:95], v[28:29], s[30:31], -v[32:33]
	v_fmac_f64_e32 v[94:95], s[34:35], v[28:29]
	v_add_f64 v[28:29], v[32:33], v[94:95]
	v_add_f64 v[32:33], v[28:29], -v[32:33]
	v_mul_f64 v[24:25], v[26:27], v[24:25]
	v_add_f64 v[32:33], v[94:95], -v[32:33]
	v_ldexp_f64 v[94:95], v[26:27], 1
	v_mul_f64 v[24:25], v[24:25], v[30:31]
	v_add_f64 v[26:27], v[94:95], v[24:25]
	v_add_f64 v[30:31], v[26:27], -v[94:95]
	v_ldexp_f64 v[22:23], v[22:23], 1
	v_add_f64 v[24:25], v[24:25], -v[30:31]
	v_add_f64 v[22:23], v[22:23], v[24:25]
	v_add_f64 v[24:25], v[26:27], v[22:23]
	v_add_f64 v[26:27], v[24:25], -v[26:27]
	v_add_f64 v[22:23], v[22:23], -v[26:27]
	v_add_f64 v[26:27], v[28:29], v[24:25]
	v_add_f64 v[30:31], v[26:27], -v[28:29]
	v_add_f64 v[94:95], v[26:27], -v[30:31]
	;; [unrolled: 1-line block ×4, first 2 shown]
	v_add_f64 v[24:25], v[24:25], v[28:29]
	v_add_f64 v[28:29], v[32:33], v[22:23]
	v_add_f64 v[30:31], v[28:29], -v[32:33]
	v_add_f64 v[24:25], v[28:29], v[24:25]
	v_add_f64 v[94:95], v[28:29], -v[30:31]
	;; [unrolled: 2-line block ×3, first 2 shown]
	v_add_f64 v[22:23], v[22:23], -v[30:31]
	v_add_f64 v[26:27], v[28:29], -v[26:27]
	v_add_f64 v[22:23], v[22:23], v[32:33]
	v_add_f64 v[24:25], v[24:25], -v[26:27]
	v_add_f64 v[22:23], v[22:23], v[24:25]
	v_max_f64 v[24:25], |v[4:5]|, |v[4:5]|
	v_max_f64 v[26:27], |v[2:3]|, |v[2:3]|
	v_add_f64 v[22:23], v[28:29], v[22:23]
	v_max_f64 v[28:29], v[26:27], v[24:25]
	v_min_f64 v[24:25], v[26:27], v[24:25]
	v_div_scale_f64 v[26:27], s[56:57], v[28:29], v[28:29], v[24:25]
	v_rcp_f64_e32 v[30:31], v[26:27]
	v_cmp_eq_f64_e32 vcc, s[36:37], v[6:7]
	v_cndmask_b32_e32 v7, v23, v7, vcc
	v_cndmask_b32_e32 v6, v22, v6, vcc
	v_mul_f64 v[22:23], v[6:7], 0.5
	v_fma_f64 v[6:7], -v[26:27], v[30:31], 1.0
	v_fmac_f64_e32 v[30:31], v[30:31], v[6:7]
	v_fma_f64 v[6:7], -v[26:27], v[30:31], 1.0
	v_fmac_f64_e32 v[30:31], v[30:31], v[6:7]
	v_div_scale_f64 v[6:7], vcc, v[24:25], v[28:29], v[24:25]
	v_mul_f64 v[32:33], v[6:7], v[30:31]
	v_fma_f64 v[6:7], -v[26:27], v[32:33], v[6:7]
	v_pk_mov_b32 v[26:27], v[46:47], v[46:47] op_sel:[0,1]
	s_nop 0
	v_div_fmas_f64 v[6:7], v[6:7], v[30:31], v[32:33]
	v_div_fixup_f64 v[6:7], v[6:7], v[28:29], v[24:25]
	v_mul_f64 v[24:25], v[6:7], v[6:7]
	v_fmac_f64_e32 v[26:27], s[38:39], v[24:25]
	v_pk_mov_b32 v[28:29], v[48:49], v[48:49] op_sel:[0,1]
	v_fmac_f64_e32 v[28:29], v[24:25], v[26:27]
	v_pk_mov_b32 v[26:27], v[50:51], v[50:51] op_sel:[0,1]
	;; [unrolled: 2-line block ×18, first 2 shown]
	v_fmac_f64_e32 v[26:27], v[24:25], v[28:29]
	v_cmp_gt_i32_e32 vcc, 0, v3
	v_mul_f64 v[24:25], v[24:25], v[26:27]
	v_cmp_class_f64_e64 s[58:59], v[2:3], s75
	v_cndmask_b32_e32 v2, v116, v117, vcc
	v_fmac_f64_e32 v[6:7], v[6:7], v[24:25]
	v_bfi_b32 v8, s74, v2, v5
	v_ashrrev_i32_e32 v2, 31, v3
	v_and_b32_e32 v24, 0x400921fb, v2
	v_and_b32_e32 v25, 0x54442d18, v2
	v_add_f64 v[2:3], -v[6:7], s[40:41]
	v_cndmask_b32_e64 v3, v7, v3, s[8:9]
	v_cndmask_b32_e64 v2, v6, v2, s[8:9]
	s_mov_b32 s42, s40
	v_add_f64 v[6:7], -v[2:3], s[42:43]
	v_cmp_class_f64_e64 s[56:57], v[4:5], s75
	v_cndmask_b32_e32 v1, v114, v115, vcc
	v_cndmask_b32_e32 v3, v3, v7, vcc
	;; [unrolled: 1-line block ×3, first 2 shown]
	v_cmp_eq_f64_e32 vcc, 0, v[4:5]
	v_cndmask_b32_e32 v2, v2, v25, vcc
	v_cndmask_b32_e32 v3, v3, v24, vcc
	s_and_b64 vcc, s[56:57], s[58:59]
	v_cndmask_b32_e32 v25, v3, v8, vcc
	v_cndmask_b32_e32 v24, v2, v1, vcc
                                        ; implicit-def: $vgpr6_vgpr7
.LBB168_208:                            ;   in Loop: Header=BB168_145 Depth=1
	s_andn2_saveexec_b64 s[54:55], s[54:55]
	s_cbranch_execz .LBB168_210
; %bb.209:                              ;   in Loop: Header=BB168_145 Depth=1
	v_max_f64 v[22:23], |v[4:5]|, |v[4:5]|
	v_max_f64 v[24:25], |v[2:3]|, |v[2:3]|
	v_max_f64 v[26:27], v[24:25], v[22:23]
	v_min_f64 v[24:25], v[24:25], v[22:23]
	v_div_scale_f64 v[28:29], s[56:57], v[26:27], v[26:27], v[24:25]
	v_rcp_f64_e32 v[30:31], v[28:29]
	v_mul_f64 v[22:23], v[6:7], 0.5
	v_mul_f64 v[22:23], v[6:7], v[22:23]
	v_cmp_class_f64_e64 s[58:59], v[2:3], s75
	v_fma_f64 v[6:7], -v[28:29], v[30:31], 1.0
	v_fmac_f64_e32 v[30:31], v[30:31], v[6:7]
	v_fma_f64 v[6:7], -v[28:29], v[30:31], 1.0
	v_fmac_f64_e32 v[30:31], v[30:31], v[6:7]
	v_div_scale_f64 v[6:7], vcc, v[24:25], v[26:27], v[24:25]
	v_mul_f64 v[32:33], v[6:7], v[30:31]
	v_fma_f64 v[6:7], -v[28:29], v[32:33], v[6:7]
	v_pk_mov_b32 v[28:29], v[48:49], v[48:49] op_sel:[0,1]
	s_nop 0
	v_div_fmas_f64 v[6:7], v[6:7], v[30:31], v[32:33]
	v_div_fixup_f64 v[6:7], v[6:7], v[26:27], v[24:25]
	v_mul_f64 v[24:25], v[6:7], v[6:7]
	v_pk_mov_b32 v[26:27], v[46:47], v[46:47] op_sel:[0,1]
	v_fmac_f64_e32 v[26:27], s[38:39], v[24:25]
	v_fmac_f64_e32 v[28:29], v[24:25], v[26:27]
	v_pk_mov_b32 v[26:27], v[50:51], v[50:51] op_sel:[0,1]
	v_fmac_f64_e32 v[26:27], v[24:25], v[28:29]
	v_pk_mov_b32 v[28:29], v[52:53], v[52:53] op_sel:[0,1]
	;; [unrolled: 2-line block ×17, first 2 shown]
	v_fmac_f64_e32 v[26:27], v[24:25], v[28:29]
	v_cmp_gt_i32_e32 vcc, 0, v3
	v_mul_f64 v[24:25], v[24:25], v[26:27]
	v_cndmask_b32_e32 v2, v116, v117, vcc
	v_fmac_f64_e32 v[6:7], v[6:7], v[24:25]
	v_bfi_b32 v8, s74, v2, v5
	v_ashrrev_i32_e32 v2, 31, v3
	v_and_b32_e32 v24, 0x400921fb, v2
	v_and_b32_e32 v25, 0x54442d18, v2
	v_add_f64 v[2:3], -v[6:7], s[40:41]
	v_cndmask_b32_e64 v3, v7, v3, s[8:9]
	v_cndmask_b32_e64 v2, v6, v2, s[8:9]
	s_mov_b32 s42, s40
	v_add_f64 v[6:7], -v[2:3], s[42:43]
	v_cmp_class_f64_e64 s[56:57], v[4:5], s75
	v_cndmask_b32_e32 v1, v114, v115, vcc
	v_cndmask_b32_e32 v3, v3, v7, vcc
	;; [unrolled: 1-line block ×3, first 2 shown]
	v_cmp_eq_f64_e32 vcc, 0, v[4:5]
	v_cndmask_b32_e32 v2, v2, v25, vcc
	v_cndmask_b32_e32 v3, v3, v24, vcc
	s_and_b64 vcc, s[56:57], s[58:59]
	v_cndmask_b32_e32 v25, v3, v8, vcc
	v_cndmask_b32_e32 v24, v2, v1, vcc
.LBB168_210:                            ;   in Loop: Header=BB168_145 Depth=1
	s_or_b64 exec, exec, s[54:55]
.LBB168_211:                            ;   in Loop: Header=BB168_145 Depth=1
	s_or_b64 exec, exec, s[10:11]
.LBB168_212:                            ;   in Loop: Header=BB168_145 Depth=1
	s_andn2_saveexec_b64 s[54:55], s[12:13]
	s_cbranch_execz .LBB168_214
; %bb.213:                              ;   in Loop: Header=BB168_145 Depth=1
	v_div_scale_f64 v[6:7], s[10:11], s[48:49], s[48:49], v[2:3]
	v_rcp_f64_e32 v[22:23], v[6:7]
	v_div_scale_f64 v[24:25], vcc, v[2:3], s[48:49], v[2:3]
	s_mov_b32 s42, s40
	v_fma_f64 v[26:27], -v[6:7], v[22:23], 1.0
	v_fmac_f64_e32 v[22:23], v[22:23], v[26:27]
	v_fma_f64 v[26:27], -v[6:7], v[22:23], 1.0
	v_fmac_f64_e32 v[22:23], v[22:23], v[26:27]
	v_mul_f64 v[26:27], v[24:25], v[22:23]
	v_fma_f64 v[6:7], -v[6:7], v[26:27], v[24:25]
	v_div_scale_f64 v[24:25], s[10:11], s[48:49], s[48:49], v[4:5]
	v_rcp_f64_e32 v[28:29], v[24:25]
	v_div_fmas_f64 v[6:7], v[6:7], v[22:23], v[26:27]
	v_div_fixup_f64 v[6:7], v[6:7], s[48:49], v[2:3]
	v_cmp_class_f64_e64 s[12:13], v[6:7], s75
	v_fma_f64 v[22:23], -v[24:25], v[28:29], 1.0
	v_fmac_f64_e32 v[28:29], v[28:29], v[22:23]
	v_fma_f64 v[22:23], -v[24:25], v[28:29], 1.0
	v_fmac_f64_e32 v[28:29], v[28:29], v[22:23]
	v_div_scale_f64 v[22:23], vcc, v[4:5], s[48:49], v[4:5]
	v_mul_f64 v[26:27], v[22:23], v[28:29]
	v_fma_f64 v[22:23], -v[24:25], v[26:27], v[22:23]
	s_nop 1
	v_div_fmas_f64 v[22:23], v[22:23], v[28:29], v[26:27]
	v_div_fixup_f64 v[22:23], v[22:23], s[48:49], v[4:5]
	v_max_f64 v[24:25], |v[6:7]|, |v[22:23]|
	v_frexp_exp_i32_f64_e32 v1, v[24:25]
	v_sub_u32_e32 v8, 0, v1
	v_ldexp_f64 v[26:27], |v[22:23]|, v8
	v_ldexp_f64 v[24:25], |v[6:7]|, v8
	v_mul_f64 v[26:27], v[26:27], v[26:27]
	v_fmac_f64_e32 v[26:27], v[24:25], v[24:25]
	v_rsq_f64_e32 v[24:25], v[26:27]
	v_cmp_eq_f64_e32 vcc, 0, v[26:27]
	v_cmp_o_f64_e64 s[10:11], v[6:7], v[22:23]
	v_cmp_class_f64_e64 s[56:57], v[22:23], s75
	v_mul_f64 v[28:29], v[26:27], v[24:25]
	v_mul_f64 v[24:25], v[24:25], 0.5
	v_fma_f64 v[30:31], -v[24:25], v[28:29], 0.5
	v_fmac_f64_e32 v[28:29], v[28:29], v[30:31]
	v_fmac_f64_e32 v[24:25], v[24:25], v[30:31]
	v_fma_f64 v[30:31], -v[28:29], v[28:29], v[26:27]
	v_fmac_f64_e32 v[28:29], v[30:31], v[24:25]
	v_cndmask_b32_e32 v25, v29, v27, vcc
	v_cndmask_b32_e32 v24, v28, v26, vcc
	v_ldexp_f64 v[24:25], v[24:25], v1
	v_cndmask_b32_e64 v1, 0, v24, s[10:11]
	v_cndmask_b32_e64 v8, v112, v25, s[10:11]
	s_or_b64 vcc, s[56:57], s[12:13]
	v_cndmask_b32_e32 v7, v8, v119, vcc
	v_cndmask_b32_e64 v6, v1, 0, vcc
	v_frexp_mant_f64_e32 v[22:23], v[6:7]
	v_cmp_gt_f64_e64 s[12:13], s[26:27], v[22:23]
	v_cndmask_b32_e64 v85, v118, 2.0, s[12:13]
	v_frexp_exp_i32_f64_e32 v26, v[6:7]
	v_mul_f64 v[22:23], v[22:23], v[84:85]
	v_subbrev_co_u32_e64 v85, s[12:13], 0, v26, s[12:13]
	v_add_f64 v[26:27], v[22:23], 1.0
	v_rcp_f64_e32 v[28:29], v[26:27]
	v_add_f64 v[32:33], v[26:27], -1.0
	v_add_f64 v[30:31], v[22:23], -1.0
	v_add_f64 v[22:23], v[22:23], -v[32:33]
	v_fma_f64 v[32:33], -v[26:27], v[28:29], 1.0
	v_fmac_f64_e32 v[28:29], v[32:33], v[28:29]
	v_fma_f64 v[32:33], -v[26:27], v[28:29], 1.0
	v_fmac_f64_e32 v[28:29], v[32:33], v[28:29]
	v_mul_f64 v[32:33], v[30:31], v[28:29]
	v_mul_f64 v[94:95], v[26:27], v[32:33]
	v_fma_f64 v[26:27], v[32:33], v[26:27], -v[94:95]
	v_fmac_f64_e32 v[26:27], v[32:33], v[22:23]
	v_add_f64 v[22:23], v[94:95], v[26:27]
	v_add_f64 v[96:97], v[30:31], -v[22:23]
	v_add_f64 v[94:95], v[22:23], -v[94:95]
	;; [unrolled: 1-line block ×5, first 2 shown]
	v_add_f64 v[22:23], v[26:27], v[22:23]
	v_add_f64 v[22:23], v[96:97], v[22:23]
	v_mul_f64 v[22:23], v[28:29], v[22:23]
	v_add_f64 v[26:27], v[32:33], v[22:23]
	v_add_f64 v[28:29], v[26:27], -v[32:33]
	v_add_f64 v[22:23], v[22:23], -v[28:29]
	v_mul_f64 v[28:29], v[26:27], v[26:27]
	v_pk_mov_b32 v[30:31], v[34:35], v[34:35] op_sel:[0,1]
	v_fmac_f64_e32 v[30:31], s[28:29], v[28:29]
	v_pk_mov_b32 v[32:33], v[36:37], v[36:37] op_sel:[0,1]
	v_fmac_f64_e32 v[32:33], v[28:29], v[30:31]
	;; [unrolled: 2-line block ×6, first 2 shown]
	v_ldexp_f64 v[30:31], v[26:27], 1
	v_mul_f64 v[26:27], v[26:27], v[28:29]
	v_mul_f64 v[26:27], v[26:27], v[32:33]
	v_add_f64 v[28:29], v[30:31], v[26:27]
	v_add_f64 v[30:31], v[28:29], -v[30:31]
	v_ldexp_f64 v[22:23], v[22:23], 1
	v_add_f64 v[26:27], v[26:27], -v[30:31]
	v_add_f64 v[22:23], v[22:23], v[26:27]
	v_add_f64 v[26:27], v[28:29], v[22:23]
	v_add_f64 v[28:29], v[26:27], -v[28:29]
	v_add_f64 v[22:23], v[22:23], -v[28:29]
	v_cvt_f64_i32_e32 v[28:29], v85
	v_mul_f64 v[30:31], v[28:29], s[30:31]
	v_fma_f64 v[32:33], v[28:29], s[30:31], -v[30:31]
	v_fmac_f64_e32 v[32:33], s[34:35], v[28:29]
	v_add_f64 v[28:29], v[30:31], v[32:33]
	v_add_f64 v[30:31], v[28:29], -v[30:31]
	v_add_f64 v[30:31], v[32:33], -v[30:31]
	v_add_f64 v[32:33], v[28:29], v[26:27]
	v_add_f64 v[94:95], v[32:33], -v[28:29]
	v_add_f64 v[96:97], v[32:33], -v[94:95]
	;; [unrolled: 1-line block ×4, first 2 shown]
	v_add_f64 v[26:27], v[26:27], v[28:29]
	v_add_f64 v[28:29], v[30:31], v[22:23]
	v_add_f64 v[94:95], v[28:29], -v[30:31]
	v_add_f64 v[96:97], v[28:29], -v[94:95]
	v_add_f64 v[26:27], v[28:29], v[26:27]
	v_add_f64 v[30:31], v[30:31], -v[96:97]
	v_add_f64 v[22:23], v[22:23], -v[94:95]
	v_add_f64 v[28:29], v[32:33], v[26:27]
	v_add_f64 v[22:23], v[22:23], v[30:31]
	v_add_f64 v[30:31], v[28:29], -v[32:33]
	v_add_f64 v[26:27], v[26:27], -v[30:31]
	v_and_b32_e32 v25, 0x7fffffff, v25
	v_add_f64 v[22:23], v[22:23], v[26:27]
	v_cmp_eq_f64_e64 s[12:13], s[36:37], v[24:25]
	v_add_f64 v[22:23], v[28:29], v[22:23]
	s_and_b64 s[10:11], s[10:11], s[12:13]
	v_cndmask_b32_e64 v23, v23, v8, s[10:11]
	v_cndmask_b32_e64 v22, v22, v1, s[10:11]
	v_add_f64 v[22:23], v[22:23], 1.0
	v_cndmask_b32_e64 v1, v22, 0, vcc
	v_cndmask_b32_e32 v8, v23, v119, vcc
	v_max_f64 v[22:23], |v[4:5]|, |v[4:5]|
	v_max_f64 v[24:25], |v[2:3]|, |v[2:3]|
	v_max_f64 v[26:27], v[24:25], v[22:23]
	v_min_f64 v[24:25], v[24:25], v[22:23]
	v_div_scale_f64 v[28:29], s[10:11], v[26:27], v[26:27], v[24:25]
	v_rcp_f64_e32 v[30:31], v[28:29]
	v_cmp_ngt_f64_e32 vcc, 0, v[6:7]
	v_cndmask_b32_e32 v8, v112, v8, vcc
	v_cmp_nge_f64_e32 vcc, 0, v[6:7]
	v_cndmask_b32_e32 v22, 0, v1, vcc
	v_cmp_neq_f64_e32 vcc, 0, v[6:7]
	v_fma_f64 v[6:7], -v[28:29], v[30:31], 1.0
	v_fmac_f64_e32 v[30:31], v[30:31], v[6:7]
	v_fma_f64 v[6:7], -v[28:29], v[30:31], 1.0
	v_cndmask_b32_e32 v23, v113, v8, vcc
	v_fmac_f64_e32 v[30:31], v[30:31], v[6:7]
	v_div_scale_f64 v[6:7], vcc, v[24:25], v[26:27], v[24:25]
	v_mul_f64 v[32:33], v[6:7], v[30:31]
	v_fma_f64 v[6:7], -v[28:29], v[32:33], v[6:7]
	v_pk_mov_b32 v[28:29], v[48:49], v[48:49] op_sel:[0,1]
	s_nop 0
	v_div_fmas_f64 v[6:7], v[6:7], v[30:31], v[32:33]
	v_div_fixup_f64 v[6:7], v[6:7], v[26:27], v[24:25]
	v_mul_f64 v[24:25], v[6:7], v[6:7]
	v_pk_mov_b32 v[26:27], v[46:47], v[46:47] op_sel:[0,1]
	v_fmac_f64_e32 v[26:27], s[38:39], v[24:25]
	v_fmac_f64_e32 v[28:29], v[24:25], v[26:27]
	v_pk_mov_b32 v[26:27], v[50:51], v[50:51] op_sel:[0,1]
	v_fmac_f64_e32 v[26:27], v[24:25], v[28:29]
	v_pk_mov_b32 v[28:29], v[52:53], v[52:53] op_sel:[0,1]
	;; [unrolled: 2-line block ×17, first 2 shown]
	v_fmac_f64_e32 v[26:27], v[24:25], v[28:29]
	v_cmp_gt_i32_e32 vcc, 0, v3
	v_mul_f64 v[24:25], v[24:25], v[26:27]
	v_cmp_class_f64_e64 s[12:13], v[2:3], s75
	v_cndmask_b32_e32 v2, v116, v117, vcc
	v_fmac_f64_e32 v[6:7], v[6:7], v[24:25]
	v_bfi_b32 v8, s74, v2, v5
	v_ashrrev_i32_e32 v2, 31, v3
	v_and_b32_e32 v24, 0x400921fb, v2
	v_and_b32_e32 v25, 0x54442d18, v2
	v_add_f64 v[2:3], -v[6:7], s[40:41]
	v_cndmask_b32_e64 v3, v7, v3, s[8:9]
	v_cndmask_b32_e64 v2, v6, v2, s[8:9]
	v_add_f64 v[6:7], -v[2:3], s[42:43]
	v_cmp_class_f64_e64 s[10:11], v[4:5], s75
	v_cndmask_b32_e32 v1, v114, v115, vcc
	v_cndmask_b32_e32 v3, v3, v7, vcc
	;; [unrolled: 1-line block ×3, first 2 shown]
	v_cmp_eq_f64_e32 vcc, 0, v[4:5]
	v_cndmask_b32_e32 v2, v2, v25, vcc
	v_cndmask_b32_e32 v3, v3, v24, vcc
	s_and_b64 vcc, s[10:11], s[12:13]
	v_cndmask_b32_e32 v25, v3, v8, vcc
	v_cndmask_b32_e32 v24, v2, v1, vcc
.LBB168_214:                            ;   in Loop: Header=BB168_145 Depth=1
	s_or_b64 exec, exec, s[54:55]
.LBB168_215:                            ;   in Loop: Header=BB168_145 Depth=1
	s_andn2_saveexec_b64 s[8:9], s[52:53]
	s_cbranch_execz .LBB168_221
; %bb.216:                              ;   in Loop: Header=BB168_145 Depth=1
	v_cmp_nlt_f64_e64 s[10:11], |v[2:3]|, s[50:51]
	v_cmp_nlt_f64_e64 s[12:13], |v[4:5]|, s[50:51]
	s_or_b64 s[10:11], s[12:13], s[10:11]
                                        ; implicit-def: $vgpr6_vgpr7
	s_and_saveexec_b64 s[12:13], s[10:11]
	s_xor_b64 s[10:11], exec, s[12:13]
; %bb.217:                              ;   in Loop: Header=BB168_145 Depth=1
	v_mul_f64 v[6:7], v[2:3], v[2:3]
	v_fmac_f64_e32 v[6:7], v[4:5], v[4:5]
; %bb.218:                              ;   in Loop: Header=BB168_145 Depth=1
	s_andn2_saveexec_b64 s[10:11], s[10:11]
; %bb.219:                              ;   in Loop: Header=BB168_145 Depth=1
	v_mul_f64 v[2:3], v[2:3], 4.0
	v_mul_f64 v[6:7], v[4:5], 4.0
	v_mul_f64 v[2:3], v[2:3], v[2:3]
	v_fmac_f64_e32 v[2:3], v[6:7], v[6:7]
	v_ldexp_f64 v[6:7], v[2:3], -4
; %bb.220:                              ;   in Loop: Header=BB168_145 Depth=1
	s_or_b64 exec, exec, s[10:11]
	v_frexp_mant_f64_e32 v[2:3], v[6:7]
	v_cmp_gt_f64_e32 vcc, s[26:27], v[2:3]
	v_cndmask_b32_e64 v85, v118, 2.0, vcc
	v_mul_f64 v[2:3], v[2:3], v[84:85]
	v_add_f64 v[22:23], v[2:3], 1.0
	v_rcp_f64_e32 v[24:25], v[22:23]
	v_add_f64 v[28:29], v[22:23], -1.0
	v_add_f64 v[26:27], v[2:3], -1.0
	v_add_f64 v[2:3], v[2:3], -v[28:29]
	v_fma_f64 v[28:29], -v[22:23], v[24:25], 1.0
	v_fmac_f64_e32 v[24:25], v[28:29], v[24:25]
	v_fma_f64 v[28:29], -v[22:23], v[24:25], 1.0
	v_fmac_f64_e32 v[24:25], v[28:29], v[24:25]
	v_mul_f64 v[28:29], v[26:27], v[24:25]
	v_mul_f64 v[30:31], v[22:23], v[28:29]
	v_fma_f64 v[22:23], v[28:29], v[22:23], -v[30:31]
	v_fmac_f64_e32 v[22:23], v[28:29], v[2:3]
	v_add_f64 v[2:3], v[30:31], v[22:23]
	v_add_f64 v[32:33], v[26:27], -v[2:3]
	v_add_f64 v[30:31], v[2:3], -v[30:31]
	;; [unrolled: 1-line block ×5, first 2 shown]
	v_add_f64 v[2:3], v[22:23], v[2:3]
	v_add_f64 v[2:3], v[32:33], v[2:3]
	v_mul_f64 v[2:3], v[24:25], v[2:3]
	v_add_f64 v[22:23], v[28:29], v[2:3]
	v_add_f64 v[24:25], v[22:23], -v[28:29]
	v_add_f64 v[2:3], v[2:3], -v[24:25]
	v_mul_f64 v[24:25], v[22:23], v[22:23]
	v_pk_mov_b32 v[26:27], v[34:35], v[34:35] op_sel:[0,1]
	v_fmac_f64_e32 v[26:27], s[28:29], v[24:25]
	v_pk_mov_b32 v[28:29], v[36:37], v[36:37] op_sel:[0,1]
	v_fmac_f64_e32 v[28:29], v[24:25], v[26:27]
	v_pk_mov_b32 v[26:27], v[38:39], v[38:39] op_sel:[0,1]
	v_fmac_f64_e32 v[26:27], v[24:25], v[28:29]
	v_pk_mov_b32 v[28:29], v[40:41], v[40:41] op_sel:[0,1]
	v_fmac_f64_e32 v[28:29], v[24:25], v[26:27]
	v_pk_mov_b32 v[26:27], v[42:43], v[42:43] op_sel:[0,1]
	v_fmac_f64_e32 v[26:27], v[24:25], v[28:29]
	v_pk_mov_b32 v[28:29], v[44:45], v[44:45] op_sel:[0,1]
	v_fmac_f64_e32 v[28:29], v[24:25], v[26:27]
	v_ldexp_f64 v[26:27], v[22:23], 1
	v_mul_f64 v[22:23], v[22:23], v[24:25]
	v_mul_f64 v[22:23], v[22:23], v[28:29]
	v_add_f64 v[24:25], v[26:27], v[22:23]
	v_add_f64 v[26:27], v[24:25], -v[26:27]
	v_ldexp_f64 v[2:3], v[2:3], 1
	v_add_f64 v[22:23], v[22:23], -v[26:27]
	v_add_f64 v[2:3], v[2:3], v[22:23]
	v_frexp_exp_i32_f64_e32 v1, v[6:7]
	v_add_f64 v[22:23], v[24:25], v[2:3]
	v_subbrev_co_u32_e32 v1, vcc, 0, v1, vcc
	v_add_f64 v[24:25], v[22:23], -v[24:25]
	v_add_f64 v[2:3], v[2:3], -v[24:25]
	v_cvt_f64_i32_e32 v[24:25], v1
	v_mul_f64 v[26:27], v[24:25], s[30:31]
	v_fma_f64 v[28:29], v[24:25], s[30:31], -v[26:27]
	v_fmac_f64_e32 v[28:29], s[34:35], v[24:25]
	v_add_f64 v[24:25], v[26:27], v[28:29]
	v_add_f64 v[26:27], v[24:25], -v[26:27]
	v_add_f64 v[26:27], v[28:29], -v[26:27]
	v_add_f64 v[28:29], v[24:25], v[22:23]
	v_add_f64 v[30:31], v[28:29], -v[24:25]
	v_add_f64 v[32:33], v[28:29], -v[30:31]
	;; [unrolled: 1-line block ×4, first 2 shown]
	v_add_f64 v[22:23], v[22:23], v[24:25]
	v_add_f64 v[24:25], v[26:27], v[2:3]
	v_add_f64 v[30:31], v[24:25], -v[26:27]
	v_add_f64 v[32:33], v[24:25], -v[30:31]
	v_add_f64 v[22:23], v[24:25], v[22:23]
	v_add_f64 v[26:27], v[26:27], -v[32:33]
	v_add_f64 v[2:3], v[2:3], -v[30:31]
	v_add_f64 v[24:25], v[28:29], v[22:23]
	v_add_f64 v[2:3], v[2:3], v[26:27]
	v_add_f64 v[26:27], v[24:25], -v[28:29]
	v_add_f64 v[22:23], v[22:23], -v[26:27]
	v_add_f64 v[2:3], v[2:3], v[22:23]
	v_add_f64 v[2:3], v[24:25], v[2:3]
	v_cmp_class_f64_e64 vcc, v[6:7], s75
	v_cndmask_b32_e32 v1, v2, v6, vcc
	v_cndmask_b32_e32 v2, v3, v7, vcc
	v_cmp_ngt_f64_e32 vcc, 0, v[6:7]
	v_cndmask_b32_e32 v2, v112, v2, vcc
	v_cmp_nge_f64_e32 vcc, 0, v[6:7]
	v_cndmask_b32_e32 v22, 0, v1, vcc
	v_cmp_neq_f64_e32 vcc, 0, v[6:7]
	v_mov_b32_e32 v24, 0
	v_cndmask_b32_e32 v23, v113, v2, vcc
	v_mov_b32_e32 v25, 0x7ff80000
.LBB168_221:                            ;   in Loop: Header=BB168_145 Depth=1
	s_or_b64 exec, exec, s[8:9]
	v_cmp_o_f64_e32 vcc, v[14:15], v[16:17]
                                        ; implicit-def: $vgpr26_vgpr27
	s_and_saveexec_b64 s[8:9], vcc
	s_xor_b64 s[52:53], exec, s[8:9]
	s_cbranch_execz .LBB168_249
; %bb.222:                              ;   in Loop: Header=BB168_145 Depth=1
	v_and_b32_e32 v6, 0x7fffffff, v15
	v_and_b32_e32 v1, 0x7fffffff, v17
	v_mov_b32_e32 v4, v16
	v_cmp_lt_f64_e64 s[8:9], |v[14:15]|, |v[16:17]|
	v_cndmask_b32_e64 v3, v1, v6, s[8:9]
	v_cndmask_b32_e64 v2, v4, v14, s[8:9]
	v_cmp_nlt_f64_e32 vcc, s[20:21], v[2:3]
                                        ; implicit-def: $vgpr26_vgpr27
	s_and_saveexec_b64 s[10:11], vcc
	s_xor_b64 s[12:13], exec, s[10:11]
	s_cbranch_execz .LBB168_246
; %bb.223:                              ;   in Loop: Header=BB168_145 Depth=1
	v_cndmask_b32_e64 v31, v6, v1, s[8:9]
	v_cndmask_b32_e64 v30, v14, v4, s[8:9]
	v_cmp_neq_f64_e32 vcc, 1.0, v[30:31]
                                        ; implicit-def: $vgpr26_vgpr27
	s_and_saveexec_b64 s[10:11], vcc
	s_xor_b64 s[54:55], exec, s[10:11]
	s_cbranch_execz .LBB168_239
; %bb.224:                              ;   in Loop: Header=BB168_145 Depth=1
	v_max_f64 v[6:7], v[2:3], v[2:3]
	v_max_f64 v[26:27], v[30:31], v[30:31]
	v_min_f64 v[28:29], v[26:27], v[6:7]
	v_max_f64 v[6:7], v[26:27], v[6:7]
	v_cmp_ngt_f64_e32 vcc, s[22:23], v[28:29]
	v_cmp_nlt_f64_e64 s[10:11], s[24:25], v[6:7]
	s_and_b64 s[10:11], s[10:11], vcc
                                        ; implicit-def: $vgpr26_vgpr27
	s_and_saveexec_b64 s[56:57], s[10:11]
	s_xor_b64 s[56:57], exec, s[56:57]
	s_cbranch_execz .LBB168_236
; %bb.225:                              ;   in Loop: Header=BB168_145 Depth=1
	v_cmp_le_f64_e32 vcc, 1.0, v[30:31]
                                        ; implicit-def: $vgpr26_vgpr27
	s_and_saveexec_b64 s[10:11], vcc
	s_xor_b64 s[10:11], exec, s[10:11]
	s_cbranch_execz .LBB168_227
; %bb.226:                              ;   in Loop: Header=BB168_145 Depth=1
	v_add_f64 v[6:7], v[30:31], -1.0
	v_add_f64 v[26:27], v[30:31], 1.0
	v_mul_f64 v[6:7], v[6:7], v[26:27]
	v_fmac_f64_e32 v[6:7], v[2:3], v[2:3]
	v_add_f64 v[2:3], v[6:7], 1.0
	v_add_f64 v[26:27], v[2:3], -1.0
	v_add_f64 v[28:29], v[26:27], -v[2:3]
	v_add_f64 v[28:29], v[28:29], 1.0
	v_add_f64 v[26:27], v[6:7], -v[26:27]
	v_add_f64 v[26:27], v[26:27], v[28:29]
	v_frexp_mant_f64_e32 v[28:29], v[2:3]
	v_frexp_exp_i32_f64_e32 v1, v[2:3]
	v_cmp_gt_f64_e32 vcc, s[26:27], v[28:29]
	v_subbrev_co_u32_e32 v1, vcc, 0, v1, vcc
	v_sub_u32_e32 v4, 0, v1
	v_ldexp_f64 v[2:3], v[2:3], v4
	v_add_f64 v[28:29], v[2:3], -1.0
	v_add_f64 v[94:95], v[2:3], 1.0
	v_add_f64 v[30:31], v[28:29], 1.0
	v_add_f64 v[96:97], v[94:95], -1.0
	v_ldexp_f64 v[26:27], v[26:27], v4
	v_add_f64 v[30:31], v[2:3], -v[30:31]
	v_add_f64 v[2:3], v[2:3], -v[96:97]
	v_add_f64 v[2:3], v[26:27], v[2:3]
	v_add_f64 v[30:31], v[26:27], v[30:31]
	;; [unrolled: 1-line block ×3, first 2 shown]
	v_rcp_f64_e32 v[96:97], v[26:27]
	v_add_f64 v[32:33], v[28:29], v[30:31]
	v_add_f64 v[28:29], v[32:33], -v[28:29]
	v_add_f64 v[28:29], v[30:31], -v[28:29]
	;; [unrolled: 1-line block ×4, first 2 shown]
	v_fma_f64 v[30:31], -v[26:27], v[96:97], 1.0
	v_fmac_f64_e32 v[96:97], v[30:31], v[96:97]
	v_fma_f64 v[30:31], -v[26:27], v[96:97], 1.0
	v_fmac_f64_e32 v[96:97], v[30:31], v[96:97]
	v_mul_f64 v[30:31], v[32:33], v[96:97]
	v_mul_f64 v[94:95], v[26:27], v[30:31]
	v_fma_f64 v[98:99], v[30:31], v[26:27], -v[94:95]
	v_fmac_f64_e32 v[98:99], v[30:31], v[2:3]
	v_add_f64 v[100:101], v[94:95], v[98:99]
	v_add_f64 v[102:103], v[32:33], -v[100:101]
	v_add_f64 v[32:33], v[32:33], -v[102:103]
	;; [unrolled: 1-line block ×4, first 2 shown]
	v_add_f64 v[28:29], v[28:29], v[32:33]
	v_add_f64 v[32:33], v[94:95], -v[98:99]
	v_add_f64 v[28:29], v[32:33], v[28:29]
	v_add_f64 v[32:33], v[102:103], v[28:29]
	v_add_f64 v[94:95], v[102:103], -v[32:33]
	v_add_f64 v[28:29], v[28:29], v[94:95]
	v_mul_f64 v[94:95], v[96:97], v[32:33]
	v_mul_f64 v[98:99], v[26:27], v[94:95]
	v_fma_f64 v[26:27], v[94:95], v[26:27], -v[98:99]
	v_fmac_f64_e32 v[26:27], v[94:95], v[2:3]
	v_add_f64 v[2:3], v[98:99], v[26:27]
	v_add_f64 v[100:101], v[32:33], -v[2:3]
	v_add_f64 v[32:33], v[32:33], -v[100:101]
	;; [unrolled: 1-line block ×4, first 2 shown]
	v_add_f64 v[2:3], v[28:29], v[2:3]
	v_add_f64 v[26:27], v[98:99], -v[26:27]
	v_add_f64 v[2:3], v[26:27], v[2:3]
	v_add_f64 v[26:27], v[30:31], v[94:95]
	;; [unrolled: 1-line block ×3, first 2 shown]
	v_add_f64 v[28:29], v[26:27], -v[30:31]
	v_mul_f64 v[2:3], v[96:97], v[2:3]
	v_add_f64 v[28:29], v[94:95], -v[28:29]
	v_add_f64 v[2:3], v[28:29], v[2:3]
	v_add_f64 v[28:29], v[26:27], v[2:3]
	v_add_f64 v[26:27], v[28:29], -v[26:27]
	v_add_f64 v[2:3], v[2:3], -v[26:27]
	v_mul_f64 v[26:27], v[28:29], v[28:29]
	v_pk_mov_b32 v[30:31], v[34:35], v[34:35] op_sel:[0,1]
	v_fmac_f64_e32 v[30:31], s[28:29], v[26:27]
	v_pk_mov_b32 v[32:33], v[36:37], v[36:37] op_sel:[0,1]
	v_fmac_f64_e32 v[32:33], v[26:27], v[30:31]
	;; [unrolled: 2-line block ×6, first 2 shown]
	v_cvt_f64_i32_e32 v[30:31], v1
	v_mul_f64 v[94:95], v[30:31], s[30:31]
	v_fma_f64 v[96:97], v[30:31], s[30:31], -v[94:95]
	v_fmac_f64_e32 v[96:97], s[34:35], v[30:31]
	v_add_f64 v[30:31], v[94:95], v[96:97]
	v_add_f64 v[94:95], v[30:31], -v[94:95]
	v_mul_f64 v[26:27], v[28:29], v[26:27]
	v_add_f64 v[94:95], v[96:97], -v[94:95]
	v_ldexp_f64 v[96:97], v[28:29], 1
	v_mul_f64 v[26:27], v[26:27], v[32:33]
	v_add_f64 v[28:29], v[96:97], v[26:27]
	v_add_f64 v[32:33], v[28:29], -v[96:97]
	v_ldexp_f64 v[2:3], v[2:3], 1
	v_add_f64 v[26:27], v[26:27], -v[32:33]
	v_add_f64 v[2:3], v[2:3], v[26:27]
	v_add_f64 v[26:27], v[28:29], v[2:3]
	v_add_f64 v[28:29], v[26:27], -v[28:29]
	v_add_f64 v[2:3], v[2:3], -v[28:29]
	v_add_f64 v[28:29], v[30:31], v[26:27]
	v_add_f64 v[32:33], v[28:29], -v[30:31]
	v_add_f64 v[96:97], v[28:29], -v[32:33]
	;; [unrolled: 1-line block ×4, first 2 shown]
	v_add_f64 v[26:27], v[26:27], v[30:31]
	v_add_f64 v[30:31], v[94:95], v[2:3]
	v_add_f64 v[32:33], v[30:31], -v[94:95]
	v_add_f64 v[26:27], v[30:31], v[26:27]
	v_add_f64 v[96:97], v[30:31], -v[32:33]
	;; [unrolled: 2-line block ×3, first 2 shown]
	v_add_f64 v[2:3], v[2:3], -v[32:33]
	v_add_f64 v[28:29], v[30:31], -v[28:29]
	v_add_f64 v[2:3], v[2:3], v[94:95]
	v_add_f64 v[26:27], v[26:27], -v[28:29]
	v_add_f64 v[2:3], v[2:3], v[26:27]
	v_max_f64 v[26:27], |v[16:17]|, |v[16:17]|
	v_max_f64 v[28:29], |v[14:15]|, |v[14:15]|
	v_add_f64 v[2:3], v[30:31], v[2:3]
	v_max_f64 v[30:31], v[28:29], v[26:27]
	v_min_f64 v[28:29], v[28:29], v[26:27]
	v_div_scale_f64 v[32:33], s[58:59], v[30:31], v[30:31], v[28:29]
	v_cmp_eq_f64_e32 vcc, s[36:37], v[6:7]
	v_rcp_f64_e32 v[94:95], v[32:33]
	v_cndmask_b32_e32 v3, v3, v7, vcc
	v_cndmask_b32_e32 v2, v2, v6, vcc
	v_mul_f64 v[2:3], v[2:3], 0.5
	v_cmp_ngt_f64_e32 vcc, -1.0, v[6:7]
	v_cndmask_b32_e32 v1, v112, v3, vcc
	v_cmp_nge_f64_e32 vcc, -1.0, v[6:7]
	v_cndmask_b32_e32 v26, 0, v2, vcc
	v_fma_f64 v[2:3], -v[32:33], v[94:95], 1.0
	v_fmac_f64_e32 v[94:95], v[94:95], v[2:3]
	v_cmp_neq_f64_e32 vcc, -1.0, v[6:7]
	v_fma_f64 v[2:3], -v[32:33], v[94:95], 1.0
	v_cndmask_b32_e32 v27, v113, v1, vcc
	v_fmac_f64_e32 v[94:95], v[94:95], v[2:3]
	v_div_scale_f64 v[2:3], vcc, v[28:29], v[30:31], v[28:29]
	v_mul_f64 v[6:7], v[2:3], v[94:95]
	v_fma_f64 v[2:3], -v[32:33], v[6:7], v[2:3]
	v_cmp_class_f64_e64 s[60:61], v[14:15], s75
	s_nop 0
	v_div_fmas_f64 v[2:3], v[2:3], v[94:95], v[6:7]
	v_div_fixup_f64 v[2:3], v[2:3], v[30:31], v[28:29]
	v_mul_f64 v[6:7], v[2:3], v[2:3]
	v_pk_mov_b32 v[28:29], v[46:47], v[46:47] op_sel:[0,1]
	v_fmac_f64_e32 v[28:29], s[38:39], v[6:7]
	v_pk_mov_b32 v[30:31], v[48:49], v[48:49] op_sel:[0,1]
	v_fmac_f64_e32 v[30:31], v[6:7], v[28:29]
	;; [unrolled: 2-line block ×19, first 2 shown]
	v_mul_f64 v[6:7], v[6:7], v[28:29]
	v_fmac_f64_e32 v[2:3], v[2:3], v[6:7]
	v_ashrrev_i32_e32 v6, 31, v15
	v_and_b32_e32 v8, 0x400921fb, v6
	v_and_b32_e32 v14, 0x54442d18, v6
	v_add_f64 v[6:7], -v[2:3], s[40:41]
	v_cndmask_b32_e64 v3, v3, v7, s[8:9]
	v_cndmask_b32_e64 v2, v2, v6, s[8:9]
	s_mov_b32 s42, s40
	v_cmp_gt_i32_e32 vcc, 0, v15
	v_add_f64 v[6:7], -v[2:3], s[42:43]
	v_cmp_class_f64_e64 s[58:59], v[16:17], s75
	v_cndmask_b32_e32 v1, v114, v115, vcc
	v_cndmask_b32_e32 v4, v116, v117, vcc
	;; [unrolled: 1-line block ×4, first 2 shown]
	v_cmp_eq_f64_e32 vcc, 0, v[16:17]
	v_bfi_b32 v4, s74, v4, v17
	v_cndmask_b32_e32 v2, v2, v14, vcc
	v_cndmask_b32_e32 v3, v3, v8, vcc
	s_and_b64 vcc, s[58:59], s[60:61]
	v_cndmask_b32_e32 v29, v3, v4, vcc
	v_cndmask_b32_e32 v28, v2, v1, vcc
                                        ; implicit-def: $vgpr2_vgpr3
                                        ; implicit-def: $vgpr30_vgpr31
.LBB168_227:                            ;   in Loop: Header=BB168_145 Depth=1
	s_andn2_saveexec_b64 s[58:59], s[10:11]
	s_cbranch_execz .LBB168_235
; %bb.228:                              ;   in Loop: Header=BB168_145 Depth=1
	v_mul_f64 v[6:7], v[2:3], v[2:3]
	v_fmac_f64_e32 v[6:7], v[30:31], v[30:31]
	v_cmp_ge_f64_e32 vcc, s[44:45], v[6:7]
                                        ; implicit-def: $vgpr26_vgpr27
	s_and_saveexec_b64 s[10:11], vcc
	s_xor_b64 s[10:11], exec, s[10:11]
	s_cbranch_execz .LBB168_230
; %bb.229:                              ;   in Loop: Header=BB168_145 Depth=1
	v_frexp_mant_f64_e32 v[2:3], v[6:7]
	v_cmp_gt_f64_e32 vcc, s[26:27], v[2:3]
	v_cndmask_b32_e64 v85, v118, 2.0, vcc
	v_mul_f64 v[2:3], v[2:3], v[84:85]
	v_add_f64 v[26:27], v[2:3], 1.0
	v_rcp_f64_e32 v[28:29], v[26:27]
	v_add_f64 v[32:33], v[26:27], -1.0
	v_add_f64 v[30:31], v[2:3], -1.0
	v_add_f64 v[2:3], v[2:3], -v[32:33]
	v_fma_f64 v[32:33], -v[26:27], v[28:29], 1.0
	v_fmac_f64_e32 v[28:29], v[32:33], v[28:29]
	v_fma_f64 v[32:33], -v[26:27], v[28:29], 1.0
	v_fmac_f64_e32 v[28:29], v[32:33], v[28:29]
	v_mul_f64 v[32:33], v[30:31], v[28:29]
	v_mul_f64 v[94:95], v[26:27], v[32:33]
	v_fma_f64 v[26:27], v[32:33], v[26:27], -v[94:95]
	v_fmac_f64_e32 v[26:27], v[32:33], v[2:3]
	v_add_f64 v[2:3], v[94:95], v[26:27]
	v_add_f64 v[96:97], v[30:31], -v[2:3]
	v_add_f64 v[94:95], v[2:3], -v[94:95]
	;; [unrolled: 1-line block ×5, first 2 shown]
	v_add_f64 v[2:3], v[26:27], v[2:3]
	v_add_f64 v[2:3], v[96:97], v[2:3]
	v_mul_f64 v[2:3], v[28:29], v[2:3]
	v_add_f64 v[26:27], v[32:33], v[2:3]
	v_add_f64 v[28:29], v[26:27], -v[32:33]
	v_add_f64 v[2:3], v[2:3], -v[28:29]
	v_mul_f64 v[28:29], v[26:27], v[26:27]
	v_pk_mov_b32 v[30:31], v[34:35], v[34:35] op_sel:[0,1]
	v_fmac_f64_e32 v[30:31], s[28:29], v[28:29]
	v_pk_mov_b32 v[32:33], v[36:37], v[36:37] op_sel:[0,1]
	v_fmac_f64_e32 v[32:33], v[28:29], v[30:31]
	;; [unrolled: 2-line block ×6, first 2 shown]
	v_ldexp_f64 v[30:31], v[26:27], 1
	v_mul_f64 v[26:27], v[26:27], v[28:29]
	v_mul_f64 v[26:27], v[26:27], v[32:33]
	v_add_f64 v[28:29], v[30:31], v[26:27]
	v_add_f64 v[30:31], v[28:29], -v[30:31]
	v_ldexp_f64 v[2:3], v[2:3], 1
	v_add_f64 v[26:27], v[26:27], -v[30:31]
	v_add_f64 v[2:3], v[2:3], v[26:27]
	v_frexp_exp_i32_f64_e32 v1, v[6:7]
	v_add_f64 v[26:27], v[28:29], v[2:3]
	v_subbrev_co_u32_e32 v1, vcc, 0, v1, vcc
	v_add_f64 v[28:29], v[26:27], -v[28:29]
	v_add_f64 v[2:3], v[2:3], -v[28:29]
	v_cvt_f64_i32_e32 v[28:29], v1
	v_mul_f64 v[30:31], v[28:29], s[30:31]
	v_fma_f64 v[32:33], v[28:29], s[30:31], -v[30:31]
	v_fmac_f64_e32 v[32:33], s[34:35], v[28:29]
	v_add_f64 v[28:29], v[30:31], v[32:33]
	v_add_f64 v[30:31], v[28:29], -v[30:31]
	v_add_f64 v[30:31], v[32:33], -v[30:31]
	v_add_f64 v[32:33], v[28:29], v[26:27]
	v_add_f64 v[94:95], v[32:33], -v[28:29]
	v_add_f64 v[96:97], v[32:33], -v[94:95]
	;; [unrolled: 1-line block ×4, first 2 shown]
	v_add_f64 v[26:27], v[26:27], v[28:29]
	v_add_f64 v[28:29], v[30:31], v[2:3]
	v_add_f64 v[94:95], v[28:29], -v[30:31]
	v_add_f64 v[96:97], v[28:29], -v[94:95]
	v_add_f64 v[26:27], v[28:29], v[26:27]
	v_add_f64 v[30:31], v[30:31], -v[96:97]
	v_add_f64 v[2:3], v[2:3], -v[94:95]
	v_add_f64 v[28:29], v[32:33], v[26:27]
	v_add_f64 v[2:3], v[2:3], v[30:31]
	v_add_f64 v[30:31], v[28:29], -v[32:33]
	v_add_f64 v[26:27], v[26:27], -v[30:31]
	v_add_f64 v[2:3], v[2:3], v[26:27]
	v_add_f64 v[2:3], v[28:29], v[2:3]
	v_max_f64 v[26:27], |v[16:17]|, |v[16:17]|
	v_max_f64 v[28:29], |v[14:15]|, |v[14:15]|
	v_max_f64 v[30:31], v[28:29], v[26:27]
	v_min_f64 v[28:29], v[28:29], v[26:27]
	v_div_scale_f64 v[32:33], s[60:61], v[30:31], v[30:31], v[28:29]
	v_rcp_f64_e32 v[94:95], v[32:33]
	v_mul_f64 v[2:3], v[2:3], 0.5
	v_cmp_neq_f64_e32 vcc, 0, v[6:7]
	v_cndmask_b32_e32 v27, v113, v3, vcc
	v_cndmask_b32_e32 v26, 0, v2, vcc
	v_fma_f64 v[2:3], -v[32:33], v[94:95], 1.0
	v_fmac_f64_e32 v[94:95], v[94:95], v[2:3]
	v_fma_f64 v[2:3], -v[32:33], v[94:95], 1.0
	v_fmac_f64_e32 v[94:95], v[94:95], v[2:3]
	v_div_scale_f64 v[2:3], vcc, v[28:29], v[30:31], v[28:29]
	v_mul_f64 v[6:7], v[2:3], v[94:95]
	v_fma_f64 v[2:3], -v[32:33], v[6:7], v[2:3]
	v_cmp_class_f64_e64 s[62:63], v[14:15], s75
	s_nop 0
	v_div_fmas_f64 v[2:3], v[2:3], v[94:95], v[6:7]
	v_div_fixup_f64 v[2:3], v[2:3], v[30:31], v[28:29]
	v_mul_f64 v[6:7], v[2:3], v[2:3]
	v_pk_mov_b32 v[28:29], v[46:47], v[46:47] op_sel:[0,1]
	v_fmac_f64_e32 v[28:29], s[38:39], v[6:7]
	v_pk_mov_b32 v[30:31], v[48:49], v[48:49] op_sel:[0,1]
	v_fmac_f64_e32 v[30:31], v[6:7], v[28:29]
	;; [unrolled: 2-line block ×19, first 2 shown]
	v_mul_f64 v[6:7], v[6:7], v[28:29]
	v_fmac_f64_e32 v[2:3], v[2:3], v[6:7]
	v_ashrrev_i32_e32 v6, 31, v15
	v_and_b32_e32 v8, 0x400921fb, v6
	v_and_b32_e32 v14, 0x54442d18, v6
	v_add_f64 v[6:7], -v[2:3], s[40:41]
	v_cndmask_b32_e64 v3, v3, v7, s[8:9]
	v_cndmask_b32_e64 v2, v2, v6, s[8:9]
	s_mov_b32 s42, s40
	v_cmp_gt_i32_e32 vcc, 0, v15
	v_add_f64 v[6:7], -v[2:3], s[42:43]
	v_cmp_class_f64_e64 s[60:61], v[16:17], s75
	v_cndmask_b32_e32 v1, v114, v115, vcc
	v_cndmask_b32_e32 v4, v116, v117, vcc
	;; [unrolled: 1-line block ×4, first 2 shown]
	v_cmp_eq_f64_e32 vcc, 0, v[16:17]
	v_bfi_b32 v4, s74, v4, v17
	v_cndmask_b32_e32 v2, v2, v14, vcc
	v_cndmask_b32_e32 v3, v3, v8, vcc
	s_and_b64 vcc, s[60:61], s[62:63]
	v_cndmask_b32_e32 v29, v3, v4, vcc
	v_cndmask_b32_e32 v28, v2, v1, vcc
                                        ; implicit-def: $vgpr30_vgpr31
                                        ; implicit-def: $vgpr2_vgpr3
.LBB168_230:                            ;   in Loop: Header=BB168_145 Depth=1
	s_andn2_saveexec_b64 s[60:61], s[10:11]
	s_cbranch_execz .LBB168_234
; %bb.231:                              ;   in Loop: Header=BB168_145 Depth=1
	v_and_b32_e32 v85, 0x7ffffff8, v31
	v_and_b32_e32 v27, 0x7ffffff8, v3
	v_mov_b32_e32 v26, v84
	v_add_f64 v[6:7], v[30:31], -v[84:85]
	v_add_f64 v[2:3], v[2:3], -v[26:27]
	v_and_b32_e32 v99, -8, v7
	v_mov_b32_e32 v98, v84
	v_and_b32_e32 v101, -8, v3
	v_mov_b32_e32 v100, v84
	v_add_f64 v[32:33], v[84:85], v[84:85]
	v_add_f64 v[106:107], v[26:27], v[26:27]
	v_add_f64 v[102:103], v[6:7], -v[98:99]
	v_add_f64 v[104:105], v[2:3], -v[100:101]
	v_mul_f64 v[6:7], v[26:27], v[26:27]
	v_mul_f64 v[30:31], v[32:33], v[98:99]
	v_mul_f64 v[28:29], v[106:107], v[100:101]
	v_mul_f64 v[96:97], v[98:99], v[98:99]
	v_mul_f64 v[26:27], v[100:101], v[100:101]
	v_add_f64 v[98:99], v[98:99], v[98:99]
	v_add_f64 v[100:101], v[100:101], v[100:101]
	v_mul_f64 v[2:3], v[84:85], v[84:85]
	v_mul_f64 v[94:95], v[32:33], v[102:103]
	;; [unrolled: 1-line block ×7, first 2 shown]
	s_mov_b64 s[62:63], 0
.LBB168_232:                            ;   Parent Loop BB168_145 Depth=1
                                        ; =>  This Inner Loop Header: Depth=2
	v_cmp_nlt_f64_e32 vcc, v[2:3], v[6:7]
	v_cndmask_b32_e32 v107, v3, v7, vcc
	v_cndmask_b32_e32 v106, v2, v6, vcc
	v_cmp_nlt_f64_e64 s[10:11], v[106:107], v[30:31]
	v_cndmask_b32_e64 v109, v107, v31, s[10:11]
	v_cndmask_b32_e64 v108, v106, v30, s[10:11]
	v_cndmask_b32_e32 v3, v7, v3, vcc
	v_cndmask_b32_e32 v2, v6, v2, vcc
	s_and_b64 s[64:65], vcc, s[10:11]
	v_cmp_nlt_f64_e32 vcc, v[108:109], v[28:29]
	v_cndmask_b32_e64 v7, v31, v107, s[10:11]
	v_cndmask_b32_e64 v6, v30, v106, s[10:11]
	v_cndmask_b32_e32 v107, v109, v29, vcc
	v_cndmask_b32_e32 v106, v108, v28, vcc
	v_cmp_nlt_f64_e64 s[10:11], v[106:107], v[96:97]
	v_cndmask_b32_e32 v31, v29, v109, vcc
	v_cndmask_b32_e32 v30, v28, v108, vcc
	v_cndmask_b32_e64 v109, v107, v97, s[10:11]
	v_cndmask_b32_e64 v108, v106, v96, s[10:11]
	s_and_b64 s[76:77], vcc, s[10:11]
	v_cmp_nlt_f64_e32 vcc, v[108:109], v[26:27]
	v_cndmask_b32_e64 v29, v97, v107, s[10:11]
	v_cndmask_b32_e64 v28, v96, v106, s[10:11]
	v_cndmask_b32_e32 v107, v109, v27, vcc
	v_cndmask_b32_e32 v106, v108, v26, vcc
	v_cmp_nlt_f64_e64 s[10:11], v[106:107], v[94:95]
	v_cndmask_b32_e32 v97, v27, v109, vcc
	v_cndmask_b32_e32 v96, v26, v108, vcc
	v_cndmask_b32_e64 v109, v107, v95, s[10:11]
	v_cndmask_b32_e64 v108, v106, v94, s[10:11]
	;; [unrolled: 1-line block ×4, first 2 shown]
	s_and_b64 s[10:11], vcc, s[10:11]
	v_cmp_nlt_f64_e32 vcc, v[108:109], v[32:33]
	v_cndmask_b32_e32 v107, v109, v33, vcc
	v_cndmask_b32_e32 v106, v108, v32, vcc
	v_cndmask_b32_e32 v95, v33, v109, vcc
	v_cndmask_b32_e32 v94, v32, v108, vcc
	s_and_b64 s[10:11], s[10:11], vcc
	v_cmp_nlt_f64_e32 vcc, v[106:107], v[98:99]
	v_cndmask_b32_e32 v109, v107, v99, vcc
	v_cndmask_b32_e32 v108, v106, v98, vcc
	v_cndmask_b32_e32 v33, v99, v107, vcc
	v_cndmask_b32_e32 v32, v98, v106, vcc
	s_and_b64 s[10:11], s[10:11], vcc
	;; [unrolled: 6-line block ×4, first 2 shown]
	v_cmp_nlt_f64_e32 vcc, v[108:109], v[104:105]
	s_and_b64 s[10:11], s[10:11], vcc
	s_and_b64 s[10:11], s[10:11], s[76:77]
	s_and_b64 s[10:11], s[10:11], s[64:65]
	v_cndmask_b32_e32 v107, v109, v105, vcc
	v_cndmask_b32_e32 v106, v108, v104, vcc
	s_and_b64 s[10:11], exec, s[10:11]
	v_cndmask_b32_e32 v103, v105, v109, vcc
	v_cndmask_b32_e32 v102, v104, v108, vcc
	s_or_b64 s[62:63], s[10:11], s[62:63]
	v_pk_mov_b32 v[104:105], v[106:107], v[106:107] op_sel:[0,1]
	s_andn2_b64 exec, exec, s[62:63]
	s_cbranch_execnz .LBB168_232
; %bb.233:                              ;   in Loop: Header=BB168_145 Depth=1
	s_or_b64 exec, exec, s[62:63]
	v_add_f64 v[2:3], v[2:3], -1.0
	v_add_f64 v[2:3], v[2:3], v[6:7]
	v_add_f64 v[2:3], v[2:3], v[30:31]
	;; [unrolled: 1-line block ×11, first 2 shown]
	v_add_f64 v[6:7], v[2:3], 1.0
	v_add_f64 v[26:27], v[6:7], -1.0
	v_add_f64 v[28:29], v[26:27], -v[6:7]
	v_add_f64 v[28:29], v[28:29], 1.0
	v_add_f64 v[26:27], v[2:3], -v[26:27]
	v_add_f64 v[26:27], v[26:27], v[28:29]
	v_frexp_mant_f64_e32 v[28:29], v[6:7]
	v_frexp_exp_i32_f64_e32 v1, v[6:7]
	v_cmp_gt_f64_e32 vcc, s[26:27], v[28:29]
	v_subbrev_co_u32_e32 v1, vcc, 0, v1, vcc
	v_sub_u32_e32 v4, 0, v1
	v_ldexp_f64 v[6:7], v[6:7], v4
	v_add_f64 v[28:29], v[6:7], -1.0
	v_add_f64 v[94:95], v[6:7], 1.0
	v_add_f64 v[30:31], v[28:29], 1.0
	v_add_f64 v[96:97], v[94:95], -1.0
	v_ldexp_f64 v[26:27], v[26:27], v4
	v_add_f64 v[30:31], v[6:7], -v[30:31]
	v_add_f64 v[6:7], v[6:7], -v[96:97]
	v_add_f64 v[6:7], v[26:27], v[6:7]
	v_add_f64 v[30:31], v[26:27], v[30:31]
	;; [unrolled: 1-line block ×3, first 2 shown]
	v_rcp_f64_e32 v[96:97], v[26:27]
	v_add_f64 v[32:33], v[28:29], v[30:31]
	v_add_f64 v[28:29], v[32:33], -v[28:29]
	v_add_f64 v[28:29], v[30:31], -v[28:29]
	;; [unrolled: 1-line block ×4, first 2 shown]
	v_fma_f64 v[30:31], -v[26:27], v[96:97], 1.0
	v_fmac_f64_e32 v[96:97], v[30:31], v[96:97]
	v_fma_f64 v[30:31], -v[26:27], v[96:97], 1.0
	v_fmac_f64_e32 v[96:97], v[30:31], v[96:97]
	v_mul_f64 v[30:31], v[32:33], v[96:97]
	v_mul_f64 v[94:95], v[26:27], v[30:31]
	v_fma_f64 v[98:99], v[30:31], v[26:27], -v[94:95]
	v_fmac_f64_e32 v[98:99], v[30:31], v[6:7]
	v_add_f64 v[100:101], v[94:95], v[98:99]
	v_add_f64 v[102:103], v[32:33], -v[100:101]
	v_add_f64 v[32:33], v[32:33], -v[102:103]
	;; [unrolled: 1-line block ×4, first 2 shown]
	v_add_f64 v[28:29], v[28:29], v[32:33]
	v_add_f64 v[32:33], v[94:95], -v[98:99]
	v_add_f64 v[28:29], v[32:33], v[28:29]
	v_add_f64 v[32:33], v[102:103], v[28:29]
	v_add_f64 v[94:95], v[102:103], -v[32:33]
	v_add_f64 v[28:29], v[28:29], v[94:95]
	v_mul_f64 v[94:95], v[96:97], v[32:33]
	v_mul_f64 v[98:99], v[26:27], v[94:95]
	v_fma_f64 v[26:27], v[94:95], v[26:27], -v[98:99]
	v_fmac_f64_e32 v[26:27], v[94:95], v[6:7]
	v_add_f64 v[6:7], v[98:99], v[26:27]
	v_add_f64 v[100:101], v[32:33], -v[6:7]
	v_add_f64 v[32:33], v[32:33], -v[100:101]
	;; [unrolled: 1-line block ×4, first 2 shown]
	v_add_f64 v[6:7], v[28:29], v[6:7]
	v_add_f64 v[26:27], v[98:99], -v[26:27]
	v_add_f64 v[6:7], v[26:27], v[6:7]
	v_add_f64 v[26:27], v[30:31], v[94:95]
	v_add_f64 v[6:7], v[100:101], v[6:7]
	v_add_f64 v[28:29], v[26:27], -v[30:31]
	v_mul_f64 v[6:7], v[96:97], v[6:7]
	v_add_f64 v[28:29], v[94:95], -v[28:29]
	v_add_f64 v[6:7], v[28:29], v[6:7]
	v_add_f64 v[28:29], v[26:27], v[6:7]
	v_add_f64 v[26:27], v[28:29], -v[26:27]
	v_add_f64 v[6:7], v[6:7], -v[26:27]
	v_mul_f64 v[26:27], v[28:29], v[28:29]
	v_pk_mov_b32 v[30:31], v[34:35], v[34:35] op_sel:[0,1]
	v_fmac_f64_e32 v[30:31], s[28:29], v[26:27]
	v_pk_mov_b32 v[32:33], v[36:37], v[36:37] op_sel:[0,1]
	v_fmac_f64_e32 v[32:33], v[26:27], v[30:31]
	;; [unrolled: 2-line block ×6, first 2 shown]
	v_cvt_f64_i32_e32 v[30:31], v1
	v_mul_f64 v[94:95], v[30:31], s[30:31]
	v_fma_f64 v[96:97], v[30:31], s[30:31], -v[94:95]
	v_fmac_f64_e32 v[96:97], s[34:35], v[30:31]
	v_add_f64 v[30:31], v[94:95], v[96:97]
	v_add_f64 v[94:95], v[30:31], -v[94:95]
	v_mul_f64 v[26:27], v[28:29], v[26:27]
	v_add_f64 v[94:95], v[96:97], -v[94:95]
	v_ldexp_f64 v[96:97], v[28:29], 1
	v_mul_f64 v[26:27], v[26:27], v[32:33]
	v_add_f64 v[28:29], v[96:97], v[26:27]
	v_add_f64 v[32:33], v[28:29], -v[96:97]
	v_ldexp_f64 v[6:7], v[6:7], 1
	v_add_f64 v[26:27], v[26:27], -v[32:33]
	v_add_f64 v[6:7], v[6:7], v[26:27]
	v_add_f64 v[26:27], v[28:29], v[6:7]
	v_add_f64 v[28:29], v[26:27], -v[28:29]
	v_add_f64 v[6:7], v[6:7], -v[28:29]
	v_add_f64 v[28:29], v[30:31], v[26:27]
	v_add_f64 v[32:33], v[28:29], -v[30:31]
	v_add_f64 v[96:97], v[28:29], -v[32:33]
	;; [unrolled: 1-line block ×4, first 2 shown]
	v_add_f64 v[26:27], v[26:27], v[30:31]
	v_add_f64 v[30:31], v[94:95], v[6:7]
	v_add_f64 v[32:33], v[30:31], -v[94:95]
	v_add_f64 v[26:27], v[30:31], v[26:27]
	v_add_f64 v[96:97], v[30:31], -v[32:33]
	;; [unrolled: 2-line block ×3, first 2 shown]
	v_add_f64 v[6:7], v[6:7], -v[32:33]
	v_add_f64 v[28:29], v[30:31], -v[28:29]
	v_add_f64 v[6:7], v[6:7], v[94:95]
	v_add_f64 v[26:27], v[26:27], -v[28:29]
	v_add_f64 v[6:7], v[6:7], v[26:27]
	v_max_f64 v[26:27], |v[16:17]|, |v[16:17]|
	v_max_f64 v[28:29], |v[14:15]|, |v[14:15]|
	v_add_f64 v[6:7], v[30:31], v[6:7]
	v_max_f64 v[30:31], v[28:29], v[26:27]
	v_min_f64 v[28:29], v[28:29], v[26:27]
	v_div_scale_f64 v[32:33], s[10:11], v[30:31], v[30:31], v[28:29]
	v_cmp_eq_f64_e32 vcc, s[36:37], v[2:3]
	v_rcp_f64_e32 v[94:95], v[32:33]
	v_cndmask_b32_e32 v7, v7, v3, vcc
	v_cndmask_b32_e32 v6, v6, v2, vcc
	v_mul_f64 v[6:7], v[6:7], 0.5
	v_cmp_ngt_f64_e32 vcc, -1.0, v[2:3]
	v_cndmask_b32_e32 v1, v112, v7, vcc
	v_cmp_nge_f64_e32 vcc, -1.0, v[2:3]
	v_cndmask_b32_e32 v26, 0, v6, vcc
	v_cmp_neq_f64_e32 vcc, -1.0, v[2:3]
	v_fma_f64 v[2:3], -v[32:33], v[94:95], 1.0
	v_fmac_f64_e32 v[94:95], v[94:95], v[2:3]
	v_fma_f64 v[2:3], -v[32:33], v[94:95], 1.0
	v_cndmask_b32_e32 v27, v113, v1, vcc
	v_fmac_f64_e32 v[94:95], v[94:95], v[2:3]
	v_div_scale_f64 v[2:3], vcc, v[28:29], v[30:31], v[28:29]
	v_mul_f64 v[6:7], v[2:3], v[94:95]
	v_fma_f64 v[2:3], -v[32:33], v[6:7], v[2:3]
	v_cmp_class_f64_e64 s[62:63], v[14:15], s75
	s_nop 0
	v_div_fmas_f64 v[2:3], v[2:3], v[94:95], v[6:7]
	v_div_fixup_f64 v[2:3], v[2:3], v[30:31], v[28:29]
	v_mul_f64 v[6:7], v[2:3], v[2:3]
	v_pk_mov_b32 v[28:29], v[46:47], v[46:47] op_sel:[0,1]
	v_fmac_f64_e32 v[28:29], s[38:39], v[6:7]
	v_pk_mov_b32 v[30:31], v[48:49], v[48:49] op_sel:[0,1]
	v_fmac_f64_e32 v[30:31], v[6:7], v[28:29]
	;; [unrolled: 2-line block ×19, first 2 shown]
	v_mul_f64 v[6:7], v[6:7], v[28:29]
	v_fmac_f64_e32 v[2:3], v[2:3], v[6:7]
	v_ashrrev_i32_e32 v6, 31, v15
	v_and_b32_e32 v8, 0x400921fb, v6
	v_and_b32_e32 v14, 0x54442d18, v6
	v_add_f64 v[6:7], -v[2:3], s[40:41]
	v_cndmask_b32_e64 v3, v3, v7, s[8:9]
	v_cndmask_b32_e64 v2, v2, v6, s[8:9]
	s_mov_b32 s42, s40
	v_cmp_gt_i32_e32 vcc, 0, v15
	v_add_f64 v[6:7], -v[2:3], s[42:43]
	v_cmp_class_f64_e64 s[10:11], v[16:17], s75
	v_cndmask_b32_e32 v1, v114, v115, vcc
	v_cndmask_b32_e32 v4, v116, v117, vcc
	;; [unrolled: 1-line block ×4, first 2 shown]
	v_cmp_eq_f64_e32 vcc, 0, v[16:17]
	v_bfi_b32 v4, s74, v4, v17
	v_cndmask_b32_e32 v2, v2, v14, vcc
	v_cndmask_b32_e32 v3, v3, v8, vcc
	s_and_b64 vcc, s[10:11], s[62:63]
	v_cndmask_b32_e32 v29, v3, v4, vcc
	v_cndmask_b32_e32 v28, v2, v1, vcc
.LBB168_234:                            ;   in Loop: Header=BB168_145 Depth=1
	s_or_b64 exec, exec, s[60:61]
.LBB168_235:                            ;   in Loop: Header=BB168_145 Depth=1
	s_or_b64 exec, exec, s[58:59]
.LBB168_236:                            ;   in Loop: Header=BB168_145 Depth=1
	s_andn2_saveexec_b64 s[56:57], s[56:57]
	s_cbranch_execz .LBB168_238
; %bb.237:                              ;   in Loop: Header=BB168_145 Depth=1
	v_max_f64 v[2:3], |v[16:17]|, |v[16:17]|
	v_max_f64 v[6:7], |v[14:15]|, |v[14:15]|
	v_max_f64 v[28:29], v[6:7], v[2:3]
	v_frexp_exp_i32_f64_e32 v1, v[28:29]
	v_sub_u32_e32 v4, 0, v1
	v_ldexp_f64 v[30:31], |v[16:17]|, v4
	v_ldexp_f64 v[26:27], |v[14:15]|, v4
	v_mul_f64 v[30:31], v[30:31], v[30:31]
	v_fmac_f64_e32 v[30:31], v[26:27], v[26:27]
	v_rsq_f64_e32 v[26:27], v[30:31]
	v_cmp_eq_f64_e32 vcc, 0, v[30:31]
	v_cmp_class_f64_e64 s[58:59], v[14:15], s75
	v_cmp_class_f64_e64 s[60:61], v[16:17], s75
	v_mul_f64 v[32:33], v[30:31], v[26:27]
	v_mul_f64 v[26:27], v[26:27], 0.5
	v_fma_f64 v[94:95], -v[26:27], v[32:33], 0.5
	v_fmac_f64_e32 v[32:33], v[32:33], v[94:95]
	v_fmac_f64_e32 v[26:27], v[26:27], v[94:95]
	v_fma_f64 v[94:95], -v[32:33], v[32:33], v[30:31]
	v_fmac_f64_e32 v[32:33], v[94:95], v[26:27]
	v_cndmask_b32_e32 v27, v33, v31, vcc
	v_cndmask_b32_e32 v26, v32, v30, vcc
	v_ldexp_f64 v[26:27], v[26:27], v1
	s_or_b64 vcc, s[60:61], s[58:59]
	v_cndmask_b32_e32 v31, v27, v119, vcc
	v_cndmask_b32_e64 v30, v26, 0, vcc
	v_frexp_mant_f64_e32 v[32:33], v[30:31]
	v_cmp_gt_f64_e64 s[10:11], s[26:27], v[32:33]
	v_cndmask_b32_e64 v85, v118, 2.0, s[10:11]
	v_mul_f64 v[32:33], v[32:33], v[84:85]
	v_add_f64 v[94:95], v[32:33], 1.0
	v_rcp_f64_e32 v[96:97], v[94:95]
	v_add_f64 v[100:101], v[94:95], -1.0
	v_add_f64 v[98:99], v[32:33], -1.0
	v_add_f64 v[32:33], v[32:33], -v[100:101]
	v_fma_f64 v[100:101], -v[94:95], v[96:97], 1.0
	v_fmac_f64_e32 v[96:97], v[100:101], v[96:97]
	v_fma_f64 v[100:101], -v[94:95], v[96:97], 1.0
	v_fmac_f64_e32 v[96:97], v[100:101], v[96:97]
	v_mul_f64 v[100:101], v[98:99], v[96:97]
	v_mul_f64 v[102:103], v[94:95], v[100:101]
	v_fma_f64 v[94:95], v[100:101], v[94:95], -v[102:103]
	v_fmac_f64_e32 v[94:95], v[100:101], v[32:33]
	v_add_f64 v[32:33], v[102:103], v[94:95]
	v_add_f64 v[104:105], v[98:99], -v[32:33]
	v_add_f64 v[102:103], v[32:33], -v[102:103]
	;; [unrolled: 1-line block ×5, first 2 shown]
	v_add_f64 v[32:33], v[94:95], v[32:33]
	v_add_f64 v[32:33], v[104:105], v[32:33]
	v_mul_f64 v[32:33], v[96:97], v[32:33]
	v_add_f64 v[94:95], v[100:101], v[32:33]
	v_add_f64 v[96:97], v[94:95], -v[100:101]
	v_add_f64 v[32:33], v[32:33], -v[96:97]
	v_mul_f64 v[96:97], v[94:95], v[94:95]
	v_pk_mov_b32 v[98:99], v[34:35], v[34:35] op_sel:[0,1]
	v_fmac_f64_e32 v[98:99], s[28:29], v[96:97]
	v_pk_mov_b32 v[100:101], v[36:37], v[36:37] op_sel:[0,1]
	v_fmac_f64_e32 v[100:101], v[96:97], v[98:99]
	;; [unrolled: 2-line block ×6, first 2 shown]
	v_ldexp_f64 v[98:99], v[94:95], 1
	v_mul_f64 v[94:95], v[94:95], v[96:97]
	v_mul_f64 v[94:95], v[94:95], v[100:101]
	v_add_f64 v[96:97], v[98:99], v[94:95]
	v_add_f64 v[98:99], v[96:97], -v[98:99]
	v_ldexp_f64 v[32:33], v[32:33], 1
	v_add_f64 v[94:95], v[94:95], -v[98:99]
	v_add_f64 v[32:33], v[32:33], v[94:95]
	v_frexp_exp_i32_f64_e32 v1, v[30:31]
	v_add_f64 v[94:95], v[96:97], v[32:33]
	v_subbrev_co_u32_e64 v1, s[10:11], 0, v1, s[10:11]
	v_add_f64 v[96:97], v[94:95], -v[96:97]
	v_add_f64 v[32:33], v[32:33], -v[96:97]
	v_cvt_f64_i32_e32 v[96:97], v1
	v_mul_f64 v[98:99], v[96:97], s[30:31]
	v_fma_f64 v[100:101], v[96:97], s[30:31], -v[98:99]
	v_fmac_f64_e32 v[100:101], s[34:35], v[96:97]
	v_add_f64 v[96:97], v[98:99], v[100:101]
	v_add_f64 v[98:99], v[96:97], -v[98:99]
	v_add_f64 v[98:99], v[100:101], -v[98:99]
	v_add_f64 v[100:101], v[96:97], v[94:95]
	v_add_f64 v[102:103], v[100:101], -v[96:97]
	v_add_f64 v[104:105], v[100:101], -v[102:103]
	;; [unrolled: 1-line block ×4, first 2 shown]
	v_add_f64 v[94:95], v[94:95], v[96:97]
	v_add_f64 v[96:97], v[98:99], v[32:33]
	v_add_f64 v[102:103], v[96:97], -v[98:99]
	v_add_f64 v[104:105], v[96:97], -v[102:103]
	v_add_f64 v[94:95], v[96:97], v[94:95]
	v_add_f64 v[98:99], v[98:99], -v[104:105]
	v_add_f64 v[32:33], v[32:33], -v[102:103]
	v_add_f64 v[96:97], v[100:101], v[94:95]
	v_add_f64 v[32:33], v[32:33], v[98:99]
	v_add_f64 v[98:99], v[96:97], -v[100:101]
	v_add_f64 v[94:95], v[94:95], -v[98:99]
	v_add_f64 v[32:33], v[32:33], v[94:95]
	v_add_f64 v[32:33], v[96:97], v[32:33]
	v_cmp_class_f64_e64 s[10:11], v[26:27], s75
	v_min_f64 v[2:3], v[6:7], v[2:3]
	v_cndmask_b32_e64 v1, v33, v27, s[10:11]
	v_cndmask_b32_e64 v4, v32, v26, s[10:11]
	v_div_scale_f64 v[6:7], s[10:11], v[28:29], v[28:29], v[2:3]
	v_rcp_f64_e32 v[32:33], v[6:7]
	v_cndmask_b32_e64 v4, v4, 0, vcc
	v_cndmask_b32_e32 v1, v1, v119, vcc
	v_cmp_ngt_f64_e32 vcc, 0, v[30:31]
	v_cndmask_b32_e32 v1, v112, v1, vcc
	v_cmp_nge_f64_e32 vcc, 0, v[30:31]
	v_cndmask_b32_e32 v26, 0, v4, vcc
	v_cmp_neq_f64_e32 vcc, 0, v[30:31]
	v_fma_f64 v[30:31], -v[6:7], v[32:33], 1.0
	v_fmac_f64_e32 v[32:33], v[32:33], v[30:31]
	v_fma_f64 v[30:31], -v[6:7], v[32:33], 1.0
	v_cndmask_b32_e32 v27, v113, v1, vcc
	v_fmac_f64_e32 v[32:33], v[32:33], v[30:31]
	v_div_scale_f64 v[30:31], vcc, v[2:3], v[28:29], v[2:3]
	v_mul_f64 v[94:95], v[30:31], v[32:33]
	v_fma_f64 v[6:7], -v[6:7], v[94:95], v[30:31]
	v_pk_mov_b32 v[30:31], v[48:49], v[48:49] op_sel:[0,1]
	s_nop 0
	v_div_fmas_f64 v[6:7], v[6:7], v[32:33], v[94:95]
	v_div_fixup_f64 v[2:3], v[6:7], v[28:29], v[2:3]
	v_mul_f64 v[6:7], v[2:3], v[2:3]
	v_pk_mov_b32 v[28:29], v[46:47], v[46:47] op_sel:[0,1]
	v_fmac_f64_e32 v[28:29], s[38:39], v[6:7]
	v_fmac_f64_e32 v[30:31], v[6:7], v[28:29]
	v_pk_mov_b32 v[28:29], v[50:51], v[50:51] op_sel:[0,1]
	v_fmac_f64_e32 v[28:29], v[6:7], v[30:31]
	v_pk_mov_b32 v[30:31], v[52:53], v[52:53] op_sel:[0,1]
	;; [unrolled: 2-line block ×17, first 2 shown]
	v_fmac_f64_e32 v[28:29], v[6:7], v[30:31]
	v_mul_f64 v[6:7], v[6:7], v[28:29]
	v_fmac_f64_e32 v[2:3], v[2:3], v[6:7]
	v_ashrrev_i32_e32 v6, 31, v15
	v_and_b32_e32 v8, 0x400921fb, v6
	v_and_b32_e32 v14, 0x54442d18, v6
	v_add_f64 v[6:7], -v[2:3], s[40:41]
	v_cndmask_b32_e64 v3, v3, v7, s[8:9]
	v_cndmask_b32_e64 v2, v2, v6, s[8:9]
	s_mov_b32 s42, s40
	v_cmp_gt_i32_e32 vcc, 0, v15
	v_add_f64 v[6:7], -v[2:3], s[42:43]
	v_cndmask_b32_e32 v1, v114, v115, vcc
	v_cndmask_b32_e32 v4, v116, v117, vcc
	;; [unrolled: 1-line block ×4, first 2 shown]
	v_cmp_eq_f64_e32 vcc, 0, v[16:17]
	v_bfi_b32 v4, s74, v4, v17
	v_cndmask_b32_e32 v2, v2, v14, vcc
	v_cndmask_b32_e32 v3, v3, v8, vcc
	s_and_b64 vcc, s[60:61], s[58:59]
	v_cndmask_b32_e32 v29, v3, v4, vcc
	v_cndmask_b32_e32 v28, v2, v1, vcc
.LBB168_238:                            ;   in Loop: Header=BB168_145 Depth=1
	s_or_b64 exec, exec, s[56:57]
                                        ; implicit-def: $vgpr2_vgpr3
.LBB168_239:                            ;   in Loop: Header=BB168_145 Depth=1
	s_andn2_saveexec_b64 s[10:11], s[54:55]
	s_cbranch_execz .LBB168_245
; %bb.240:                              ;   in Loop: Header=BB168_145 Depth=1
	v_cmp_ngt_f64_e32 vcc, s[46:47], v[2:3]
                                        ; implicit-def: $vgpr26_vgpr27
	s_and_saveexec_b64 s[54:55], vcc
	s_xor_b64 s[54:55], exec, s[54:55]
	s_cbranch_execz .LBB168_242
; %bb.241:                              ;   in Loop: Header=BB168_145 Depth=1
	v_mul_f64 v[2:3], v[2:3], v[2:3]
	v_add_f64 v[6:7], v[2:3], 1.0
	v_add_f64 v[26:27], v[6:7], -1.0
	v_add_f64 v[28:29], v[26:27], -v[6:7]
	v_add_f64 v[28:29], v[28:29], 1.0
	v_add_f64 v[26:27], v[2:3], -v[26:27]
	v_add_f64 v[26:27], v[26:27], v[28:29]
	v_frexp_mant_f64_e32 v[28:29], v[6:7]
	v_frexp_exp_i32_f64_e32 v1, v[6:7]
	v_cmp_gt_f64_e32 vcc, s[26:27], v[28:29]
	v_subbrev_co_u32_e32 v1, vcc, 0, v1, vcc
	v_sub_u32_e32 v4, 0, v1
	v_ldexp_f64 v[6:7], v[6:7], v4
	v_add_f64 v[28:29], v[6:7], -1.0
	v_add_f64 v[94:95], v[6:7], 1.0
	v_add_f64 v[30:31], v[28:29], 1.0
	v_add_f64 v[96:97], v[94:95], -1.0
	v_ldexp_f64 v[26:27], v[26:27], v4
	v_add_f64 v[30:31], v[6:7], -v[30:31]
	v_add_f64 v[6:7], v[6:7], -v[96:97]
	v_add_f64 v[6:7], v[26:27], v[6:7]
	v_add_f64 v[30:31], v[26:27], v[30:31]
	;; [unrolled: 1-line block ×3, first 2 shown]
	v_rcp_f64_e32 v[96:97], v[26:27]
	v_add_f64 v[32:33], v[28:29], v[30:31]
	v_add_f64 v[28:29], v[28:29], -v[32:33]
	v_add_f64 v[28:29], v[30:31], v[28:29]
	v_add_f64 v[30:31], v[94:95], -v[26:27]
	v_add_f64 v[6:7], v[6:7], v[30:31]
	v_fma_f64 v[30:31], -v[26:27], v[96:97], 1.0
	v_fmac_f64_e32 v[96:97], v[30:31], v[96:97]
	v_fma_f64 v[30:31], -v[26:27], v[96:97], 1.0
	v_fmac_f64_e32 v[96:97], v[30:31], v[96:97]
	v_mul_f64 v[30:31], v[32:33], v[96:97]
	v_mul_f64 v[94:95], v[26:27], v[30:31]
	v_fma_f64 v[98:99], v[30:31], v[26:27], -v[94:95]
	v_fmac_f64_e32 v[98:99], v[30:31], v[6:7]
	v_add_f64 v[100:101], v[94:95], v[98:99]
	v_add_f64 v[102:103], v[32:33], -v[100:101]
	v_add_f64 v[32:33], v[32:33], -v[102:103]
	;; [unrolled: 1-line block ×4, first 2 shown]
	v_add_f64 v[28:29], v[28:29], v[32:33]
	v_add_f64 v[32:33], v[94:95], -v[98:99]
	v_add_f64 v[28:29], v[32:33], v[28:29]
	v_add_f64 v[32:33], v[102:103], v[28:29]
	v_add_f64 v[94:95], v[102:103], -v[32:33]
	v_add_f64 v[28:29], v[28:29], v[94:95]
	v_mul_f64 v[94:95], v[96:97], v[32:33]
	v_mul_f64 v[98:99], v[26:27], v[94:95]
	v_fma_f64 v[26:27], v[94:95], v[26:27], -v[98:99]
	v_fmac_f64_e32 v[26:27], v[94:95], v[6:7]
	v_add_f64 v[6:7], v[98:99], v[26:27]
	v_add_f64 v[100:101], v[32:33], -v[6:7]
	v_add_f64 v[32:33], v[32:33], -v[100:101]
	;; [unrolled: 1-line block ×4, first 2 shown]
	v_add_f64 v[6:7], v[28:29], v[6:7]
	v_add_f64 v[26:27], v[98:99], -v[26:27]
	v_add_f64 v[6:7], v[26:27], v[6:7]
	v_add_f64 v[26:27], v[30:31], v[94:95]
	;; [unrolled: 1-line block ×3, first 2 shown]
	v_add_f64 v[28:29], v[26:27], -v[30:31]
	v_mul_f64 v[6:7], v[96:97], v[6:7]
	v_add_f64 v[28:29], v[94:95], -v[28:29]
	v_add_f64 v[6:7], v[28:29], v[6:7]
	v_add_f64 v[28:29], v[26:27], v[6:7]
	v_add_f64 v[26:27], v[28:29], -v[26:27]
	v_add_f64 v[6:7], v[6:7], -v[26:27]
	v_mul_f64 v[26:27], v[28:29], v[28:29]
	v_pk_mov_b32 v[30:31], v[34:35], v[34:35] op_sel:[0,1]
	v_fmac_f64_e32 v[30:31], s[28:29], v[26:27]
	v_pk_mov_b32 v[32:33], v[36:37], v[36:37] op_sel:[0,1]
	v_fmac_f64_e32 v[32:33], v[26:27], v[30:31]
	;; [unrolled: 2-line block ×6, first 2 shown]
	v_cvt_f64_i32_e32 v[30:31], v1
	v_mul_f64 v[94:95], v[30:31], s[30:31]
	v_fma_f64 v[96:97], v[30:31], s[30:31], -v[94:95]
	v_fmac_f64_e32 v[96:97], s[34:35], v[30:31]
	v_add_f64 v[30:31], v[94:95], v[96:97]
	v_add_f64 v[94:95], v[30:31], -v[94:95]
	v_mul_f64 v[26:27], v[28:29], v[26:27]
	v_add_f64 v[94:95], v[96:97], -v[94:95]
	v_ldexp_f64 v[96:97], v[28:29], 1
	v_mul_f64 v[26:27], v[26:27], v[32:33]
	v_add_f64 v[28:29], v[96:97], v[26:27]
	v_add_f64 v[32:33], v[28:29], -v[96:97]
	v_ldexp_f64 v[6:7], v[6:7], 1
	v_add_f64 v[26:27], v[26:27], -v[32:33]
	v_add_f64 v[6:7], v[6:7], v[26:27]
	v_add_f64 v[26:27], v[28:29], v[6:7]
	v_add_f64 v[28:29], v[26:27], -v[28:29]
	v_add_f64 v[6:7], v[6:7], -v[28:29]
	v_add_f64 v[28:29], v[30:31], v[26:27]
	v_add_f64 v[32:33], v[28:29], -v[30:31]
	v_add_f64 v[96:97], v[28:29], -v[32:33]
	;; [unrolled: 1-line block ×4, first 2 shown]
	v_add_f64 v[26:27], v[26:27], v[30:31]
	v_add_f64 v[30:31], v[94:95], v[6:7]
	v_add_f64 v[32:33], v[30:31], -v[94:95]
	v_add_f64 v[26:27], v[30:31], v[26:27]
	v_add_f64 v[96:97], v[30:31], -v[32:33]
	;; [unrolled: 2-line block ×3, first 2 shown]
	v_add_f64 v[6:7], v[6:7], -v[32:33]
	v_add_f64 v[28:29], v[30:31], -v[28:29]
	v_add_f64 v[6:7], v[6:7], v[94:95]
	v_add_f64 v[26:27], v[26:27], -v[28:29]
	v_add_f64 v[6:7], v[6:7], v[26:27]
	v_max_f64 v[26:27], |v[16:17]|, |v[16:17]|
	v_max_f64 v[28:29], |v[14:15]|, |v[14:15]|
	v_add_f64 v[6:7], v[30:31], v[6:7]
	v_max_f64 v[30:31], v[28:29], v[26:27]
	v_min_f64 v[28:29], v[28:29], v[26:27]
	v_div_scale_f64 v[32:33], s[56:57], v[30:31], v[30:31], v[28:29]
	v_rcp_f64_e32 v[94:95], v[32:33]
	v_cmp_eq_f64_e32 vcc, s[36:37], v[2:3]
	v_cndmask_b32_e32 v3, v7, v3, vcc
	v_cndmask_b32_e32 v2, v6, v2, vcc
	v_mul_f64 v[26:27], v[2:3], 0.5
	v_fma_f64 v[2:3], -v[32:33], v[94:95], 1.0
	v_fmac_f64_e32 v[94:95], v[94:95], v[2:3]
	v_fma_f64 v[2:3], -v[32:33], v[94:95], 1.0
	v_fmac_f64_e32 v[94:95], v[94:95], v[2:3]
	v_div_scale_f64 v[2:3], vcc, v[28:29], v[30:31], v[28:29]
	v_mul_f64 v[6:7], v[2:3], v[94:95]
	v_fma_f64 v[2:3], -v[32:33], v[6:7], v[2:3]
	v_cmp_class_f64_e64 s[58:59], v[14:15], s75
	s_nop 0
	v_div_fmas_f64 v[2:3], v[2:3], v[94:95], v[6:7]
	v_div_fixup_f64 v[2:3], v[2:3], v[30:31], v[28:29]
	v_mul_f64 v[6:7], v[2:3], v[2:3]
	v_pk_mov_b32 v[28:29], v[46:47], v[46:47] op_sel:[0,1]
	v_fmac_f64_e32 v[28:29], s[38:39], v[6:7]
	v_pk_mov_b32 v[30:31], v[48:49], v[48:49] op_sel:[0,1]
	v_fmac_f64_e32 v[30:31], v[6:7], v[28:29]
	;; [unrolled: 2-line block ×19, first 2 shown]
	v_mul_f64 v[6:7], v[6:7], v[28:29]
	v_fmac_f64_e32 v[2:3], v[2:3], v[6:7]
	v_ashrrev_i32_e32 v6, 31, v15
	v_and_b32_e32 v8, 0x400921fb, v6
	v_and_b32_e32 v14, 0x54442d18, v6
	v_add_f64 v[6:7], -v[2:3], s[40:41]
	v_cndmask_b32_e64 v3, v3, v7, s[8:9]
	v_cndmask_b32_e64 v2, v2, v6, s[8:9]
	s_mov_b32 s42, s40
	v_cmp_gt_i32_e32 vcc, 0, v15
	v_add_f64 v[6:7], -v[2:3], s[42:43]
	v_cmp_class_f64_e64 s[56:57], v[16:17], s75
	v_cndmask_b32_e32 v1, v114, v115, vcc
	v_cndmask_b32_e32 v4, v116, v117, vcc
	;; [unrolled: 1-line block ×4, first 2 shown]
	v_cmp_eq_f64_e32 vcc, 0, v[16:17]
	v_bfi_b32 v4, s74, v4, v17
	v_cndmask_b32_e32 v2, v2, v14, vcc
	v_cndmask_b32_e32 v3, v3, v8, vcc
	s_and_b64 vcc, s[56:57], s[58:59]
	v_cndmask_b32_e32 v29, v3, v4, vcc
	v_cndmask_b32_e32 v28, v2, v1, vcc
                                        ; implicit-def: $vgpr2_vgpr3
.LBB168_242:                            ;   in Loop: Header=BB168_145 Depth=1
	s_andn2_saveexec_b64 s[54:55], s[54:55]
	s_cbranch_execz .LBB168_244
; %bb.243:                              ;   in Loop: Header=BB168_145 Depth=1
	v_max_f64 v[6:7], |v[16:17]|, |v[16:17]|
	v_max_f64 v[26:27], |v[14:15]|, |v[14:15]|
	v_max_f64 v[28:29], v[26:27], v[6:7]
	v_min_f64 v[6:7], v[26:27], v[6:7]
	v_div_scale_f64 v[30:31], s[56:57], v[28:29], v[28:29], v[6:7]
	v_rcp_f64_e32 v[32:33], v[30:31]
	v_mul_f64 v[26:27], v[2:3], 0.5
	v_mul_f64 v[26:27], v[2:3], v[26:27]
	v_cmp_class_f64_e64 s[58:59], v[14:15], s75
	v_fma_f64 v[2:3], -v[30:31], v[32:33], 1.0
	v_fmac_f64_e32 v[32:33], v[32:33], v[2:3]
	v_fma_f64 v[2:3], -v[30:31], v[32:33], 1.0
	v_fmac_f64_e32 v[32:33], v[32:33], v[2:3]
	v_div_scale_f64 v[2:3], vcc, v[6:7], v[28:29], v[6:7]
	v_mul_f64 v[94:95], v[2:3], v[32:33]
	v_fma_f64 v[2:3], -v[30:31], v[94:95], v[2:3]
	v_pk_mov_b32 v[30:31], v[48:49], v[48:49] op_sel:[0,1]
	s_nop 0
	v_div_fmas_f64 v[2:3], v[2:3], v[32:33], v[94:95]
	v_div_fixup_f64 v[2:3], v[2:3], v[28:29], v[6:7]
	v_mul_f64 v[6:7], v[2:3], v[2:3]
	v_pk_mov_b32 v[28:29], v[46:47], v[46:47] op_sel:[0,1]
	v_fmac_f64_e32 v[28:29], s[38:39], v[6:7]
	v_fmac_f64_e32 v[30:31], v[6:7], v[28:29]
	v_pk_mov_b32 v[28:29], v[50:51], v[50:51] op_sel:[0,1]
	v_fmac_f64_e32 v[28:29], v[6:7], v[30:31]
	v_pk_mov_b32 v[30:31], v[52:53], v[52:53] op_sel:[0,1]
	v_fmac_f64_e32 v[30:31], v[6:7], v[28:29]
	v_pk_mov_b32 v[28:29], v[54:55], v[54:55] op_sel:[0,1]
	v_fmac_f64_e32 v[28:29], v[6:7], v[30:31]
	v_pk_mov_b32 v[30:31], v[56:57], v[56:57] op_sel:[0,1]
	v_fmac_f64_e32 v[30:31], v[6:7], v[28:29]
	v_pk_mov_b32 v[28:29], v[58:59], v[58:59] op_sel:[0,1]
	v_fmac_f64_e32 v[28:29], v[6:7], v[30:31]
	v_pk_mov_b32 v[30:31], v[60:61], v[60:61] op_sel:[0,1]
	v_fmac_f64_e32 v[30:31], v[6:7], v[28:29]
	v_pk_mov_b32 v[28:29], v[62:63], v[62:63] op_sel:[0,1]
	v_fmac_f64_e32 v[28:29], v[6:7], v[30:31]
	v_pk_mov_b32 v[30:31], v[64:65], v[64:65] op_sel:[0,1]
	v_fmac_f64_e32 v[30:31], v[6:7], v[28:29]
	v_pk_mov_b32 v[28:29], v[66:67], v[66:67] op_sel:[0,1]
	v_fmac_f64_e32 v[28:29], v[6:7], v[30:31]
	v_pk_mov_b32 v[30:31], v[68:69], v[68:69] op_sel:[0,1]
	v_fmac_f64_e32 v[30:31], v[6:7], v[28:29]
	v_pk_mov_b32 v[28:29], v[70:71], v[70:71] op_sel:[0,1]
	v_fmac_f64_e32 v[28:29], v[6:7], v[30:31]
	v_pk_mov_b32 v[30:31], v[72:73], v[72:73] op_sel:[0,1]
	v_fmac_f64_e32 v[30:31], v[6:7], v[28:29]
	v_pk_mov_b32 v[28:29], v[74:75], v[74:75] op_sel:[0,1]
	v_fmac_f64_e32 v[28:29], v[6:7], v[30:31]
	v_pk_mov_b32 v[30:31], v[76:77], v[76:77] op_sel:[0,1]
	v_fmac_f64_e32 v[30:31], v[6:7], v[28:29]
	v_pk_mov_b32 v[28:29], v[78:79], v[78:79] op_sel:[0,1]
	v_fmac_f64_e32 v[28:29], v[6:7], v[30:31]
	v_pk_mov_b32 v[30:31], v[80:81], v[80:81] op_sel:[0,1]
	v_fmac_f64_e32 v[30:31], v[6:7], v[28:29]
	v_pk_mov_b32 v[28:29], v[82:83], v[82:83] op_sel:[0,1]
	v_fmac_f64_e32 v[28:29], v[6:7], v[30:31]
	v_mul_f64 v[6:7], v[6:7], v[28:29]
	v_fmac_f64_e32 v[2:3], v[2:3], v[6:7]
	v_ashrrev_i32_e32 v6, 31, v15
	v_and_b32_e32 v8, 0x400921fb, v6
	v_and_b32_e32 v14, 0x54442d18, v6
	v_add_f64 v[6:7], -v[2:3], s[40:41]
	v_cndmask_b32_e64 v3, v3, v7, s[8:9]
	v_cndmask_b32_e64 v2, v2, v6, s[8:9]
	s_mov_b32 s42, s40
	v_cmp_gt_i32_e32 vcc, 0, v15
	v_add_f64 v[6:7], -v[2:3], s[42:43]
	v_cmp_class_f64_e64 s[56:57], v[16:17], s75
	v_cndmask_b32_e32 v1, v114, v115, vcc
	v_cndmask_b32_e32 v4, v116, v117, vcc
	;; [unrolled: 1-line block ×4, first 2 shown]
	v_cmp_eq_f64_e32 vcc, 0, v[16:17]
	v_bfi_b32 v4, s74, v4, v17
	v_cndmask_b32_e32 v2, v2, v14, vcc
	v_cndmask_b32_e32 v3, v3, v8, vcc
	s_and_b64 vcc, s[56:57], s[58:59]
	v_cndmask_b32_e32 v29, v3, v4, vcc
	v_cndmask_b32_e32 v28, v2, v1, vcc
.LBB168_244:                            ;   in Loop: Header=BB168_145 Depth=1
	s_or_b64 exec, exec, s[54:55]
.LBB168_245:                            ;   in Loop: Header=BB168_145 Depth=1
	s_or_b64 exec, exec, s[10:11]
.LBB168_246:                            ;   in Loop: Header=BB168_145 Depth=1
	s_andn2_saveexec_b64 s[54:55], s[12:13]
	s_cbranch_execz .LBB168_248
; %bb.247:                              ;   in Loop: Header=BB168_145 Depth=1
	v_div_scale_f64 v[2:3], s[10:11], s[48:49], s[48:49], v[14:15]
	v_rcp_f64_e32 v[6:7], v[2:3]
	v_div_scale_f64 v[26:27], vcc, v[14:15], s[48:49], v[14:15]
	s_mov_b32 s42, s40
	v_fma_f64 v[28:29], -v[2:3], v[6:7], 1.0
	v_fmac_f64_e32 v[6:7], v[6:7], v[28:29]
	v_fma_f64 v[28:29], -v[2:3], v[6:7], 1.0
	v_fmac_f64_e32 v[6:7], v[6:7], v[28:29]
	v_mul_f64 v[28:29], v[26:27], v[6:7]
	v_fma_f64 v[2:3], -v[2:3], v[28:29], v[26:27]
	v_div_scale_f64 v[26:27], s[10:11], s[48:49], s[48:49], v[16:17]
	v_rcp_f64_e32 v[30:31], v[26:27]
	v_div_fmas_f64 v[2:3], v[2:3], v[6:7], v[28:29]
	v_div_fixup_f64 v[2:3], v[2:3], s[48:49], v[14:15]
	v_cmp_class_f64_e64 s[12:13], v[2:3], s75
	v_fma_f64 v[6:7], -v[26:27], v[30:31], 1.0
	v_fmac_f64_e32 v[30:31], v[30:31], v[6:7]
	v_fma_f64 v[6:7], -v[26:27], v[30:31], 1.0
	v_fmac_f64_e32 v[30:31], v[30:31], v[6:7]
	v_div_scale_f64 v[6:7], vcc, v[16:17], s[48:49], v[16:17]
	v_mul_f64 v[28:29], v[6:7], v[30:31]
	v_fma_f64 v[6:7], -v[26:27], v[28:29], v[6:7]
	s_nop 1
	v_div_fmas_f64 v[6:7], v[6:7], v[30:31], v[28:29]
	v_div_fixup_f64 v[6:7], v[6:7], s[48:49], v[16:17]
	v_max_f64 v[26:27], |v[2:3]|, |v[6:7]|
	v_frexp_exp_i32_f64_e32 v1, v[26:27]
	v_sub_u32_e32 v4, 0, v1
	v_ldexp_f64 v[28:29], |v[6:7]|, v4
	v_ldexp_f64 v[26:27], |v[2:3]|, v4
	v_mul_f64 v[28:29], v[28:29], v[28:29]
	v_fmac_f64_e32 v[28:29], v[26:27], v[26:27]
	v_rsq_f64_e32 v[26:27], v[28:29]
	v_cmp_eq_f64_e32 vcc, 0, v[28:29]
	v_cmp_o_f64_e64 s[10:11], v[2:3], v[6:7]
	v_cmp_class_f64_e64 s[56:57], v[6:7], s75
	v_mul_f64 v[30:31], v[28:29], v[26:27]
	v_mul_f64 v[26:27], v[26:27], 0.5
	v_fma_f64 v[32:33], -v[26:27], v[30:31], 0.5
	v_fmac_f64_e32 v[30:31], v[30:31], v[32:33]
	v_fmac_f64_e32 v[26:27], v[26:27], v[32:33]
	v_fma_f64 v[32:33], -v[30:31], v[30:31], v[28:29]
	v_fmac_f64_e32 v[30:31], v[32:33], v[26:27]
	v_cndmask_b32_e32 v27, v31, v29, vcc
	v_cndmask_b32_e32 v26, v30, v28, vcc
	v_ldexp_f64 v[26:27], v[26:27], v1
	v_cndmask_b32_e64 v1, 0, v26, s[10:11]
	v_cndmask_b32_e64 v4, v112, v27, s[10:11]
	s_or_b64 vcc, s[56:57], s[12:13]
	v_cndmask_b32_e32 v3, v4, v119, vcc
	v_cndmask_b32_e64 v2, v1, 0, vcc
	v_frexp_mant_f64_e32 v[6:7], v[2:3]
	v_cmp_gt_f64_e64 s[12:13], s[26:27], v[6:7]
	v_cndmask_b32_e64 v85, v118, 2.0, s[12:13]
	v_mul_f64 v[6:7], v[6:7], v[84:85]
	v_add_f64 v[28:29], v[6:7], 1.0
	v_rcp_f64_e32 v[30:31], v[28:29]
	v_add_f64 v[94:95], v[28:29], -1.0
	v_add_f64 v[32:33], v[6:7], -1.0
	v_add_f64 v[6:7], v[6:7], -v[94:95]
	v_fma_f64 v[94:95], -v[28:29], v[30:31], 1.0
	v_fmac_f64_e32 v[30:31], v[94:95], v[30:31]
	v_fma_f64 v[94:95], -v[28:29], v[30:31], 1.0
	v_fmac_f64_e32 v[30:31], v[94:95], v[30:31]
	v_mul_f64 v[94:95], v[32:33], v[30:31]
	v_mul_f64 v[96:97], v[28:29], v[94:95]
	v_fma_f64 v[28:29], v[94:95], v[28:29], -v[96:97]
	v_fmac_f64_e32 v[28:29], v[94:95], v[6:7]
	v_add_f64 v[6:7], v[96:97], v[28:29]
	v_add_f64 v[98:99], v[32:33], -v[6:7]
	v_add_f64 v[96:97], v[6:7], -v[96:97]
	;; [unrolled: 1-line block ×5, first 2 shown]
	v_add_f64 v[6:7], v[28:29], v[6:7]
	v_add_f64 v[6:7], v[98:99], v[6:7]
	v_mul_f64 v[6:7], v[30:31], v[6:7]
	v_add_f64 v[28:29], v[94:95], v[6:7]
	v_add_f64 v[30:31], v[28:29], -v[94:95]
	v_add_f64 v[6:7], v[6:7], -v[30:31]
	v_mul_f64 v[30:31], v[28:29], v[28:29]
	v_pk_mov_b32 v[32:33], v[34:35], v[34:35] op_sel:[0,1]
	v_fmac_f64_e32 v[32:33], s[28:29], v[30:31]
	v_pk_mov_b32 v[94:95], v[36:37], v[36:37] op_sel:[0,1]
	v_fmac_f64_e32 v[94:95], v[30:31], v[32:33]
	v_pk_mov_b32 v[32:33], v[38:39], v[38:39] op_sel:[0,1]
	v_fmac_f64_e32 v[32:33], v[30:31], v[94:95]
	v_pk_mov_b32 v[94:95], v[40:41], v[40:41] op_sel:[0,1]
	v_fmac_f64_e32 v[94:95], v[30:31], v[32:33]
	v_pk_mov_b32 v[32:33], v[42:43], v[42:43] op_sel:[0,1]
	v_fmac_f64_e32 v[32:33], v[30:31], v[94:95]
	v_pk_mov_b32 v[94:95], v[44:45], v[44:45] op_sel:[0,1]
	v_fmac_f64_e32 v[94:95], v[30:31], v[32:33]
	v_ldexp_f64 v[32:33], v[28:29], 1
	v_mul_f64 v[28:29], v[28:29], v[30:31]
	v_mul_f64 v[28:29], v[28:29], v[94:95]
	v_add_f64 v[30:31], v[32:33], v[28:29]
	v_add_f64 v[32:33], v[30:31], -v[32:33]
	v_ldexp_f64 v[6:7], v[6:7], 1
	v_add_f64 v[28:29], v[28:29], -v[32:33]
	v_add_f64 v[6:7], v[6:7], v[28:29]
	v_frexp_exp_i32_f64_e32 v8, v[2:3]
	v_add_f64 v[28:29], v[30:31], v[6:7]
	v_subbrev_co_u32_e64 v8, s[12:13], 0, v8, s[12:13]
	v_add_f64 v[30:31], v[28:29], -v[30:31]
	v_add_f64 v[6:7], v[6:7], -v[30:31]
	v_cvt_f64_i32_e32 v[30:31], v8
	v_mul_f64 v[32:33], v[30:31], s[30:31]
	v_fma_f64 v[94:95], v[30:31], s[30:31], -v[32:33]
	v_fmac_f64_e32 v[94:95], s[34:35], v[30:31]
	v_add_f64 v[30:31], v[32:33], v[94:95]
	v_add_f64 v[32:33], v[30:31], -v[32:33]
	v_add_f64 v[32:33], v[94:95], -v[32:33]
	v_add_f64 v[94:95], v[30:31], v[28:29]
	v_add_f64 v[96:97], v[94:95], -v[30:31]
	v_add_f64 v[98:99], v[94:95], -v[96:97]
	;; [unrolled: 1-line block ×4, first 2 shown]
	v_add_f64 v[28:29], v[28:29], v[30:31]
	v_add_f64 v[30:31], v[32:33], v[6:7]
	v_add_f64 v[96:97], v[30:31], -v[32:33]
	v_add_f64 v[98:99], v[30:31], -v[96:97]
	v_add_f64 v[28:29], v[30:31], v[28:29]
	v_add_f64 v[32:33], v[32:33], -v[98:99]
	v_add_f64 v[6:7], v[6:7], -v[96:97]
	v_add_f64 v[30:31], v[94:95], v[28:29]
	v_add_f64 v[6:7], v[6:7], v[32:33]
	v_add_f64 v[32:33], v[30:31], -v[94:95]
	v_add_f64 v[28:29], v[28:29], -v[32:33]
	v_and_b32_e32 v27, 0x7fffffff, v27
	v_add_f64 v[6:7], v[6:7], v[28:29]
	v_cmp_eq_f64_e64 s[12:13], s[36:37], v[26:27]
	v_add_f64 v[6:7], v[30:31], v[6:7]
	s_and_b64 s[10:11], s[10:11], s[12:13]
	v_cndmask_b32_e64 v7, v7, v4, s[10:11]
	v_cndmask_b32_e64 v6, v6, v1, s[10:11]
	v_add_f64 v[6:7], v[6:7], 1.0
	v_cndmask_b32_e64 v1, v6, 0, vcc
	v_cndmask_b32_e32 v4, v7, v119, vcc
	v_max_f64 v[6:7], |v[16:17]|, |v[16:17]|
	v_max_f64 v[26:27], |v[14:15]|, |v[14:15]|
	v_max_f64 v[28:29], v[26:27], v[6:7]
	v_min_f64 v[6:7], v[26:27], v[6:7]
	v_div_scale_f64 v[30:31], s[10:11], v[28:29], v[28:29], v[6:7]
	v_rcp_f64_e32 v[32:33], v[30:31]
	v_cmp_ngt_f64_e32 vcc, 0, v[2:3]
	v_cndmask_b32_e32 v4, v112, v4, vcc
	v_cmp_nge_f64_e32 vcc, 0, v[2:3]
	v_cndmask_b32_e32 v26, 0, v1, vcc
	v_cmp_neq_f64_e32 vcc, 0, v[2:3]
	v_fma_f64 v[2:3], -v[30:31], v[32:33], 1.0
	v_fmac_f64_e32 v[32:33], v[32:33], v[2:3]
	v_fma_f64 v[2:3], -v[30:31], v[32:33], 1.0
	v_cndmask_b32_e32 v27, v113, v4, vcc
	v_fmac_f64_e32 v[32:33], v[32:33], v[2:3]
	v_div_scale_f64 v[2:3], vcc, v[6:7], v[28:29], v[6:7]
	v_mul_f64 v[94:95], v[2:3], v[32:33]
	v_fma_f64 v[2:3], -v[30:31], v[94:95], v[2:3]
	v_pk_mov_b32 v[30:31], v[48:49], v[48:49] op_sel:[0,1]
	s_nop 0
	v_div_fmas_f64 v[2:3], v[2:3], v[32:33], v[94:95]
	v_div_fixup_f64 v[2:3], v[2:3], v[28:29], v[6:7]
	v_mul_f64 v[6:7], v[2:3], v[2:3]
	v_pk_mov_b32 v[28:29], v[46:47], v[46:47] op_sel:[0,1]
	v_fmac_f64_e32 v[28:29], s[38:39], v[6:7]
	v_fmac_f64_e32 v[30:31], v[6:7], v[28:29]
	v_pk_mov_b32 v[28:29], v[50:51], v[50:51] op_sel:[0,1]
	v_fmac_f64_e32 v[28:29], v[6:7], v[30:31]
	v_pk_mov_b32 v[30:31], v[52:53], v[52:53] op_sel:[0,1]
	;; [unrolled: 2-line block ×17, first 2 shown]
	v_fmac_f64_e32 v[28:29], v[6:7], v[30:31]
	v_mul_f64 v[6:7], v[6:7], v[28:29]
	v_fmac_f64_e32 v[2:3], v[2:3], v[6:7]
	v_ashrrev_i32_e32 v6, 31, v15
	v_cmp_class_f64_e64 s[12:13], v[14:15], s75
	v_and_b32_e32 v8, 0x400921fb, v6
	v_and_b32_e32 v14, 0x54442d18, v6
	v_add_f64 v[6:7], -v[2:3], s[40:41]
	v_cndmask_b32_e64 v3, v3, v7, s[8:9]
	v_cndmask_b32_e64 v2, v2, v6, s[8:9]
	v_cmp_gt_i32_e32 vcc, 0, v15
	v_add_f64 v[6:7], -v[2:3], s[42:43]
	v_cmp_class_f64_e64 s[10:11], v[16:17], s75
	v_cndmask_b32_e32 v1, v114, v115, vcc
	v_cndmask_b32_e32 v4, v116, v117, vcc
	;; [unrolled: 1-line block ×4, first 2 shown]
	v_cmp_eq_f64_e32 vcc, 0, v[16:17]
	v_bfi_b32 v4, s74, v4, v17
	v_cndmask_b32_e32 v2, v2, v14, vcc
	v_cndmask_b32_e32 v3, v3, v8, vcc
	s_and_b64 vcc, s[10:11], s[12:13]
	v_cndmask_b32_e32 v29, v3, v4, vcc
	v_cndmask_b32_e32 v28, v2, v1, vcc
.LBB168_248:                            ;   in Loop: Header=BB168_145 Depth=1
	s_or_b64 exec, exec, s[54:55]
.LBB168_249:                            ;   in Loop: Header=BB168_145 Depth=1
	s_andn2_saveexec_b64 s[8:9], s[52:53]
	s_cbranch_execz .LBB168_255
; %bb.250:                              ;   in Loop: Header=BB168_145 Depth=1
	v_cmp_nlt_f64_e64 s[10:11], |v[14:15]|, s[50:51]
	v_cmp_nlt_f64_e64 s[12:13], |v[16:17]|, s[50:51]
	s_or_b64 s[10:11], s[12:13], s[10:11]
                                        ; implicit-def: $vgpr2_vgpr3
	s_and_saveexec_b64 s[12:13], s[10:11]
	s_xor_b64 s[10:11], exec, s[12:13]
; %bb.251:                              ;   in Loop: Header=BB168_145 Depth=1
	v_mul_f64 v[2:3], v[14:15], v[14:15]
	v_fmac_f64_e32 v[2:3], v[16:17], v[16:17]
; %bb.252:                              ;   in Loop: Header=BB168_145 Depth=1
	s_andn2_saveexec_b64 s[10:11], s[10:11]
; %bb.253:                              ;   in Loop: Header=BB168_145 Depth=1
	v_mul_f64 v[2:3], v[14:15], 4.0
	v_mul_f64 v[6:7], v[16:17], 4.0
	v_mul_f64 v[2:3], v[2:3], v[2:3]
	v_fmac_f64_e32 v[2:3], v[6:7], v[6:7]
	v_ldexp_f64 v[2:3], v[2:3], -4
; %bb.254:                              ;   in Loop: Header=BB168_145 Depth=1
	s_or_b64 exec, exec, s[10:11]
	v_frexp_mant_f64_e32 v[6:7], v[2:3]
	v_cmp_gt_f64_e32 vcc, s[26:27], v[6:7]
	v_cndmask_b32_e64 v85, v118, 2.0, vcc
	v_mul_f64 v[6:7], v[6:7], v[84:85]
	v_add_f64 v[14:15], v[6:7], 1.0
	v_rcp_f64_e32 v[26:27], v[14:15]
	v_add_f64 v[30:31], v[14:15], -1.0
	v_add_f64 v[28:29], v[6:7], -1.0
	v_add_f64 v[6:7], v[6:7], -v[30:31]
	v_fma_f64 v[30:31], -v[14:15], v[26:27], 1.0
	v_fmac_f64_e32 v[26:27], v[30:31], v[26:27]
	v_fma_f64 v[30:31], -v[14:15], v[26:27], 1.0
	v_fmac_f64_e32 v[26:27], v[30:31], v[26:27]
	v_mul_f64 v[30:31], v[28:29], v[26:27]
	v_mul_f64 v[32:33], v[14:15], v[30:31]
	v_fma_f64 v[14:15], v[30:31], v[14:15], -v[32:33]
	v_fmac_f64_e32 v[14:15], v[30:31], v[6:7]
	v_add_f64 v[6:7], v[32:33], v[14:15]
	v_add_f64 v[94:95], v[28:29], -v[6:7]
	v_add_f64 v[32:33], v[6:7], -v[32:33]
	;; [unrolled: 1-line block ×5, first 2 shown]
	v_add_f64 v[6:7], v[14:15], v[6:7]
	v_add_f64 v[6:7], v[94:95], v[6:7]
	v_mul_f64 v[6:7], v[26:27], v[6:7]
	v_add_f64 v[14:15], v[30:31], v[6:7]
	v_add_f64 v[26:27], v[14:15], -v[30:31]
	v_add_f64 v[6:7], v[6:7], -v[26:27]
	v_mul_f64 v[26:27], v[14:15], v[14:15]
	v_pk_mov_b32 v[28:29], v[34:35], v[34:35] op_sel:[0,1]
	v_fmac_f64_e32 v[28:29], s[28:29], v[26:27]
	v_pk_mov_b32 v[30:31], v[36:37], v[36:37] op_sel:[0,1]
	v_fmac_f64_e32 v[30:31], v[26:27], v[28:29]
	;; [unrolled: 2-line block ×6, first 2 shown]
	v_ldexp_f64 v[28:29], v[14:15], 1
	v_mul_f64 v[14:15], v[14:15], v[26:27]
	v_mul_f64 v[14:15], v[14:15], v[30:31]
	v_add_f64 v[26:27], v[28:29], v[14:15]
	v_add_f64 v[28:29], v[26:27], -v[28:29]
	v_ldexp_f64 v[6:7], v[6:7], 1
	v_add_f64 v[14:15], v[14:15], -v[28:29]
	v_add_f64 v[6:7], v[6:7], v[14:15]
	v_frexp_exp_i32_f64_e32 v1, v[2:3]
	v_add_f64 v[14:15], v[26:27], v[6:7]
	v_subbrev_co_u32_e32 v1, vcc, 0, v1, vcc
	v_add_f64 v[26:27], v[14:15], -v[26:27]
	v_add_f64 v[6:7], v[6:7], -v[26:27]
	v_cvt_f64_i32_e32 v[26:27], v1
	v_mul_f64 v[28:29], v[26:27], s[30:31]
	v_fma_f64 v[30:31], v[26:27], s[30:31], -v[28:29]
	v_fmac_f64_e32 v[30:31], s[34:35], v[26:27]
	v_add_f64 v[26:27], v[28:29], v[30:31]
	v_add_f64 v[28:29], v[26:27], -v[28:29]
	v_add_f64 v[28:29], v[30:31], -v[28:29]
	v_add_f64 v[30:31], v[26:27], v[14:15]
	v_add_f64 v[32:33], v[30:31], -v[26:27]
	v_add_f64 v[94:95], v[30:31], -v[32:33]
	;; [unrolled: 1-line block ×4, first 2 shown]
	v_add_f64 v[14:15], v[14:15], v[26:27]
	v_add_f64 v[26:27], v[28:29], v[6:7]
	v_add_f64 v[32:33], v[26:27], -v[28:29]
	v_add_f64 v[94:95], v[26:27], -v[32:33]
	v_add_f64 v[14:15], v[26:27], v[14:15]
	v_add_f64 v[28:29], v[28:29], -v[94:95]
	v_add_f64 v[6:7], v[6:7], -v[32:33]
	v_add_f64 v[26:27], v[30:31], v[14:15]
	v_add_f64 v[6:7], v[6:7], v[28:29]
	v_add_f64 v[28:29], v[26:27], -v[30:31]
	v_add_f64 v[14:15], v[14:15], -v[28:29]
	v_add_f64 v[6:7], v[6:7], v[14:15]
	v_add_f64 v[6:7], v[26:27], v[6:7]
	v_cmp_class_f64_e64 vcc, v[2:3], s75
	v_cndmask_b32_e32 v1, v6, v2, vcc
	v_cndmask_b32_e32 v4, v7, v3, vcc
	v_cmp_ngt_f64_e32 vcc, 0, v[2:3]
	v_cndmask_b32_e32 v4, v112, v4, vcc
	v_cmp_nge_f64_e32 vcc, 0, v[2:3]
	v_cndmask_b32_e32 v26, 0, v1, vcc
	v_cmp_neq_f64_e32 vcc, 0, v[2:3]
	v_mov_b32_e32 v28, 0
	v_cndmask_b32_e32 v27, v113, v4, vcc
	v_mov_b32_e32 v29, 0x7ff80000
.LBB168_255:                            ;   in Loop: Header=BB168_145 Depth=1
	s_or_b64 exec, exec, s[8:9]
	v_cmp_o_f64_e32 vcc, v[10:11], v[12:13]
                                        ; implicit-def: $vgpr30_vgpr31
	s_and_saveexec_b64 s[8:9], vcc
	s_xor_b64 s[52:53], exec, s[8:9]
	s_cbranch_execnz .LBB168_261
; %bb.256:                              ;   in Loop: Header=BB168_145 Depth=1
	s_andn2_saveexec_b64 s[8:9], s[52:53]
	s_cbranch_execnz .LBB168_288
.LBB168_257:                            ;   in Loop: Header=BB168_145 Depth=1
	s_or_b64 exec, exec, s[8:9]
	s_and_saveexec_b64 s[8:9], s[0:1]
	s_xor_b64 s[0:1], exec, s[8:9]
	s_cbranch_execnz .LBB168_293
.LBB168_258:                            ;   in Loop: Header=BB168_145 Depth=1
	s_or_b64 exec, exec, s[0:1]
	s_and_saveexec_b64 s[0:1], s[2:3]
	s_cbranch_execnz .LBB168_294
.LBB168_259:                            ;   in Loop: Header=BB168_145 Depth=1
	s_or_b64 exec, exec, s[0:1]
	s_and_saveexec_b64 s[0:1], s[4:5]
	s_cbranch_execnz .LBB168_295
.LBB168_260:                            ;   in Loop: Header=BB168_145 Depth=1
	s_or_b64 exec, exec, s[0:1]
	s_and_saveexec_b64 s[0:1], s[6:7]
	s_cbranch_execz .LBB168_144
	s_branch .LBB168_296
.LBB168_261:                            ;   in Loop: Header=BB168_145 Depth=1
	v_and_b32_e32 v6, 0x7fffffff, v11
	v_and_b32_e32 v1, 0x7fffffff, v13
	v_mov_b32_e32 v4, v12
	v_cmp_lt_f64_e64 s[8:9], |v[10:11]|, |v[12:13]|
	v_cndmask_b32_e64 v3, v1, v6, s[8:9]
	v_cndmask_b32_e64 v2, v4, v10, s[8:9]
	v_cmp_nlt_f64_e32 vcc, s[20:21], v[2:3]
                                        ; implicit-def: $vgpr30_vgpr31
	s_and_saveexec_b64 s[10:11], vcc
	s_xor_b64 s[12:13], exec, s[10:11]
	s_cbranch_execz .LBB168_285
; %bb.262:                              ;   in Loop: Header=BB168_145 Depth=1
	v_cndmask_b32_e64 v15, v6, v1, s[8:9]
	v_cndmask_b32_e64 v14, v10, v4, s[8:9]
	v_cmp_neq_f64_e32 vcc, 1.0, v[14:15]
                                        ; implicit-def: $vgpr30_vgpr31
	s_and_saveexec_b64 s[10:11], vcc
	s_xor_b64 s[54:55], exec, s[10:11]
	s_cbranch_execz .LBB168_278
; %bb.263:                              ;   in Loop: Header=BB168_145 Depth=1
	v_max_f64 v[6:7], v[2:3], v[2:3]
	v_max_f64 v[30:31], v[14:15], v[14:15]
	v_min_f64 v[32:33], v[30:31], v[6:7]
	v_max_f64 v[6:7], v[30:31], v[6:7]
	v_cmp_ngt_f64_e32 vcc, s[22:23], v[32:33]
	v_cmp_nlt_f64_e64 s[10:11], s[24:25], v[6:7]
	s_and_b64 s[10:11], s[10:11], vcc
                                        ; implicit-def: $vgpr30_vgpr31
	s_and_saveexec_b64 s[56:57], s[10:11]
	s_xor_b64 s[56:57], exec, s[56:57]
	s_cbranch_execz .LBB168_275
; %bb.264:                              ;   in Loop: Header=BB168_145 Depth=1
	v_cmp_le_f64_e32 vcc, 1.0, v[14:15]
                                        ; implicit-def: $vgpr30_vgpr31
	s_and_saveexec_b64 s[10:11], vcc
	s_xor_b64 s[10:11], exec, s[10:11]
	s_cbranch_execz .LBB168_266
; %bb.265:                              ;   in Loop: Header=BB168_145 Depth=1
	v_add_f64 v[6:7], v[14:15], -1.0
	v_add_f64 v[14:15], v[14:15], 1.0
	v_mul_f64 v[6:7], v[6:7], v[14:15]
	v_fmac_f64_e32 v[6:7], v[2:3], v[2:3]
	v_add_f64 v[2:3], v[6:7], 1.0
	v_add_f64 v[14:15], v[2:3], -1.0
	v_add_f64 v[30:31], v[14:15], -v[2:3]
	v_add_f64 v[30:31], v[30:31], 1.0
	v_add_f64 v[14:15], v[6:7], -v[14:15]
	v_add_f64 v[14:15], v[14:15], v[30:31]
	v_frexp_mant_f64_e32 v[30:31], v[2:3]
	v_frexp_exp_i32_f64_e32 v1, v[2:3]
	v_cmp_gt_f64_e32 vcc, s[26:27], v[30:31]
	v_subbrev_co_u32_e32 v1, vcc, 0, v1, vcc
	v_sub_u32_e32 v4, 0, v1
	v_ldexp_f64 v[2:3], v[2:3], v4
	v_add_f64 v[30:31], v[2:3], -1.0
	v_add_f64 v[96:97], v[2:3], 1.0
	v_add_f64 v[32:33], v[30:31], 1.0
	v_add_f64 v[98:99], v[96:97], -1.0
	v_ldexp_f64 v[14:15], v[14:15], v4
	v_add_f64 v[32:33], v[2:3], -v[32:33]
	v_add_f64 v[2:3], v[2:3], -v[98:99]
	v_add_f64 v[2:3], v[14:15], v[2:3]
	v_add_f64 v[32:33], v[14:15], v[32:33]
	;; [unrolled: 1-line block ×3, first 2 shown]
	v_rcp_f64_e32 v[98:99], v[14:15]
	v_add_f64 v[94:95], v[30:31], v[32:33]
	v_add_f64 v[30:31], v[94:95], -v[30:31]
	v_add_f64 v[30:31], v[32:33], -v[30:31]
	;; [unrolled: 1-line block ×4, first 2 shown]
	v_fma_f64 v[32:33], -v[14:15], v[98:99], 1.0
	v_fmac_f64_e32 v[98:99], v[32:33], v[98:99]
	v_fma_f64 v[32:33], -v[14:15], v[98:99], 1.0
	v_fmac_f64_e32 v[98:99], v[32:33], v[98:99]
	v_mul_f64 v[32:33], v[94:95], v[98:99]
	v_mul_f64 v[96:97], v[14:15], v[32:33]
	v_fma_f64 v[100:101], v[32:33], v[14:15], -v[96:97]
	v_fmac_f64_e32 v[100:101], v[32:33], v[2:3]
	v_add_f64 v[102:103], v[96:97], v[100:101]
	v_add_f64 v[104:105], v[94:95], -v[102:103]
	v_add_f64 v[94:95], v[94:95], -v[104:105]
	;; [unrolled: 1-line block ×4, first 2 shown]
	v_add_f64 v[30:31], v[30:31], v[94:95]
	v_add_f64 v[94:95], v[96:97], -v[100:101]
	v_add_f64 v[30:31], v[94:95], v[30:31]
	v_add_f64 v[94:95], v[104:105], v[30:31]
	v_add_f64 v[96:97], v[104:105], -v[94:95]
	v_add_f64 v[30:31], v[30:31], v[96:97]
	v_mul_f64 v[96:97], v[98:99], v[94:95]
	v_mul_f64 v[100:101], v[14:15], v[96:97]
	v_fma_f64 v[14:15], v[96:97], v[14:15], -v[100:101]
	v_fmac_f64_e32 v[14:15], v[96:97], v[2:3]
	v_add_f64 v[2:3], v[100:101], v[14:15]
	v_add_f64 v[102:103], v[94:95], -v[2:3]
	v_add_f64 v[94:95], v[94:95], -v[102:103]
	;; [unrolled: 1-line block ×4, first 2 shown]
	v_add_f64 v[2:3], v[30:31], v[2:3]
	v_add_f64 v[14:15], v[100:101], -v[14:15]
	v_add_f64 v[2:3], v[14:15], v[2:3]
	v_add_f64 v[14:15], v[32:33], v[96:97]
	;; [unrolled: 1-line block ×3, first 2 shown]
	v_add_f64 v[30:31], v[14:15], -v[32:33]
	v_mul_f64 v[2:3], v[98:99], v[2:3]
	v_add_f64 v[30:31], v[96:97], -v[30:31]
	v_add_f64 v[2:3], v[30:31], v[2:3]
	v_add_f64 v[30:31], v[14:15], v[2:3]
	v_add_f64 v[14:15], v[30:31], -v[14:15]
	v_add_f64 v[2:3], v[2:3], -v[14:15]
	v_mul_f64 v[14:15], v[30:31], v[30:31]
	v_pk_mov_b32 v[32:33], v[34:35], v[34:35] op_sel:[0,1]
	v_fmac_f64_e32 v[32:33], s[28:29], v[14:15]
	v_pk_mov_b32 v[94:95], v[36:37], v[36:37] op_sel:[0,1]
	v_fmac_f64_e32 v[94:95], v[14:15], v[32:33]
	;; [unrolled: 2-line block ×6, first 2 shown]
	v_cvt_f64_i32_e32 v[32:33], v1
	v_mul_f64 v[96:97], v[32:33], s[30:31]
	v_fma_f64 v[98:99], v[32:33], s[30:31], -v[96:97]
	v_fmac_f64_e32 v[98:99], s[34:35], v[32:33]
	v_add_f64 v[32:33], v[96:97], v[98:99]
	v_add_f64 v[96:97], v[32:33], -v[96:97]
	v_mul_f64 v[14:15], v[30:31], v[14:15]
	v_add_f64 v[96:97], v[98:99], -v[96:97]
	v_ldexp_f64 v[98:99], v[30:31], 1
	v_mul_f64 v[14:15], v[14:15], v[94:95]
	v_add_f64 v[30:31], v[98:99], v[14:15]
	v_add_f64 v[94:95], v[30:31], -v[98:99]
	v_ldexp_f64 v[2:3], v[2:3], 1
	v_add_f64 v[14:15], v[14:15], -v[94:95]
	v_add_f64 v[2:3], v[2:3], v[14:15]
	v_add_f64 v[14:15], v[30:31], v[2:3]
	v_add_f64 v[30:31], v[14:15], -v[30:31]
	v_add_f64 v[2:3], v[2:3], -v[30:31]
	v_add_f64 v[30:31], v[32:33], v[14:15]
	v_add_f64 v[94:95], v[30:31], -v[32:33]
	v_add_f64 v[98:99], v[30:31], -v[94:95]
	;; [unrolled: 1-line block ×4, first 2 shown]
	v_add_f64 v[14:15], v[14:15], v[32:33]
	v_add_f64 v[32:33], v[96:97], v[2:3]
	v_add_f64 v[94:95], v[32:33], -v[96:97]
	v_add_f64 v[14:15], v[32:33], v[14:15]
	v_add_f64 v[98:99], v[32:33], -v[94:95]
	;; [unrolled: 2-line block ×3, first 2 shown]
	v_add_f64 v[2:3], v[2:3], -v[94:95]
	v_add_f64 v[30:31], v[32:33], -v[30:31]
	v_add_f64 v[2:3], v[2:3], v[96:97]
	v_add_f64 v[14:15], v[14:15], -v[30:31]
	v_add_f64 v[2:3], v[2:3], v[14:15]
	v_max_f64 v[14:15], |v[12:13]|, |v[12:13]|
	v_max_f64 v[30:31], |v[10:11]|, |v[10:11]|
	v_add_f64 v[2:3], v[32:33], v[2:3]
	v_max_f64 v[32:33], v[30:31], v[14:15]
	v_min_f64 v[14:15], v[30:31], v[14:15]
	v_div_scale_f64 v[94:95], s[58:59], v[32:33], v[32:33], v[14:15]
	v_cmp_eq_f64_e32 vcc, s[36:37], v[6:7]
	v_rcp_f64_e32 v[96:97], v[94:95]
	v_cndmask_b32_e32 v3, v3, v7, vcc
	v_cndmask_b32_e32 v2, v2, v6, vcc
	v_mul_f64 v[2:3], v[2:3], 0.5
	v_cmp_ngt_f64_e32 vcc, -1.0, v[6:7]
	v_cndmask_b32_e32 v1, v112, v3, vcc
	v_cmp_nge_f64_e32 vcc, -1.0, v[6:7]
	v_cndmask_b32_e32 v30, 0, v2, vcc
	v_fma_f64 v[2:3], -v[94:95], v[96:97], 1.0
	v_fmac_f64_e32 v[96:97], v[96:97], v[2:3]
	v_cmp_neq_f64_e32 vcc, -1.0, v[6:7]
	v_fma_f64 v[2:3], -v[94:95], v[96:97], 1.0
	v_cndmask_b32_e32 v31, v113, v1, vcc
	v_fmac_f64_e32 v[96:97], v[96:97], v[2:3]
	v_div_scale_f64 v[2:3], vcc, v[14:15], v[32:33], v[14:15]
	v_mul_f64 v[6:7], v[2:3], v[96:97]
	v_fma_f64 v[2:3], -v[94:95], v[6:7], v[2:3]
	v_cmp_class_f64_e64 s[60:61], v[10:11], s75
	s_nop 0
	v_div_fmas_f64 v[2:3], v[2:3], v[96:97], v[6:7]
	v_div_fixup_f64 v[2:3], v[2:3], v[32:33], v[14:15]
	v_mul_f64 v[6:7], v[2:3], v[2:3]
	v_pk_mov_b32 v[14:15], v[46:47], v[46:47] op_sel:[0,1]
	v_fmac_f64_e32 v[14:15], s[38:39], v[6:7]
	v_pk_mov_b32 v[32:33], v[48:49], v[48:49] op_sel:[0,1]
	v_fmac_f64_e32 v[32:33], v[6:7], v[14:15]
	;; [unrolled: 2-line block ×19, first 2 shown]
	v_mul_f64 v[6:7], v[6:7], v[14:15]
	v_fmac_f64_e32 v[2:3], v[2:3], v[6:7]
	v_ashrrev_i32_e32 v6, 31, v11
	v_and_b32_e32 v8, 0x400921fb, v6
	v_and_b32_e32 v10, 0x54442d18, v6
	v_add_f64 v[6:7], -v[2:3], s[40:41]
	v_cndmask_b32_e64 v3, v3, v7, s[8:9]
	v_cndmask_b32_e64 v2, v2, v6, s[8:9]
	s_mov_b32 s42, s40
	v_cmp_gt_i32_e32 vcc, 0, v11
	v_add_f64 v[6:7], -v[2:3], s[42:43]
	v_cmp_class_f64_e64 s[58:59], v[12:13], s75
	v_cndmask_b32_e32 v1, v114, v115, vcc
	v_cndmask_b32_e32 v4, v116, v117, vcc
	;; [unrolled: 1-line block ×4, first 2 shown]
	v_cmp_eq_f64_e32 vcc, 0, v[12:13]
	v_bfi_b32 v4, s74, v4, v13
	v_cndmask_b32_e32 v2, v2, v10, vcc
	v_cndmask_b32_e32 v3, v3, v8, vcc
	s_and_b64 vcc, s[58:59], s[60:61]
	v_cndmask_b32_e32 v33, v3, v4, vcc
	v_cndmask_b32_e32 v32, v2, v1, vcc
                                        ; implicit-def: $vgpr2_vgpr3
                                        ; implicit-def: $vgpr14_vgpr15
.LBB168_266:                            ;   in Loop: Header=BB168_145 Depth=1
	s_andn2_saveexec_b64 s[58:59], s[10:11]
	s_cbranch_execz .LBB168_274
; %bb.267:                              ;   in Loop: Header=BB168_145 Depth=1
	v_mul_f64 v[6:7], v[2:3], v[2:3]
	v_fmac_f64_e32 v[6:7], v[14:15], v[14:15]
	v_cmp_ge_f64_e32 vcc, s[44:45], v[6:7]
                                        ; implicit-def: $vgpr30_vgpr31
	s_and_saveexec_b64 s[10:11], vcc
	s_xor_b64 s[10:11], exec, s[10:11]
	s_cbranch_execz .LBB168_269
; %bb.268:                              ;   in Loop: Header=BB168_145 Depth=1
	v_frexp_mant_f64_e32 v[2:3], v[6:7]
	v_cmp_gt_f64_e32 vcc, s[26:27], v[2:3]
	v_cndmask_b32_e64 v85, v118, 2.0, vcc
	v_mul_f64 v[2:3], v[2:3], v[84:85]
	v_add_f64 v[14:15], v[2:3], 1.0
	v_rcp_f64_e32 v[30:31], v[14:15]
	v_add_f64 v[94:95], v[14:15], -1.0
	v_add_f64 v[32:33], v[2:3], -1.0
	v_add_f64 v[2:3], v[2:3], -v[94:95]
	v_fma_f64 v[94:95], -v[14:15], v[30:31], 1.0
	v_fmac_f64_e32 v[30:31], v[94:95], v[30:31]
	v_fma_f64 v[94:95], -v[14:15], v[30:31], 1.0
	v_fmac_f64_e32 v[30:31], v[94:95], v[30:31]
	v_mul_f64 v[94:95], v[32:33], v[30:31]
	v_mul_f64 v[96:97], v[14:15], v[94:95]
	v_fma_f64 v[14:15], v[94:95], v[14:15], -v[96:97]
	v_fmac_f64_e32 v[14:15], v[94:95], v[2:3]
	v_add_f64 v[2:3], v[96:97], v[14:15]
	v_add_f64 v[98:99], v[32:33], -v[2:3]
	v_add_f64 v[96:97], v[2:3], -v[96:97]
	;; [unrolled: 1-line block ×5, first 2 shown]
	v_add_f64 v[2:3], v[14:15], v[2:3]
	v_add_f64 v[2:3], v[98:99], v[2:3]
	v_mul_f64 v[2:3], v[30:31], v[2:3]
	v_add_f64 v[14:15], v[94:95], v[2:3]
	v_add_f64 v[30:31], v[14:15], -v[94:95]
	v_add_f64 v[2:3], v[2:3], -v[30:31]
	v_mul_f64 v[30:31], v[14:15], v[14:15]
	v_pk_mov_b32 v[32:33], v[34:35], v[34:35] op_sel:[0,1]
	v_fmac_f64_e32 v[32:33], s[28:29], v[30:31]
	v_pk_mov_b32 v[94:95], v[36:37], v[36:37] op_sel:[0,1]
	v_fmac_f64_e32 v[94:95], v[30:31], v[32:33]
	v_pk_mov_b32 v[32:33], v[38:39], v[38:39] op_sel:[0,1]
	v_fmac_f64_e32 v[32:33], v[30:31], v[94:95]
	v_pk_mov_b32 v[94:95], v[40:41], v[40:41] op_sel:[0,1]
	v_fmac_f64_e32 v[94:95], v[30:31], v[32:33]
	v_pk_mov_b32 v[32:33], v[42:43], v[42:43] op_sel:[0,1]
	v_fmac_f64_e32 v[32:33], v[30:31], v[94:95]
	v_pk_mov_b32 v[94:95], v[44:45], v[44:45] op_sel:[0,1]
	v_fmac_f64_e32 v[94:95], v[30:31], v[32:33]
	v_ldexp_f64 v[32:33], v[14:15], 1
	v_mul_f64 v[14:15], v[14:15], v[30:31]
	v_mul_f64 v[14:15], v[14:15], v[94:95]
	v_add_f64 v[30:31], v[32:33], v[14:15]
	v_add_f64 v[32:33], v[30:31], -v[32:33]
	v_ldexp_f64 v[2:3], v[2:3], 1
	v_add_f64 v[14:15], v[14:15], -v[32:33]
	v_add_f64 v[2:3], v[2:3], v[14:15]
	v_frexp_exp_i32_f64_e32 v1, v[6:7]
	v_add_f64 v[14:15], v[30:31], v[2:3]
	v_subbrev_co_u32_e32 v1, vcc, 0, v1, vcc
	v_add_f64 v[30:31], v[14:15], -v[30:31]
	v_add_f64 v[2:3], v[2:3], -v[30:31]
	v_cvt_f64_i32_e32 v[30:31], v1
	v_mul_f64 v[32:33], v[30:31], s[30:31]
	v_fma_f64 v[94:95], v[30:31], s[30:31], -v[32:33]
	v_fmac_f64_e32 v[94:95], s[34:35], v[30:31]
	v_add_f64 v[30:31], v[32:33], v[94:95]
	v_add_f64 v[32:33], v[30:31], -v[32:33]
	v_add_f64 v[32:33], v[94:95], -v[32:33]
	v_add_f64 v[94:95], v[30:31], v[14:15]
	v_add_f64 v[96:97], v[94:95], -v[30:31]
	v_add_f64 v[98:99], v[94:95], -v[96:97]
	;; [unrolled: 1-line block ×4, first 2 shown]
	v_add_f64 v[14:15], v[14:15], v[30:31]
	v_add_f64 v[30:31], v[32:33], v[2:3]
	v_add_f64 v[96:97], v[30:31], -v[32:33]
	v_add_f64 v[98:99], v[30:31], -v[96:97]
	v_add_f64 v[14:15], v[30:31], v[14:15]
	v_add_f64 v[32:33], v[32:33], -v[98:99]
	v_add_f64 v[2:3], v[2:3], -v[96:97]
	v_add_f64 v[30:31], v[94:95], v[14:15]
	v_add_f64 v[2:3], v[2:3], v[32:33]
	v_add_f64 v[32:33], v[30:31], -v[94:95]
	v_add_f64 v[14:15], v[14:15], -v[32:33]
	v_add_f64 v[2:3], v[2:3], v[14:15]
	v_add_f64 v[2:3], v[30:31], v[2:3]
	v_max_f64 v[14:15], |v[12:13]|, |v[12:13]|
	v_max_f64 v[30:31], |v[10:11]|, |v[10:11]|
	v_max_f64 v[32:33], v[30:31], v[14:15]
	v_min_f64 v[14:15], v[30:31], v[14:15]
	v_div_scale_f64 v[94:95], s[60:61], v[32:33], v[32:33], v[14:15]
	v_rcp_f64_e32 v[96:97], v[94:95]
	v_mul_f64 v[2:3], v[2:3], 0.5
	v_cmp_neq_f64_e32 vcc, 0, v[6:7]
	v_cndmask_b32_e32 v31, v113, v3, vcc
	v_cndmask_b32_e32 v30, 0, v2, vcc
	v_fma_f64 v[2:3], -v[94:95], v[96:97], 1.0
	v_fmac_f64_e32 v[96:97], v[96:97], v[2:3]
	v_fma_f64 v[2:3], -v[94:95], v[96:97], 1.0
	v_fmac_f64_e32 v[96:97], v[96:97], v[2:3]
	v_div_scale_f64 v[2:3], vcc, v[14:15], v[32:33], v[14:15]
	v_mul_f64 v[6:7], v[2:3], v[96:97]
	v_fma_f64 v[2:3], -v[94:95], v[6:7], v[2:3]
	v_cmp_class_f64_e64 s[62:63], v[10:11], s75
	s_nop 0
	v_div_fmas_f64 v[2:3], v[2:3], v[96:97], v[6:7]
	v_div_fixup_f64 v[2:3], v[2:3], v[32:33], v[14:15]
	v_mul_f64 v[6:7], v[2:3], v[2:3]
	v_pk_mov_b32 v[14:15], v[46:47], v[46:47] op_sel:[0,1]
	v_fmac_f64_e32 v[14:15], s[38:39], v[6:7]
	v_pk_mov_b32 v[32:33], v[48:49], v[48:49] op_sel:[0,1]
	v_fmac_f64_e32 v[32:33], v[6:7], v[14:15]
	;; [unrolled: 2-line block ×19, first 2 shown]
	v_mul_f64 v[6:7], v[6:7], v[14:15]
	v_fmac_f64_e32 v[2:3], v[2:3], v[6:7]
	v_ashrrev_i32_e32 v6, 31, v11
	v_and_b32_e32 v8, 0x400921fb, v6
	v_and_b32_e32 v10, 0x54442d18, v6
	v_add_f64 v[6:7], -v[2:3], s[40:41]
	v_cndmask_b32_e64 v3, v3, v7, s[8:9]
	v_cndmask_b32_e64 v2, v2, v6, s[8:9]
	s_mov_b32 s42, s40
	v_cmp_gt_i32_e32 vcc, 0, v11
	v_add_f64 v[6:7], -v[2:3], s[42:43]
	v_cmp_class_f64_e64 s[60:61], v[12:13], s75
	v_cndmask_b32_e32 v1, v114, v115, vcc
	v_cndmask_b32_e32 v4, v116, v117, vcc
	v_cndmask_b32_e32 v3, v3, v7, vcc
	v_cndmask_b32_e32 v2, v2, v6, vcc
	v_cmp_eq_f64_e32 vcc, 0, v[12:13]
	v_bfi_b32 v4, s74, v4, v13
	v_cndmask_b32_e32 v2, v2, v10, vcc
	v_cndmask_b32_e32 v3, v3, v8, vcc
	s_and_b64 vcc, s[60:61], s[62:63]
	v_cndmask_b32_e32 v33, v3, v4, vcc
	v_cndmask_b32_e32 v32, v2, v1, vcc
                                        ; implicit-def: $vgpr14_vgpr15
                                        ; implicit-def: $vgpr2_vgpr3
.LBB168_269:                            ;   in Loop: Header=BB168_145 Depth=1
	s_andn2_saveexec_b64 s[60:61], s[10:11]
	s_cbranch_execz .LBB168_273
; %bb.270:                              ;   in Loop: Header=BB168_145 Depth=1
	v_and_b32_e32 v85, 0x7ffffff8, v15
	v_add_f64 v[6:7], v[14:15], -v[84:85]
	v_and_b32_e32 v15, 0x7ffffff8, v3
	v_mov_b32_e32 v14, v84
	v_add_f64 v[2:3], v[2:3], -v[14:15]
	v_and_b32_e32 v101, -8, v7
	v_mov_b32_e32 v100, v84
	v_and_b32_e32 v103, -8, v3
	v_mov_b32_e32 v102, v84
	v_add_f64 v[94:95], v[84:85], v[84:85]
	v_add_f64 v[108:109], v[14:15], v[14:15]
	v_add_f64 v[104:105], v[6:7], -v[100:101]
	v_add_f64 v[106:107], v[2:3], -v[102:103]
	v_mul_f64 v[6:7], v[14:15], v[14:15]
	v_mul_f64 v[32:33], v[94:95], v[100:101]
	;; [unrolled: 1-line block ×5, first 2 shown]
	v_add_f64 v[100:101], v[100:101], v[100:101]
	v_add_f64 v[102:103], v[102:103], v[102:103]
	v_mul_f64 v[2:3], v[84:85], v[84:85]
	v_mul_f64 v[96:97], v[94:95], v[104:105]
	;; [unrolled: 1-line block ×7, first 2 shown]
	s_mov_b64 s[62:63], 0
.LBB168_271:                            ;   Parent Loop BB168_145 Depth=1
                                        ; =>  This Inner Loop Header: Depth=2
	v_cmp_nlt_f64_e32 vcc, v[2:3], v[6:7]
	v_cndmask_b32_e32 v109, v3, v7, vcc
	v_cndmask_b32_e32 v108, v2, v6, vcc
	v_cmp_nlt_f64_e64 s[10:11], v[108:109], v[32:33]
	v_cndmask_b32_e64 v121, v109, v33, s[10:11]
	v_cndmask_b32_e64 v120, v108, v32, s[10:11]
	v_cndmask_b32_e32 v3, v7, v3, vcc
	v_cndmask_b32_e32 v2, v6, v2, vcc
	s_and_b64 s[64:65], vcc, s[10:11]
	v_cmp_nlt_f64_e32 vcc, v[120:121], v[30:31]
	v_cndmask_b32_e64 v7, v33, v109, s[10:11]
	v_cndmask_b32_e64 v6, v32, v108, s[10:11]
	v_cndmask_b32_e32 v109, v121, v31, vcc
	v_cndmask_b32_e32 v108, v120, v30, vcc
	v_cmp_nlt_f64_e64 s[10:11], v[108:109], v[98:99]
	v_cndmask_b32_e32 v33, v31, v121, vcc
	v_cndmask_b32_e32 v32, v30, v120, vcc
	v_cndmask_b32_e64 v121, v109, v99, s[10:11]
	v_cndmask_b32_e64 v120, v108, v98, s[10:11]
	s_and_b64 s[76:77], vcc, s[10:11]
	v_cmp_nlt_f64_e32 vcc, v[120:121], v[14:15]
	v_cndmask_b32_e64 v31, v99, v109, s[10:11]
	v_cndmask_b32_e64 v30, v98, v108, s[10:11]
	v_cndmask_b32_e32 v109, v121, v15, vcc
	v_cndmask_b32_e32 v108, v120, v14, vcc
	v_cmp_nlt_f64_e64 s[10:11], v[108:109], v[96:97]
	v_cndmask_b32_e32 v99, v15, v121, vcc
	v_cndmask_b32_e32 v98, v14, v120, vcc
	v_cndmask_b32_e64 v121, v109, v97, s[10:11]
	v_cndmask_b32_e64 v120, v108, v96, s[10:11]
	;; [unrolled: 1-line block ×4, first 2 shown]
	s_and_b64 s[10:11], vcc, s[10:11]
	v_cmp_nlt_f64_e32 vcc, v[120:121], v[94:95]
	v_cndmask_b32_e32 v109, v121, v95, vcc
	v_cndmask_b32_e32 v108, v120, v94, vcc
	v_cndmask_b32_e32 v97, v95, v121, vcc
	v_cndmask_b32_e32 v96, v94, v120, vcc
	s_and_b64 s[10:11], s[10:11], vcc
	v_cmp_nlt_f64_e32 vcc, v[108:109], v[100:101]
	v_cndmask_b32_e32 v121, v109, v101, vcc
	v_cndmask_b32_e32 v120, v108, v100, vcc
	v_cndmask_b32_e32 v95, v101, v109, vcc
	v_cndmask_b32_e32 v94, v100, v108, vcc
	s_and_b64 s[10:11], s[10:11], vcc
	;; [unrolled: 6-line block ×4, first 2 shown]
	v_cmp_nlt_f64_e32 vcc, v[120:121], v[106:107]
	s_and_b64 s[10:11], s[10:11], vcc
	s_and_b64 s[10:11], s[10:11], s[76:77]
	s_and_b64 s[10:11], s[10:11], s[64:65]
	v_cndmask_b32_e32 v109, v121, v107, vcc
	v_cndmask_b32_e32 v108, v120, v106, vcc
	s_and_b64 s[10:11], exec, s[10:11]
	v_cndmask_b32_e32 v105, v107, v121, vcc
	v_cndmask_b32_e32 v104, v106, v120, vcc
	s_or_b64 s[62:63], s[10:11], s[62:63]
	v_pk_mov_b32 v[106:107], v[108:109], v[108:109] op_sel:[0,1]
	s_andn2_b64 exec, exec, s[62:63]
	s_cbranch_execnz .LBB168_271
; %bb.272:                              ;   in Loop: Header=BB168_145 Depth=1
	s_or_b64 exec, exec, s[62:63]
	v_add_f64 v[2:3], v[2:3], -1.0
	v_add_f64 v[2:3], v[2:3], v[6:7]
	v_add_f64 v[2:3], v[2:3], v[32:33]
	v_add_f64 v[2:3], v[2:3], v[30:31]
	v_add_f64 v[2:3], v[2:3], v[98:99]
	v_add_f64 v[2:3], v[2:3], v[14:15]
	v_add_f64 v[2:3], v[2:3], v[96:97]
	v_add_f64 v[2:3], v[2:3], v[94:95]
	v_add_f64 v[2:3], v[2:3], v[100:101]
	v_add_f64 v[2:3], v[2:3], v[102:103]
	v_add_f64 v[2:3], v[2:3], v[104:105]
	v_add_f64 v[2:3], v[108:109], v[2:3]
	v_add_f64 v[6:7], v[2:3], 1.0
	v_add_f64 v[14:15], v[6:7], -1.0
	v_add_f64 v[30:31], v[14:15], -v[6:7]
	v_add_f64 v[30:31], v[30:31], 1.0
	v_add_f64 v[14:15], v[2:3], -v[14:15]
	v_add_f64 v[14:15], v[14:15], v[30:31]
	v_frexp_mant_f64_e32 v[30:31], v[6:7]
	v_frexp_exp_i32_f64_e32 v1, v[6:7]
	v_cmp_gt_f64_e32 vcc, s[26:27], v[30:31]
	v_subbrev_co_u32_e32 v1, vcc, 0, v1, vcc
	v_sub_u32_e32 v4, 0, v1
	v_ldexp_f64 v[6:7], v[6:7], v4
	v_add_f64 v[30:31], v[6:7], -1.0
	v_add_f64 v[96:97], v[6:7], 1.0
	v_add_f64 v[32:33], v[30:31], 1.0
	v_add_f64 v[98:99], v[96:97], -1.0
	v_ldexp_f64 v[14:15], v[14:15], v4
	v_add_f64 v[32:33], v[6:7], -v[32:33]
	v_add_f64 v[6:7], v[6:7], -v[98:99]
	v_add_f64 v[6:7], v[14:15], v[6:7]
	v_add_f64 v[32:33], v[14:15], v[32:33]
	;; [unrolled: 1-line block ×3, first 2 shown]
	v_rcp_f64_e32 v[98:99], v[14:15]
	v_add_f64 v[94:95], v[30:31], v[32:33]
	v_add_f64 v[30:31], v[94:95], -v[30:31]
	v_add_f64 v[30:31], v[32:33], -v[30:31]
	;; [unrolled: 1-line block ×4, first 2 shown]
	v_fma_f64 v[32:33], -v[14:15], v[98:99], 1.0
	v_fmac_f64_e32 v[98:99], v[32:33], v[98:99]
	v_fma_f64 v[32:33], -v[14:15], v[98:99], 1.0
	v_fmac_f64_e32 v[98:99], v[32:33], v[98:99]
	v_mul_f64 v[32:33], v[94:95], v[98:99]
	v_mul_f64 v[96:97], v[14:15], v[32:33]
	v_fma_f64 v[100:101], v[32:33], v[14:15], -v[96:97]
	v_fmac_f64_e32 v[100:101], v[32:33], v[6:7]
	v_add_f64 v[102:103], v[96:97], v[100:101]
	v_add_f64 v[104:105], v[94:95], -v[102:103]
	v_add_f64 v[94:95], v[94:95], -v[104:105]
	;; [unrolled: 1-line block ×4, first 2 shown]
	v_add_f64 v[30:31], v[30:31], v[94:95]
	v_add_f64 v[94:95], v[96:97], -v[100:101]
	v_add_f64 v[30:31], v[94:95], v[30:31]
	v_add_f64 v[94:95], v[104:105], v[30:31]
	v_add_f64 v[96:97], v[104:105], -v[94:95]
	v_add_f64 v[30:31], v[30:31], v[96:97]
	v_mul_f64 v[96:97], v[98:99], v[94:95]
	v_mul_f64 v[100:101], v[14:15], v[96:97]
	v_fma_f64 v[14:15], v[96:97], v[14:15], -v[100:101]
	v_fmac_f64_e32 v[14:15], v[96:97], v[6:7]
	v_add_f64 v[6:7], v[100:101], v[14:15]
	v_add_f64 v[102:103], v[94:95], -v[6:7]
	v_add_f64 v[94:95], v[94:95], -v[102:103]
	v_add_f64 v[100:101], v[6:7], -v[100:101]
	v_add_f64 v[6:7], v[94:95], -v[6:7]
	v_add_f64 v[6:7], v[30:31], v[6:7]
	v_add_f64 v[14:15], v[100:101], -v[14:15]
	v_add_f64 v[6:7], v[14:15], v[6:7]
	v_add_f64 v[14:15], v[32:33], v[96:97]
	;; [unrolled: 1-line block ×3, first 2 shown]
	v_add_f64 v[30:31], v[14:15], -v[32:33]
	v_mul_f64 v[6:7], v[98:99], v[6:7]
	v_add_f64 v[30:31], v[96:97], -v[30:31]
	v_add_f64 v[6:7], v[30:31], v[6:7]
	v_add_f64 v[30:31], v[14:15], v[6:7]
	v_add_f64 v[14:15], v[30:31], -v[14:15]
	v_add_f64 v[6:7], v[6:7], -v[14:15]
	v_mul_f64 v[14:15], v[30:31], v[30:31]
	v_pk_mov_b32 v[32:33], v[34:35], v[34:35] op_sel:[0,1]
	v_fmac_f64_e32 v[32:33], s[28:29], v[14:15]
	v_pk_mov_b32 v[94:95], v[36:37], v[36:37] op_sel:[0,1]
	v_fmac_f64_e32 v[94:95], v[14:15], v[32:33]
	;; [unrolled: 2-line block ×6, first 2 shown]
	v_cvt_f64_i32_e32 v[32:33], v1
	v_mul_f64 v[96:97], v[32:33], s[30:31]
	v_fma_f64 v[98:99], v[32:33], s[30:31], -v[96:97]
	v_fmac_f64_e32 v[98:99], s[34:35], v[32:33]
	v_add_f64 v[32:33], v[96:97], v[98:99]
	v_add_f64 v[96:97], v[32:33], -v[96:97]
	v_mul_f64 v[14:15], v[30:31], v[14:15]
	v_add_f64 v[96:97], v[98:99], -v[96:97]
	v_ldexp_f64 v[98:99], v[30:31], 1
	v_mul_f64 v[14:15], v[14:15], v[94:95]
	v_add_f64 v[30:31], v[98:99], v[14:15]
	v_add_f64 v[94:95], v[30:31], -v[98:99]
	v_ldexp_f64 v[6:7], v[6:7], 1
	v_add_f64 v[14:15], v[14:15], -v[94:95]
	v_add_f64 v[6:7], v[6:7], v[14:15]
	v_add_f64 v[14:15], v[30:31], v[6:7]
	v_add_f64 v[30:31], v[14:15], -v[30:31]
	v_add_f64 v[6:7], v[6:7], -v[30:31]
	v_add_f64 v[30:31], v[32:33], v[14:15]
	v_add_f64 v[94:95], v[30:31], -v[32:33]
	v_add_f64 v[98:99], v[30:31], -v[94:95]
	;; [unrolled: 1-line block ×4, first 2 shown]
	v_add_f64 v[14:15], v[14:15], v[32:33]
	v_add_f64 v[32:33], v[96:97], v[6:7]
	v_add_f64 v[94:95], v[32:33], -v[96:97]
	v_add_f64 v[14:15], v[32:33], v[14:15]
	v_add_f64 v[98:99], v[32:33], -v[94:95]
	;; [unrolled: 2-line block ×3, first 2 shown]
	v_add_f64 v[6:7], v[6:7], -v[94:95]
	v_add_f64 v[30:31], v[32:33], -v[30:31]
	v_add_f64 v[6:7], v[6:7], v[96:97]
	v_add_f64 v[14:15], v[14:15], -v[30:31]
	v_add_f64 v[6:7], v[6:7], v[14:15]
	v_max_f64 v[14:15], |v[12:13]|, |v[12:13]|
	v_max_f64 v[30:31], |v[10:11]|, |v[10:11]|
	v_add_f64 v[6:7], v[32:33], v[6:7]
	v_max_f64 v[32:33], v[30:31], v[14:15]
	v_min_f64 v[14:15], v[30:31], v[14:15]
	v_div_scale_f64 v[94:95], s[10:11], v[32:33], v[32:33], v[14:15]
	v_cmp_eq_f64_e32 vcc, s[36:37], v[2:3]
	v_rcp_f64_e32 v[96:97], v[94:95]
	v_cndmask_b32_e32 v7, v7, v3, vcc
	v_cndmask_b32_e32 v6, v6, v2, vcc
	v_mul_f64 v[6:7], v[6:7], 0.5
	v_cmp_ngt_f64_e32 vcc, -1.0, v[2:3]
	v_cndmask_b32_e32 v1, v112, v7, vcc
	v_cmp_nge_f64_e32 vcc, -1.0, v[2:3]
	v_cndmask_b32_e32 v30, 0, v6, vcc
	v_cmp_neq_f64_e32 vcc, -1.0, v[2:3]
	v_fma_f64 v[2:3], -v[94:95], v[96:97], 1.0
	v_fmac_f64_e32 v[96:97], v[96:97], v[2:3]
	v_fma_f64 v[2:3], -v[94:95], v[96:97], 1.0
	v_cndmask_b32_e32 v31, v113, v1, vcc
	v_fmac_f64_e32 v[96:97], v[96:97], v[2:3]
	v_div_scale_f64 v[2:3], vcc, v[14:15], v[32:33], v[14:15]
	v_mul_f64 v[6:7], v[2:3], v[96:97]
	v_fma_f64 v[2:3], -v[94:95], v[6:7], v[2:3]
	v_cmp_class_f64_e64 s[62:63], v[10:11], s75
	s_nop 0
	v_div_fmas_f64 v[2:3], v[2:3], v[96:97], v[6:7]
	v_div_fixup_f64 v[2:3], v[2:3], v[32:33], v[14:15]
	v_mul_f64 v[6:7], v[2:3], v[2:3]
	v_pk_mov_b32 v[14:15], v[46:47], v[46:47] op_sel:[0,1]
	v_fmac_f64_e32 v[14:15], s[38:39], v[6:7]
	v_pk_mov_b32 v[32:33], v[48:49], v[48:49] op_sel:[0,1]
	v_fmac_f64_e32 v[32:33], v[6:7], v[14:15]
	;; [unrolled: 2-line block ×19, first 2 shown]
	v_mul_f64 v[6:7], v[6:7], v[14:15]
	v_fmac_f64_e32 v[2:3], v[2:3], v[6:7]
	v_ashrrev_i32_e32 v6, 31, v11
	v_and_b32_e32 v8, 0x400921fb, v6
	v_and_b32_e32 v10, 0x54442d18, v6
	v_add_f64 v[6:7], -v[2:3], s[40:41]
	v_cndmask_b32_e64 v3, v3, v7, s[8:9]
	v_cndmask_b32_e64 v2, v2, v6, s[8:9]
	s_mov_b32 s42, s40
	v_cmp_gt_i32_e32 vcc, 0, v11
	v_add_f64 v[6:7], -v[2:3], s[42:43]
	v_cmp_class_f64_e64 s[10:11], v[12:13], s75
	v_cndmask_b32_e32 v1, v114, v115, vcc
	v_cndmask_b32_e32 v4, v116, v117, vcc
	;; [unrolled: 1-line block ×4, first 2 shown]
	v_cmp_eq_f64_e32 vcc, 0, v[12:13]
	v_bfi_b32 v4, s74, v4, v13
	v_cndmask_b32_e32 v2, v2, v10, vcc
	v_cndmask_b32_e32 v3, v3, v8, vcc
	s_and_b64 vcc, s[10:11], s[62:63]
	v_cndmask_b32_e32 v33, v3, v4, vcc
	v_cndmask_b32_e32 v32, v2, v1, vcc
.LBB168_273:                            ;   in Loop: Header=BB168_145 Depth=1
	s_or_b64 exec, exec, s[60:61]
.LBB168_274:                            ;   in Loop: Header=BB168_145 Depth=1
	s_or_b64 exec, exec, s[58:59]
.LBB168_275:                            ;   in Loop: Header=BB168_145 Depth=1
	s_andn2_saveexec_b64 s[56:57], s[56:57]
	s_cbranch_execz .LBB168_277
; %bb.276:                              ;   in Loop: Header=BB168_145 Depth=1
	v_max_f64 v[2:3], |v[12:13]|, |v[12:13]|
	v_max_f64 v[6:7], |v[10:11]|, |v[10:11]|
	v_max_f64 v[14:15], v[6:7], v[2:3]
	v_frexp_exp_i32_f64_e32 v1, v[14:15]
	v_sub_u32_e32 v4, 0, v1
	v_ldexp_f64 v[32:33], |v[12:13]|, v4
	v_ldexp_f64 v[30:31], |v[10:11]|, v4
	v_mul_f64 v[32:33], v[32:33], v[32:33]
	v_fmac_f64_e32 v[32:33], v[30:31], v[30:31]
	v_rsq_f64_e32 v[30:31], v[32:33]
	v_cmp_eq_f64_e32 vcc, 0, v[32:33]
	v_cmp_class_f64_e64 s[58:59], v[10:11], s75
	v_cmp_class_f64_e64 s[60:61], v[12:13], s75
	v_mul_f64 v[94:95], v[32:33], v[30:31]
	v_mul_f64 v[30:31], v[30:31], 0.5
	v_fma_f64 v[96:97], -v[30:31], v[94:95], 0.5
	v_fmac_f64_e32 v[94:95], v[94:95], v[96:97]
	v_fmac_f64_e32 v[30:31], v[30:31], v[96:97]
	v_fma_f64 v[96:97], -v[94:95], v[94:95], v[32:33]
	v_fmac_f64_e32 v[94:95], v[96:97], v[30:31]
	v_cndmask_b32_e32 v31, v95, v33, vcc
	v_cndmask_b32_e32 v30, v94, v32, vcc
	v_ldexp_f64 v[30:31], v[30:31], v1
	s_or_b64 vcc, s[60:61], s[58:59]
	v_cndmask_b32_e32 v33, v31, v119, vcc
	v_cndmask_b32_e64 v32, v30, 0, vcc
	v_frexp_mant_f64_e32 v[94:95], v[32:33]
	v_cmp_gt_f64_e64 s[10:11], s[26:27], v[94:95]
	v_cndmask_b32_e64 v85, v118, 2.0, s[10:11]
	v_mul_f64 v[94:95], v[94:95], v[84:85]
	v_add_f64 v[96:97], v[94:95], 1.0
	v_rcp_f64_e32 v[98:99], v[96:97]
	v_add_f64 v[102:103], v[96:97], -1.0
	v_add_f64 v[100:101], v[94:95], -1.0
	v_add_f64 v[94:95], v[94:95], -v[102:103]
	v_fma_f64 v[102:103], -v[96:97], v[98:99], 1.0
	v_fmac_f64_e32 v[98:99], v[102:103], v[98:99]
	v_fma_f64 v[102:103], -v[96:97], v[98:99], 1.0
	v_fmac_f64_e32 v[98:99], v[102:103], v[98:99]
	v_mul_f64 v[102:103], v[100:101], v[98:99]
	v_mul_f64 v[104:105], v[96:97], v[102:103]
	v_fma_f64 v[96:97], v[102:103], v[96:97], -v[104:105]
	v_fmac_f64_e32 v[96:97], v[102:103], v[94:95]
	v_add_f64 v[94:95], v[104:105], v[96:97]
	v_add_f64 v[106:107], v[100:101], -v[94:95]
	v_add_f64 v[104:105], v[94:95], -v[104:105]
	;; [unrolled: 1-line block ×5, first 2 shown]
	v_add_f64 v[94:95], v[96:97], v[94:95]
	v_add_f64 v[94:95], v[106:107], v[94:95]
	v_mul_f64 v[94:95], v[98:99], v[94:95]
	v_add_f64 v[96:97], v[102:103], v[94:95]
	v_add_f64 v[98:99], v[96:97], -v[102:103]
	v_add_f64 v[94:95], v[94:95], -v[98:99]
	v_mul_f64 v[98:99], v[96:97], v[96:97]
	v_pk_mov_b32 v[100:101], v[34:35], v[34:35] op_sel:[0,1]
	v_fmac_f64_e32 v[100:101], s[28:29], v[98:99]
	v_pk_mov_b32 v[102:103], v[36:37], v[36:37] op_sel:[0,1]
	v_fmac_f64_e32 v[102:103], v[98:99], v[100:101]
	;; [unrolled: 2-line block ×6, first 2 shown]
	v_ldexp_f64 v[100:101], v[96:97], 1
	v_mul_f64 v[96:97], v[96:97], v[98:99]
	v_mul_f64 v[96:97], v[96:97], v[102:103]
	v_add_f64 v[98:99], v[100:101], v[96:97]
	v_add_f64 v[100:101], v[98:99], -v[100:101]
	v_ldexp_f64 v[94:95], v[94:95], 1
	v_add_f64 v[96:97], v[96:97], -v[100:101]
	v_add_f64 v[94:95], v[94:95], v[96:97]
	v_frexp_exp_i32_f64_e32 v1, v[32:33]
	v_add_f64 v[96:97], v[98:99], v[94:95]
	v_subbrev_co_u32_e64 v1, s[10:11], 0, v1, s[10:11]
	v_add_f64 v[98:99], v[96:97], -v[98:99]
	v_add_f64 v[94:95], v[94:95], -v[98:99]
	v_cvt_f64_i32_e32 v[98:99], v1
	v_mul_f64 v[100:101], v[98:99], s[30:31]
	v_fma_f64 v[102:103], v[98:99], s[30:31], -v[100:101]
	v_fmac_f64_e32 v[102:103], s[34:35], v[98:99]
	v_add_f64 v[98:99], v[100:101], v[102:103]
	v_add_f64 v[100:101], v[98:99], -v[100:101]
	v_add_f64 v[100:101], v[102:103], -v[100:101]
	v_add_f64 v[102:103], v[98:99], v[96:97]
	v_add_f64 v[104:105], v[102:103], -v[98:99]
	v_add_f64 v[106:107], v[102:103], -v[104:105]
	;; [unrolled: 1-line block ×4, first 2 shown]
	v_add_f64 v[96:97], v[96:97], v[98:99]
	v_add_f64 v[98:99], v[100:101], v[94:95]
	v_add_f64 v[104:105], v[98:99], -v[100:101]
	v_add_f64 v[106:107], v[98:99], -v[104:105]
	v_add_f64 v[96:97], v[98:99], v[96:97]
	v_add_f64 v[100:101], v[100:101], -v[106:107]
	v_add_f64 v[94:95], v[94:95], -v[104:105]
	v_add_f64 v[98:99], v[102:103], v[96:97]
	v_add_f64 v[94:95], v[94:95], v[100:101]
	v_add_f64 v[100:101], v[98:99], -v[102:103]
	v_add_f64 v[96:97], v[96:97], -v[100:101]
	v_add_f64 v[94:95], v[94:95], v[96:97]
	v_add_f64 v[94:95], v[98:99], v[94:95]
	v_cmp_class_f64_e64 s[10:11], v[30:31], s75
	v_min_f64 v[2:3], v[6:7], v[2:3]
	v_cndmask_b32_e64 v1, v95, v31, s[10:11]
	v_cndmask_b32_e64 v4, v94, v30, s[10:11]
	v_div_scale_f64 v[6:7], s[10:11], v[14:15], v[14:15], v[2:3]
	v_rcp_f64_e32 v[94:95], v[6:7]
	v_cndmask_b32_e64 v4, v4, 0, vcc
	v_cndmask_b32_e32 v1, v1, v119, vcc
	v_cmp_ngt_f64_e32 vcc, 0, v[32:33]
	v_cndmask_b32_e32 v1, v112, v1, vcc
	v_cmp_nge_f64_e32 vcc, 0, v[32:33]
	v_cndmask_b32_e32 v30, 0, v4, vcc
	v_cmp_neq_f64_e32 vcc, 0, v[32:33]
	v_fma_f64 v[32:33], -v[6:7], v[94:95], 1.0
	v_fmac_f64_e32 v[94:95], v[94:95], v[32:33]
	v_fma_f64 v[32:33], -v[6:7], v[94:95], 1.0
	v_cndmask_b32_e32 v31, v113, v1, vcc
	v_fmac_f64_e32 v[94:95], v[94:95], v[32:33]
	v_div_scale_f64 v[32:33], vcc, v[2:3], v[14:15], v[2:3]
	v_mul_f64 v[96:97], v[32:33], v[94:95]
	v_fma_f64 v[6:7], -v[6:7], v[96:97], v[32:33]
	v_pk_mov_b32 v[32:33], v[48:49], v[48:49] op_sel:[0,1]
	s_nop 0
	v_div_fmas_f64 v[6:7], v[6:7], v[94:95], v[96:97]
	v_div_fixup_f64 v[2:3], v[6:7], v[14:15], v[2:3]
	v_mul_f64 v[6:7], v[2:3], v[2:3]
	v_pk_mov_b32 v[14:15], v[46:47], v[46:47] op_sel:[0,1]
	v_fmac_f64_e32 v[14:15], s[38:39], v[6:7]
	v_fmac_f64_e32 v[32:33], v[6:7], v[14:15]
	v_pk_mov_b32 v[14:15], v[50:51], v[50:51] op_sel:[0,1]
	v_fmac_f64_e32 v[14:15], v[6:7], v[32:33]
	v_pk_mov_b32 v[32:33], v[52:53], v[52:53] op_sel:[0,1]
	;; [unrolled: 2-line block ×17, first 2 shown]
	v_fmac_f64_e32 v[14:15], v[6:7], v[32:33]
	v_mul_f64 v[6:7], v[6:7], v[14:15]
	v_fmac_f64_e32 v[2:3], v[2:3], v[6:7]
	v_ashrrev_i32_e32 v6, 31, v11
	v_and_b32_e32 v8, 0x400921fb, v6
	v_and_b32_e32 v10, 0x54442d18, v6
	v_add_f64 v[6:7], -v[2:3], s[40:41]
	v_cndmask_b32_e64 v3, v3, v7, s[8:9]
	v_cndmask_b32_e64 v2, v2, v6, s[8:9]
	s_mov_b32 s42, s40
	v_cmp_gt_i32_e32 vcc, 0, v11
	v_add_f64 v[6:7], -v[2:3], s[42:43]
	v_cndmask_b32_e32 v1, v114, v115, vcc
	v_cndmask_b32_e32 v4, v116, v117, vcc
	;; [unrolled: 1-line block ×4, first 2 shown]
	v_cmp_eq_f64_e32 vcc, 0, v[12:13]
	v_bfi_b32 v4, s74, v4, v13
	v_cndmask_b32_e32 v2, v2, v10, vcc
	v_cndmask_b32_e32 v3, v3, v8, vcc
	s_and_b64 vcc, s[60:61], s[58:59]
	v_cndmask_b32_e32 v33, v3, v4, vcc
	v_cndmask_b32_e32 v32, v2, v1, vcc
.LBB168_277:                            ;   in Loop: Header=BB168_145 Depth=1
	s_or_b64 exec, exec, s[56:57]
                                        ; implicit-def: $vgpr2_vgpr3
.LBB168_278:                            ;   in Loop: Header=BB168_145 Depth=1
	s_andn2_saveexec_b64 s[10:11], s[54:55]
	s_cbranch_execz .LBB168_284
; %bb.279:                              ;   in Loop: Header=BB168_145 Depth=1
	v_cmp_ngt_f64_e32 vcc, s[46:47], v[2:3]
                                        ; implicit-def: $vgpr30_vgpr31
	s_and_saveexec_b64 s[54:55], vcc
	s_xor_b64 s[54:55], exec, s[54:55]
	s_cbranch_execz .LBB168_281
; %bb.280:                              ;   in Loop: Header=BB168_145 Depth=1
	v_mul_f64 v[2:3], v[2:3], v[2:3]
	v_add_f64 v[6:7], v[2:3], 1.0
	v_add_f64 v[14:15], v[6:7], -1.0
	v_add_f64 v[30:31], v[14:15], -v[6:7]
	v_add_f64 v[30:31], v[30:31], 1.0
	v_add_f64 v[14:15], v[2:3], -v[14:15]
	v_add_f64 v[14:15], v[14:15], v[30:31]
	v_frexp_mant_f64_e32 v[30:31], v[6:7]
	v_frexp_exp_i32_f64_e32 v1, v[6:7]
	v_cmp_gt_f64_e32 vcc, s[26:27], v[30:31]
	v_subbrev_co_u32_e32 v1, vcc, 0, v1, vcc
	v_sub_u32_e32 v4, 0, v1
	v_ldexp_f64 v[6:7], v[6:7], v4
	v_add_f64 v[30:31], v[6:7], -1.0
	v_add_f64 v[96:97], v[6:7], 1.0
	v_add_f64 v[32:33], v[30:31], 1.0
	v_add_f64 v[98:99], v[96:97], -1.0
	v_ldexp_f64 v[14:15], v[14:15], v4
	v_add_f64 v[32:33], v[6:7], -v[32:33]
	v_add_f64 v[6:7], v[6:7], -v[98:99]
	v_add_f64 v[6:7], v[14:15], v[6:7]
	v_add_f64 v[32:33], v[14:15], v[32:33]
	;; [unrolled: 1-line block ×3, first 2 shown]
	v_rcp_f64_e32 v[98:99], v[14:15]
	v_add_f64 v[94:95], v[30:31], v[32:33]
	v_add_f64 v[30:31], v[30:31], -v[94:95]
	v_add_f64 v[30:31], v[32:33], v[30:31]
	v_add_f64 v[32:33], v[96:97], -v[14:15]
	v_add_f64 v[6:7], v[6:7], v[32:33]
	v_fma_f64 v[32:33], -v[14:15], v[98:99], 1.0
	v_fmac_f64_e32 v[98:99], v[32:33], v[98:99]
	v_fma_f64 v[32:33], -v[14:15], v[98:99], 1.0
	v_fmac_f64_e32 v[98:99], v[32:33], v[98:99]
	v_mul_f64 v[32:33], v[94:95], v[98:99]
	v_mul_f64 v[96:97], v[14:15], v[32:33]
	v_fma_f64 v[100:101], v[32:33], v[14:15], -v[96:97]
	v_fmac_f64_e32 v[100:101], v[32:33], v[6:7]
	v_add_f64 v[102:103], v[96:97], v[100:101]
	v_add_f64 v[104:105], v[94:95], -v[102:103]
	v_add_f64 v[94:95], v[94:95], -v[104:105]
	;; [unrolled: 1-line block ×4, first 2 shown]
	v_add_f64 v[30:31], v[30:31], v[94:95]
	v_add_f64 v[94:95], v[96:97], -v[100:101]
	v_add_f64 v[30:31], v[94:95], v[30:31]
	v_add_f64 v[94:95], v[104:105], v[30:31]
	v_add_f64 v[96:97], v[104:105], -v[94:95]
	v_add_f64 v[30:31], v[30:31], v[96:97]
	v_mul_f64 v[96:97], v[98:99], v[94:95]
	v_mul_f64 v[100:101], v[14:15], v[96:97]
	v_fma_f64 v[14:15], v[96:97], v[14:15], -v[100:101]
	v_fmac_f64_e32 v[14:15], v[96:97], v[6:7]
	v_add_f64 v[6:7], v[100:101], v[14:15]
	v_add_f64 v[102:103], v[94:95], -v[6:7]
	v_add_f64 v[94:95], v[94:95], -v[102:103]
	;; [unrolled: 1-line block ×4, first 2 shown]
	v_add_f64 v[6:7], v[30:31], v[6:7]
	v_add_f64 v[14:15], v[100:101], -v[14:15]
	v_add_f64 v[6:7], v[14:15], v[6:7]
	v_add_f64 v[14:15], v[32:33], v[96:97]
	;; [unrolled: 1-line block ×3, first 2 shown]
	v_add_f64 v[30:31], v[14:15], -v[32:33]
	v_mul_f64 v[6:7], v[98:99], v[6:7]
	v_add_f64 v[30:31], v[96:97], -v[30:31]
	v_add_f64 v[6:7], v[30:31], v[6:7]
	v_add_f64 v[30:31], v[14:15], v[6:7]
	v_add_f64 v[14:15], v[30:31], -v[14:15]
	v_add_f64 v[6:7], v[6:7], -v[14:15]
	v_mul_f64 v[14:15], v[30:31], v[30:31]
	v_pk_mov_b32 v[32:33], v[34:35], v[34:35] op_sel:[0,1]
	v_fmac_f64_e32 v[32:33], s[28:29], v[14:15]
	v_pk_mov_b32 v[94:95], v[36:37], v[36:37] op_sel:[0,1]
	v_fmac_f64_e32 v[94:95], v[14:15], v[32:33]
	;; [unrolled: 2-line block ×6, first 2 shown]
	v_cvt_f64_i32_e32 v[32:33], v1
	v_mul_f64 v[96:97], v[32:33], s[30:31]
	v_fma_f64 v[98:99], v[32:33], s[30:31], -v[96:97]
	v_fmac_f64_e32 v[98:99], s[34:35], v[32:33]
	v_add_f64 v[32:33], v[96:97], v[98:99]
	v_add_f64 v[96:97], v[32:33], -v[96:97]
	v_mul_f64 v[14:15], v[30:31], v[14:15]
	v_add_f64 v[96:97], v[98:99], -v[96:97]
	v_ldexp_f64 v[98:99], v[30:31], 1
	v_mul_f64 v[14:15], v[14:15], v[94:95]
	v_add_f64 v[30:31], v[98:99], v[14:15]
	v_add_f64 v[94:95], v[30:31], -v[98:99]
	v_ldexp_f64 v[6:7], v[6:7], 1
	v_add_f64 v[14:15], v[14:15], -v[94:95]
	v_add_f64 v[6:7], v[6:7], v[14:15]
	v_add_f64 v[14:15], v[30:31], v[6:7]
	v_add_f64 v[30:31], v[14:15], -v[30:31]
	v_add_f64 v[6:7], v[6:7], -v[30:31]
	v_add_f64 v[30:31], v[32:33], v[14:15]
	v_add_f64 v[94:95], v[30:31], -v[32:33]
	v_add_f64 v[98:99], v[30:31], -v[94:95]
	v_add_f64 v[32:33], v[32:33], -v[98:99]
	v_add_f64 v[14:15], v[14:15], -v[94:95]
	v_add_f64 v[14:15], v[14:15], v[32:33]
	v_add_f64 v[32:33], v[96:97], v[6:7]
	v_add_f64 v[94:95], v[32:33], -v[96:97]
	v_add_f64 v[14:15], v[32:33], v[14:15]
	v_add_f64 v[98:99], v[32:33], -v[94:95]
	;; [unrolled: 2-line block ×3, first 2 shown]
	v_add_f64 v[6:7], v[6:7], -v[94:95]
	v_add_f64 v[30:31], v[32:33], -v[30:31]
	v_add_f64 v[6:7], v[6:7], v[96:97]
	v_add_f64 v[14:15], v[14:15], -v[30:31]
	v_add_f64 v[6:7], v[6:7], v[14:15]
	v_max_f64 v[14:15], |v[12:13]|, |v[12:13]|
	v_max_f64 v[30:31], |v[10:11]|, |v[10:11]|
	v_add_f64 v[6:7], v[32:33], v[6:7]
	v_max_f64 v[32:33], v[30:31], v[14:15]
	v_min_f64 v[14:15], v[30:31], v[14:15]
	v_div_scale_f64 v[94:95], s[56:57], v[32:33], v[32:33], v[14:15]
	v_rcp_f64_e32 v[96:97], v[94:95]
	v_cmp_eq_f64_e32 vcc, s[36:37], v[2:3]
	v_cndmask_b32_e32 v3, v7, v3, vcc
	v_cndmask_b32_e32 v2, v6, v2, vcc
	v_mul_f64 v[30:31], v[2:3], 0.5
	v_fma_f64 v[2:3], -v[94:95], v[96:97], 1.0
	v_fmac_f64_e32 v[96:97], v[96:97], v[2:3]
	v_fma_f64 v[2:3], -v[94:95], v[96:97], 1.0
	v_fmac_f64_e32 v[96:97], v[96:97], v[2:3]
	v_div_scale_f64 v[2:3], vcc, v[14:15], v[32:33], v[14:15]
	v_mul_f64 v[6:7], v[2:3], v[96:97]
	v_fma_f64 v[2:3], -v[94:95], v[6:7], v[2:3]
	v_cmp_class_f64_e64 s[58:59], v[10:11], s75
	s_nop 0
	v_div_fmas_f64 v[2:3], v[2:3], v[96:97], v[6:7]
	v_div_fixup_f64 v[2:3], v[2:3], v[32:33], v[14:15]
	v_mul_f64 v[6:7], v[2:3], v[2:3]
	v_pk_mov_b32 v[14:15], v[46:47], v[46:47] op_sel:[0,1]
	v_fmac_f64_e32 v[14:15], s[38:39], v[6:7]
	v_pk_mov_b32 v[32:33], v[48:49], v[48:49] op_sel:[0,1]
	v_fmac_f64_e32 v[32:33], v[6:7], v[14:15]
	;; [unrolled: 2-line block ×19, first 2 shown]
	v_mul_f64 v[6:7], v[6:7], v[14:15]
	v_fmac_f64_e32 v[2:3], v[2:3], v[6:7]
	v_ashrrev_i32_e32 v6, 31, v11
	v_and_b32_e32 v8, 0x400921fb, v6
	v_and_b32_e32 v10, 0x54442d18, v6
	v_add_f64 v[6:7], -v[2:3], s[40:41]
	v_cndmask_b32_e64 v3, v3, v7, s[8:9]
	v_cndmask_b32_e64 v2, v2, v6, s[8:9]
	s_mov_b32 s42, s40
	v_cmp_gt_i32_e32 vcc, 0, v11
	v_add_f64 v[6:7], -v[2:3], s[42:43]
	v_cmp_class_f64_e64 s[56:57], v[12:13], s75
	v_cndmask_b32_e32 v1, v114, v115, vcc
	v_cndmask_b32_e32 v4, v116, v117, vcc
	;; [unrolled: 1-line block ×4, first 2 shown]
	v_cmp_eq_f64_e32 vcc, 0, v[12:13]
	v_bfi_b32 v4, s74, v4, v13
	v_cndmask_b32_e32 v2, v2, v10, vcc
	v_cndmask_b32_e32 v3, v3, v8, vcc
	s_and_b64 vcc, s[56:57], s[58:59]
	v_cndmask_b32_e32 v33, v3, v4, vcc
	v_cndmask_b32_e32 v32, v2, v1, vcc
                                        ; implicit-def: $vgpr2_vgpr3
.LBB168_281:                            ;   in Loop: Header=BB168_145 Depth=1
	s_andn2_saveexec_b64 s[54:55], s[54:55]
	s_cbranch_execz .LBB168_283
; %bb.282:                              ;   in Loop: Header=BB168_145 Depth=1
	v_max_f64 v[6:7], |v[12:13]|, |v[12:13]|
	v_max_f64 v[14:15], |v[10:11]|, |v[10:11]|
	v_max_f64 v[32:33], v[14:15], v[6:7]
	v_min_f64 v[6:7], v[14:15], v[6:7]
	v_div_scale_f64 v[14:15], s[56:57], v[32:33], v[32:33], v[6:7]
	v_rcp_f64_e32 v[94:95], v[14:15]
	v_mul_f64 v[30:31], v[2:3], 0.5
	v_mul_f64 v[30:31], v[2:3], v[30:31]
	v_cmp_class_f64_e64 s[58:59], v[10:11], s75
	v_fma_f64 v[2:3], -v[14:15], v[94:95], 1.0
	v_fmac_f64_e32 v[94:95], v[94:95], v[2:3]
	v_fma_f64 v[2:3], -v[14:15], v[94:95], 1.0
	v_fmac_f64_e32 v[94:95], v[94:95], v[2:3]
	v_div_scale_f64 v[2:3], vcc, v[6:7], v[32:33], v[6:7]
	v_mul_f64 v[96:97], v[2:3], v[94:95]
	v_fma_f64 v[2:3], -v[14:15], v[96:97], v[2:3]
	v_pk_mov_b32 v[14:15], v[46:47], v[46:47] op_sel:[0,1]
	s_nop 0
	v_div_fmas_f64 v[2:3], v[2:3], v[94:95], v[96:97]
	v_div_fixup_f64 v[2:3], v[2:3], v[32:33], v[6:7]
	v_mul_f64 v[6:7], v[2:3], v[2:3]
	v_fmac_f64_e32 v[14:15], s[38:39], v[6:7]
	v_pk_mov_b32 v[32:33], v[48:49], v[48:49] op_sel:[0,1]
	v_fmac_f64_e32 v[32:33], v[6:7], v[14:15]
	v_pk_mov_b32 v[14:15], v[50:51], v[50:51] op_sel:[0,1]
	;; [unrolled: 2-line block ×18, first 2 shown]
	v_fmac_f64_e32 v[14:15], v[6:7], v[32:33]
	v_mul_f64 v[6:7], v[6:7], v[14:15]
	v_fmac_f64_e32 v[2:3], v[2:3], v[6:7]
	v_ashrrev_i32_e32 v6, 31, v11
	v_and_b32_e32 v8, 0x400921fb, v6
	v_and_b32_e32 v10, 0x54442d18, v6
	v_add_f64 v[6:7], -v[2:3], s[40:41]
	v_cndmask_b32_e64 v3, v3, v7, s[8:9]
	v_cndmask_b32_e64 v2, v2, v6, s[8:9]
	s_mov_b32 s42, s40
	v_cmp_gt_i32_e32 vcc, 0, v11
	v_add_f64 v[6:7], -v[2:3], s[42:43]
	v_cmp_class_f64_e64 s[56:57], v[12:13], s75
	v_cndmask_b32_e32 v1, v114, v115, vcc
	v_cndmask_b32_e32 v4, v116, v117, vcc
	;; [unrolled: 1-line block ×4, first 2 shown]
	v_cmp_eq_f64_e32 vcc, 0, v[12:13]
	v_bfi_b32 v4, s74, v4, v13
	v_cndmask_b32_e32 v2, v2, v10, vcc
	v_cndmask_b32_e32 v3, v3, v8, vcc
	s_and_b64 vcc, s[56:57], s[58:59]
	v_cndmask_b32_e32 v33, v3, v4, vcc
	v_cndmask_b32_e32 v32, v2, v1, vcc
.LBB168_283:                            ;   in Loop: Header=BB168_145 Depth=1
	s_or_b64 exec, exec, s[54:55]
.LBB168_284:                            ;   in Loop: Header=BB168_145 Depth=1
	s_or_b64 exec, exec, s[10:11]
.LBB168_285:                            ;   in Loop: Header=BB168_145 Depth=1
	s_andn2_saveexec_b64 s[54:55], s[12:13]
	s_cbranch_execz .LBB168_287
; %bb.286:                              ;   in Loop: Header=BB168_145 Depth=1
	v_div_scale_f64 v[2:3], s[10:11], s[48:49], s[48:49], v[10:11]
	v_rcp_f64_e32 v[6:7], v[2:3]
	v_div_scale_f64 v[14:15], vcc, v[10:11], s[48:49], v[10:11]
	s_mov_b32 s42, s40
	v_fma_f64 v[30:31], -v[2:3], v[6:7], 1.0
	v_fmac_f64_e32 v[6:7], v[6:7], v[30:31]
	v_fma_f64 v[30:31], -v[2:3], v[6:7], 1.0
	v_fmac_f64_e32 v[6:7], v[6:7], v[30:31]
	v_mul_f64 v[30:31], v[14:15], v[6:7]
	v_fma_f64 v[2:3], -v[2:3], v[30:31], v[14:15]
	v_div_scale_f64 v[14:15], s[10:11], s[48:49], s[48:49], v[12:13]
	v_rcp_f64_e32 v[32:33], v[14:15]
	v_div_fmas_f64 v[2:3], v[2:3], v[6:7], v[30:31]
	v_div_fixup_f64 v[2:3], v[2:3], s[48:49], v[10:11]
	v_cmp_class_f64_e64 s[12:13], v[2:3], s75
	v_fma_f64 v[6:7], -v[14:15], v[32:33], 1.0
	v_fmac_f64_e32 v[32:33], v[32:33], v[6:7]
	v_fma_f64 v[6:7], -v[14:15], v[32:33], 1.0
	v_fmac_f64_e32 v[32:33], v[32:33], v[6:7]
	v_div_scale_f64 v[6:7], vcc, v[12:13], s[48:49], v[12:13]
	v_mul_f64 v[30:31], v[6:7], v[32:33]
	v_fma_f64 v[6:7], -v[14:15], v[30:31], v[6:7]
	s_nop 1
	v_div_fmas_f64 v[6:7], v[6:7], v[32:33], v[30:31]
	v_div_fixup_f64 v[6:7], v[6:7], s[48:49], v[12:13]
	v_max_f64 v[14:15], |v[2:3]|, |v[6:7]|
	v_frexp_exp_i32_f64_e32 v1, v[14:15]
	v_sub_u32_e32 v4, 0, v1
	v_ldexp_f64 v[30:31], |v[6:7]|, v4
	v_ldexp_f64 v[14:15], |v[2:3]|, v4
	v_mul_f64 v[30:31], v[30:31], v[30:31]
	v_fmac_f64_e32 v[30:31], v[14:15], v[14:15]
	v_rsq_f64_e32 v[14:15], v[30:31]
	v_cmp_eq_f64_e32 vcc, 0, v[30:31]
	v_cmp_o_f64_e64 s[10:11], v[2:3], v[6:7]
	v_cmp_class_f64_e64 s[56:57], v[6:7], s75
	v_mul_f64 v[32:33], v[30:31], v[14:15]
	v_mul_f64 v[14:15], v[14:15], 0.5
	v_fma_f64 v[94:95], -v[14:15], v[32:33], 0.5
	v_fmac_f64_e32 v[32:33], v[32:33], v[94:95]
	v_fmac_f64_e32 v[14:15], v[14:15], v[94:95]
	v_fma_f64 v[94:95], -v[32:33], v[32:33], v[30:31]
	v_fmac_f64_e32 v[32:33], v[94:95], v[14:15]
	v_cndmask_b32_e32 v15, v33, v31, vcc
	v_cndmask_b32_e32 v14, v32, v30, vcc
	v_ldexp_f64 v[14:15], v[14:15], v1
	v_cndmask_b32_e64 v1, 0, v14, s[10:11]
	v_cndmask_b32_e64 v4, v112, v15, s[10:11]
	s_or_b64 vcc, s[56:57], s[12:13]
	v_cndmask_b32_e32 v3, v4, v119, vcc
	v_cndmask_b32_e64 v2, v1, 0, vcc
	v_frexp_mant_f64_e32 v[6:7], v[2:3]
	v_cmp_gt_f64_e64 s[12:13], s[26:27], v[6:7]
	v_cndmask_b32_e64 v85, v118, 2.0, s[12:13]
	v_mul_f64 v[6:7], v[6:7], v[84:85]
	v_add_f64 v[30:31], v[6:7], 1.0
	v_rcp_f64_e32 v[32:33], v[30:31]
	v_add_f64 v[96:97], v[30:31], -1.0
	v_add_f64 v[94:95], v[6:7], -1.0
	v_add_f64 v[6:7], v[6:7], -v[96:97]
	v_fma_f64 v[96:97], -v[30:31], v[32:33], 1.0
	v_fmac_f64_e32 v[32:33], v[96:97], v[32:33]
	v_fma_f64 v[96:97], -v[30:31], v[32:33], 1.0
	v_fmac_f64_e32 v[32:33], v[96:97], v[32:33]
	v_mul_f64 v[96:97], v[94:95], v[32:33]
	v_mul_f64 v[98:99], v[30:31], v[96:97]
	v_fma_f64 v[30:31], v[96:97], v[30:31], -v[98:99]
	v_fmac_f64_e32 v[30:31], v[96:97], v[6:7]
	v_add_f64 v[6:7], v[98:99], v[30:31]
	v_add_f64 v[100:101], v[94:95], -v[6:7]
	v_add_f64 v[98:99], v[6:7], -v[98:99]
	;; [unrolled: 1-line block ×5, first 2 shown]
	v_add_f64 v[6:7], v[30:31], v[6:7]
	v_add_f64 v[6:7], v[100:101], v[6:7]
	v_mul_f64 v[6:7], v[32:33], v[6:7]
	v_add_f64 v[30:31], v[96:97], v[6:7]
	v_add_f64 v[32:33], v[30:31], -v[96:97]
	v_add_f64 v[6:7], v[6:7], -v[32:33]
	v_mul_f64 v[32:33], v[30:31], v[30:31]
	v_pk_mov_b32 v[94:95], v[34:35], v[34:35] op_sel:[0,1]
	v_fmac_f64_e32 v[94:95], s[28:29], v[32:33]
	v_pk_mov_b32 v[96:97], v[36:37], v[36:37] op_sel:[0,1]
	v_fmac_f64_e32 v[96:97], v[32:33], v[94:95]
	;; [unrolled: 2-line block ×6, first 2 shown]
	v_ldexp_f64 v[94:95], v[30:31], 1
	v_mul_f64 v[30:31], v[30:31], v[32:33]
	v_mul_f64 v[30:31], v[30:31], v[96:97]
	v_add_f64 v[32:33], v[94:95], v[30:31]
	v_add_f64 v[94:95], v[32:33], -v[94:95]
	v_ldexp_f64 v[6:7], v[6:7], 1
	v_add_f64 v[30:31], v[30:31], -v[94:95]
	v_add_f64 v[6:7], v[6:7], v[30:31]
	v_frexp_exp_i32_f64_e32 v8, v[2:3]
	v_add_f64 v[30:31], v[32:33], v[6:7]
	v_subbrev_co_u32_e64 v8, s[12:13], 0, v8, s[12:13]
	v_add_f64 v[32:33], v[30:31], -v[32:33]
	v_add_f64 v[6:7], v[6:7], -v[32:33]
	v_cvt_f64_i32_e32 v[32:33], v8
	v_mul_f64 v[94:95], v[32:33], s[30:31]
	v_fma_f64 v[96:97], v[32:33], s[30:31], -v[94:95]
	v_fmac_f64_e32 v[96:97], s[34:35], v[32:33]
	v_add_f64 v[32:33], v[94:95], v[96:97]
	v_add_f64 v[94:95], v[32:33], -v[94:95]
	v_add_f64 v[94:95], v[96:97], -v[94:95]
	v_add_f64 v[96:97], v[32:33], v[30:31]
	v_add_f64 v[98:99], v[96:97], -v[32:33]
	v_add_f64 v[100:101], v[96:97], -v[98:99]
	;; [unrolled: 1-line block ×4, first 2 shown]
	v_add_f64 v[30:31], v[30:31], v[32:33]
	v_add_f64 v[32:33], v[94:95], v[6:7]
	v_add_f64 v[98:99], v[32:33], -v[94:95]
	v_add_f64 v[100:101], v[32:33], -v[98:99]
	v_add_f64 v[30:31], v[32:33], v[30:31]
	v_add_f64 v[94:95], v[94:95], -v[100:101]
	v_add_f64 v[6:7], v[6:7], -v[98:99]
	v_add_f64 v[32:33], v[96:97], v[30:31]
	v_add_f64 v[6:7], v[6:7], v[94:95]
	v_add_f64 v[94:95], v[32:33], -v[96:97]
	v_add_f64 v[30:31], v[30:31], -v[94:95]
	v_and_b32_e32 v15, 0x7fffffff, v15
	v_add_f64 v[6:7], v[6:7], v[30:31]
	v_cmp_eq_f64_e64 s[12:13], s[36:37], v[14:15]
	v_add_f64 v[6:7], v[32:33], v[6:7]
	s_and_b64 s[10:11], s[10:11], s[12:13]
	v_cndmask_b32_e64 v7, v7, v4, s[10:11]
	v_cndmask_b32_e64 v6, v6, v1, s[10:11]
	v_add_f64 v[6:7], v[6:7], 1.0
	v_cndmask_b32_e64 v1, v6, 0, vcc
	v_cndmask_b32_e32 v4, v7, v119, vcc
	v_max_f64 v[6:7], |v[12:13]|, |v[12:13]|
	v_max_f64 v[14:15], |v[10:11]|, |v[10:11]|
	v_max_f64 v[32:33], v[14:15], v[6:7]
	v_min_f64 v[6:7], v[14:15], v[6:7]
	v_div_scale_f64 v[14:15], s[10:11], v[32:33], v[32:33], v[6:7]
	v_rcp_f64_e32 v[94:95], v[14:15]
	v_cmp_ngt_f64_e32 vcc, 0, v[2:3]
	v_cndmask_b32_e32 v4, v112, v4, vcc
	v_cmp_nge_f64_e32 vcc, 0, v[2:3]
	v_cndmask_b32_e32 v30, 0, v1, vcc
	v_cmp_neq_f64_e32 vcc, 0, v[2:3]
	v_fma_f64 v[2:3], -v[14:15], v[94:95], 1.0
	v_fmac_f64_e32 v[94:95], v[94:95], v[2:3]
	v_fma_f64 v[2:3], -v[14:15], v[94:95], 1.0
	v_cndmask_b32_e32 v31, v113, v4, vcc
	v_fmac_f64_e32 v[94:95], v[94:95], v[2:3]
	v_div_scale_f64 v[2:3], vcc, v[6:7], v[32:33], v[6:7]
	v_mul_f64 v[96:97], v[2:3], v[94:95]
	v_fma_f64 v[2:3], -v[14:15], v[96:97], v[2:3]
	v_pk_mov_b32 v[14:15], v[46:47], v[46:47] op_sel:[0,1]
	s_nop 0
	v_div_fmas_f64 v[2:3], v[2:3], v[94:95], v[96:97]
	v_div_fixup_f64 v[2:3], v[2:3], v[32:33], v[6:7]
	v_mul_f64 v[6:7], v[2:3], v[2:3]
	v_fmac_f64_e32 v[14:15], s[38:39], v[6:7]
	v_pk_mov_b32 v[32:33], v[48:49], v[48:49] op_sel:[0,1]
	v_fmac_f64_e32 v[32:33], v[6:7], v[14:15]
	v_pk_mov_b32 v[14:15], v[50:51], v[50:51] op_sel:[0,1]
	;; [unrolled: 2-line block ×18, first 2 shown]
	v_fmac_f64_e32 v[14:15], v[6:7], v[32:33]
	v_mul_f64 v[6:7], v[6:7], v[14:15]
	v_fmac_f64_e32 v[2:3], v[2:3], v[6:7]
	v_ashrrev_i32_e32 v6, 31, v11
	v_cmp_class_f64_e64 s[12:13], v[10:11], s75
	v_and_b32_e32 v8, 0x400921fb, v6
	v_and_b32_e32 v10, 0x54442d18, v6
	v_add_f64 v[6:7], -v[2:3], s[40:41]
	v_cndmask_b32_e64 v3, v3, v7, s[8:9]
	v_cndmask_b32_e64 v2, v2, v6, s[8:9]
	v_cmp_gt_i32_e32 vcc, 0, v11
	v_add_f64 v[6:7], -v[2:3], s[42:43]
	v_cmp_class_f64_e64 s[10:11], v[12:13], s75
	v_cndmask_b32_e32 v1, v114, v115, vcc
	v_cndmask_b32_e32 v4, v116, v117, vcc
	;; [unrolled: 1-line block ×4, first 2 shown]
	v_cmp_eq_f64_e32 vcc, 0, v[12:13]
	v_bfi_b32 v4, s74, v4, v13
	v_cndmask_b32_e32 v2, v2, v10, vcc
	v_cndmask_b32_e32 v3, v3, v8, vcc
	s_and_b64 vcc, s[10:11], s[12:13]
	v_cndmask_b32_e32 v33, v3, v4, vcc
	v_cndmask_b32_e32 v32, v2, v1, vcc
.LBB168_287:                            ;   in Loop: Header=BB168_145 Depth=1
	s_or_b64 exec, exec, s[54:55]
	s_andn2_saveexec_b64 s[8:9], s[52:53]
	s_cbranch_execz .LBB168_257
.LBB168_288:                            ;   in Loop: Header=BB168_145 Depth=1
	v_cmp_nlt_f64_e64 s[10:11], |v[10:11]|, s[50:51]
	v_cmp_nlt_f64_e64 s[12:13], |v[12:13]|, s[50:51]
	s_or_b64 s[10:11], s[12:13], s[10:11]
                                        ; implicit-def: $vgpr2_vgpr3
	s_and_saveexec_b64 s[12:13], s[10:11]
	s_xor_b64 s[10:11], exec, s[12:13]
; %bb.289:                              ;   in Loop: Header=BB168_145 Depth=1
	v_mul_f64 v[2:3], v[10:11], v[10:11]
	v_fmac_f64_e32 v[2:3], v[12:13], v[12:13]
; %bb.290:                              ;   in Loop: Header=BB168_145 Depth=1
	s_andn2_saveexec_b64 s[10:11], s[10:11]
; %bb.291:                              ;   in Loop: Header=BB168_145 Depth=1
	v_mul_f64 v[2:3], v[10:11], 4.0
	v_mul_f64 v[6:7], v[12:13], 4.0
	v_mul_f64 v[2:3], v[2:3], v[2:3]
	v_fmac_f64_e32 v[2:3], v[6:7], v[6:7]
	v_ldexp_f64 v[2:3], v[2:3], -4
; %bb.292:                              ;   in Loop: Header=BB168_145 Depth=1
	s_or_b64 exec, exec, s[10:11]
	v_frexp_mant_f64_e32 v[6:7], v[2:3]
	v_cmp_gt_f64_e32 vcc, s[26:27], v[6:7]
	v_cndmask_b32_e64 v85, v118, 2.0, vcc
	v_mul_f64 v[6:7], v[6:7], v[84:85]
	v_add_f64 v[10:11], v[6:7], 1.0
	v_rcp_f64_e32 v[14:15], v[10:11]
	v_add_f64 v[32:33], v[10:11], -1.0
	v_add_f64 v[30:31], v[6:7], -1.0
	v_add_f64 v[6:7], v[6:7], -v[32:33]
	v_fma_f64 v[32:33], -v[10:11], v[14:15], 1.0
	v_fmac_f64_e32 v[14:15], v[32:33], v[14:15]
	v_fma_f64 v[32:33], -v[10:11], v[14:15], 1.0
	v_fmac_f64_e32 v[14:15], v[32:33], v[14:15]
	v_mul_f64 v[32:33], v[30:31], v[14:15]
	v_mul_f64 v[94:95], v[10:11], v[32:33]
	v_fma_f64 v[10:11], v[32:33], v[10:11], -v[94:95]
	v_fmac_f64_e32 v[10:11], v[32:33], v[6:7]
	v_add_f64 v[6:7], v[94:95], v[10:11]
	v_add_f64 v[96:97], v[30:31], -v[6:7]
	v_add_f64 v[94:95], v[6:7], -v[94:95]
	;; [unrolled: 1-line block ×5, first 2 shown]
	v_add_f64 v[6:7], v[10:11], v[6:7]
	v_add_f64 v[6:7], v[96:97], v[6:7]
	v_mul_f64 v[6:7], v[14:15], v[6:7]
	v_add_f64 v[10:11], v[32:33], v[6:7]
	v_add_f64 v[14:15], v[10:11], -v[32:33]
	v_add_f64 v[6:7], v[6:7], -v[14:15]
	v_mul_f64 v[14:15], v[10:11], v[10:11]
	v_pk_mov_b32 v[30:31], v[34:35], v[34:35] op_sel:[0,1]
	v_fmac_f64_e32 v[30:31], s[28:29], v[14:15]
	v_pk_mov_b32 v[32:33], v[36:37], v[36:37] op_sel:[0,1]
	v_fmac_f64_e32 v[32:33], v[14:15], v[30:31]
	;; [unrolled: 2-line block ×6, first 2 shown]
	v_ldexp_f64 v[30:31], v[10:11], 1
	v_mul_f64 v[10:11], v[10:11], v[14:15]
	v_mul_f64 v[10:11], v[10:11], v[32:33]
	v_add_f64 v[14:15], v[30:31], v[10:11]
	v_add_f64 v[30:31], v[14:15], -v[30:31]
	v_ldexp_f64 v[6:7], v[6:7], 1
	v_add_f64 v[10:11], v[10:11], -v[30:31]
	v_add_f64 v[6:7], v[6:7], v[10:11]
	v_frexp_exp_i32_f64_e32 v1, v[2:3]
	v_add_f64 v[10:11], v[14:15], v[6:7]
	v_subbrev_co_u32_e32 v1, vcc, 0, v1, vcc
	v_add_f64 v[14:15], v[10:11], -v[14:15]
	v_add_f64 v[6:7], v[6:7], -v[14:15]
	v_cvt_f64_i32_e32 v[14:15], v1
	v_mul_f64 v[30:31], v[14:15], s[30:31]
	v_fma_f64 v[32:33], v[14:15], s[30:31], -v[30:31]
	v_fmac_f64_e32 v[32:33], s[34:35], v[14:15]
	v_add_f64 v[14:15], v[30:31], v[32:33]
	v_add_f64 v[30:31], v[14:15], -v[30:31]
	v_add_f64 v[30:31], v[32:33], -v[30:31]
	v_add_f64 v[32:33], v[14:15], v[10:11]
	v_add_f64 v[94:95], v[32:33], -v[14:15]
	v_add_f64 v[96:97], v[32:33], -v[94:95]
	;; [unrolled: 1-line block ×4, first 2 shown]
	v_add_f64 v[10:11], v[10:11], v[14:15]
	v_add_f64 v[14:15], v[30:31], v[6:7]
	v_add_f64 v[94:95], v[14:15], -v[30:31]
	v_add_f64 v[96:97], v[14:15], -v[94:95]
	v_add_f64 v[10:11], v[14:15], v[10:11]
	v_add_f64 v[30:31], v[30:31], -v[96:97]
	v_add_f64 v[6:7], v[6:7], -v[94:95]
	v_add_f64 v[14:15], v[32:33], v[10:11]
	v_add_f64 v[6:7], v[6:7], v[30:31]
	v_add_f64 v[30:31], v[14:15], -v[32:33]
	v_add_f64 v[10:11], v[10:11], -v[30:31]
	v_add_f64 v[6:7], v[6:7], v[10:11]
	v_add_f64 v[6:7], v[14:15], v[6:7]
	v_cmp_class_f64_e64 vcc, v[2:3], s75
	v_cndmask_b32_e32 v1, v6, v2, vcc
	v_cndmask_b32_e32 v4, v7, v3, vcc
	v_cmp_ngt_f64_e32 vcc, 0, v[2:3]
	v_cndmask_b32_e32 v4, v112, v4, vcc
	v_cmp_nge_f64_e32 vcc, 0, v[2:3]
	v_cndmask_b32_e32 v30, 0, v1, vcc
	v_cmp_neq_f64_e32 vcc, 0, v[2:3]
	v_mov_b32_e32 v32, 0
	v_cndmask_b32_e32 v31, v113, v4, vcc
	v_mov_b32_e32 v33, 0x7ff80000
	s_or_b64 exec, exec, s[8:9]
	s_and_saveexec_b64 s[8:9], s[0:1]
	s_xor_b64 s[0:1], exec, s[8:9]
	s_cbranch_execz .LBB168_258
.LBB168_293:                            ;   in Loop: Header=BB168_145 Depth=1
	v_lshlrev_b64 v[2:3], 4, v[86:87]
	v_mov_b32_e32 v1, s68
	v_add_co_u32_e32 v2, vcc, s67, v2
	v_bfi_b32 v21, s74, v21, v9
	v_addc_co_u32_e32 v3, vcc, v1, v3, vcc
	global_store_dwordx4 v[2:3], v[18:21], off
	s_or_b64 exec, exec, s[0:1]
	s_and_saveexec_b64 s[0:1], s[2:3]
	s_cbranch_execz .LBB168_259
.LBB168_294:                            ;   in Loop: Header=BB168_145 Depth=1
	v_lshlrev_b64 v[2:3], 4, v[88:89]
	v_mov_b32_e32 v1, s68
	v_add_co_u32_e32 v2, vcc, s67, v2
	v_bfi_b32 v25, s74, v25, v5
	v_addc_co_u32_e32 v3, vcc, v1, v3, vcc
	global_store_dwordx4 v[2:3], v[22:25], off
	s_or_b64 exec, exec, s[0:1]
	s_and_saveexec_b64 s[0:1], s[4:5]
	s_cbranch_execz .LBB168_260
.LBB168_295:                            ;   in Loop: Header=BB168_145 Depth=1
	v_lshlrev_b64 v[2:3], 4, v[90:91]
	v_mov_b32_e32 v1, s68
	v_add_co_u32_e32 v2, vcc, s67, v2
	v_bfi_b32 v29, s74, v29, v17
	v_addc_co_u32_e32 v3, vcc, v1, v3, vcc
	global_store_dwordx4 v[2:3], v[26:29], off
	s_or_b64 exec, exec, s[0:1]
	s_and_saveexec_b64 s[0:1], s[6:7]
	s_cbranch_execz .LBB168_144
.LBB168_296:                            ;   in Loop: Header=BB168_145 Depth=1
	v_lshlrev_b64 v[2:3], 4, v[92:93]
	v_mov_b32_e32 v1, s68
	v_add_co_u32_e32 v2, vcc, s67, v2
	v_bfi_b32 v33, s74, v33, v13
	v_addc_co_u32_e32 v3, vcc, v1, v3, vcc
	global_store_dwordx4 v[2:3], v[30:33], off
	s_branch .LBB168_144
.LBB168_297:
	s_endpgm
	.section	.rodata,"a",@progbits
	.p2align	6, 0x0
	.amdhsa_kernel _ZN2at6native12_GLOBAL__N_125multi_tensor_apply_kernelINS1_18TensorListMetadataILi2EEENS1_14UnaryOpFunctorIN3c107complexIdEELi2ELi1ELi1EEEJNS0_3LogIS8_EEEEEvT_T0_DpT1_
		.amdhsa_group_segment_fixed_size 0
		.amdhsa_private_segment_fixed_size 0
		.amdhsa_kernarg_size 3408
		.amdhsa_user_sgpr_count 6
		.amdhsa_user_sgpr_private_segment_buffer 1
		.amdhsa_user_sgpr_dispatch_ptr 0
		.amdhsa_user_sgpr_queue_ptr 0
		.amdhsa_user_sgpr_kernarg_segment_ptr 1
		.amdhsa_user_sgpr_dispatch_id 0
		.amdhsa_user_sgpr_flat_scratch_init 0
		.amdhsa_user_sgpr_kernarg_preload_length 0
		.amdhsa_user_sgpr_kernarg_preload_offset 0
		.amdhsa_user_sgpr_private_segment_size 0
		.amdhsa_uses_dynamic_stack 0
		.amdhsa_system_sgpr_private_segment_wavefront_offset 0
		.amdhsa_system_sgpr_workgroup_id_x 1
		.amdhsa_system_sgpr_workgroup_id_y 0
		.amdhsa_system_sgpr_workgroup_id_z 0
		.amdhsa_system_sgpr_workgroup_info 0
		.amdhsa_system_vgpr_workitem_id 0
		.amdhsa_next_free_vgpr 122
		.amdhsa_next_free_sgpr 78
		.amdhsa_accum_offset 124
		.amdhsa_reserve_vcc 1
		.amdhsa_reserve_flat_scratch 0
		.amdhsa_float_round_mode_32 0
		.amdhsa_float_round_mode_16_64 0
		.amdhsa_float_denorm_mode_32 3
		.amdhsa_float_denorm_mode_16_64 3
		.amdhsa_dx10_clamp 1
		.amdhsa_ieee_mode 1
		.amdhsa_fp16_overflow 0
		.amdhsa_tg_split 0
		.amdhsa_exception_fp_ieee_invalid_op 0
		.amdhsa_exception_fp_denorm_src 0
		.amdhsa_exception_fp_ieee_div_zero 0
		.amdhsa_exception_fp_ieee_overflow 0
		.amdhsa_exception_fp_ieee_underflow 0
		.amdhsa_exception_fp_ieee_inexact 0
		.amdhsa_exception_int_div_zero 0
	.end_amdhsa_kernel
	.section	.text._ZN2at6native12_GLOBAL__N_125multi_tensor_apply_kernelINS1_18TensorListMetadataILi2EEENS1_14UnaryOpFunctorIN3c107complexIdEELi2ELi1ELi1EEEJNS0_3LogIS8_EEEEEvT_T0_DpT1_,"axG",@progbits,_ZN2at6native12_GLOBAL__N_125multi_tensor_apply_kernelINS1_18TensorListMetadataILi2EEENS1_14UnaryOpFunctorIN3c107complexIdEELi2ELi1ELi1EEEJNS0_3LogIS8_EEEEEvT_T0_DpT1_,comdat
.Lfunc_end168:
	.size	_ZN2at6native12_GLOBAL__N_125multi_tensor_apply_kernelINS1_18TensorListMetadataILi2EEENS1_14UnaryOpFunctorIN3c107complexIdEELi2ELi1ELi1EEEJNS0_3LogIS8_EEEEEvT_T0_DpT1_, .Lfunc_end168-_ZN2at6native12_GLOBAL__N_125multi_tensor_apply_kernelINS1_18TensorListMetadataILi2EEENS1_14UnaryOpFunctorIN3c107complexIdEELi2ELi1ELi1EEEJNS0_3LogIS8_EEEEEvT_T0_DpT1_
                                        ; -- End function
	.section	.AMDGPU.csdata,"",@progbits
; Kernel info:
; codeLenInByte = 83812
; NumSgprs: 82
; NumVgprs: 122
; NumAgprs: 0
; TotalNumVgprs: 122
; ScratchSize: 0
; MemoryBound: 1
; FloatMode: 240
; IeeeMode: 1
; LDSByteSize: 0 bytes/workgroup (compile time only)
; SGPRBlocks: 10
; VGPRBlocks: 15
; NumSGPRsForWavesPerEU: 82
; NumVGPRsForWavesPerEU: 122
; AccumOffset: 124
; Occupancy: 4
; WaveLimiterHint : 0
; COMPUTE_PGM_RSRC2:SCRATCH_EN: 0
; COMPUTE_PGM_RSRC2:USER_SGPR: 6
; COMPUTE_PGM_RSRC2:TRAP_HANDLER: 0
; COMPUTE_PGM_RSRC2:TGID_X_EN: 1
; COMPUTE_PGM_RSRC2:TGID_Y_EN: 0
; COMPUTE_PGM_RSRC2:TGID_Z_EN: 0
; COMPUTE_PGM_RSRC2:TIDIG_COMP_CNT: 0
; COMPUTE_PGM_RSRC3_GFX90A:ACCUM_OFFSET: 30
; COMPUTE_PGM_RSRC3_GFX90A:TG_SPLIT: 0
	.section	.text._ZN2at6native12_GLOBAL__N_125multi_tensor_apply_kernelINS1_18TensorListMetadataILi2EEENS1_14UnaryOpFunctorIN3c107complexIfEELi2ELi1ELi1EEEJNS0_3LogIS8_EEEEEvT_T0_DpT1_,"axG",@progbits,_ZN2at6native12_GLOBAL__N_125multi_tensor_apply_kernelINS1_18TensorListMetadataILi2EEENS1_14UnaryOpFunctorIN3c107complexIfEELi2ELi1ELi1EEEJNS0_3LogIS8_EEEEEvT_T0_DpT1_,comdat
	.globl	_ZN2at6native12_GLOBAL__N_125multi_tensor_apply_kernelINS1_18TensorListMetadataILi2EEENS1_14UnaryOpFunctorIN3c107complexIfEELi2ELi1ELi1EEEJNS0_3LogIS8_EEEEEvT_T0_DpT1_ ; -- Begin function _ZN2at6native12_GLOBAL__N_125multi_tensor_apply_kernelINS1_18TensorListMetadataILi2EEENS1_14UnaryOpFunctorIN3c107complexIfEELi2ELi1ELi1EEEJNS0_3LogIS8_EEEEEvT_T0_DpT1_
	.p2align	8
	.type	_ZN2at6native12_GLOBAL__N_125multi_tensor_apply_kernelINS1_18TensorListMetadataILi2EEENS1_14UnaryOpFunctorIN3c107complexIfEELi2ELi1ELi1EEEJNS0_3LogIS8_EEEEEvT_T0_DpT1_,@function
_ZN2at6native12_GLOBAL__N_125multi_tensor_apply_kernelINS1_18TensorListMetadataILi2EEENS1_14UnaryOpFunctorIN3c107complexIfEELi2ELi1ELi1EEEJNS0_3LogIS8_EEEEEvT_T0_DpT1_: ; @_ZN2at6native12_GLOBAL__N_125multi_tensor_apply_kernelINS1_18TensorListMetadataILi2EEENS1_14UnaryOpFunctorIN3c107complexIfEELi2ELi1ELi1EEEJNS0_3LogIS8_EEEEEvT_T0_DpT1_
; %bb.0:
	v_mov_b32_e32 v1, s6
	global_load_ubyte v1, v1, s[4:5] offset:1536
	s_add_u32 s0, s4, s6
	s_mul_hi_u32 s3, s6, 3
	s_mul_i32 s6, s6, 3
	s_addc_u32 s8, s5, 0
	s_add_u32 s2, s0, s6
	s_addc_u32 s3, s8, s3
	s_load_dword s2, s[2:3], 0x740
	s_mov_b32 s7, 0
	s_mov_b32 s1, s7
	s_waitcnt lgkmcnt(0)
	s_ashr_i32 s3, s2, 31
	s_lshl_b64 s[14:15], s[2:3], 19
	s_waitcnt vmcnt(0)
	v_readfirstlane_b32 s0, v1
	s_lshl_b32 s0, s0, 3
	s_load_dwordx2 s[8:9], s[4:5], s0 offset:0x0
	s_load_dwordx2 s[10:11], s[4:5], s0 offset:0x400
	s_load_dwordx2 s[12:13], s[4:5], s0 offset:0x200
	s_waitcnt lgkmcnt(0)
	s_add_u32 s33, s8, s14
	s_addc_u32 s36, s9, s15
	s_add_u32 s37, s12, s14
	s_addc_u32 s38, s13, s15
	s_and_b32 s0, s33, 31
	s_and_b32 s8, s10, 3
	s_mov_b32 s9, s7
	s_and_b32 s6, s37, 31
	s_or_b64 s[0:1], s[0:1], s[8:9]
	s_lshl_b64 s[2:3], s[2:3], 16
	s_or_b64 s[0:1], s[6:7], s[0:1]
	s_sub_u32 s12, s10, s2
	s_subb_u32 s13, s11, s3
	s_cmp_eq_u64 s[0:1], 0
	s_mov_b64 s[0:1], -1
	s_cbranch_scc0 .LBB169_141
; %bb.1:
	v_mov_b32_e32 v3, 0
	v_lshlrev_b32_e32 v2, 2, v0
	v_cmp_gt_i64_e32 vcc, s[12:13], v[2:3]
	s_and_saveexec_b64 s[8:9], vcc
	s_cbranch_execz .LBB169_140
; %bb.2:
	s_load_dword s0, s[4:5], 0xc5c
	v_mov_b32_e32 v1, v3
	s_mov_b32 s14, -1.0
	s_mov_b64 s[10:11], 0
	v_mov_b32_e32 v28, s36
	s_brev_b32 s6, -2
	s_waitcnt lgkmcnt(0)
	s_and_b32 s34, s0, 0xffff
	s_mov_b32 s35, 0x77f684df
	s_mov_b32 s15, 1.0
	s_mov_b32 s39, 0x358637bd
	s_mov_b32 s40, 0x49742400
	;; [unrolled: 1-line block ×3, first 2 shown]
	v_mov_b32_e32 v29, 0x3f2aaada
	s_mov_b32 s42, 0x3f317218
	s_mov_b32 s43, 0x7f800000
	;; [unrolled: 1-line block ×3, first 2 shown]
	v_mov_b32_e32 v30, 0x3d29fb3f
	v_mov_b32_e32 v31, 0xbd97d4d7
	;; [unrolled: 1-line block ×6, first 2 shown]
	s_movk_i32 s45, 0x204
	s_mov_b32 s46, 0x3f333333
	s_mov_b32 s47, 0x800000
	;; [unrolled: 1-line block ×5, first 2 shown]
	s_brev_b32 s51, 4
	s_mov_b64 s[16:17], 0xffff
	v_mov_b32_e32 v18, 0x3f317218
	v_mov_b32_e32 v36, 0x7fc00000
	;; [unrolled: 1-line block ×9, first 2 shown]
	v_pk_mov_b32 v[20:21], v[0:1], v[0:1] op_sel:[0,1]
	s_branch .LBB169_5
.LBB169_3:                              ;   in Loop: Header=BB169_5 Depth=1
	s_or_b64 exec, exec, s[2:3]
	v_cmp_gt_f32_e32 vcc, s47, v2
	v_cndmask_b32_e32 v4, 1.0, v41, vcc
	v_mul_f32_e32 v2, v2, v4
	v_log_f32_e32 v2, v2
	v_cndmask_b32_e32 v4, 0, v42, vcc
	v_mul_f32_e32 v11, 0x3f317217, v2
	v_fma_f32 v13, v2, s48, -v11
	v_fmac_f32_e32 v13, 0x3377d1cf, v2
	v_add_f32_e32 v11, v11, v13
	v_cmp_lt_f32_e64 vcc, |v2|, s43
	v_cndmask_b32_e32 v2, v2, v11, vcc
	v_sub_f32_e32 v16, v2, v4
	v_mov_b32_e32 v2, 0x7fc00000
.LBB169_4:                              ;   in Loop: Header=BB169_5 Depth=1
	s_or_b64 exec, exec, s[0:1]
	v_bfi_b32 v11, s6, v1, v7
	v_bfi_b32 v17, s6, v2, v5
	v_mov_b32_e32 v1, s38
	v_add_co_u32_e32 v2, vcc, s37, v22
	v_bfi_b32 v15, s6, v8, v3
	v_addc_co_u32_e32 v3, vcc, v1, v23, vcc
	v_mov_b32_e32 v1, s7
	v_add_co_u32_e32 v20, vcc, s34, v20
	v_addc_co_u32_e32 v21, vcc, v21, v1, vcc
	v_lshlrev_b64 v[4:5], 2, v[20:21]
	v_cmp_le_i64_e32 vcc, s[12:13], v[4:5]
	v_cmp_lt_u64_e64 s[0:1], s[16:17], v[4:5]
	s_or_b64 s[0:1], vcc, s[0:1]
	s_and_b64 s[0:1], exec, s[0:1]
	v_bfi_b32 v13, s6, v6, v9
	s_or_b64 s[10:11], s[0:1], s[10:11]
	global_store_dwordx4 v[2:3], v[10:13], off
	global_store_dwordx4 v[2:3], v[14:17], off offset:16
	s_andn2_b64 exec, exec, s[10:11]
	s_cbranch_execz .LBB169_140
.LBB169_5:                              ; =>This Loop Header: Depth=1
                                        ;     Child Loop BB169_16 Depth 2
                                        ;     Child Loop BB169_50 Depth 2
	;; [unrolled: 1-line block ×4, first 2 shown]
	v_lshlrev_b64 v[22:23], 5, v[20:21]
	v_add_co_u32_e32 v10, vcc, s33, v22
	v_addc_co_u32_e32 v11, vcc, v28, v23, vcc
	global_load_dwordx4 v[6:9], v[10:11], off
	global_load_dwordx4 v[2:5], v[10:11], off offset:16
                                        ; implicit-def: $vgpr10
                                        ; implicit-def: $vgpr1
	s_waitcnt vmcnt(1)
	v_cmp_o_f32_e32 vcc, v7, v6
	s_and_saveexec_b64 s[0:1], vcc
	s_xor_b64 s[18:19], exec, s[0:1]
	s_cbranch_execz .LBB169_33
; %bb.6:                                ;   in Loop: Header=BB169_5 Depth=1
	v_cmp_lt_f32_e64 s[0:1], |v6|, |v7|
	v_cndmask_b32_e64 v11, v7, v6, s[0:1]
	v_cmp_ngt_f32_e64 s[2:3], |v11|, s35
                                        ; implicit-def: $vgpr10
                                        ; implicit-def: $vgpr1
	s_and_saveexec_b64 s[20:21], s[2:3]
	s_xor_b64 s[20:21], exec, s[20:21]
	s_cbranch_execz .LBB169_30
; %bb.7:                                ;   in Loop: Header=BB169_5 Depth=1
	v_cndmask_b32_e64 v1, v6, v7, s[0:1]
	v_and_b32_e32 v13, 0x7fffffff, v1
	v_and_b32_e32 v12, 0x7fffffff, v11
	v_cmp_neq_f32_e32 vcc, 1.0, v13
                                        ; implicit-def: $vgpr10
                                        ; implicit-def: $vgpr1
	s_and_saveexec_b64 s[2:3], vcc
	s_xor_b64 s[22:23], exec, s[2:3]
	s_cbranch_execz .LBB169_23
; %bb.8:                                ;   in Loop: Header=BB169_5 Depth=1
	v_max_f32_e32 v1, v12, v12
	v_max_f32_e32 v10, v13, v13
	v_min_f32_e32 v11, v10, v1
	v_max_f32_e32 v1, v10, v1
	v_cmp_ngt_f32_e32 vcc, s39, v11
	v_cmp_nlt_f32_e64 s[2:3], s40, v1
	s_and_b64 s[2:3], s[2:3], vcc
                                        ; implicit-def: $vgpr10
                                        ; implicit-def: $vgpr1
	s_and_saveexec_b64 s[24:25], s[2:3]
	s_xor_b64 s[24:25], exec, s[24:25]
	s_cbranch_execz .LBB169_20
; %bb.9:                                ;   in Loop: Header=BB169_5 Depth=1
	v_cmp_le_f32_e32 vcc, 1.0, v13
                                        ; implicit-def: $vgpr10
                                        ; implicit-def: $vgpr1
	s_and_saveexec_b64 s[2:3], vcc
	s_xor_b64 s[26:27], exec, s[2:3]
	s_cbranch_execz .LBB169_11
; %bb.10:                               ;   in Loop: Header=BB169_5 Depth=1
	v_pk_add_f32 v[10:11], v[12:13], s[14:15] op_sel:[1,0]
	v_mov_b32_e32 v14, v11
	v_pk_mul_f32 v[10:11], v[10:11], v[14:15]
	v_pk_fma_f32 v[10:11], v[12:13], v[12:13], v[10:11]
	v_add_f32_e32 v13, 1.0, v10
	v_add_f32_e32 v11, -1.0, v13
	v_mov_b32_e32 v12, v11
	v_pk_add_f32 v[14:15], v[10:11], v[12:13] neg_lo:[0,1] neg_hi:[0,1]
	v_add_f32_e32 v1, 1.0, v15
	v_add_f32_e32 v1, v14, v1
	v_frexp_mant_f32_e32 v11, v13
	v_cvt_f64_f32_e32 v[14:15], v13
	v_frexp_exp_i32_f64_e32 v12, v[14:15]
	v_cmp_gt_f32_e32 vcc, s41, v11
	v_subbrev_co_u32_e32 v11, vcc, 0, v12, vcc
	v_sub_u32_e32 v12, 0, v11
	v_ldexp_f32 v13, v13, v12
	v_ldexp_f32 v1, v1, v12
	v_add_f32_e32 v12, -1.0, v13
	v_add_f32_e32 v15, 1.0, v13
	v_add_f32_e32 v14, 1.0, v12
	v_add_f32_e32 v16, -1.0, v15
	v_sub_f32_e32 v14, v13, v14
	v_sub_f32_e32 v13, v13, v16
	v_add_f32_e32 v14, v1, v14
	v_add_f32_e32 v1, v1, v13
	;; [unrolled: 1-line block ×3, first 2 shown]
	v_rcp_f32_e32 v26, v19
	v_sub_f32_e32 v13, v19, v15
	v_sub_f32_e32 v1, v1, v13
	v_add_f32_e32 v13, v12, v14
	v_sub_f32_e32 v12, v13, v12
	v_mul_f32_e32 v44, v13, v26
	v_sub_f32_e32 v27, v14, v12
	v_mul_f32_e32 v14, v19, v44
	v_fma_f32 v16, v44, v19, -v14
	v_fmac_f32_e32 v16, v44, v1
	v_add_f32_e32 v12, v14, v16
	v_sub_f32_e32 v15, v13, v12
	v_pk_add_f32 v[24:25], v[12:13], v[14:15] neg_lo:[0,1] neg_hi:[0,1]
	v_mov_b32_e32 v17, v12
	v_pk_add_f32 v[12:13], v[24:25], v[16:17] neg_lo:[0,1] neg_hi:[0,1]
	v_add_f32_e32 v13, v27, v13
	v_add_f32_e32 v12, v12, v13
	;; [unrolled: 1-line block ×3, first 2 shown]
	v_mul_f32_e32 v27, v26, v13
	v_mul_f32_e32 v14, v19, v27
	v_fma_f32 v16, v27, v19, -v14
	v_fmac_f32_e32 v16, v27, v1
	v_sub_f32_e32 v1, v15, v13
	v_add_f32_e32 v1, v12, v1
	v_add_f32_e32 v12, v14, v16
	v_sub_f32_e32 v15, v13, v12
	v_pk_add_f32 v[24:25], v[12:13], v[14:15] neg_lo:[0,1] neg_hi:[0,1]
	v_mov_b32_e32 v17, v12
	v_pk_add_f32 v[12:13], v[24:25], v[16:17] neg_lo:[0,1] neg_hi:[0,1]
	v_add_f32_e32 v1, v1, v13
	v_add_f32_e32 v1, v12, v1
	;; [unrolled: 1-line block ×4, first 2 shown]
	v_sub_f32_e32 v12, v13, v44
	v_mul_f32_e32 v1, v26, v1
	v_sub_f32_e32 v12, v27, v12
	v_add_f32_e32 v1, v12, v1
	v_add_f32_e32 v14, v13, v1
	v_mul_f32_e32 v16, v14, v14
	v_mov_b32_e32 v12, 0x3ecc95a3
	v_fmac_f32_e32 v12, 0x3e9b6dac, v16
	v_fma_f32 v19, v16, v12, v29
	v_cvt_f32_i32_e32 v12, v11
	v_sub_f32_e32 v11, v14, v13
	v_mul_f32_e32 v13, v14, v16
	v_ldexp_f32 v15, v14, 1
	v_pk_mul_f32 v[16:17], v[12:13], v[18:19]
	v_fma_f32 v14, v12, s42, -v16
	v_fmac_f32_e32 v14, 0xb102e308, v12
	v_pk_add_f32 v[12:13], v[16:17], v[14:15]
	v_sub_f32_e32 v1, v1, v11
	v_sub_f32_e32 v11, v13, v15
	v_ldexp_f32 v1, v1, 1
	v_sub_f32_e32 v11, v17, v11
	v_add_f32_e32 v25, v1, v11
	v_mov_b32_e32 v24, v16
	v_pk_add_f32 v[16:17], v[12:13], v[16:17] neg_lo:[0,1] neg_hi:[0,1]
	v_pk_add_f32 v[26:27], v[12:13], v[24:25]
	v_mov_b32_e32 v17, v27
	v_mov_b32_e32 v15, v12
	v_pk_add_f32 v[44:45], v[14:15], v[16:17] neg_lo:[0,1] neg_hi:[0,1]
	v_pk_add_f32 v[14:15], v[14:15], v[16:17]
	v_mov_b32_e32 v16, v15
	v_pk_add_f32 v[46:47], v[16:17], v[12:13] neg_lo:[0,1] neg_hi:[0,1]
	v_mov_b32_e32 v1, v46
	v_pk_add_f32 v[48:49], v[26:27], v[0:1] neg_lo:[0,1] neg_hi:[0,1]
	v_mov_b32_e32 v14, v27
	v_mov_b32_e32 v26, v13
	;; [unrolled: 1-line block ×4, first 2 shown]
	v_pk_add_f32 v[14:15], v[14:15], v[26:27] neg_lo:[0,1] neg_hi:[0,1]
	v_mov_b32_e32 v24, v25
	v_mov_b32_e32 v25, v12
	v_pk_add_f32 v[12:13], v[24:25], v[14:15] neg_lo:[0,1] neg_hi:[0,1]
	v_mov_b32_e32 v48, v44
	v_pk_add_f32 v[14:15], v[48:49], v[12:13]
	v_mov_b32_e32 v24, v15
	v_pk_add_f32 v[24:25], v[14:15], v[24:25]
	v_pk_add_f32 v[16:17], v[16:17], v[24:25]
	v_mov_b32_e32 v15, v16
	v_pk_add_f32 v[26:27], v[14:15], v[44:45] neg_lo:[0,1] neg_hi:[0,1]
	v_mov_b32_e32 v13, v24
	v_sub_f32_e32 v1, v14, v26
	v_pk_add_f32 v[12:13], v[12:13], v[26:27] neg_lo:[0,1] neg_hi:[0,1]
	v_sub_f32_e32 v1, v44, v1
	v_add_f32_e32 v1, v12, v1
	v_add_f32_e32 v1, v1, v13
	;; [unrolled: 1-line block ×3, first 2 shown]
	v_cmp_eq_f32_e32 vcc, s43, v10
	v_cndmask_b32_e32 v1, v1, v10, vcc
	v_cmp_ngt_f32_e32 vcc, -1.0, v10
	v_cndmask_b32_e32 v1, v36, v1, vcc
	v_cmp_neq_f32_e32 vcc, -1.0, v10
	v_cndmask_b32_e32 v1, v37, v1, vcc
	v_cmp_lt_f32_e64 vcc, |v10|, s44
	v_cndmask_b32_e32 v1, v1, v10, vcc
	v_mul_f32_e32 v10, 0.5, v1
	v_max_f32_e64 v1, |v7|, |v7|
	v_max_f32_e64 v11, |v6|, |v6|
	v_min_f32_e32 v12, v11, v1
	v_max_f32_e32 v1, v11, v1
	v_frexp_mant_f32_e32 v11, v1
	v_rcp_f32_e32 v11, v11
	v_frexp_exp_i32_f32_e32 v1, v1
	v_frexp_exp_i32_f32_e32 v13, v12
	v_frexp_mant_f32_e32 v12, v12
	v_mul_f32_e32 v11, v12, v11
	v_sub_u32_e32 v1, v13, v1
	v_ldexp_f32 v1, v11, v1
	v_mul_f32_e32 v11, v1, v1
	v_mov_b32_e32 v12, 0xbc7a590c
	v_fmac_f32_e32 v12, 0x3b2d2a58, v11
	v_fma_f32 v12, v11, v12, v30
	v_fma_f32 v12, v11, v12, v31
	;; [unrolled: 1-line block ×6, first 2 shown]
	v_mul_f32_e32 v11, v11, v12
	v_fmac_f32_e32 v1, v1, v11
	v_sub_f32_e32 v11, 0x3fc90fdb, v1
	v_cndmask_b32_e64 v1, v1, v11, s[0:1]
	v_sub_f32_e32 v11, 0x40490fdb, v1
	v_cmp_gt_f32_e32 vcc, 0, v6
	v_cmp_gt_i32_e64 s[2:3], 0, v6
	v_cndmask_b32_e32 v1, v1, v11, vcc
	v_cndmask_b32_e64 v11, 0, v38, s[2:3]
	v_cmp_eq_f32_e64 s[2:3], 0, v7
	v_cndmask_b32_e64 v1, v1, v11, s[2:3]
	v_cmp_class_f32_e64 s[2:3], v6, s45
	v_cmp_class_f32_e64 s[28:29], v7, s45
	v_cndmask_b32_e32 v11, v39, v40, vcc
	s_and_b64 vcc, s[2:3], s[28:29]
	v_cndmask_b32_e32 v1, v1, v11, vcc
                                        ; implicit-def: $vgpr12_vgpr13
.LBB169_11:                             ;   in Loop: Header=BB169_5 Depth=1
	s_andn2_saveexec_b64 s[26:27], s[26:27]
	s_cbranch_execz .LBB169_19
; %bb.12:                               ;   in Loop: Header=BB169_5 Depth=1
	v_pk_mul_f32 v[10:11], v[12:13], v[12:13]
	v_add_f32_e32 v11, v11, v10
	v_cmp_ge_f32_e32 vcc, s46, v11
                                        ; implicit-def: $vgpr10
                                        ; implicit-def: $vgpr1
	s_and_saveexec_b64 s[2:3], vcc
	s_xor_b64 s[28:29], exec, s[2:3]
	s_cbranch_execz .LBB169_14
; %bb.13:                               ;   in Loop: Header=BB169_5 Depth=1
	v_cmp_gt_f32_e32 vcc, s47, v11
	v_cndmask_b32_e32 v1, 1.0, v41, vcc
	v_mul_f32_e32 v1, v11, v1
	v_log_f32_e32 v1, v1
	v_cndmask_b32_e32 v10, 0, v42, vcc
	v_cmp_gt_i32_e64 s[2:3], 0, v6
	v_cmp_class_f32_e64 s[30:31], v7, s45
	v_mul_f32_e32 v11, 0x3f317217, v1
	v_fma_f32 v12, v1, s48, -v11
	v_fmac_f32_e32 v12, 0x3377d1cf, v1
	v_add_f32_e32 v11, v11, v12
	v_cmp_lt_f32_e64 vcc, |v1|, s43
	v_cndmask_b32_e32 v1, v1, v11, vcc
	v_sub_f32_e32 v1, v1, v10
	v_mul_f32_e32 v10, 0.5, v1
	v_max_f32_e64 v1, |v7|, |v7|
	v_max_f32_e64 v11, |v6|, |v6|
	v_min_f32_e32 v12, v11, v1
	v_max_f32_e32 v1, v11, v1
	v_frexp_mant_f32_e32 v11, v1
	v_rcp_f32_e32 v11, v11
	v_frexp_exp_i32_f32_e32 v1, v1
	v_frexp_exp_i32_f32_e32 v13, v12
	v_frexp_mant_f32_e32 v12, v12
	v_mul_f32_e32 v11, v12, v11
	v_sub_u32_e32 v1, v13, v1
	v_ldexp_f32 v1, v11, v1
	v_mul_f32_e32 v11, v1, v1
	v_mov_b32_e32 v12, 0xbc7a590c
	v_fmac_f32_e32 v12, 0x3b2d2a58, v11
	v_fma_f32 v12, v11, v12, v30
	v_fma_f32 v12, v11, v12, v31
	;; [unrolled: 1-line block ×6, first 2 shown]
	v_mul_f32_e32 v11, v11, v12
	v_fmac_f32_e32 v1, v1, v11
	v_sub_f32_e32 v11, 0x3fc90fdb, v1
	v_cndmask_b32_e64 v1, v1, v11, s[0:1]
	v_sub_f32_e32 v11, 0x40490fdb, v1
	v_cmp_gt_f32_e32 vcc, 0, v6
	v_cndmask_b32_e32 v1, v1, v11, vcc
	v_cndmask_b32_e64 v11, 0, v38, s[2:3]
	v_cmp_eq_f32_e64 s[2:3], 0, v7
	v_cndmask_b32_e64 v1, v1, v11, s[2:3]
	v_cmp_class_f32_e64 s[2:3], v6, s45
	v_cndmask_b32_e32 v11, v39, v40, vcc
	s_and_b64 vcc, s[2:3], s[30:31]
	v_cndmask_b32_e32 v1, v1, v11, vcc
                                        ; implicit-def: $vgpr12_vgpr13
.LBB169_14:                             ;   in Loop: Header=BB169_5 Depth=1
	s_andn2_saveexec_b64 s[28:29], s[28:29]
	s_cbranch_execz .LBB169_18
; %bb.15:                               ;   in Loop: Header=BB169_5 Depth=1
	v_and_b32_e32 v15, 0x7fff0000, v12
	v_and_b32_e32 v14, 0x7fff0000, v13
	v_pk_add_f32 v[10:11], v[12:13], v[14:15] op_sel:[1,0] op_sel_hi:[0,1] neg_lo:[0,1] neg_hi:[0,1]
	v_and_b32_e32 v25, 0xffff0000, v11
	v_and_b32_e32 v24, 0xffff0000, v10
	v_pk_add_f32 v[26:27], v[10:11], v[24:25] neg_lo:[0,1] neg_hi:[0,1]
	v_pk_mul_f32 v[10:11], v[14:15], v[14:15]
	v_add_f32_e32 v14, v14, v14
	v_mul_f32_e32 v16, v14, v24
	v_mul_f32_e32 v19, v14, v26
	v_add_f32_e32 v14, v24, v24
	v_add_f32_e32 v15, v15, v15
	v_pk_mul_f32 v[12:13], v[24:25], v[24:25]
	v_mul_f32_e32 v24, v14, v26
	v_add_f32_e32 v14, v25, v25
	v_mul_f32_e32 v1, v15, v25
	v_mul_f32_e32 v17, v15, v27
	;; [unrolled: 1-line block ×3, first 2 shown]
	v_pk_mul_f32 v[14:15], v[26:27], v[26:27]
	s_mov_b64 s[30:31], 0
.LBB169_16:                             ;   Parent Loop BB169_5 Depth=1
                                        ; =>  This Inner Loop Header: Depth=2
	v_cmp_nlt_f32_e32 vcc, v10, v11
	v_cndmask_b32_e32 v26, v10, v11, vcc
	v_cmp_nlt_f32_e64 s[2:3], v26, v16
	v_cndmask_b32_e64 v27, v26, v16, s[2:3]
	v_cndmask_b32_e32 v10, v11, v10, vcc
	s_and_b64 s[52:53], vcc, s[2:3]
	v_cmp_nlt_f32_e32 vcc, v27, v1
	v_cndmask_b32_e64 v11, v16, v26, s[2:3]
	v_cndmask_b32_e32 v26, v27, v1, vcc
	v_cmp_nlt_f32_e64 s[2:3], v26, v12
	v_cndmask_b32_e32 v16, v1, v27, vcc
	v_cndmask_b32_e64 v27, v26, v12, s[2:3]
	s_and_b64 s[54:55], vcc, s[2:3]
	v_cmp_nlt_f32_e32 vcc, v27, v13
	v_cndmask_b32_e64 v1, v12, v26, s[2:3]
	v_cndmask_b32_e32 v26, v27, v13, vcc
	v_cmp_nlt_f32_e64 s[2:3], v26, v19
	v_cndmask_b32_e32 v12, v13, v27, vcc
	v_cndmask_b32_e64 v27, v26, v19, s[2:3]
	v_cndmask_b32_e64 v13, v19, v26, s[2:3]
	s_and_b64 s[2:3], vcc, s[2:3]
	v_cmp_nlt_f32_e32 vcc, v27, v17
	v_cndmask_b32_e32 v26, v27, v17, vcc
	v_cndmask_b32_e32 v19, v17, v27, vcc
	s_and_b64 s[2:3], s[2:3], vcc
	v_cmp_nlt_f32_e32 vcc, v26, v24
	v_cndmask_b32_e32 v27, v26, v24, vcc
	v_cndmask_b32_e32 v17, v24, v26, vcc
	s_and_b64 s[2:3], s[2:3], vcc
	;; [unrolled: 4-line block ×4, first 2 shown]
	v_cmp_nlt_f32_e32 vcc, v27, v15
	s_and_b64 s[2:3], s[2:3], vcc
	s_and_b64 s[2:3], s[2:3], s[54:55]
	s_and_b64 s[2:3], s[2:3], s[52:53]
	s_and_b64 s[2:3], exec, s[2:3]
	v_cndmask_b32_e32 v14, v15, v27, vcc
	s_or_b64 s[30:31], s[2:3], s[30:31]
	v_cndmask_b32_e32 v15, v27, v15, vcc
	s_andn2_b64 exec, exec, s[30:31]
	s_cbranch_execnz .LBB169_16
; %bb.17:                               ;   in Loop: Header=BB169_5 Depth=1
	s_or_b64 exec, exec, s[30:31]
	v_add_f32_e32 v10, -1.0, v10
	v_add_f32_e32 v10, v10, v11
	v_add_f32_e32 v10, v10, v16
	;; [unrolled: 1-line block ×11, first 2 shown]
	v_add_f32_e32 v13, 1.0, v10
	v_add_f32_e32 v11, -1.0, v13
	v_mov_b32_e32 v12, v11
	v_pk_add_f32 v[14:15], v[10:11], v[12:13] neg_lo:[0,1] neg_hi:[0,1]
	v_add_f32_e32 v1, 1.0, v15
	v_add_f32_e32 v1, v14, v1
	v_frexp_mant_f32_e32 v11, v13
	v_cvt_f64_f32_e32 v[14:15], v13
	v_frexp_exp_i32_f64_e32 v12, v[14:15]
	v_cmp_gt_f32_e32 vcc, s41, v11
	v_subbrev_co_u32_e32 v11, vcc, 0, v12, vcc
	v_sub_u32_e32 v12, 0, v11
	v_ldexp_f32 v13, v13, v12
	v_ldexp_f32 v1, v1, v12
	v_add_f32_e32 v12, -1.0, v13
	v_add_f32_e32 v15, 1.0, v13
	v_add_f32_e32 v14, 1.0, v12
	v_add_f32_e32 v16, -1.0, v15
	v_sub_f32_e32 v14, v13, v14
	v_sub_f32_e32 v13, v13, v16
	v_add_f32_e32 v14, v1, v14
	v_add_f32_e32 v1, v1, v13
	;; [unrolled: 1-line block ×3, first 2 shown]
	v_rcp_f32_e32 v26, v19
	v_sub_f32_e32 v13, v19, v15
	v_sub_f32_e32 v1, v1, v13
	v_add_f32_e32 v13, v12, v14
	v_sub_f32_e32 v12, v13, v12
	v_mul_f32_e32 v44, v13, v26
	v_sub_f32_e32 v27, v14, v12
	v_mul_f32_e32 v14, v19, v44
	v_fma_f32 v16, v44, v19, -v14
	v_fmac_f32_e32 v16, v44, v1
	v_add_f32_e32 v12, v14, v16
	v_sub_f32_e32 v15, v13, v12
	v_pk_add_f32 v[24:25], v[12:13], v[14:15] neg_lo:[0,1] neg_hi:[0,1]
	v_mov_b32_e32 v17, v12
	v_pk_add_f32 v[12:13], v[24:25], v[16:17] neg_lo:[0,1] neg_hi:[0,1]
	v_add_f32_e32 v13, v27, v13
	v_add_f32_e32 v12, v12, v13
	;; [unrolled: 1-line block ×3, first 2 shown]
	v_mul_f32_e32 v27, v26, v13
	v_mul_f32_e32 v14, v19, v27
	v_fma_f32 v16, v27, v19, -v14
	v_fmac_f32_e32 v16, v27, v1
	v_sub_f32_e32 v1, v15, v13
	v_add_f32_e32 v1, v12, v1
	v_add_f32_e32 v12, v14, v16
	v_sub_f32_e32 v15, v13, v12
	v_pk_add_f32 v[24:25], v[12:13], v[14:15] neg_lo:[0,1] neg_hi:[0,1]
	v_mov_b32_e32 v17, v12
	v_pk_add_f32 v[12:13], v[24:25], v[16:17] neg_lo:[0,1] neg_hi:[0,1]
	v_add_f32_e32 v1, v1, v13
	v_add_f32_e32 v1, v12, v1
	;; [unrolled: 1-line block ×4, first 2 shown]
	v_sub_f32_e32 v12, v13, v44
	v_mul_f32_e32 v1, v26, v1
	v_sub_f32_e32 v12, v27, v12
	v_add_f32_e32 v1, v12, v1
	v_add_f32_e32 v14, v13, v1
	v_mul_f32_e32 v16, v14, v14
	v_mov_b32_e32 v12, 0x3ecc95a3
	v_fmac_f32_e32 v12, 0x3e9b6dac, v16
	v_fma_f32 v19, v16, v12, v29
	v_cvt_f32_i32_e32 v12, v11
	v_sub_f32_e32 v11, v14, v13
	v_mul_f32_e32 v13, v14, v16
	v_ldexp_f32 v15, v14, 1
	v_pk_mul_f32 v[16:17], v[12:13], v[18:19]
	v_fma_f32 v14, v12, s42, -v16
	v_fmac_f32_e32 v14, 0xb102e308, v12
	v_pk_add_f32 v[12:13], v[16:17], v[14:15]
	v_sub_f32_e32 v1, v1, v11
	v_sub_f32_e32 v11, v13, v15
	v_ldexp_f32 v1, v1, 1
	v_sub_f32_e32 v11, v17, v11
	v_add_f32_e32 v25, v1, v11
	v_mov_b32_e32 v24, v16
	v_pk_add_f32 v[16:17], v[12:13], v[16:17] neg_lo:[0,1] neg_hi:[0,1]
	v_pk_add_f32 v[26:27], v[12:13], v[24:25]
	v_mov_b32_e32 v17, v27
	v_mov_b32_e32 v15, v12
	v_pk_add_f32 v[44:45], v[14:15], v[16:17] neg_lo:[0,1] neg_hi:[0,1]
	v_pk_add_f32 v[14:15], v[14:15], v[16:17]
	v_mov_b32_e32 v16, v15
	v_pk_add_f32 v[46:47], v[16:17], v[12:13] neg_lo:[0,1] neg_hi:[0,1]
	v_mov_b32_e32 v1, v46
	v_pk_add_f32 v[48:49], v[26:27], v[0:1] neg_lo:[0,1] neg_hi:[0,1]
	v_mov_b32_e32 v14, v27
	v_mov_b32_e32 v26, v13
	;; [unrolled: 1-line block ×4, first 2 shown]
	v_pk_add_f32 v[14:15], v[14:15], v[26:27] neg_lo:[0,1] neg_hi:[0,1]
	v_mov_b32_e32 v24, v25
	v_mov_b32_e32 v25, v12
	v_pk_add_f32 v[12:13], v[24:25], v[14:15] neg_lo:[0,1] neg_hi:[0,1]
	v_mov_b32_e32 v48, v44
	v_pk_add_f32 v[14:15], v[48:49], v[12:13]
	v_mov_b32_e32 v24, v15
	v_pk_add_f32 v[24:25], v[14:15], v[24:25]
	v_pk_add_f32 v[16:17], v[16:17], v[24:25]
	v_mov_b32_e32 v15, v16
	v_pk_add_f32 v[26:27], v[14:15], v[44:45] neg_lo:[0,1] neg_hi:[0,1]
	v_mov_b32_e32 v13, v24
	v_sub_f32_e32 v1, v14, v26
	v_pk_add_f32 v[12:13], v[12:13], v[26:27] neg_lo:[0,1] neg_hi:[0,1]
	v_sub_f32_e32 v1, v44, v1
	v_add_f32_e32 v1, v12, v1
	v_add_f32_e32 v1, v1, v13
	;; [unrolled: 1-line block ×3, first 2 shown]
	v_cmp_eq_f32_e32 vcc, s43, v10
	v_cndmask_b32_e32 v1, v1, v10, vcc
	v_cmp_ngt_f32_e32 vcc, -1.0, v10
	v_cndmask_b32_e32 v1, v36, v1, vcc
	v_cmp_neq_f32_e32 vcc, -1.0, v10
	v_cndmask_b32_e32 v1, v37, v1, vcc
	v_cmp_lt_f32_e64 vcc, |v10|, s44
	v_cndmask_b32_e32 v1, v1, v10, vcc
	v_mul_f32_e32 v10, 0.5, v1
	v_max_f32_e64 v1, |v7|, |v7|
	v_max_f32_e64 v11, |v6|, |v6|
	v_min_f32_e32 v12, v11, v1
	v_max_f32_e32 v1, v11, v1
	v_frexp_mant_f32_e32 v11, v1
	v_rcp_f32_e32 v11, v11
	v_frexp_exp_i32_f32_e32 v1, v1
	v_frexp_exp_i32_f32_e32 v13, v12
	v_frexp_mant_f32_e32 v12, v12
	v_mul_f32_e32 v11, v12, v11
	v_sub_u32_e32 v1, v13, v1
	v_ldexp_f32 v1, v11, v1
	v_mul_f32_e32 v11, v1, v1
	v_mov_b32_e32 v12, 0xbc7a590c
	v_fmac_f32_e32 v12, 0x3b2d2a58, v11
	v_fma_f32 v12, v11, v12, v30
	v_fma_f32 v12, v11, v12, v31
	;; [unrolled: 1-line block ×6, first 2 shown]
	v_mul_f32_e32 v11, v11, v12
	v_fmac_f32_e32 v1, v1, v11
	v_sub_f32_e32 v11, 0x3fc90fdb, v1
	v_cndmask_b32_e64 v1, v1, v11, s[0:1]
	v_sub_f32_e32 v11, 0x40490fdb, v1
	v_cmp_gt_f32_e32 vcc, 0, v6
	v_cmp_gt_i32_e64 s[2:3], 0, v6
	v_cndmask_b32_e32 v1, v1, v11, vcc
	v_cndmask_b32_e64 v11, 0, v38, s[2:3]
	v_cmp_eq_f32_e64 s[2:3], 0, v7
	v_cndmask_b32_e64 v1, v1, v11, s[2:3]
	v_cmp_class_f32_e64 s[2:3], v6, s45
	v_cmp_class_f32_e64 s[30:31], v7, s45
	v_cndmask_b32_e32 v11, v39, v40, vcc
	s_and_b64 vcc, s[2:3], s[30:31]
	v_cndmask_b32_e32 v1, v1, v11, vcc
.LBB169_18:                             ;   in Loop: Header=BB169_5 Depth=1
	s_or_b64 exec, exec, s[28:29]
.LBB169_19:                             ;   in Loop: Header=BB169_5 Depth=1
	s_or_b64 exec, exec, s[26:27]
.LBB169_20:                             ;   in Loop: Header=BB169_5 Depth=1
	s_andn2_saveexec_b64 s[24:25], s[24:25]
	s_cbranch_execz .LBB169_22
; %bb.21:                               ;   in Loop: Header=BB169_5 Depth=1
	v_max_f32_e64 v1, |v7|, |v7|
	v_max_f32_e64 v12, |v6|, |v6|
	v_max_f32_e32 v13, v12, v1
	v_cvt_f64_f32_e32 v[10:11], v13
	v_frexp_exp_i32_f64_e32 v10, v[10:11]
	v_sub_u32_e32 v11, 0, v10
	v_ldexp_f32 v14, |v6|, v11
	v_ldexp_f32 v11, |v7|, v11
	v_mul_f32_e32 v11, v11, v11
	v_fmac_f32_e32 v11, v14, v14
	v_sqrt_f32_e32 v11, v11
	v_cmp_neq_f32_e32 vcc, s43, v13
	v_min_f32_e32 v1, v12, v1
	v_frexp_exp_i32_f32_e32 v12, v13
	v_ldexp_f32 v10, v11, v10
	v_cndmask_b32_e32 v10, v43, v10, vcc
	v_cmp_gt_f32_e32 vcc, s47, v10
	v_cndmask_b32_e32 v11, 1.0, v41, vcc
	v_mul_f32_e32 v10, v10, v11
	v_log_f32_e32 v10, v10
	v_cndmask_b32_e32 v11, 0, v42, vcc
	v_cmp_gt_i32_e64 s[2:3], 0, v6
	v_cmp_class_f32_e64 s[26:27], v7, s45
	v_mul_f32_e32 v14, 0x3f317217, v10
	v_fma_f32 v15, v10, s48, -v14
	v_fmac_f32_e32 v15, 0x3377d1cf, v10
	v_add_f32_e32 v14, v14, v15
	v_cmp_lt_f32_e64 vcc, |v10|, s43
	v_cndmask_b32_e32 v10, v10, v14, vcc
	v_sub_f32_e32 v10, v10, v11
	v_frexp_mant_f32_e32 v11, v13
	v_rcp_f32_e32 v11, v11
	v_frexp_exp_i32_f32_e32 v13, v1
	v_frexp_mant_f32_e32 v1, v1
	v_cmp_gt_f32_e32 vcc, 0, v6
	v_mul_f32_e32 v1, v1, v11
	v_sub_u32_e32 v11, v13, v12
	v_ldexp_f32 v1, v1, v11
	v_mul_f32_e32 v11, v1, v1
	v_mov_b32_e32 v12, 0xbc7a590c
	v_fmac_f32_e32 v12, 0x3b2d2a58, v11
	v_fma_f32 v12, v11, v12, v30
	v_fma_f32 v12, v11, v12, v31
	;; [unrolled: 1-line block ×6, first 2 shown]
	v_mul_f32_e32 v11, v11, v12
	v_fmac_f32_e32 v1, v1, v11
	v_sub_f32_e32 v11, 0x3fc90fdb, v1
	v_cndmask_b32_e64 v1, v1, v11, s[0:1]
	v_sub_f32_e32 v11, 0x40490fdb, v1
	v_cndmask_b32_e32 v1, v1, v11, vcc
	v_cndmask_b32_e64 v11, 0, v38, s[2:3]
	v_cmp_eq_f32_e64 s[2:3], 0, v7
	v_cndmask_b32_e64 v1, v1, v11, s[2:3]
	v_cmp_class_f32_e64 s[2:3], v6, s45
	v_cndmask_b32_e32 v11, v39, v40, vcc
	s_and_b64 vcc, s[2:3], s[26:27]
	v_cndmask_b32_e32 v1, v1, v11, vcc
.LBB169_22:                             ;   in Loop: Header=BB169_5 Depth=1
	s_or_b64 exec, exec, s[24:25]
                                        ; implicit-def: $vgpr12
.LBB169_23:                             ;   in Loop: Header=BB169_5 Depth=1
	s_andn2_saveexec_b64 s[22:23], s[22:23]
	s_cbranch_execz .LBB169_29
; %bb.24:                               ;   in Loop: Header=BB169_5 Depth=1
	v_cmp_ngt_f32_e32 vcc, s49, v12
                                        ; implicit-def: $vgpr10
                                        ; implicit-def: $vgpr1
	s_and_saveexec_b64 s[2:3], vcc
	s_xor_b64 s[24:25], exec, s[2:3]
	s_cbranch_execz .LBB169_26
; %bb.25:                               ;   in Loop: Header=BB169_5 Depth=1
	v_pk_mul_f32 v[10:11], v[12:13], v[12:13]
	v_add_f32_e32 v13, 1.0, v10
	v_add_f32_e32 v11, -1.0, v13
	v_mov_b32_e32 v12, v11
	v_pk_add_f32 v[14:15], v[10:11], v[12:13] neg_lo:[0,1] neg_hi:[0,1]
	v_add_f32_e32 v1, 1.0, v15
	v_add_f32_e32 v1, v14, v1
	v_frexp_mant_f32_e32 v11, v13
	v_cvt_f64_f32_e32 v[14:15], v13
	v_frexp_exp_i32_f64_e32 v12, v[14:15]
	v_cmp_gt_f32_e32 vcc, s41, v11
	v_subbrev_co_u32_e32 v11, vcc, 0, v12, vcc
	v_sub_u32_e32 v12, 0, v11
	v_ldexp_f32 v13, v13, v12
	v_ldexp_f32 v1, v1, v12
	v_add_f32_e32 v12, -1.0, v13
	v_add_f32_e32 v15, 1.0, v13
	v_add_f32_e32 v14, 1.0, v12
	v_add_f32_e32 v16, -1.0, v15
	v_sub_f32_e32 v14, v13, v14
	v_sub_f32_e32 v13, v13, v16
	v_add_f32_e32 v14, v1, v14
	v_add_f32_e32 v1, v1, v13
	;; [unrolled: 1-line block ×3, first 2 shown]
	v_rcp_f32_e32 v26, v19
	v_sub_f32_e32 v13, v15, v19
	v_add_f32_e32 v1, v1, v13
	v_add_f32_e32 v13, v12, v14
	v_sub_f32_e32 v12, v12, v13
	v_mul_f32_e32 v44, v13, v26
	v_add_f32_e32 v27, v14, v12
	v_mul_f32_e32 v14, v19, v44
	v_fma_f32 v16, v44, v19, -v14
	v_fmac_f32_e32 v16, v44, v1
	v_add_f32_e32 v12, v14, v16
	v_sub_f32_e32 v15, v13, v12
	v_pk_add_f32 v[24:25], v[12:13], v[14:15] neg_lo:[0,1] neg_hi:[0,1]
	v_mov_b32_e32 v17, v12
	v_pk_add_f32 v[12:13], v[24:25], v[16:17] neg_lo:[0,1] neg_hi:[0,1]
	v_add_f32_e32 v13, v27, v13
	v_add_f32_e32 v12, v12, v13
	;; [unrolled: 1-line block ×3, first 2 shown]
	v_mul_f32_e32 v27, v26, v13
	v_mul_f32_e32 v14, v19, v27
	v_fma_f32 v16, v27, v19, -v14
	v_fmac_f32_e32 v16, v27, v1
	v_sub_f32_e32 v1, v15, v13
	v_add_f32_e32 v1, v12, v1
	v_add_f32_e32 v12, v14, v16
	v_sub_f32_e32 v15, v13, v12
	v_pk_add_f32 v[24:25], v[12:13], v[14:15] neg_lo:[0,1] neg_hi:[0,1]
	v_mov_b32_e32 v17, v12
	v_pk_add_f32 v[12:13], v[24:25], v[16:17] neg_lo:[0,1] neg_hi:[0,1]
	v_add_f32_e32 v1, v1, v13
	v_add_f32_e32 v1, v12, v1
	;; [unrolled: 1-line block ×4, first 2 shown]
	v_sub_f32_e32 v12, v13, v44
	v_mul_f32_e32 v1, v26, v1
	v_sub_f32_e32 v12, v27, v12
	v_add_f32_e32 v1, v12, v1
	v_add_f32_e32 v14, v13, v1
	v_mul_f32_e32 v16, v14, v14
	v_mov_b32_e32 v12, 0x3ecc95a3
	v_fmac_f32_e32 v12, 0x3e9b6dac, v16
	v_fma_f32 v19, v16, v12, v29
	v_cvt_f32_i32_e32 v12, v11
	v_sub_f32_e32 v11, v14, v13
	v_mul_f32_e32 v13, v14, v16
	v_ldexp_f32 v15, v14, 1
	v_pk_mul_f32 v[16:17], v[12:13], v[18:19]
	v_fma_f32 v14, v12, s42, -v16
	v_fmac_f32_e32 v14, 0xb102e308, v12
	v_pk_add_f32 v[12:13], v[16:17], v[14:15]
	v_sub_f32_e32 v1, v1, v11
	v_sub_f32_e32 v11, v13, v15
	v_ldexp_f32 v1, v1, 1
	v_sub_f32_e32 v11, v17, v11
	v_add_f32_e32 v25, v1, v11
	v_mov_b32_e32 v24, v16
	v_pk_add_f32 v[16:17], v[12:13], v[16:17] neg_lo:[0,1] neg_hi:[0,1]
	v_pk_add_f32 v[26:27], v[12:13], v[24:25]
	v_mov_b32_e32 v17, v27
	v_mov_b32_e32 v15, v12
	v_pk_add_f32 v[44:45], v[14:15], v[16:17] neg_lo:[0,1] neg_hi:[0,1]
	v_pk_add_f32 v[14:15], v[14:15], v[16:17]
	v_mov_b32_e32 v16, v15
	v_pk_add_f32 v[46:47], v[16:17], v[12:13] neg_lo:[0,1] neg_hi:[0,1]
	v_mov_b32_e32 v1, v46
	v_pk_add_f32 v[48:49], v[26:27], v[0:1] neg_lo:[0,1] neg_hi:[0,1]
	v_mov_b32_e32 v14, v27
	v_mov_b32_e32 v26, v13
	;; [unrolled: 1-line block ×4, first 2 shown]
	v_pk_add_f32 v[14:15], v[14:15], v[26:27] neg_lo:[0,1] neg_hi:[0,1]
	v_mov_b32_e32 v24, v25
	v_mov_b32_e32 v25, v12
	v_pk_add_f32 v[12:13], v[24:25], v[14:15] neg_lo:[0,1] neg_hi:[0,1]
	v_mov_b32_e32 v48, v44
	v_pk_add_f32 v[14:15], v[48:49], v[12:13]
	v_mov_b32_e32 v24, v15
	v_pk_add_f32 v[24:25], v[14:15], v[24:25]
	v_pk_add_f32 v[16:17], v[16:17], v[24:25]
	v_mov_b32_e32 v15, v16
	v_pk_add_f32 v[26:27], v[14:15], v[44:45] neg_lo:[0,1] neg_hi:[0,1]
	v_mov_b32_e32 v13, v24
	v_sub_f32_e32 v1, v14, v26
	v_pk_add_f32 v[12:13], v[12:13], v[26:27] neg_lo:[0,1] neg_hi:[0,1]
	v_sub_f32_e32 v1, v44, v1
	v_add_f32_e32 v1, v12, v1
	v_add_f32_e32 v1, v1, v13
	v_cmp_eq_f32_e32 vcc, s43, v10
	v_cmp_lt_f32_e64 s[2:3], |v10|, s44
	v_add_f32_e32 v1, v16, v1
	s_or_b64 vcc, vcc, s[2:3]
	v_cndmask_b32_e32 v1, v1, v10, vcc
	v_mul_f32_e32 v10, 0.5, v1
	v_max_f32_e64 v1, |v7|, |v7|
	v_max_f32_e64 v11, |v6|, |v6|
	v_min_f32_e32 v12, v11, v1
	v_max_f32_e32 v1, v11, v1
	v_frexp_mant_f32_e32 v11, v1
	v_rcp_f32_e32 v11, v11
	v_frexp_exp_i32_f32_e32 v1, v1
	v_frexp_exp_i32_f32_e32 v13, v12
	v_frexp_mant_f32_e32 v12, v12
	v_mul_f32_e32 v11, v12, v11
	v_sub_u32_e32 v1, v13, v1
	v_ldexp_f32 v1, v11, v1
	v_mul_f32_e32 v11, v1, v1
	v_mov_b32_e32 v12, 0xbc7a590c
	v_fmac_f32_e32 v12, 0x3b2d2a58, v11
	v_fma_f32 v12, v11, v12, v30
	v_fma_f32 v12, v11, v12, v31
	;; [unrolled: 1-line block ×6, first 2 shown]
	v_mul_f32_e32 v11, v11, v12
	v_fmac_f32_e32 v1, v1, v11
	v_sub_f32_e32 v11, 0x3fc90fdb, v1
	v_cndmask_b32_e64 v1, v1, v11, s[0:1]
	v_sub_f32_e32 v11, 0x40490fdb, v1
	v_cmp_gt_f32_e32 vcc, 0, v6
	v_cmp_gt_i32_e64 s[2:3], 0, v6
	v_cndmask_b32_e32 v1, v1, v11, vcc
	v_cndmask_b32_e64 v11, 0, v38, s[2:3]
	v_cmp_eq_f32_e64 s[2:3], 0, v7
	v_cndmask_b32_e64 v1, v1, v11, s[2:3]
	v_cmp_class_f32_e64 s[2:3], v6, s45
	v_cmp_class_f32_e64 s[26:27], v7, s45
	v_cndmask_b32_e32 v11, v39, v40, vcc
	s_and_b64 vcc, s[2:3], s[26:27]
	v_cndmask_b32_e32 v1, v1, v11, vcc
                                        ; implicit-def: $vgpr12
.LBB169_26:                             ;   in Loop: Header=BB169_5 Depth=1
	s_andn2_saveexec_b64 s[24:25], s[24:25]
	s_cbranch_execz .LBB169_28
; %bb.27:                               ;   in Loop: Header=BB169_5 Depth=1
	v_mul_f32_e32 v1, 0.5, v12
	v_mul_f32_e32 v10, v12, v1
	v_max_f32_e64 v1, |v7|, |v7|
	v_max_f32_e64 v11, |v6|, |v6|
	v_min_f32_e32 v12, v11, v1
	v_max_f32_e32 v1, v11, v1
	v_frexp_mant_f32_e32 v11, v1
	v_rcp_f32_e32 v11, v11
	v_frexp_exp_i32_f32_e32 v1, v1
	v_frexp_exp_i32_f32_e32 v13, v12
	v_frexp_mant_f32_e32 v12, v12
	v_mul_f32_e32 v11, v12, v11
	v_sub_u32_e32 v1, v13, v1
	v_ldexp_f32 v1, v11, v1
	v_mul_f32_e32 v11, v1, v1
	v_mov_b32_e32 v12, 0xbc7a590c
	v_fmac_f32_e32 v12, 0x3b2d2a58, v11
	v_fma_f32 v12, v11, v12, v30
	v_fma_f32 v12, v11, v12, v31
	;; [unrolled: 1-line block ×6, first 2 shown]
	v_mul_f32_e32 v11, v11, v12
	v_fmac_f32_e32 v1, v1, v11
	v_sub_f32_e32 v11, 0x3fc90fdb, v1
	v_cndmask_b32_e64 v1, v1, v11, s[0:1]
	v_sub_f32_e32 v11, 0x40490fdb, v1
	v_cmp_gt_f32_e32 vcc, 0, v6
	v_cmp_gt_i32_e64 s[2:3], 0, v6
	v_cndmask_b32_e32 v1, v1, v11, vcc
	v_cndmask_b32_e64 v11, 0, v38, s[2:3]
	v_cmp_eq_f32_e64 s[2:3], 0, v7
	v_cndmask_b32_e64 v1, v1, v11, s[2:3]
	v_cmp_class_f32_e64 s[2:3], v6, s45
	v_cmp_class_f32_e64 s[26:27], v7, s45
	v_cndmask_b32_e32 v11, v39, v40, vcc
	s_and_b64 vcc, s[2:3], s[26:27]
	v_cndmask_b32_e32 v1, v1, v11, vcc
.LBB169_28:                             ;   in Loop: Header=BB169_5 Depth=1
	s_or_b64 exec, exec, s[24:25]
.LBB169_29:                             ;   in Loop: Header=BB169_5 Depth=1
	s_or_b64 exec, exec, s[22:23]
.LBB169_30:                             ;   in Loop: Header=BB169_5 Depth=1
	s_andn2_saveexec_b64 s[20:21], s[20:21]
	s_cbranch_execz .LBB169_32
; %bb.31:                               ;   in Loop: Header=BB169_5 Depth=1
	v_div_scale_f32 v1, s[2:3], s50, s50, v6
	v_rcp_f32_e32 v10, v1
	v_div_scale_f32 v11, vcc, v6, s50, v6
	v_fma_f32 v12, -v1, v10, 1.0
	v_fmac_f32_e32 v10, v12, v10
	v_mul_f32_e32 v12, v11, v10
	v_fma_f32 v13, -v1, v12, v11
	v_fmac_f32_e32 v12, v13, v10
	v_fma_f32 v1, -v1, v12, v11
	v_div_scale_f32 v11, s[2:3], s50, s50, v7
	v_rcp_f32_e32 v13, v11
	v_div_fmas_f32 v1, v1, v10, v12
	v_div_fixup_f32 v1, v1, s50, v6
	v_fma_f32 v10, -v11, v13, 1.0
	v_fmac_f32_e32 v13, v10, v13
	v_div_scale_f32 v10, vcc, v7, s50, v7
	v_mul_f32_e32 v12, v10, v13
	v_fma_f32 v14, -v11, v12, v10
	v_fmac_f32_e32 v12, v14, v13
	v_fma_f32 v10, -v11, v12, v10
	v_div_fmas_f32 v10, v10, v13, v12
	v_div_fixup_f32 v12, v10, s50, v7
	v_max_f32_e64 v13, |v1|, |v12|
	v_cvt_f64_f32_e32 v[10:11], v13
	v_frexp_exp_i32_f64_e32 v10, v[10:11]
	v_sub_u32_e32 v11, 0, v10
	v_ldexp_f32 v1, |v1|, v11
	v_ldexp_f32 v11, |v12|, v11
	v_mul_f32_e32 v11, v11, v11
	v_fmac_f32_e32 v11, v1, v1
	v_sqrt_f32_e32 v1, v11
	v_cmp_neq_f32_e32 vcc, s43, v13
	v_ldexp_f32 v1, v1, v10
	v_cndmask_b32_e32 v1, v43, v1, vcc
	v_cmp_gt_f32_e32 vcc, s47, v1
	v_cndmask_b32_e32 v10, 1.0, v41, vcc
	v_mul_f32_e32 v1, v1, v10
	v_log_f32_e32 v1, v1
	v_mul_f32_e32 v10, 0x3f317217, v1
	v_fma_f32 v11, v1, s48, -v10
	v_fmac_f32_e32 v11, 0x3377d1cf, v1
	v_add_f32_e32 v10, v10, v11
	v_cmp_lt_f32_e64 s[2:3], |v1|, s43
	v_cndmask_b32_e64 v1, v1, v10, s[2:3]
	v_cndmask_b32_e32 v10, 0, v42, vcc
	v_sub_f32_e32 v1, v1, v10
	v_add_f32_e32 v10, 1.0, v1
	v_max_f32_e64 v1, |v7|, |v7|
	v_max_f32_e64 v11, |v6|, |v6|
	v_min_f32_e32 v12, v11, v1
	v_max_f32_e32 v1, v11, v1
	v_frexp_mant_f32_e32 v11, v1
	v_rcp_f32_e32 v11, v11
	v_frexp_exp_i32_f32_e32 v1, v1
	v_frexp_exp_i32_f32_e32 v13, v12
	v_frexp_mant_f32_e32 v12, v12
	v_mul_f32_e32 v11, v12, v11
	v_sub_u32_e32 v1, v13, v1
	v_ldexp_f32 v1, v11, v1
	v_mul_f32_e32 v11, v1, v1
	v_mov_b32_e32 v12, 0xbc7a590c
	v_fmac_f32_e32 v12, 0x3b2d2a58, v11
	v_fma_f32 v12, v11, v12, v30
	v_fma_f32 v12, v11, v12, v31
	;; [unrolled: 1-line block ×6, first 2 shown]
	v_mul_f32_e32 v11, v11, v12
	v_fmac_f32_e32 v1, v1, v11
	v_sub_f32_e32 v11, 0x3fc90fdb, v1
	v_cndmask_b32_e64 v1, v1, v11, s[0:1]
	v_sub_f32_e32 v11, 0x40490fdb, v1
	v_cmp_gt_f32_e32 vcc, 0, v6
	v_cmp_gt_i32_e64 s[0:1], 0, v6
	v_cndmask_b32_e32 v1, v1, v11, vcc
	v_cndmask_b32_e64 v11, 0, v38, s[0:1]
	v_cmp_eq_f32_e64 s[0:1], 0, v7
	v_cndmask_b32_e64 v1, v1, v11, s[0:1]
	v_cmp_class_f32_e64 s[0:1], v6, s45
	v_cmp_class_f32_e64 s[2:3], v7, s45
	v_cndmask_b32_e32 v11, v39, v40, vcc
	s_and_b64 vcc, s[0:1], s[2:3]
	v_cndmask_b32_e32 v1, v1, v11, vcc
.LBB169_32:                             ;   in Loop: Header=BB169_5 Depth=1
	s_or_b64 exec, exec, s[20:21]
.LBB169_33:                             ;   in Loop: Header=BB169_5 Depth=1
	s_andn2_saveexec_b64 s[0:1], s[18:19]
	s_cbranch_execz .LBB169_39
; %bb.34:                               ;   in Loop: Header=BB169_5 Depth=1
	v_cmp_nlt_f32_e64 s[2:3], |v6|, s51
	v_cmp_nlt_f32_e64 s[18:19], |v7|, s51
	s_or_b64 s[2:3], s[2:3], s[18:19]
                                        ; implicit-def: $vgpr1
	s_and_saveexec_b64 s[18:19], s[2:3]
	s_xor_b64 s[2:3], exec, s[18:19]
; %bb.35:                               ;   in Loop: Header=BB169_5 Depth=1
	v_pk_mul_f32 v[10:11], v[6:7], v[6:7]
	v_add_f32_e32 v1, v10, v11
; %bb.36:                               ;   in Loop: Header=BB169_5 Depth=1
	s_andn2_saveexec_b64 s[2:3], s[2:3]
; %bb.37:                               ;   in Loop: Header=BB169_5 Depth=1
	v_pk_mul_f32 v[10:11], v[6:7], 4.0 op_sel_hi:[1,0]
	v_pk_mul_f32 v[10:11], v[10:11], v[10:11]
	v_add_f32_e32 v1, v10, v11
	v_mul_f32_e32 v1, 0x3d800000, v1
; %bb.38:                               ;   in Loop: Header=BB169_5 Depth=1
	s_or_b64 exec, exec, s[2:3]
	v_cmp_gt_f32_e32 vcc, s47, v1
	v_cndmask_b32_e32 v6, 1.0, v41, vcc
	v_mul_f32_e32 v1, v1, v6
	v_log_f32_e32 v1, v1
	v_cndmask_b32_e32 v6, 0, v42, vcc
	v_mul_f32_e32 v10, 0x3f317217, v1
	v_fma_f32 v11, v1, s48, -v10
	v_fmac_f32_e32 v11, 0x3377d1cf, v1
	v_add_f32_e32 v10, v10, v11
	v_cmp_lt_f32_e64 vcc, |v1|, s43
	v_cndmask_b32_e32 v1, v1, v10, vcc
	v_sub_f32_e32 v10, v1, v6
	v_mov_b32_e32 v1, 0x7fc00000
.LBB169_39:                             ;   in Loop: Header=BB169_5 Depth=1
	s_or_b64 exec, exec, s[0:1]
	v_cmp_o_f32_e32 vcc, v9, v8
                                        ; implicit-def: $vgpr6
	s_and_saveexec_b64 s[0:1], vcc
	s_xor_b64 s[18:19], exec, s[0:1]
	s_cbranch_execz .LBB169_67
; %bb.40:                               ;   in Loop: Header=BB169_5 Depth=1
	v_cmp_lt_f32_e64 s[0:1], |v8|, |v9|
	v_cndmask_b32_e64 v11, v9, v8, s[0:1]
	v_cmp_ngt_f32_e64 s[2:3], |v11|, s35
                                        ; implicit-def: $vgpr6
	s_and_saveexec_b64 s[20:21], s[2:3]
	s_xor_b64 s[20:21], exec, s[20:21]
	s_cbranch_execz .LBB169_64
; %bb.41:                               ;   in Loop: Header=BB169_5 Depth=1
	v_cndmask_b32_e64 v6, v8, v9, s[0:1]
	v_and_b32_e32 v15, 0x7fffffff, v6
	v_and_b32_e32 v14, 0x7fffffff, v11
	v_cmp_neq_f32_e32 vcc, 1.0, v15
                                        ; implicit-def: $vgpr6
	s_and_saveexec_b64 s[2:3], vcc
	s_xor_b64 s[22:23], exec, s[2:3]
	s_cbranch_execz .LBB169_57
; %bb.42:                               ;   in Loop: Header=BB169_5 Depth=1
	v_max_f32_e32 v6, v14, v14
	v_max_f32_e32 v11, v15, v15
	v_min_f32_e32 v12, v11, v6
	v_max_f32_e32 v6, v11, v6
	v_cmp_ngt_f32_e32 vcc, s39, v12
	v_cmp_nlt_f32_e64 s[2:3], s40, v6
	s_and_b64 s[2:3], s[2:3], vcc
                                        ; implicit-def: $vgpr6
	s_and_saveexec_b64 s[24:25], s[2:3]
	s_xor_b64 s[24:25], exec, s[24:25]
	s_cbranch_execz .LBB169_54
; %bb.43:                               ;   in Loop: Header=BB169_5 Depth=1
	v_cmp_le_f32_e32 vcc, 1.0, v15
                                        ; implicit-def: $vgpr6
	s_and_saveexec_b64 s[2:3], vcc
	s_xor_b64 s[26:27], exec, s[2:3]
	s_cbranch_execz .LBB169_45
; %bb.44:                               ;   in Loop: Header=BB169_5 Depth=1
	v_pk_add_f32 v[12:13], v[14:15], s[14:15] op_sel:[1,0]
	v_mov_b32_e32 v6, v13
	v_pk_mul_f32 v[12:13], v[12:13], v[6:7]
	v_pk_fma_f32 v[12:13], v[14:15], v[14:15], v[12:13]
	v_add_f32_e32 v15, 1.0, v12
	v_add_f32_e32 v13, -1.0, v15
	v_mov_b32_e32 v14, v13
	v_pk_add_f32 v[16:17], v[12:13], v[14:15] neg_lo:[0,1] neg_hi:[0,1]
	v_add_f32_e32 v6, 1.0, v17
	v_add_f32_e32 v6, v16, v6
	v_frexp_mant_f32_e32 v11, v15
	v_cvt_f64_f32_e32 v[16:17], v15
	v_frexp_exp_i32_f64_e32 v13, v[16:17]
	v_cmp_gt_f32_e32 vcc, s41, v11
	v_subbrev_co_u32_e32 v11, vcc, 0, v13, vcc
	v_sub_u32_e32 v13, 0, v11
	v_ldexp_f32 v14, v15, v13
	v_ldexp_f32 v6, v6, v13
	v_add_f32_e32 v13, -1.0, v14
	v_add_f32_e32 v15, 1.0, v13
	v_sub_f32_e32 v15, v14, v15
	v_add_f32_e32 v16, v6, v15
	v_add_f32_e32 v15, 1.0, v14
	v_add_f32_e32 v17, -1.0, v15
	v_sub_f32_e32 v14, v14, v17
	v_add_f32_e32 v6, v6, v14
	v_add_f32_e32 v19, v15, v6
	v_rcp_f32_e32 v44, v19
	v_sub_f32_e32 v14, v19, v15
	v_add_f32_e32 v15, v13, v16
	v_sub_f32_e32 v13, v15, v13
	v_mul_f32_e32 v45, v15, v44
	v_sub_f32_e32 v13, v16, v13
	v_mul_f32_e32 v16, v19, v45
	v_sub_f32_e32 v6, v6, v14
	v_fma_f32 v24, v45, v19, -v16
	v_fmac_f32_e32 v24, v45, v6
	v_add_f32_e32 v14, v16, v24
	v_sub_f32_e32 v17, v15, v14
	v_pk_add_f32 v[26:27], v[14:15], v[16:17] neg_lo:[0,1] neg_hi:[0,1]
	v_mov_b32_e32 v25, v14
	v_pk_add_f32 v[14:15], v[26:27], v[24:25] neg_lo:[0,1] neg_hi:[0,1]
	v_add_f32_e32 v13, v13, v15
	v_add_f32_e32 v13, v14, v13
	;; [unrolled: 1-line block ×3, first 2 shown]
	v_mul_f32_e32 v46, v44, v15
	v_mul_f32_e32 v16, v19, v46
	v_fma_f32 v24, v46, v19, -v16
	v_fmac_f32_e32 v24, v46, v6
	v_add_f32_e32 v14, v16, v24
	v_sub_f32_e32 v6, v17, v15
	v_sub_f32_e32 v17, v15, v14
	v_pk_add_f32 v[26:27], v[14:15], v[16:17] neg_lo:[0,1] neg_hi:[0,1]
	v_mov_b32_e32 v25, v14
	v_add_f32_e32 v6, v13, v6
	v_pk_add_f32 v[14:15], v[26:27], v[24:25] neg_lo:[0,1] neg_hi:[0,1]
	v_add_f32_e32 v6, v6, v15
	v_add_f32_e32 v6, v14, v6
	;; [unrolled: 1-line block ×4, first 2 shown]
	v_sub_f32_e32 v14, v13, v45
	v_mul_f32_e32 v6, v44, v6
	v_sub_f32_e32 v14, v46, v14
	v_add_f32_e32 v6, v14, v6
	v_add_f32_e32 v15, v13, v6
	v_mul_f32_e32 v16, v15, v15
	v_mov_b32_e32 v14, 0x3ecc95a3
	v_fmac_f32_e32 v14, 0x3e9b6dac, v16
	v_fma_f32 v19, v16, v14, v29
	v_cvt_f32_i32_e32 v14, v11
	v_sub_f32_e32 v11, v15, v13
	v_ldexp_f32 v17, v15, 1
	v_mul_f32_e32 v15, v15, v16
	v_pk_mul_f32 v[24:25], v[14:15], v[18:19]
	v_fma_f32 v16, v14, s42, -v24
	v_fmac_f32_e32 v16, 0xb102e308, v14
	v_pk_add_f32 v[14:15], v[24:25], v[16:17]
	v_sub_f32_e32 v6, v6, v11
	v_sub_f32_e32 v11, v15, v17
	v_ldexp_f32 v6, v6, 1
	v_sub_f32_e32 v11, v25, v11
	v_add_f32_e32 v27, v6, v11
	v_mov_b32_e32 v26, v24
	v_pk_add_f32 v[24:25], v[14:15], v[24:25] neg_lo:[0,1] neg_hi:[0,1]
	v_pk_add_f32 v[44:45], v[14:15], v[26:27]
	v_mov_b32_e32 v25, v45
	v_mov_b32_e32 v17, v14
	v_pk_add_f32 v[46:47], v[16:17], v[24:25] neg_lo:[0,1] neg_hi:[0,1]
	v_pk_add_f32 v[16:17], v[16:17], v[24:25]
	v_mov_b32_e32 v6, v17
	v_pk_add_f32 v[24:25], v[6:7], v[14:15] neg_lo:[0,1] neg_hi:[0,1]
	v_mov_b32_e32 v11, v24
	v_pk_add_f32 v[48:49], v[44:45], v[10:11] neg_lo:[0,1] neg_hi:[0,1]
	v_mov_b32_e32 v16, v45
	v_mov_b32_e32 v44, v15
	;; [unrolled: 1-line block ×4, first 2 shown]
	v_pk_add_f32 v[16:17], v[16:17], v[44:45] neg_lo:[0,1] neg_hi:[0,1]
	v_mov_b32_e32 v24, v27
	v_mov_b32_e32 v25, v14
	v_pk_add_f32 v[14:15], v[24:25], v[16:17] neg_lo:[0,1] neg_hi:[0,1]
	v_mov_b32_e32 v48, v46
	v_pk_add_f32 v[16:17], v[48:49], v[14:15]
	v_mov_b32_e32 v24, v17
	v_pk_add_f32 v[24:25], v[16:17], v[24:25]
	v_pk_add_f32 v[26:27], v[6:7], v[24:25]
	v_mov_b32_e32 v17, v26
	v_pk_add_f32 v[44:45], v[16:17], v[46:47] neg_lo:[0,1] neg_hi:[0,1]
	v_mov_b32_e32 v15, v24
	v_sub_f32_e32 v6, v16, v44
	v_pk_add_f32 v[14:15], v[14:15], v[44:45] neg_lo:[0,1] neg_hi:[0,1]
	v_sub_f32_e32 v6, v46, v6
	v_add_f32_e32 v6, v14, v6
	v_add_f32_e32 v6, v6, v15
	;; [unrolled: 1-line block ×3, first 2 shown]
	v_cmp_eq_f32_e32 vcc, s43, v12
	v_cndmask_b32_e32 v6, v6, v12, vcc
	v_cmp_ngt_f32_e32 vcc, -1.0, v12
	v_cndmask_b32_e32 v6, v36, v6, vcc
	v_cmp_neq_f32_e32 vcc, -1.0, v12
	v_cndmask_b32_e32 v6, v37, v6, vcc
	v_cmp_lt_f32_e64 vcc, |v12|, s44
	v_cndmask_b32_e32 v6, v6, v12, vcc
	v_mul_f32_e32 v12, 0.5, v6
	v_max_f32_e64 v6, |v9|, |v9|
	v_max_f32_e64 v11, |v8|, |v8|
	v_min_f32_e32 v13, v11, v6
	v_max_f32_e32 v6, v11, v6
	v_frexp_mant_f32_e32 v11, v6
	v_rcp_f32_e32 v11, v11
	v_frexp_exp_i32_f32_e32 v6, v6
	v_frexp_exp_i32_f32_e32 v14, v13
	v_frexp_mant_f32_e32 v13, v13
	v_mul_f32_e32 v11, v13, v11
	v_sub_u32_e32 v6, v14, v6
	v_ldexp_f32 v6, v11, v6
	v_mul_f32_e32 v11, v6, v6
	v_mov_b32_e32 v13, 0xbc7a590c
	v_fmac_f32_e32 v13, 0x3b2d2a58, v11
	v_fma_f32 v13, v11, v13, v30
	v_fma_f32 v13, v11, v13, v31
	;; [unrolled: 1-line block ×6, first 2 shown]
	v_mul_f32_e32 v11, v11, v13
	v_fmac_f32_e32 v6, v6, v11
	v_sub_f32_e32 v11, 0x3fc90fdb, v6
	v_cndmask_b32_e64 v6, v6, v11, s[0:1]
	v_sub_f32_e32 v11, 0x40490fdb, v6
	v_cmp_gt_f32_e32 vcc, 0, v8
	v_cmp_gt_i32_e64 s[2:3], 0, v8
	v_cndmask_b32_e32 v6, v6, v11, vcc
	v_cndmask_b32_e64 v11, 0, v38, s[2:3]
	v_cmp_eq_f32_e64 s[2:3], 0, v9
	v_cndmask_b32_e64 v6, v6, v11, s[2:3]
	v_cmp_class_f32_e64 s[2:3], v8, s45
	v_cmp_class_f32_e64 s[28:29], v9, s45
	v_cndmask_b32_e32 v11, v39, v40, vcc
	s_and_b64 vcc, s[2:3], s[28:29]
	v_cndmask_b32_e32 v6, v6, v11, vcc
                                        ; implicit-def: $vgpr14_vgpr15
.LBB169_45:                             ;   in Loop: Header=BB169_5 Depth=1
	s_andn2_saveexec_b64 s[26:27], s[26:27]
	s_cbranch_execz .LBB169_53
; %bb.46:                               ;   in Loop: Header=BB169_5 Depth=1
	v_pk_mul_f32 v[12:13], v[14:15], v[14:15]
	v_add_f32_e32 v11, v13, v12
	v_cmp_ge_f32_e32 vcc, s46, v11
                                        ; implicit-def: $vgpr6
	s_and_saveexec_b64 s[2:3], vcc
	s_xor_b64 s[28:29], exec, s[2:3]
	s_cbranch_execz .LBB169_48
; %bb.47:                               ;   in Loop: Header=BB169_5 Depth=1
	v_cmp_gt_f32_e32 vcc, s47, v11
	v_cndmask_b32_e32 v6, 1.0, v41, vcc
	v_mul_f32_e32 v6, v11, v6
	v_log_f32_e32 v6, v6
	v_cndmask_b32_e32 v11, 0, v42, vcc
	v_cmp_gt_i32_e64 s[2:3], 0, v8
	v_cmp_class_f32_e64 s[30:31], v9, s45
	v_mul_f32_e32 v12, 0x3f317217, v6
	v_fma_f32 v13, v6, s48, -v12
	v_fmac_f32_e32 v13, 0x3377d1cf, v6
	v_add_f32_e32 v12, v12, v13
	v_cmp_lt_f32_e64 vcc, |v6|, s43
	v_cndmask_b32_e32 v6, v6, v12, vcc
	v_sub_f32_e32 v6, v6, v11
	v_mul_f32_e32 v12, 0.5, v6
	v_max_f32_e64 v6, |v9|, |v9|
	v_max_f32_e64 v11, |v8|, |v8|
	v_min_f32_e32 v13, v11, v6
	v_max_f32_e32 v6, v11, v6
	v_frexp_mant_f32_e32 v11, v6
	v_rcp_f32_e32 v11, v11
	v_frexp_exp_i32_f32_e32 v6, v6
	v_frexp_exp_i32_f32_e32 v14, v13
	v_frexp_mant_f32_e32 v13, v13
	v_mul_f32_e32 v11, v13, v11
	v_sub_u32_e32 v6, v14, v6
	v_ldexp_f32 v6, v11, v6
	v_mul_f32_e32 v11, v6, v6
	v_mov_b32_e32 v13, 0xbc7a590c
	v_fmac_f32_e32 v13, 0x3b2d2a58, v11
	v_fma_f32 v13, v11, v13, v30
	v_fma_f32 v13, v11, v13, v31
	;; [unrolled: 1-line block ×6, first 2 shown]
	v_mul_f32_e32 v11, v11, v13
	v_fmac_f32_e32 v6, v6, v11
	v_sub_f32_e32 v11, 0x3fc90fdb, v6
	v_cndmask_b32_e64 v6, v6, v11, s[0:1]
	v_sub_f32_e32 v11, 0x40490fdb, v6
	v_cmp_gt_f32_e32 vcc, 0, v8
	v_cndmask_b32_e32 v6, v6, v11, vcc
	v_cndmask_b32_e64 v11, 0, v38, s[2:3]
	v_cmp_eq_f32_e64 s[2:3], 0, v9
	v_cndmask_b32_e64 v6, v6, v11, s[2:3]
	v_cmp_class_f32_e64 s[2:3], v8, s45
	v_cndmask_b32_e32 v11, v39, v40, vcc
	s_and_b64 vcc, s[2:3], s[30:31]
	v_cndmask_b32_e32 v6, v6, v11, vcc
                                        ; implicit-def: $vgpr14_vgpr15
.LBB169_48:                             ;   in Loop: Header=BB169_5 Depth=1
	s_andn2_saveexec_b64 s[28:29], s[28:29]
	s_cbranch_execz .LBB169_52
; %bb.49:                               ;   in Loop: Header=BB169_5 Depth=1
	v_and_b32_e32 v17, 0x7fff0000, v14
	v_and_b32_e32 v16, 0x7fff0000, v15
	v_pk_add_f32 v[12:13], v[14:15], v[16:17] op_sel:[1,0] op_sel_hi:[0,1] neg_lo:[0,1] neg_hi:[0,1]
	v_and_b32_e32 v27, 0xffff0000, v13
	v_and_b32_e32 v26, 0xffff0000, v12
	v_pk_add_f32 v[44:45], v[12:13], v[26:27] neg_lo:[0,1] neg_hi:[0,1]
	v_pk_mul_f32 v[12:13], v[16:17], v[16:17]
	v_add_f32_e32 v16, v16, v16
	v_mul_f32_e32 v11, v16, v26
	v_mul_f32_e32 v24, v16, v44
	v_add_f32_e32 v16, v26, v26
	v_add_f32_e32 v17, v17, v17
	v_mul_f32_e32 v25, v16, v44
	v_add_f32_e32 v16, v27, v27
	v_mul_f32_e32 v6, v17, v27
	v_pk_mul_f32 v[14:15], v[26:27], v[26:27]
	v_mul_f32_e32 v19, v17, v45
	v_mul_f32_e32 v26, v16, v45
	v_pk_mul_f32 v[16:17], v[44:45], v[44:45]
	s_mov_b64 s[30:31], 0
.LBB169_50:                             ;   Parent Loop BB169_5 Depth=1
                                        ; =>  This Inner Loop Header: Depth=2
	v_cmp_nlt_f32_e32 vcc, v12, v13
	v_cndmask_b32_e32 v27, v12, v13, vcc
	v_cmp_nlt_f32_e64 s[2:3], v27, v11
	v_cndmask_b32_e64 v44, v27, v11, s[2:3]
	v_cndmask_b32_e32 v12, v13, v12, vcc
	s_and_b64 s[52:53], vcc, s[2:3]
	v_cmp_nlt_f32_e32 vcc, v44, v6
	v_cndmask_b32_e64 v13, v11, v27, s[2:3]
	v_cndmask_b32_e32 v27, v44, v6, vcc
	v_cmp_nlt_f32_e64 s[2:3], v27, v14
	v_cndmask_b32_e32 v11, v6, v44, vcc
	v_cndmask_b32_e64 v44, v27, v14, s[2:3]
	s_and_b64 s[54:55], vcc, s[2:3]
	v_cmp_nlt_f32_e32 vcc, v44, v15
	v_cndmask_b32_e64 v6, v14, v27, s[2:3]
	v_cndmask_b32_e32 v27, v44, v15, vcc
	v_cmp_nlt_f32_e64 s[2:3], v27, v24
	v_cndmask_b32_e32 v14, v15, v44, vcc
	v_cndmask_b32_e64 v44, v27, v24, s[2:3]
	v_cndmask_b32_e64 v15, v24, v27, s[2:3]
	s_and_b64 s[2:3], vcc, s[2:3]
	v_cmp_nlt_f32_e32 vcc, v44, v19
	v_cndmask_b32_e32 v27, v44, v19, vcc
	v_cndmask_b32_e32 v24, v19, v44, vcc
	s_and_b64 s[2:3], s[2:3], vcc
	v_cmp_nlt_f32_e32 vcc, v27, v25
	v_cndmask_b32_e32 v44, v27, v25, vcc
	v_cndmask_b32_e32 v19, v25, v27, vcc
	s_and_b64 s[2:3], s[2:3], vcc
	;; [unrolled: 4-line block ×4, first 2 shown]
	v_cmp_nlt_f32_e32 vcc, v44, v17
	s_and_b64 s[2:3], s[2:3], vcc
	s_and_b64 s[2:3], s[2:3], s[54:55]
	s_and_b64 s[2:3], s[2:3], s[52:53]
	s_and_b64 s[2:3], exec, s[2:3]
	v_cndmask_b32_e32 v16, v17, v44, vcc
	s_or_b64 s[30:31], s[2:3], s[30:31]
	v_cndmask_b32_e32 v17, v44, v17, vcc
	s_andn2_b64 exec, exec, s[30:31]
	s_cbranch_execnz .LBB169_50
; %bb.51:                               ;   in Loop: Header=BB169_5 Depth=1
	s_or_b64 exec, exec, s[30:31]
	v_add_f32_e32 v12, -1.0, v12
	v_add_f32_e32 v12, v12, v13
	v_add_f32_e32 v11, v12, v11
	;; [unrolled: 1-line block ×11, first 2 shown]
	v_add_f32_e32 v15, 1.0, v12
	v_add_f32_e32 v13, -1.0, v15
	v_mov_b32_e32 v14, v13
	v_pk_add_f32 v[16:17], v[12:13], v[14:15] neg_lo:[0,1] neg_hi:[0,1]
	v_add_f32_e32 v6, 1.0, v17
	v_add_f32_e32 v6, v16, v6
	v_frexp_mant_f32_e32 v11, v15
	v_cvt_f64_f32_e32 v[16:17], v15
	v_frexp_exp_i32_f64_e32 v13, v[16:17]
	v_cmp_gt_f32_e32 vcc, s41, v11
	v_subbrev_co_u32_e32 v11, vcc, 0, v13, vcc
	v_sub_u32_e32 v13, 0, v11
	v_ldexp_f32 v14, v15, v13
	v_ldexp_f32 v6, v6, v13
	v_add_f32_e32 v13, -1.0, v14
	v_add_f32_e32 v15, 1.0, v13
	v_sub_f32_e32 v15, v14, v15
	v_add_f32_e32 v16, v6, v15
	v_add_f32_e32 v15, 1.0, v14
	v_add_f32_e32 v17, -1.0, v15
	v_sub_f32_e32 v14, v14, v17
	v_add_f32_e32 v6, v6, v14
	v_add_f32_e32 v19, v15, v6
	v_rcp_f32_e32 v44, v19
	v_sub_f32_e32 v14, v19, v15
	v_add_f32_e32 v15, v13, v16
	v_sub_f32_e32 v13, v15, v13
	v_mul_f32_e32 v45, v15, v44
	v_sub_f32_e32 v13, v16, v13
	v_mul_f32_e32 v16, v19, v45
	v_sub_f32_e32 v6, v6, v14
	v_fma_f32 v24, v45, v19, -v16
	v_fmac_f32_e32 v24, v45, v6
	v_add_f32_e32 v14, v16, v24
	v_sub_f32_e32 v17, v15, v14
	v_pk_add_f32 v[26:27], v[14:15], v[16:17] neg_lo:[0,1] neg_hi:[0,1]
	v_mov_b32_e32 v25, v14
	v_pk_add_f32 v[14:15], v[26:27], v[24:25] neg_lo:[0,1] neg_hi:[0,1]
	v_add_f32_e32 v13, v13, v15
	v_add_f32_e32 v13, v14, v13
	;; [unrolled: 1-line block ×3, first 2 shown]
	v_mul_f32_e32 v46, v44, v15
	v_mul_f32_e32 v16, v19, v46
	v_fma_f32 v24, v46, v19, -v16
	v_fmac_f32_e32 v24, v46, v6
	v_add_f32_e32 v14, v16, v24
	v_sub_f32_e32 v6, v17, v15
	v_sub_f32_e32 v17, v15, v14
	v_pk_add_f32 v[26:27], v[14:15], v[16:17] neg_lo:[0,1] neg_hi:[0,1]
	v_mov_b32_e32 v25, v14
	v_add_f32_e32 v6, v13, v6
	v_pk_add_f32 v[14:15], v[26:27], v[24:25] neg_lo:[0,1] neg_hi:[0,1]
	v_add_f32_e32 v6, v6, v15
	v_add_f32_e32 v6, v14, v6
	;; [unrolled: 1-line block ×4, first 2 shown]
	v_sub_f32_e32 v14, v13, v45
	v_mul_f32_e32 v6, v44, v6
	v_sub_f32_e32 v14, v46, v14
	v_add_f32_e32 v6, v14, v6
	v_add_f32_e32 v15, v13, v6
	v_mul_f32_e32 v16, v15, v15
	v_mov_b32_e32 v14, 0x3ecc95a3
	v_fmac_f32_e32 v14, 0x3e9b6dac, v16
	v_fma_f32 v19, v16, v14, v29
	v_cvt_f32_i32_e32 v14, v11
	v_sub_f32_e32 v11, v15, v13
	v_ldexp_f32 v17, v15, 1
	v_mul_f32_e32 v15, v15, v16
	v_pk_mul_f32 v[24:25], v[14:15], v[18:19]
	v_fma_f32 v16, v14, s42, -v24
	v_fmac_f32_e32 v16, 0xb102e308, v14
	v_pk_add_f32 v[14:15], v[24:25], v[16:17]
	v_sub_f32_e32 v6, v6, v11
	v_sub_f32_e32 v11, v15, v17
	v_ldexp_f32 v6, v6, 1
	v_sub_f32_e32 v11, v25, v11
	v_add_f32_e32 v27, v6, v11
	v_mov_b32_e32 v26, v24
	v_pk_add_f32 v[24:25], v[14:15], v[24:25] neg_lo:[0,1] neg_hi:[0,1]
	v_pk_add_f32 v[44:45], v[14:15], v[26:27]
	v_mov_b32_e32 v25, v45
	v_mov_b32_e32 v17, v14
	v_pk_add_f32 v[46:47], v[16:17], v[24:25] neg_lo:[0,1] neg_hi:[0,1]
	v_pk_add_f32 v[16:17], v[16:17], v[24:25]
	v_mov_b32_e32 v6, v17
	v_pk_add_f32 v[24:25], v[6:7], v[14:15] neg_lo:[0,1] neg_hi:[0,1]
	v_mov_b32_e32 v11, v24
	v_pk_add_f32 v[48:49], v[44:45], v[10:11] neg_lo:[0,1] neg_hi:[0,1]
	v_mov_b32_e32 v16, v45
	v_mov_b32_e32 v44, v15
	v_mov_b32_e32 v45, v24
	v_mov_b32_e32 v47, v17
	v_pk_add_f32 v[16:17], v[16:17], v[44:45] neg_lo:[0,1] neg_hi:[0,1]
	v_mov_b32_e32 v24, v27
	v_mov_b32_e32 v25, v14
	v_pk_add_f32 v[14:15], v[24:25], v[16:17] neg_lo:[0,1] neg_hi:[0,1]
	v_mov_b32_e32 v48, v46
	v_pk_add_f32 v[16:17], v[48:49], v[14:15]
	v_mov_b32_e32 v24, v17
	v_pk_add_f32 v[24:25], v[16:17], v[24:25]
	v_pk_add_f32 v[26:27], v[6:7], v[24:25]
	v_mov_b32_e32 v17, v26
	v_pk_add_f32 v[44:45], v[16:17], v[46:47] neg_lo:[0,1] neg_hi:[0,1]
	v_mov_b32_e32 v15, v24
	v_sub_f32_e32 v6, v16, v44
	v_pk_add_f32 v[14:15], v[14:15], v[44:45] neg_lo:[0,1] neg_hi:[0,1]
	v_sub_f32_e32 v6, v46, v6
	v_add_f32_e32 v6, v14, v6
	v_add_f32_e32 v6, v6, v15
	v_add_f32_e32 v6, v26, v6
	v_cmp_eq_f32_e32 vcc, s43, v12
	v_cndmask_b32_e32 v6, v6, v12, vcc
	v_cmp_ngt_f32_e32 vcc, -1.0, v12
	v_cndmask_b32_e32 v6, v36, v6, vcc
	v_cmp_neq_f32_e32 vcc, -1.0, v12
	v_cndmask_b32_e32 v6, v37, v6, vcc
	v_cmp_lt_f32_e64 vcc, |v12|, s44
	v_cndmask_b32_e32 v6, v6, v12, vcc
	v_mul_f32_e32 v12, 0.5, v6
	v_max_f32_e64 v6, |v9|, |v9|
	v_max_f32_e64 v11, |v8|, |v8|
	v_min_f32_e32 v13, v11, v6
	v_max_f32_e32 v6, v11, v6
	v_frexp_mant_f32_e32 v11, v6
	v_rcp_f32_e32 v11, v11
	v_frexp_exp_i32_f32_e32 v6, v6
	v_frexp_exp_i32_f32_e32 v14, v13
	v_frexp_mant_f32_e32 v13, v13
	v_mul_f32_e32 v11, v13, v11
	v_sub_u32_e32 v6, v14, v6
	v_ldexp_f32 v6, v11, v6
	v_mul_f32_e32 v11, v6, v6
	v_mov_b32_e32 v13, 0xbc7a590c
	v_fmac_f32_e32 v13, 0x3b2d2a58, v11
	v_fma_f32 v13, v11, v13, v30
	v_fma_f32 v13, v11, v13, v31
	;; [unrolled: 1-line block ×6, first 2 shown]
	v_mul_f32_e32 v11, v11, v13
	v_fmac_f32_e32 v6, v6, v11
	v_sub_f32_e32 v11, 0x3fc90fdb, v6
	v_cndmask_b32_e64 v6, v6, v11, s[0:1]
	v_sub_f32_e32 v11, 0x40490fdb, v6
	v_cmp_gt_f32_e32 vcc, 0, v8
	v_cmp_gt_i32_e64 s[2:3], 0, v8
	v_cndmask_b32_e32 v6, v6, v11, vcc
	v_cndmask_b32_e64 v11, 0, v38, s[2:3]
	v_cmp_eq_f32_e64 s[2:3], 0, v9
	v_cndmask_b32_e64 v6, v6, v11, s[2:3]
	v_cmp_class_f32_e64 s[2:3], v8, s45
	v_cmp_class_f32_e64 s[30:31], v9, s45
	v_cndmask_b32_e32 v11, v39, v40, vcc
	s_and_b64 vcc, s[2:3], s[30:31]
	v_cndmask_b32_e32 v6, v6, v11, vcc
.LBB169_52:                             ;   in Loop: Header=BB169_5 Depth=1
	s_or_b64 exec, exec, s[28:29]
.LBB169_53:                             ;   in Loop: Header=BB169_5 Depth=1
	s_or_b64 exec, exec, s[26:27]
.LBB169_54:                             ;   in Loop: Header=BB169_5 Depth=1
	s_andn2_saveexec_b64 s[24:25], s[24:25]
	s_cbranch_execz .LBB169_56
; %bb.55:                               ;   in Loop: Header=BB169_5 Depth=1
	v_max_f32_e64 v6, |v9|, |v9|
	v_max_f32_e64 v11, |v8|, |v8|
	v_max_f32_e32 v14, v11, v6
	v_cvt_f64_f32_e32 v[12:13], v14
	v_frexp_exp_i32_f64_e32 v12, v[12:13]
	v_sub_u32_e32 v13, 0, v12
	v_ldexp_f32 v15, |v8|, v13
	v_ldexp_f32 v13, |v9|, v13
	v_mul_f32_e32 v13, v13, v13
	v_fmac_f32_e32 v13, v15, v15
	v_sqrt_f32_e32 v13, v13
	v_cmp_neq_f32_e32 vcc, s43, v14
	v_min_f32_e32 v6, v11, v6
	v_frexp_mant_f32_e32 v11, v14
	v_ldexp_f32 v12, v13, v12
	v_cndmask_b32_e32 v12, v43, v12, vcc
	v_cmp_gt_f32_e32 vcc, s47, v12
	v_cndmask_b32_e32 v13, 1.0, v41, vcc
	v_mul_f32_e32 v12, v12, v13
	v_log_f32_e32 v12, v12
	v_rcp_f32_e32 v11, v11
	v_cndmask_b32_e32 v13, 0, v42, vcc
	v_cmp_gt_i32_e64 s[2:3], 0, v8
	v_mul_f32_e32 v15, 0x3f317217, v12
	v_fma_f32 v16, v12, s48, -v15
	v_fmac_f32_e32 v16, 0x3377d1cf, v12
	v_add_f32_e32 v15, v15, v16
	v_cmp_lt_f32_e64 vcc, |v12|, s43
	v_cndmask_b32_e32 v12, v12, v15, vcc
	v_sub_f32_e32 v12, v12, v13
	v_frexp_exp_i32_f32_e32 v13, v14
	v_frexp_exp_i32_f32_e32 v14, v6
	v_frexp_mant_f32_e32 v6, v6
	v_mul_f32_e32 v6, v6, v11
	v_sub_u32_e32 v11, v14, v13
	v_ldexp_f32 v6, v6, v11
	v_mul_f32_e32 v11, v6, v6
	v_mov_b32_e32 v13, 0xbc7a590c
	v_fmac_f32_e32 v13, 0x3b2d2a58, v11
	v_fma_f32 v13, v11, v13, v30
	v_fma_f32 v13, v11, v13, v31
	;; [unrolled: 1-line block ×6, first 2 shown]
	v_mul_f32_e32 v11, v11, v13
	v_fmac_f32_e32 v6, v6, v11
	v_sub_f32_e32 v11, 0x3fc90fdb, v6
	v_cndmask_b32_e64 v6, v6, v11, s[0:1]
	v_sub_f32_e32 v11, 0x40490fdb, v6
	v_cmp_gt_f32_e32 vcc, 0, v8
	v_cndmask_b32_e32 v6, v6, v11, vcc
	v_cndmask_b32_e64 v11, 0, v38, s[2:3]
	v_cmp_eq_f32_e64 s[2:3], 0, v9
	v_cndmask_b32_e64 v6, v6, v11, s[2:3]
	v_cmp_class_f32_e64 s[2:3], v8, s45
	v_cmp_class_f32_e64 s[26:27], v9, s45
	v_cndmask_b32_e32 v11, v39, v40, vcc
	s_and_b64 vcc, s[2:3], s[26:27]
	v_cndmask_b32_e32 v6, v6, v11, vcc
.LBB169_56:                             ;   in Loop: Header=BB169_5 Depth=1
	s_or_b64 exec, exec, s[24:25]
                                        ; implicit-def: $vgpr14
.LBB169_57:                             ;   in Loop: Header=BB169_5 Depth=1
	s_andn2_saveexec_b64 s[22:23], s[22:23]
	s_cbranch_execz .LBB169_63
; %bb.58:                               ;   in Loop: Header=BB169_5 Depth=1
	v_cmp_ngt_f32_e32 vcc, s49, v14
                                        ; implicit-def: $vgpr6
	s_and_saveexec_b64 s[2:3], vcc
	s_xor_b64 s[24:25], exec, s[2:3]
	s_cbranch_execz .LBB169_60
; %bb.59:                               ;   in Loop: Header=BB169_5 Depth=1
	v_pk_mul_f32 v[12:13], v[14:15], v[14:15]
	v_add_f32_e32 v15, 1.0, v12
	v_add_f32_e32 v13, -1.0, v15
	v_mov_b32_e32 v14, v13
	v_pk_add_f32 v[16:17], v[12:13], v[14:15] neg_lo:[0,1] neg_hi:[0,1]
	v_add_f32_e32 v6, 1.0, v17
	v_add_f32_e32 v6, v16, v6
	v_frexp_mant_f32_e32 v11, v15
	v_cvt_f64_f32_e32 v[16:17], v15
	v_frexp_exp_i32_f64_e32 v13, v[16:17]
	v_cmp_gt_f32_e32 vcc, s41, v11
	v_subbrev_co_u32_e32 v11, vcc, 0, v13, vcc
	v_sub_u32_e32 v13, 0, v11
	v_ldexp_f32 v14, v15, v13
	v_ldexp_f32 v6, v6, v13
	v_add_f32_e32 v13, -1.0, v14
	v_add_f32_e32 v15, 1.0, v13
	v_sub_f32_e32 v15, v14, v15
	v_add_f32_e32 v16, v6, v15
	v_add_f32_e32 v15, 1.0, v14
	v_add_f32_e32 v17, -1.0, v15
	v_sub_f32_e32 v14, v14, v17
	v_add_f32_e32 v6, v6, v14
	v_add_f32_e32 v19, v15, v6
	v_rcp_f32_e32 v44, v19
	v_sub_f32_e32 v14, v15, v19
	v_add_f32_e32 v15, v13, v16
	v_sub_f32_e32 v13, v13, v15
	v_mul_f32_e32 v45, v15, v44
	v_add_f32_e32 v13, v16, v13
	v_mul_f32_e32 v16, v19, v45
	v_add_f32_e32 v6, v6, v14
	v_fma_f32 v24, v45, v19, -v16
	v_fmac_f32_e32 v24, v45, v6
	v_add_f32_e32 v14, v16, v24
	v_sub_f32_e32 v17, v15, v14
	v_pk_add_f32 v[26:27], v[14:15], v[16:17] neg_lo:[0,1] neg_hi:[0,1]
	v_mov_b32_e32 v25, v14
	v_pk_add_f32 v[14:15], v[26:27], v[24:25] neg_lo:[0,1] neg_hi:[0,1]
	v_add_f32_e32 v13, v13, v15
	v_add_f32_e32 v13, v14, v13
	;; [unrolled: 1-line block ×3, first 2 shown]
	v_mul_f32_e32 v46, v44, v15
	v_mul_f32_e32 v16, v19, v46
	v_fma_f32 v24, v46, v19, -v16
	v_fmac_f32_e32 v24, v46, v6
	v_add_f32_e32 v14, v16, v24
	v_sub_f32_e32 v6, v17, v15
	v_sub_f32_e32 v17, v15, v14
	v_pk_add_f32 v[26:27], v[14:15], v[16:17] neg_lo:[0,1] neg_hi:[0,1]
	v_mov_b32_e32 v25, v14
	v_add_f32_e32 v6, v13, v6
	v_pk_add_f32 v[14:15], v[26:27], v[24:25] neg_lo:[0,1] neg_hi:[0,1]
	v_add_f32_e32 v6, v6, v15
	v_add_f32_e32 v6, v14, v6
	;; [unrolled: 1-line block ×4, first 2 shown]
	v_sub_f32_e32 v14, v13, v45
	v_mul_f32_e32 v6, v44, v6
	v_sub_f32_e32 v14, v46, v14
	v_add_f32_e32 v6, v14, v6
	v_add_f32_e32 v15, v13, v6
	v_mul_f32_e32 v16, v15, v15
	v_mov_b32_e32 v14, 0x3ecc95a3
	v_fmac_f32_e32 v14, 0x3e9b6dac, v16
	v_fma_f32 v19, v16, v14, v29
	v_cvt_f32_i32_e32 v14, v11
	v_sub_f32_e32 v11, v15, v13
	v_ldexp_f32 v17, v15, 1
	v_mul_f32_e32 v15, v15, v16
	v_pk_mul_f32 v[24:25], v[14:15], v[18:19]
	v_fma_f32 v16, v14, s42, -v24
	v_fmac_f32_e32 v16, 0xb102e308, v14
	v_pk_add_f32 v[14:15], v[24:25], v[16:17]
	v_sub_f32_e32 v6, v6, v11
	v_sub_f32_e32 v11, v15, v17
	v_ldexp_f32 v6, v6, 1
	v_sub_f32_e32 v11, v25, v11
	v_add_f32_e32 v27, v6, v11
	v_mov_b32_e32 v26, v24
	v_pk_add_f32 v[24:25], v[14:15], v[24:25] neg_lo:[0,1] neg_hi:[0,1]
	v_pk_add_f32 v[44:45], v[14:15], v[26:27]
	v_mov_b32_e32 v25, v45
	v_mov_b32_e32 v17, v14
	v_pk_add_f32 v[46:47], v[16:17], v[24:25] neg_lo:[0,1] neg_hi:[0,1]
	v_pk_add_f32 v[16:17], v[16:17], v[24:25]
	v_mov_b32_e32 v6, v17
	v_pk_add_f32 v[24:25], v[6:7], v[14:15] neg_lo:[0,1] neg_hi:[0,1]
	v_mov_b32_e32 v11, v24
	v_pk_add_f32 v[48:49], v[44:45], v[10:11] neg_lo:[0,1] neg_hi:[0,1]
	v_mov_b32_e32 v16, v45
	v_mov_b32_e32 v44, v15
	;; [unrolled: 1-line block ×4, first 2 shown]
	v_pk_add_f32 v[16:17], v[16:17], v[44:45] neg_lo:[0,1] neg_hi:[0,1]
	v_mov_b32_e32 v24, v27
	v_mov_b32_e32 v25, v14
	v_pk_add_f32 v[14:15], v[24:25], v[16:17] neg_lo:[0,1] neg_hi:[0,1]
	v_mov_b32_e32 v48, v46
	v_pk_add_f32 v[16:17], v[48:49], v[14:15]
	v_mov_b32_e32 v24, v17
	v_pk_add_f32 v[24:25], v[16:17], v[24:25]
	v_pk_add_f32 v[26:27], v[6:7], v[24:25]
	v_mov_b32_e32 v17, v26
	v_pk_add_f32 v[44:45], v[16:17], v[46:47] neg_lo:[0,1] neg_hi:[0,1]
	v_mov_b32_e32 v15, v24
	v_sub_f32_e32 v6, v16, v44
	v_pk_add_f32 v[14:15], v[14:15], v[44:45] neg_lo:[0,1] neg_hi:[0,1]
	v_sub_f32_e32 v6, v46, v6
	v_add_f32_e32 v6, v14, v6
	v_add_f32_e32 v6, v6, v15
	v_cmp_eq_f32_e32 vcc, s43, v12
	v_cmp_lt_f32_e64 s[2:3], |v12|, s44
	v_add_f32_e32 v6, v26, v6
	s_or_b64 vcc, vcc, s[2:3]
	v_cndmask_b32_e32 v6, v6, v12, vcc
	v_mul_f32_e32 v12, 0.5, v6
	v_max_f32_e64 v6, |v9|, |v9|
	v_max_f32_e64 v11, |v8|, |v8|
	v_min_f32_e32 v13, v11, v6
	v_max_f32_e32 v6, v11, v6
	v_frexp_mant_f32_e32 v11, v6
	v_rcp_f32_e32 v11, v11
	v_frexp_exp_i32_f32_e32 v6, v6
	v_frexp_exp_i32_f32_e32 v14, v13
	v_frexp_mant_f32_e32 v13, v13
	v_mul_f32_e32 v11, v13, v11
	v_sub_u32_e32 v6, v14, v6
	v_ldexp_f32 v6, v11, v6
	v_mul_f32_e32 v11, v6, v6
	v_mov_b32_e32 v13, 0xbc7a590c
	v_fmac_f32_e32 v13, 0x3b2d2a58, v11
	v_fma_f32 v13, v11, v13, v30
	v_fma_f32 v13, v11, v13, v31
	;; [unrolled: 1-line block ×6, first 2 shown]
	v_mul_f32_e32 v11, v11, v13
	v_fmac_f32_e32 v6, v6, v11
	v_sub_f32_e32 v11, 0x3fc90fdb, v6
	v_cndmask_b32_e64 v6, v6, v11, s[0:1]
	v_sub_f32_e32 v11, 0x40490fdb, v6
	v_cmp_gt_f32_e32 vcc, 0, v8
	v_cmp_gt_i32_e64 s[2:3], 0, v8
	v_cndmask_b32_e32 v6, v6, v11, vcc
	v_cndmask_b32_e64 v11, 0, v38, s[2:3]
	v_cmp_eq_f32_e64 s[2:3], 0, v9
	v_cndmask_b32_e64 v6, v6, v11, s[2:3]
	v_cmp_class_f32_e64 s[2:3], v8, s45
	v_cmp_class_f32_e64 s[26:27], v9, s45
	v_cndmask_b32_e32 v11, v39, v40, vcc
	s_and_b64 vcc, s[2:3], s[26:27]
	v_cndmask_b32_e32 v6, v6, v11, vcc
                                        ; implicit-def: $vgpr14
.LBB169_60:                             ;   in Loop: Header=BB169_5 Depth=1
	s_andn2_saveexec_b64 s[24:25], s[24:25]
	s_cbranch_execz .LBB169_62
; %bb.61:                               ;   in Loop: Header=BB169_5 Depth=1
	v_mul_f32_e32 v6, 0.5, v14
	v_mul_f32_e32 v12, v14, v6
	v_max_f32_e64 v6, |v9|, |v9|
	v_max_f32_e64 v11, |v8|, |v8|
	v_min_f32_e32 v13, v11, v6
	v_max_f32_e32 v6, v11, v6
	v_frexp_mant_f32_e32 v11, v6
	v_rcp_f32_e32 v11, v11
	v_frexp_exp_i32_f32_e32 v6, v6
	v_frexp_exp_i32_f32_e32 v14, v13
	v_frexp_mant_f32_e32 v13, v13
	v_mul_f32_e32 v11, v13, v11
	v_sub_u32_e32 v6, v14, v6
	v_ldexp_f32 v6, v11, v6
	v_mul_f32_e32 v11, v6, v6
	v_mov_b32_e32 v13, 0xbc7a590c
	v_fmac_f32_e32 v13, 0x3b2d2a58, v11
	v_fma_f32 v13, v11, v13, v30
	v_fma_f32 v13, v11, v13, v31
	v_fma_f32 v13, v11, v13, v32
	v_fma_f32 v13, v11, v13, v33
	v_fma_f32 v13, v11, v13, v34
	v_fma_f32 v13, v11, v13, v35
	v_mul_f32_e32 v11, v11, v13
	v_fmac_f32_e32 v6, v6, v11
	v_sub_f32_e32 v11, 0x3fc90fdb, v6
	v_cndmask_b32_e64 v6, v6, v11, s[0:1]
	v_sub_f32_e32 v11, 0x40490fdb, v6
	v_cmp_gt_f32_e32 vcc, 0, v8
	v_cmp_gt_i32_e64 s[2:3], 0, v8
	v_cndmask_b32_e32 v6, v6, v11, vcc
	v_cndmask_b32_e64 v11, 0, v38, s[2:3]
	v_cmp_eq_f32_e64 s[2:3], 0, v9
	v_cndmask_b32_e64 v6, v6, v11, s[2:3]
	v_cmp_class_f32_e64 s[2:3], v8, s45
	v_cmp_class_f32_e64 s[26:27], v9, s45
	v_cndmask_b32_e32 v11, v39, v40, vcc
	s_and_b64 vcc, s[2:3], s[26:27]
	v_cndmask_b32_e32 v6, v6, v11, vcc
.LBB169_62:                             ;   in Loop: Header=BB169_5 Depth=1
	s_or_b64 exec, exec, s[24:25]
.LBB169_63:                             ;   in Loop: Header=BB169_5 Depth=1
	s_or_b64 exec, exec, s[22:23]
.LBB169_64:                             ;   in Loop: Header=BB169_5 Depth=1
	s_andn2_saveexec_b64 s[20:21], s[20:21]
	s_cbranch_execz .LBB169_66
; %bb.65:                               ;   in Loop: Header=BB169_5 Depth=1
	v_div_scale_f32 v6, s[2:3], s50, s50, v8
	v_rcp_f32_e32 v11, v6
	v_div_scale_f32 v12, vcc, v8, s50, v8
	v_fma_f32 v13, -v6, v11, 1.0
	v_fmac_f32_e32 v11, v13, v11
	v_mul_f32_e32 v13, v12, v11
	v_fma_f32 v14, -v6, v13, v12
	v_fmac_f32_e32 v13, v14, v11
	v_fma_f32 v6, -v6, v13, v12
	v_div_scale_f32 v12, s[2:3], s50, s50, v9
	v_rcp_f32_e32 v14, v12
	v_div_fmas_f32 v6, v6, v11, v13
	v_div_fixup_f32 v6, v6, s50, v8
	v_fma_f32 v11, -v12, v14, 1.0
	v_fmac_f32_e32 v14, v11, v14
	v_div_scale_f32 v11, vcc, v9, s50, v9
	v_mul_f32_e32 v13, v11, v14
	v_fma_f32 v15, -v12, v13, v11
	v_fmac_f32_e32 v13, v15, v14
	v_fma_f32 v11, -v12, v13, v11
	v_div_fmas_f32 v11, v11, v14, v13
	v_div_fixup_f32 v11, v11, s50, v9
	v_max_f32_e64 v14, |v6|, |v11|
	v_cvt_f64_f32_e32 v[12:13], v14
	v_frexp_exp_i32_f64_e32 v12, v[12:13]
	v_sub_u32_e32 v13, 0, v12
	v_ldexp_f32 v11, |v11|, v13
	v_ldexp_f32 v6, |v6|, v13
	v_mul_f32_e32 v11, v11, v11
	v_fmac_f32_e32 v11, v6, v6
	v_sqrt_f32_e32 v6, v11
	v_cmp_neq_f32_e32 vcc, s43, v14
	v_ldexp_f32 v6, v6, v12
	v_cndmask_b32_e32 v6, v43, v6, vcc
	v_cmp_gt_f32_e32 vcc, s47, v6
	v_cndmask_b32_e32 v11, 1.0, v41, vcc
	v_mul_f32_e32 v6, v6, v11
	v_log_f32_e32 v6, v6
	v_mul_f32_e32 v11, 0x3f317217, v6
	v_fma_f32 v12, v6, s48, -v11
	v_fmac_f32_e32 v12, 0x3377d1cf, v6
	v_add_f32_e32 v11, v11, v12
	v_cmp_lt_f32_e64 s[2:3], |v6|, s43
	v_cndmask_b32_e64 v6, v6, v11, s[2:3]
	v_cndmask_b32_e32 v11, 0, v42, vcc
	v_sub_f32_e32 v6, v6, v11
	v_add_f32_e32 v12, 1.0, v6
	v_max_f32_e64 v6, |v9|, |v9|
	v_max_f32_e64 v11, |v8|, |v8|
	v_min_f32_e32 v13, v11, v6
	v_max_f32_e32 v6, v11, v6
	v_frexp_mant_f32_e32 v11, v6
	v_rcp_f32_e32 v11, v11
	v_frexp_exp_i32_f32_e32 v6, v6
	v_frexp_exp_i32_f32_e32 v14, v13
	v_frexp_mant_f32_e32 v13, v13
	v_mul_f32_e32 v11, v13, v11
	v_sub_u32_e32 v6, v14, v6
	v_ldexp_f32 v6, v11, v6
	v_mul_f32_e32 v11, v6, v6
	v_mov_b32_e32 v13, 0xbc7a590c
	v_fmac_f32_e32 v13, 0x3b2d2a58, v11
	v_fma_f32 v13, v11, v13, v30
	v_fma_f32 v13, v11, v13, v31
	;; [unrolled: 1-line block ×6, first 2 shown]
	v_mul_f32_e32 v11, v11, v13
	v_fmac_f32_e32 v6, v6, v11
	v_sub_f32_e32 v11, 0x3fc90fdb, v6
	v_cndmask_b32_e64 v6, v6, v11, s[0:1]
	v_sub_f32_e32 v11, 0x40490fdb, v6
	v_cmp_gt_f32_e32 vcc, 0, v8
	v_cmp_gt_i32_e64 s[0:1], 0, v8
	v_cndmask_b32_e32 v6, v6, v11, vcc
	v_cndmask_b32_e64 v11, 0, v38, s[0:1]
	v_cmp_eq_f32_e64 s[0:1], 0, v9
	v_cndmask_b32_e64 v6, v6, v11, s[0:1]
	v_cmp_class_f32_e64 s[0:1], v8, s45
	v_cmp_class_f32_e64 s[2:3], v9, s45
	v_cndmask_b32_e32 v11, v39, v40, vcc
	s_and_b64 vcc, s[0:1], s[2:3]
	v_cndmask_b32_e32 v6, v6, v11, vcc
.LBB169_66:                             ;   in Loop: Header=BB169_5 Depth=1
	s_or_b64 exec, exec, s[20:21]
.LBB169_67:                             ;   in Loop: Header=BB169_5 Depth=1
	s_andn2_saveexec_b64 s[0:1], s[18:19]
	s_cbranch_execz .LBB169_73
; %bb.68:                               ;   in Loop: Header=BB169_5 Depth=1
	v_cmp_nlt_f32_e64 s[2:3], |v8|, s51
	v_cmp_nlt_f32_e64 s[18:19], |v9|, s51
	s_or_b64 s[2:3], s[2:3], s[18:19]
                                        ; implicit-def: $vgpr6
	s_and_saveexec_b64 s[18:19], s[2:3]
	s_xor_b64 s[2:3], exec, s[18:19]
; %bb.69:                               ;   in Loop: Header=BB169_5 Depth=1
	v_pk_mul_f32 v[12:13], v[8:9], v[8:9]
	v_add_f32_e32 v6, v12, v13
; %bb.70:                               ;   in Loop: Header=BB169_5 Depth=1
	s_andn2_saveexec_b64 s[2:3], s[2:3]
; %bb.71:                               ;   in Loop: Header=BB169_5 Depth=1
	v_pk_mul_f32 v[12:13], v[8:9], 4.0 op_sel_hi:[1,0]
	v_pk_mul_f32 v[12:13], v[12:13], v[12:13]
	v_add_f32_e32 v6, v12, v13
	v_mul_f32_e32 v6, 0x3d800000, v6
; %bb.72:                               ;   in Loop: Header=BB169_5 Depth=1
	s_or_b64 exec, exec, s[2:3]
	v_cmp_gt_f32_e32 vcc, s47, v6
	v_cndmask_b32_e32 v8, 1.0, v41, vcc
	v_mul_f32_e32 v6, v6, v8
	v_log_f32_e32 v6, v6
	v_cndmask_b32_e32 v8, 0, v42, vcc
	v_mul_f32_e32 v11, 0x3f317217, v6
	v_fma_f32 v12, v6, s48, -v11
	v_fmac_f32_e32 v12, 0x3377d1cf, v6
	v_add_f32_e32 v11, v11, v12
	v_cmp_lt_f32_e64 vcc, |v6|, s43
	v_cndmask_b32_e32 v6, v6, v11, vcc
	v_sub_f32_e32 v12, v6, v8
	v_mov_b32_e32 v6, 0x7fc00000
.LBB169_73:                             ;   in Loop: Header=BB169_5 Depth=1
	s_or_b64 exec, exec, s[0:1]
	s_waitcnt vmcnt(0)
	v_cmp_o_f32_e32 vcc, v3, v2
                                        ; implicit-def: $vgpr14
                                        ; implicit-def: $vgpr8
	s_and_saveexec_b64 s[0:1], vcc
	s_xor_b64 s[18:19], exec, s[0:1]
	s_cbranch_execz .LBB169_101
; %bb.74:                               ;   in Loop: Header=BB169_5 Depth=1
	v_cmp_lt_f32_e64 s[0:1], |v2|, |v3|
	v_cndmask_b32_e64 v11, v3, v2, s[0:1]
	v_cmp_ngt_f32_e64 s[2:3], |v11|, s35
                                        ; implicit-def: $vgpr14
                                        ; implicit-def: $vgpr8
	s_and_saveexec_b64 s[20:21], s[2:3]
	s_xor_b64 s[20:21], exec, s[20:21]
	s_cbranch_execz .LBB169_98
; %bb.75:                               ;   in Loop: Header=BB169_5 Depth=1
	v_cndmask_b32_e64 v8, v2, v3, s[0:1]
	v_and_b32_e32 v17, 0x7fffffff, v8
	v_and_b32_e32 v16, 0x7fffffff, v11
	v_cmp_neq_f32_e32 vcc, 1.0, v17
                                        ; implicit-def: $vgpr14
                                        ; implicit-def: $vgpr8
	s_and_saveexec_b64 s[2:3], vcc
	s_xor_b64 s[22:23], exec, s[2:3]
	s_cbranch_execz .LBB169_91
; %bb.76:                               ;   in Loop: Header=BB169_5 Depth=1
	v_max_f32_e32 v8, v16, v16
	v_max_f32_e32 v11, v17, v17
	v_min_f32_e32 v13, v11, v8
	v_max_f32_e32 v8, v11, v8
	v_cmp_ngt_f32_e32 vcc, s39, v13
	v_cmp_nlt_f32_e64 s[2:3], s40, v8
	s_and_b64 s[2:3], s[2:3], vcc
                                        ; implicit-def: $vgpr14
                                        ; implicit-def: $vgpr8
	s_and_saveexec_b64 s[24:25], s[2:3]
	s_xor_b64 s[24:25], exec, s[24:25]
	s_cbranch_execz .LBB169_88
; %bb.77:                               ;   in Loop: Header=BB169_5 Depth=1
	v_cmp_le_f32_e32 vcc, 1.0, v17
                                        ; implicit-def: $vgpr14
                                        ; implicit-def: $vgpr8
	s_and_saveexec_b64 s[2:3], vcc
	s_xor_b64 s[26:27], exec, s[2:3]
	s_cbranch_execz .LBB169_79
; %bb.78:                               ;   in Loop: Header=BB169_5 Depth=1
	v_pk_add_f32 v[14:15], v[16:17], s[14:15] op_sel:[1,0]
	v_mov_b32_e32 v8, v15
	v_pk_mul_f32 v[14:15], v[14:15], v[8:9]
	v_pk_fma_f32 v[14:15], v[16:17], v[16:17], v[14:15]
	v_add_f32_e32 v17, 1.0, v14
	v_add_f32_e32 v15, -1.0, v17
	v_mov_b32_e32 v16, v15
	v_pk_add_f32 v[24:25], v[14:15], v[16:17] neg_lo:[0,1] neg_hi:[0,1]
	v_add_f32_e32 v8, 1.0, v25
	v_add_f32_e32 v8, v24, v8
	v_frexp_mant_f32_e32 v11, v17
	v_cvt_f64_f32_e32 v[24:25], v17
	v_frexp_exp_i32_f64_e32 v13, v[24:25]
	v_cmp_gt_f32_e32 vcc, s41, v11
	v_subbrev_co_u32_e32 v11, vcc, 0, v13, vcc
	v_sub_u32_e32 v13, 0, v11
	v_ldexp_f32 v15, v17, v13
	v_ldexp_f32 v8, v8, v13
	v_add_f32_e32 v13, -1.0, v15
	v_add_f32_e32 v17, 1.0, v15
	v_add_f32_e32 v16, 1.0, v13
	v_add_f32_e32 v19, -1.0, v17
	v_sub_f32_e32 v16, v15, v16
	v_sub_f32_e32 v15, v15, v19
	v_add_f32_e32 v16, v8, v16
	v_add_f32_e32 v8, v8, v15
	;; [unrolled: 1-line block ×3, first 2 shown]
	v_rcp_f32_e32 v19, v15
	v_sub_f32_e32 v17, v15, v17
	v_sub_f32_e32 v8, v8, v17
	v_add_f32_e32 v17, v13, v16
	v_mul_f32_e32 v46, v17, v19
	v_mul_f32_e32 v24, v15, v46
	v_fma_f32 v26, v46, v15, -v24
	v_sub_f32_e32 v13, v17, v13
	v_fmac_f32_e32 v26, v46, v8
	v_sub_f32_e32 v13, v16, v13
	v_add_f32_e32 v16, v24, v26
	v_sub_f32_e32 v25, v17, v16
	v_pk_add_f32 v[44:45], v[16:17], v[24:25] neg_lo:[0,1] neg_hi:[0,1]
	v_mov_b32_e32 v27, v16
	v_pk_add_f32 v[16:17], v[44:45], v[26:27] neg_lo:[0,1] neg_hi:[0,1]
	v_add_f32_e32 v13, v13, v17
	v_add_f32_e32 v13, v16, v13
	;; [unrolled: 1-line block ×3, first 2 shown]
	v_mul_f32_e32 v47, v19, v17
	v_mul_f32_e32 v24, v15, v47
	v_fma_f32 v26, v47, v15, -v24
	v_fmac_f32_e32 v26, v47, v8
	v_add_f32_e32 v16, v24, v26
	v_sub_f32_e32 v8, v25, v17
	v_sub_f32_e32 v25, v17, v16
	v_pk_add_f32 v[44:45], v[16:17], v[24:25] neg_lo:[0,1] neg_hi:[0,1]
	v_mov_b32_e32 v27, v16
	v_add_f32_e32 v8, v13, v8
	v_pk_add_f32 v[16:17], v[44:45], v[26:27] neg_lo:[0,1] neg_hi:[0,1]
	v_add_f32_e32 v8, v8, v17
	v_add_f32_e32 v8, v16, v8
	;; [unrolled: 1-line block ×4, first 2 shown]
	v_sub_f32_e32 v15, v13, v46
	v_mul_f32_e32 v8, v19, v8
	v_sub_f32_e32 v15, v47, v15
	v_add_f32_e32 v8, v15, v8
	v_add_f32_e32 v15, v13, v8
	v_mul_f32_e32 v17, v15, v15
	v_mov_b32_e32 v16, 0x3ecc95a3
	v_fmac_f32_e32 v16, 0x3e9b6dac, v17
	v_fma_f32 v19, v17, v16, v29
	v_cvt_f32_i32_e32 v16, v11
	v_mul_f32_e32 v17, v15, v17
	v_ldexp_f32 v25, v15, 1
	v_sub_f32_e32 v11, v15, v13
	v_pk_mul_f32 v[26:27], v[16:17], v[18:19]
	v_fma_f32 v24, v16, s42, -v26
	v_fmac_f32_e32 v24, 0xb102e308, v16
	v_pk_add_f32 v[16:17], v[26:27], v[24:25]
	v_sub_f32_e32 v8, v8, v11
	v_sub_f32_e32 v11, v17, v25
	v_ldexp_f32 v8, v8, 1
	v_sub_f32_e32 v11, v27, v11
	v_add_f32_e32 v45, v8, v11
	v_mov_b32_e32 v44, v26
	v_pk_add_f32 v[26:27], v[16:17], v[26:27] neg_lo:[0,1] neg_hi:[0,1]
	v_pk_add_f32 v[46:47], v[16:17], v[44:45]
	v_mov_b32_e32 v27, v47
	v_mov_b32_e32 v25, v16
	v_pk_add_f32 v[48:49], v[24:25], v[26:27] neg_lo:[0,1] neg_hi:[0,1]
	v_pk_add_f32 v[24:25], v[24:25], v[26:27]
	v_mov_b32_e32 v8, v25
	v_pk_add_f32 v[26:27], v[8:9], v[16:17] neg_lo:[0,1] neg_hi:[0,1]
	v_mov_b32_e32 v11, v26
	v_pk_add_f32 v[50:51], v[46:47], v[10:11] neg_lo:[0,1] neg_hi:[0,1]
	v_mov_b32_e32 v24, v47
	v_mov_b32_e32 v46, v17
	;; [unrolled: 1-line block ×4, first 2 shown]
	v_pk_add_f32 v[24:25], v[24:25], v[46:47] neg_lo:[0,1] neg_hi:[0,1]
	v_mov_b32_e32 v26, v45
	v_mov_b32_e32 v27, v16
	v_pk_add_f32 v[16:17], v[26:27], v[24:25] neg_lo:[0,1] neg_hi:[0,1]
	v_mov_b32_e32 v50, v48
	v_pk_add_f32 v[24:25], v[50:51], v[16:17]
	v_mov_b32_e32 v26, v25
	v_pk_add_f32 v[26:27], v[24:25], v[26:27]
	v_pk_add_f32 v[44:45], v[8:9], v[26:27]
	v_mov_b32_e32 v25, v44
	v_pk_add_f32 v[46:47], v[24:25], v[48:49] neg_lo:[0,1] neg_hi:[0,1]
	v_mov_b32_e32 v17, v26
	v_sub_f32_e32 v8, v24, v46
	v_pk_add_f32 v[16:17], v[16:17], v[46:47] neg_lo:[0,1] neg_hi:[0,1]
	v_sub_f32_e32 v8, v48, v8
	v_add_f32_e32 v8, v16, v8
	v_add_f32_e32 v8, v8, v17
	;; [unrolled: 1-line block ×3, first 2 shown]
	v_cmp_eq_f32_e32 vcc, s43, v14
	v_cndmask_b32_e32 v8, v8, v14, vcc
	v_cmp_ngt_f32_e32 vcc, -1.0, v14
	v_cndmask_b32_e32 v8, v36, v8, vcc
	v_cmp_neq_f32_e32 vcc, -1.0, v14
	v_cndmask_b32_e32 v8, v37, v8, vcc
	v_cmp_lt_f32_e64 vcc, |v14|, s44
	v_cndmask_b32_e32 v8, v8, v14, vcc
	v_mul_f32_e32 v14, 0.5, v8
	v_max_f32_e64 v8, |v3|, |v3|
	v_max_f32_e64 v11, |v2|, |v2|
	v_min_f32_e32 v13, v11, v8
	v_max_f32_e32 v8, v11, v8
	v_frexp_mant_f32_e32 v11, v8
	v_rcp_f32_e32 v11, v11
	v_frexp_exp_i32_f32_e32 v8, v8
	v_frexp_exp_i32_f32_e32 v15, v13
	v_frexp_mant_f32_e32 v13, v13
	v_mul_f32_e32 v11, v13, v11
	v_sub_u32_e32 v8, v15, v8
	v_ldexp_f32 v8, v11, v8
	v_mul_f32_e32 v11, v8, v8
	v_mov_b32_e32 v13, 0xbc7a590c
	v_fmac_f32_e32 v13, 0x3b2d2a58, v11
	v_fma_f32 v13, v11, v13, v30
	v_fma_f32 v13, v11, v13, v31
	;; [unrolled: 1-line block ×6, first 2 shown]
	v_mul_f32_e32 v11, v11, v13
	v_fmac_f32_e32 v8, v8, v11
	v_sub_f32_e32 v11, 0x3fc90fdb, v8
	v_cndmask_b32_e64 v8, v8, v11, s[0:1]
	v_sub_f32_e32 v11, 0x40490fdb, v8
	v_cmp_gt_f32_e32 vcc, 0, v2
	v_cmp_gt_i32_e64 s[2:3], 0, v2
	v_cndmask_b32_e32 v8, v8, v11, vcc
	v_cndmask_b32_e64 v11, 0, v38, s[2:3]
	v_cmp_eq_f32_e64 s[2:3], 0, v3
	v_cndmask_b32_e64 v8, v8, v11, s[2:3]
	v_cmp_class_f32_e64 s[2:3], v2, s45
	v_cmp_class_f32_e64 s[28:29], v3, s45
	v_cndmask_b32_e32 v11, v39, v40, vcc
	s_and_b64 vcc, s[2:3], s[28:29]
	v_cndmask_b32_e32 v8, v8, v11, vcc
                                        ; implicit-def: $vgpr16_vgpr17
.LBB169_79:                             ;   in Loop: Header=BB169_5 Depth=1
	s_andn2_saveexec_b64 s[26:27], s[26:27]
	s_cbranch_execz .LBB169_87
; %bb.80:                               ;   in Loop: Header=BB169_5 Depth=1
	v_pk_mul_f32 v[14:15], v[16:17], v[16:17]
	v_add_f32_e32 v11, v15, v14
	v_cmp_ge_f32_e32 vcc, s46, v11
                                        ; implicit-def: $vgpr14
                                        ; implicit-def: $vgpr8
	s_and_saveexec_b64 s[2:3], vcc
	s_xor_b64 s[28:29], exec, s[2:3]
	s_cbranch_execz .LBB169_82
; %bb.81:                               ;   in Loop: Header=BB169_5 Depth=1
	v_cmp_gt_f32_e32 vcc, s47, v11
	v_cndmask_b32_e32 v8, 1.0, v41, vcc
	v_mul_f32_e32 v8, v11, v8
	v_log_f32_e32 v8, v8
	v_cndmask_b32_e32 v11, 0, v42, vcc
	v_cmp_gt_i32_e64 s[2:3], 0, v2
	v_cmp_class_f32_e64 s[30:31], v3, s45
	v_mul_f32_e32 v13, 0x3f317217, v8
	v_fma_f32 v14, v8, s48, -v13
	v_fmac_f32_e32 v14, 0x3377d1cf, v8
	v_add_f32_e32 v13, v13, v14
	v_cmp_lt_f32_e64 vcc, |v8|, s43
	v_cndmask_b32_e32 v8, v8, v13, vcc
	v_sub_f32_e32 v8, v8, v11
	v_mul_f32_e32 v14, 0.5, v8
	v_max_f32_e64 v8, |v3|, |v3|
	v_max_f32_e64 v11, |v2|, |v2|
	v_min_f32_e32 v13, v11, v8
	v_max_f32_e32 v8, v11, v8
	v_frexp_mant_f32_e32 v11, v8
	v_rcp_f32_e32 v11, v11
	v_frexp_exp_i32_f32_e32 v8, v8
	v_frexp_exp_i32_f32_e32 v15, v13
	v_frexp_mant_f32_e32 v13, v13
	v_mul_f32_e32 v11, v13, v11
	v_sub_u32_e32 v8, v15, v8
	v_ldexp_f32 v8, v11, v8
	v_mul_f32_e32 v11, v8, v8
	v_mov_b32_e32 v13, 0xbc7a590c
	v_fmac_f32_e32 v13, 0x3b2d2a58, v11
	v_fma_f32 v13, v11, v13, v30
	v_fma_f32 v13, v11, v13, v31
	;; [unrolled: 1-line block ×6, first 2 shown]
	v_mul_f32_e32 v11, v11, v13
	v_fmac_f32_e32 v8, v8, v11
	v_sub_f32_e32 v11, 0x3fc90fdb, v8
	v_cndmask_b32_e64 v8, v8, v11, s[0:1]
	v_sub_f32_e32 v11, 0x40490fdb, v8
	v_cmp_gt_f32_e32 vcc, 0, v2
	v_cndmask_b32_e32 v8, v8, v11, vcc
	v_cndmask_b32_e64 v11, 0, v38, s[2:3]
	v_cmp_eq_f32_e64 s[2:3], 0, v3
	v_cndmask_b32_e64 v8, v8, v11, s[2:3]
	v_cmp_class_f32_e64 s[2:3], v2, s45
	v_cndmask_b32_e32 v11, v39, v40, vcc
	s_and_b64 vcc, s[2:3], s[30:31]
	v_cndmask_b32_e32 v8, v8, v11, vcc
                                        ; implicit-def: $vgpr16_vgpr17
.LBB169_82:                             ;   in Loop: Header=BB169_5 Depth=1
	s_andn2_saveexec_b64 s[28:29], s[28:29]
	s_cbranch_execz .LBB169_86
; %bb.83:                               ;   in Loop: Header=BB169_5 Depth=1
	v_and_b32_e32 v25, 0x7fff0000, v16
	v_and_b32_e32 v24, 0x7fff0000, v17
	v_pk_add_f32 v[14:15], v[16:17], v[24:25] op_sel:[1,0] op_sel_hi:[0,1] neg_lo:[0,1] neg_hi:[0,1]
	v_and_b32_e32 v27, 0xffff0000, v15
	v_and_b32_e32 v26, 0xffff0000, v14
	v_pk_add_f32 v[44:45], v[14:15], v[26:27] neg_lo:[0,1] neg_hi:[0,1]
	v_pk_mul_f32 v[14:15], v[24:25], v[24:25]
	v_add_f32_e32 v13, v24, v24
	v_add_f32_e32 v24, v25, v25
	v_mul_f32_e32 v11, v13, v26
	v_mul_f32_e32 v8, v24, v27
	;; [unrolled: 1-line block ×4, first 2 shown]
	v_add_f32_e32 v24, v26, v26
	v_pk_mul_f32 v[16:17], v[26:27], v[26:27]
	v_mul_f32_e32 v26, v24, v44
	v_add_f32_e32 v24, v27, v27
	v_mul_f32_e32 v27, v24, v45
	v_pk_mul_f32 v[24:25], v[44:45], v[44:45]
	s_mov_b64 s[30:31], 0
.LBB169_84:                             ;   Parent Loop BB169_5 Depth=1
                                        ; =>  This Inner Loop Header: Depth=2
	v_cmp_nlt_f32_e32 vcc, v14, v15
	v_cndmask_b32_e32 v44, v14, v15, vcc
	v_cmp_nlt_f32_e64 s[2:3], v44, v11
	v_cndmask_b32_e64 v45, v44, v11, s[2:3]
	v_cndmask_b32_e32 v14, v15, v14, vcc
	s_and_b64 s[52:53], vcc, s[2:3]
	v_cmp_nlt_f32_e32 vcc, v45, v8
	v_cndmask_b32_e64 v15, v11, v44, s[2:3]
	v_cndmask_b32_e32 v44, v45, v8, vcc
	v_cmp_nlt_f32_e64 s[2:3], v44, v16
	v_cndmask_b32_e32 v11, v8, v45, vcc
	v_cndmask_b32_e64 v45, v44, v16, s[2:3]
	s_and_b64 s[54:55], vcc, s[2:3]
	v_cmp_nlt_f32_e32 vcc, v45, v17
	v_cndmask_b32_e64 v8, v16, v44, s[2:3]
	v_cndmask_b32_e32 v44, v45, v17, vcc
	v_cmp_nlt_f32_e64 s[2:3], v44, v19
	v_cndmask_b32_e32 v16, v17, v45, vcc
	v_cndmask_b32_e64 v45, v44, v19, s[2:3]
	v_cndmask_b32_e64 v17, v19, v44, s[2:3]
	s_and_b64 s[2:3], vcc, s[2:3]
	v_cmp_nlt_f32_e32 vcc, v45, v13
	v_cndmask_b32_e32 v44, v45, v13, vcc
	v_cndmask_b32_e32 v19, v13, v45, vcc
	s_and_b64 s[2:3], s[2:3], vcc
	v_cmp_nlt_f32_e32 vcc, v44, v26
	v_cndmask_b32_e32 v45, v44, v26, vcc
	v_cndmask_b32_e32 v13, v26, v44, vcc
	s_and_b64 s[2:3], s[2:3], vcc
	;; [unrolled: 4-line block ×4, first 2 shown]
	v_cmp_nlt_f32_e32 vcc, v45, v25
	s_and_b64 s[2:3], s[2:3], vcc
	s_and_b64 s[2:3], s[2:3], s[54:55]
	s_and_b64 s[2:3], s[2:3], s[52:53]
	s_and_b64 s[2:3], exec, s[2:3]
	v_cndmask_b32_e32 v24, v25, v45, vcc
	s_or_b64 s[30:31], s[2:3], s[30:31]
	v_cndmask_b32_e32 v25, v45, v25, vcc
	s_andn2_b64 exec, exec, s[30:31]
	s_cbranch_execnz .LBB169_84
; %bb.85:                               ;   in Loop: Header=BB169_5 Depth=1
	s_or_b64 exec, exec, s[30:31]
	v_add_f32_e32 v14, -1.0, v14
	v_add_f32_e32 v14, v14, v15
	v_add_f32_e32 v11, v14, v11
	;; [unrolled: 1-line block ×11, first 2 shown]
	v_add_f32_e32 v17, 1.0, v14
	v_add_f32_e32 v15, -1.0, v17
	v_mov_b32_e32 v16, v15
	v_pk_add_f32 v[24:25], v[14:15], v[16:17] neg_lo:[0,1] neg_hi:[0,1]
	v_add_f32_e32 v8, 1.0, v25
	v_add_f32_e32 v8, v24, v8
	v_frexp_mant_f32_e32 v11, v17
	v_cvt_f64_f32_e32 v[24:25], v17
	v_frexp_exp_i32_f64_e32 v13, v[24:25]
	v_cmp_gt_f32_e32 vcc, s41, v11
	v_subbrev_co_u32_e32 v11, vcc, 0, v13, vcc
	v_sub_u32_e32 v13, 0, v11
	v_ldexp_f32 v15, v17, v13
	v_ldexp_f32 v8, v8, v13
	v_add_f32_e32 v13, -1.0, v15
	v_add_f32_e32 v17, 1.0, v15
	v_add_f32_e32 v16, 1.0, v13
	v_add_f32_e32 v19, -1.0, v17
	v_sub_f32_e32 v16, v15, v16
	v_sub_f32_e32 v15, v15, v19
	v_add_f32_e32 v16, v8, v16
	v_add_f32_e32 v8, v8, v15
	;; [unrolled: 1-line block ×3, first 2 shown]
	v_rcp_f32_e32 v19, v15
	v_sub_f32_e32 v17, v15, v17
	v_sub_f32_e32 v8, v8, v17
	v_add_f32_e32 v17, v13, v16
	v_mul_f32_e32 v46, v17, v19
	v_mul_f32_e32 v24, v15, v46
	v_fma_f32 v26, v46, v15, -v24
	v_sub_f32_e32 v13, v17, v13
	v_fmac_f32_e32 v26, v46, v8
	v_sub_f32_e32 v13, v16, v13
	v_add_f32_e32 v16, v24, v26
	v_sub_f32_e32 v25, v17, v16
	v_pk_add_f32 v[44:45], v[16:17], v[24:25] neg_lo:[0,1] neg_hi:[0,1]
	v_mov_b32_e32 v27, v16
	v_pk_add_f32 v[16:17], v[44:45], v[26:27] neg_lo:[0,1] neg_hi:[0,1]
	v_add_f32_e32 v13, v13, v17
	v_add_f32_e32 v13, v16, v13
	;; [unrolled: 1-line block ×3, first 2 shown]
	v_mul_f32_e32 v47, v19, v17
	v_mul_f32_e32 v24, v15, v47
	v_fma_f32 v26, v47, v15, -v24
	v_fmac_f32_e32 v26, v47, v8
	v_add_f32_e32 v16, v24, v26
	v_sub_f32_e32 v8, v25, v17
	v_sub_f32_e32 v25, v17, v16
	v_pk_add_f32 v[44:45], v[16:17], v[24:25] neg_lo:[0,1] neg_hi:[0,1]
	v_mov_b32_e32 v27, v16
	v_add_f32_e32 v8, v13, v8
	v_pk_add_f32 v[16:17], v[44:45], v[26:27] neg_lo:[0,1] neg_hi:[0,1]
	v_add_f32_e32 v8, v8, v17
	v_add_f32_e32 v8, v16, v8
	v_add_f32_e32 v13, v46, v47
	v_add_f32_e32 v8, v25, v8
	v_sub_f32_e32 v15, v13, v46
	v_mul_f32_e32 v8, v19, v8
	v_sub_f32_e32 v15, v47, v15
	v_add_f32_e32 v8, v15, v8
	v_add_f32_e32 v15, v13, v8
	v_mul_f32_e32 v17, v15, v15
	v_mov_b32_e32 v16, 0x3ecc95a3
	v_fmac_f32_e32 v16, 0x3e9b6dac, v17
	v_fma_f32 v19, v17, v16, v29
	v_cvt_f32_i32_e32 v16, v11
	v_mul_f32_e32 v17, v15, v17
	v_ldexp_f32 v25, v15, 1
	v_sub_f32_e32 v11, v15, v13
	v_pk_mul_f32 v[26:27], v[16:17], v[18:19]
	v_fma_f32 v24, v16, s42, -v26
	v_fmac_f32_e32 v24, 0xb102e308, v16
	v_pk_add_f32 v[16:17], v[26:27], v[24:25]
	v_sub_f32_e32 v8, v8, v11
	v_sub_f32_e32 v11, v17, v25
	v_ldexp_f32 v8, v8, 1
	v_sub_f32_e32 v11, v27, v11
	v_add_f32_e32 v45, v8, v11
	v_mov_b32_e32 v44, v26
	v_pk_add_f32 v[26:27], v[16:17], v[26:27] neg_lo:[0,1] neg_hi:[0,1]
	v_pk_add_f32 v[46:47], v[16:17], v[44:45]
	v_mov_b32_e32 v27, v47
	v_mov_b32_e32 v25, v16
	v_pk_add_f32 v[48:49], v[24:25], v[26:27] neg_lo:[0,1] neg_hi:[0,1]
	v_pk_add_f32 v[24:25], v[24:25], v[26:27]
	v_mov_b32_e32 v8, v25
	v_pk_add_f32 v[26:27], v[8:9], v[16:17] neg_lo:[0,1] neg_hi:[0,1]
	v_mov_b32_e32 v11, v26
	v_pk_add_f32 v[50:51], v[46:47], v[10:11] neg_lo:[0,1] neg_hi:[0,1]
	v_mov_b32_e32 v24, v47
	v_mov_b32_e32 v46, v17
	;; [unrolled: 1-line block ×4, first 2 shown]
	v_pk_add_f32 v[24:25], v[24:25], v[46:47] neg_lo:[0,1] neg_hi:[0,1]
	v_mov_b32_e32 v26, v45
	v_mov_b32_e32 v27, v16
	v_pk_add_f32 v[16:17], v[26:27], v[24:25] neg_lo:[0,1] neg_hi:[0,1]
	v_mov_b32_e32 v50, v48
	v_pk_add_f32 v[24:25], v[50:51], v[16:17]
	v_mov_b32_e32 v26, v25
	v_pk_add_f32 v[26:27], v[24:25], v[26:27]
	v_pk_add_f32 v[44:45], v[8:9], v[26:27]
	v_mov_b32_e32 v25, v44
	v_pk_add_f32 v[46:47], v[24:25], v[48:49] neg_lo:[0,1] neg_hi:[0,1]
	v_mov_b32_e32 v17, v26
	v_sub_f32_e32 v8, v24, v46
	v_pk_add_f32 v[16:17], v[16:17], v[46:47] neg_lo:[0,1] neg_hi:[0,1]
	v_sub_f32_e32 v8, v48, v8
	v_add_f32_e32 v8, v16, v8
	v_add_f32_e32 v8, v8, v17
	;; [unrolled: 1-line block ×3, first 2 shown]
	v_cmp_eq_f32_e32 vcc, s43, v14
	v_cndmask_b32_e32 v8, v8, v14, vcc
	v_cmp_ngt_f32_e32 vcc, -1.0, v14
	v_cndmask_b32_e32 v8, v36, v8, vcc
	v_cmp_neq_f32_e32 vcc, -1.0, v14
	v_cndmask_b32_e32 v8, v37, v8, vcc
	v_cmp_lt_f32_e64 vcc, |v14|, s44
	v_cndmask_b32_e32 v8, v8, v14, vcc
	v_mul_f32_e32 v14, 0.5, v8
	v_max_f32_e64 v8, |v3|, |v3|
	v_max_f32_e64 v11, |v2|, |v2|
	v_min_f32_e32 v13, v11, v8
	v_max_f32_e32 v8, v11, v8
	v_frexp_mant_f32_e32 v11, v8
	v_rcp_f32_e32 v11, v11
	v_frexp_exp_i32_f32_e32 v8, v8
	v_frexp_exp_i32_f32_e32 v15, v13
	v_frexp_mant_f32_e32 v13, v13
	v_mul_f32_e32 v11, v13, v11
	v_sub_u32_e32 v8, v15, v8
	v_ldexp_f32 v8, v11, v8
	v_mul_f32_e32 v11, v8, v8
	v_mov_b32_e32 v13, 0xbc7a590c
	v_fmac_f32_e32 v13, 0x3b2d2a58, v11
	v_fma_f32 v13, v11, v13, v30
	v_fma_f32 v13, v11, v13, v31
	;; [unrolled: 1-line block ×6, first 2 shown]
	v_mul_f32_e32 v11, v11, v13
	v_fmac_f32_e32 v8, v8, v11
	v_sub_f32_e32 v11, 0x3fc90fdb, v8
	v_cndmask_b32_e64 v8, v8, v11, s[0:1]
	v_sub_f32_e32 v11, 0x40490fdb, v8
	v_cmp_gt_f32_e32 vcc, 0, v2
	v_cmp_gt_i32_e64 s[2:3], 0, v2
	v_cndmask_b32_e32 v8, v8, v11, vcc
	v_cndmask_b32_e64 v11, 0, v38, s[2:3]
	v_cmp_eq_f32_e64 s[2:3], 0, v3
	v_cndmask_b32_e64 v8, v8, v11, s[2:3]
	v_cmp_class_f32_e64 s[2:3], v2, s45
	v_cmp_class_f32_e64 s[30:31], v3, s45
	v_cndmask_b32_e32 v11, v39, v40, vcc
	s_and_b64 vcc, s[2:3], s[30:31]
	v_cndmask_b32_e32 v8, v8, v11, vcc
.LBB169_86:                             ;   in Loop: Header=BB169_5 Depth=1
	s_or_b64 exec, exec, s[28:29]
.LBB169_87:                             ;   in Loop: Header=BB169_5 Depth=1
	s_or_b64 exec, exec, s[26:27]
.LBB169_88:                             ;   in Loop: Header=BB169_5 Depth=1
	s_andn2_saveexec_b64 s[24:25], s[24:25]
	s_cbranch_execz .LBB169_90
; %bb.89:                               ;   in Loop: Header=BB169_5 Depth=1
	v_max_f32_e64 v8, |v3|, |v3|
	v_max_f32_e64 v11, |v2|, |v2|
	v_max_f32_e32 v13, v11, v8
	v_cvt_f64_f32_e32 v[14:15], v13
	v_frexp_exp_i32_f64_e32 v14, v[14:15]
	v_sub_u32_e32 v15, 0, v14
	v_ldexp_f32 v16, |v2|, v15
	v_ldexp_f32 v15, |v3|, v15
	v_mul_f32_e32 v15, v15, v15
	v_fmac_f32_e32 v15, v16, v16
	v_sqrt_f32_e32 v15, v15
	v_cmp_neq_f32_e32 vcc, s43, v13
	v_min_f32_e32 v8, v11, v8
	v_frexp_mant_f32_e32 v11, v13
	v_ldexp_f32 v14, v15, v14
	v_cndmask_b32_e32 v14, v43, v14, vcc
	v_cmp_gt_f32_e32 vcc, s47, v14
	v_cndmask_b32_e32 v15, 1.0, v41, vcc
	v_mul_f32_e32 v14, v14, v15
	v_log_f32_e32 v14, v14
	v_rcp_f32_e32 v11, v11
	v_cndmask_b32_e32 v15, 0, v42, vcc
	v_frexp_exp_i32_f32_e32 v13, v13
	v_mul_f32_e32 v16, 0x3f317217, v14
	v_fma_f32 v17, v14, s48, -v16
	v_fmac_f32_e32 v17, 0x3377d1cf, v14
	v_add_f32_e32 v16, v16, v17
	v_cmp_lt_f32_e64 vcc, |v14|, s43
	v_cndmask_b32_e32 v14, v14, v16, vcc
	v_sub_f32_e32 v14, v14, v15
	v_frexp_exp_i32_f32_e32 v15, v8
	v_frexp_mant_f32_e32 v8, v8
	v_mul_f32_e32 v8, v8, v11
	v_sub_u32_e32 v11, v15, v13
	v_ldexp_f32 v8, v8, v11
	v_mul_f32_e32 v11, v8, v8
	v_mov_b32_e32 v13, 0xbc7a590c
	v_fmac_f32_e32 v13, 0x3b2d2a58, v11
	v_fma_f32 v13, v11, v13, v30
	v_fma_f32 v13, v11, v13, v31
	v_fma_f32 v13, v11, v13, v32
	v_fma_f32 v13, v11, v13, v33
	v_fma_f32 v13, v11, v13, v34
	v_fma_f32 v13, v11, v13, v35
	v_mul_f32_e32 v11, v11, v13
	v_fmac_f32_e32 v8, v8, v11
	v_sub_f32_e32 v11, 0x3fc90fdb, v8
	v_cndmask_b32_e64 v8, v8, v11, s[0:1]
	v_sub_f32_e32 v11, 0x40490fdb, v8
	v_cmp_gt_f32_e32 vcc, 0, v2
	v_cmp_gt_i32_e64 s[2:3], 0, v2
	v_cndmask_b32_e32 v8, v8, v11, vcc
	v_cndmask_b32_e64 v11, 0, v38, s[2:3]
	v_cmp_eq_f32_e64 s[2:3], 0, v3
	v_cndmask_b32_e64 v8, v8, v11, s[2:3]
	v_cmp_class_f32_e64 s[2:3], v2, s45
	v_cmp_class_f32_e64 s[26:27], v3, s45
	v_cndmask_b32_e32 v11, v39, v40, vcc
	s_and_b64 vcc, s[2:3], s[26:27]
	v_cndmask_b32_e32 v8, v8, v11, vcc
.LBB169_90:                             ;   in Loop: Header=BB169_5 Depth=1
	s_or_b64 exec, exec, s[24:25]
                                        ; implicit-def: $vgpr16
.LBB169_91:                             ;   in Loop: Header=BB169_5 Depth=1
	s_andn2_saveexec_b64 s[22:23], s[22:23]
	s_cbranch_execz .LBB169_97
; %bb.92:                               ;   in Loop: Header=BB169_5 Depth=1
	v_cmp_ngt_f32_e32 vcc, s49, v16
                                        ; implicit-def: $vgpr14
                                        ; implicit-def: $vgpr8
	s_and_saveexec_b64 s[2:3], vcc
	s_xor_b64 s[24:25], exec, s[2:3]
	s_cbranch_execz .LBB169_94
; %bb.93:                               ;   in Loop: Header=BB169_5 Depth=1
	v_pk_mul_f32 v[14:15], v[16:17], v[16:17]
	v_add_f32_e32 v17, 1.0, v14
	v_add_f32_e32 v15, -1.0, v17
	v_mov_b32_e32 v16, v15
	v_pk_add_f32 v[24:25], v[14:15], v[16:17] neg_lo:[0,1] neg_hi:[0,1]
	v_add_f32_e32 v8, 1.0, v25
	v_add_f32_e32 v8, v24, v8
	v_frexp_mant_f32_e32 v11, v17
	v_cvt_f64_f32_e32 v[24:25], v17
	v_frexp_exp_i32_f64_e32 v13, v[24:25]
	v_cmp_gt_f32_e32 vcc, s41, v11
	v_subbrev_co_u32_e32 v11, vcc, 0, v13, vcc
	v_sub_u32_e32 v13, 0, v11
	v_ldexp_f32 v15, v17, v13
	v_ldexp_f32 v8, v8, v13
	v_add_f32_e32 v13, -1.0, v15
	v_add_f32_e32 v17, 1.0, v15
	v_add_f32_e32 v16, 1.0, v13
	v_add_f32_e32 v19, -1.0, v17
	v_sub_f32_e32 v16, v15, v16
	v_sub_f32_e32 v15, v15, v19
	v_add_f32_e32 v16, v8, v16
	v_add_f32_e32 v8, v8, v15
	v_add_f32_e32 v15, v17, v8
	v_rcp_f32_e32 v19, v15
	v_sub_f32_e32 v17, v17, v15
	v_add_f32_e32 v8, v8, v17
	v_add_f32_e32 v17, v13, v16
	v_mul_f32_e32 v46, v17, v19
	v_mul_f32_e32 v24, v15, v46
	v_fma_f32 v26, v46, v15, -v24
	v_sub_f32_e32 v13, v13, v17
	v_fmac_f32_e32 v26, v46, v8
	v_add_f32_e32 v13, v16, v13
	v_add_f32_e32 v16, v24, v26
	v_sub_f32_e32 v25, v17, v16
	v_pk_add_f32 v[44:45], v[16:17], v[24:25] neg_lo:[0,1] neg_hi:[0,1]
	v_mov_b32_e32 v27, v16
	v_pk_add_f32 v[16:17], v[44:45], v[26:27] neg_lo:[0,1] neg_hi:[0,1]
	v_add_f32_e32 v13, v13, v17
	v_add_f32_e32 v13, v16, v13
	;; [unrolled: 1-line block ×3, first 2 shown]
	v_mul_f32_e32 v47, v19, v17
	v_mul_f32_e32 v24, v15, v47
	v_fma_f32 v26, v47, v15, -v24
	v_fmac_f32_e32 v26, v47, v8
	v_add_f32_e32 v16, v24, v26
	v_sub_f32_e32 v8, v25, v17
	v_sub_f32_e32 v25, v17, v16
	v_pk_add_f32 v[44:45], v[16:17], v[24:25] neg_lo:[0,1] neg_hi:[0,1]
	v_mov_b32_e32 v27, v16
	v_add_f32_e32 v8, v13, v8
	v_pk_add_f32 v[16:17], v[44:45], v[26:27] neg_lo:[0,1] neg_hi:[0,1]
	v_add_f32_e32 v8, v8, v17
	v_add_f32_e32 v8, v16, v8
	;; [unrolled: 1-line block ×4, first 2 shown]
	v_sub_f32_e32 v15, v13, v46
	v_mul_f32_e32 v8, v19, v8
	v_sub_f32_e32 v15, v47, v15
	v_add_f32_e32 v8, v15, v8
	v_add_f32_e32 v15, v13, v8
	v_mul_f32_e32 v17, v15, v15
	v_mov_b32_e32 v16, 0x3ecc95a3
	v_fmac_f32_e32 v16, 0x3e9b6dac, v17
	v_fma_f32 v19, v17, v16, v29
	v_cvt_f32_i32_e32 v16, v11
	v_mul_f32_e32 v17, v15, v17
	v_ldexp_f32 v25, v15, 1
	v_sub_f32_e32 v11, v15, v13
	v_pk_mul_f32 v[26:27], v[16:17], v[18:19]
	v_fma_f32 v24, v16, s42, -v26
	v_fmac_f32_e32 v24, 0xb102e308, v16
	v_pk_add_f32 v[16:17], v[26:27], v[24:25]
	v_sub_f32_e32 v8, v8, v11
	v_sub_f32_e32 v11, v17, v25
	v_ldexp_f32 v8, v8, 1
	v_sub_f32_e32 v11, v27, v11
	v_add_f32_e32 v45, v8, v11
	v_mov_b32_e32 v44, v26
	v_pk_add_f32 v[26:27], v[16:17], v[26:27] neg_lo:[0,1] neg_hi:[0,1]
	v_pk_add_f32 v[46:47], v[16:17], v[44:45]
	v_mov_b32_e32 v27, v47
	v_mov_b32_e32 v25, v16
	v_pk_add_f32 v[48:49], v[24:25], v[26:27] neg_lo:[0,1] neg_hi:[0,1]
	v_pk_add_f32 v[24:25], v[24:25], v[26:27]
	v_mov_b32_e32 v8, v25
	v_pk_add_f32 v[26:27], v[8:9], v[16:17] neg_lo:[0,1] neg_hi:[0,1]
	v_mov_b32_e32 v11, v26
	v_pk_add_f32 v[50:51], v[46:47], v[10:11] neg_lo:[0,1] neg_hi:[0,1]
	v_mov_b32_e32 v24, v47
	v_mov_b32_e32 v46, v17
	;; [unrolled: 1-line block ×4, first 2 shown]
	v_pk_add_f32 v[24:25], v[24:25], v[46:47] neg_lo:[0,1] neg_hi:[0,1]
	v_mov_b32_e32 v26, v45
	v_mov_b32_e32 v27, v16
	v_pk_add_f32 v[16:17], v[26:27], v[24:25] neg_lo:[0,1] neg_hi:[0,1]
	v_mov_b32_e32 v50, v48
	v_pk_add_f32 v[24:25], v[50:51], v[16:17]
	v_mov_b32_e32 v26, v25
	v_pk_add_f32 v[26:27], v[24:25], v[26:27]
	v_pk_add_f32 v[44:45], v[8:9], v[26:27]
	v_mov_b32_e32 v25, v44
	v_pk_add_f32 v[46:47], v[24:25], v[48:49] neg_lo:[0,1] neg_hi:[0,1]
	v_mov_b32_e32 v17, v26
	v_sub_f32_e32 v8, v24, v46
	v_pk_add_f32 v[16:17], v[16:17], v[46:47] neg_lo:[0,1] neg_hi:[0,1]
	v_sub_f32_e32 v8, v48, v8
	v_add_f32_e32 v8, v16, v8
	v_add_f32_e32 v8, v8, v17
	v_cmp_eq_f32_e32 vcc, s43, v14
	v_cmp_lt_f32_e64 s[2:3], |v14|, s44
	v_add_f32_e32 v8, v44, v8
	s_or_b64 vcc, vcc, s[2:3]
	v_cndmask_b32_e32 v8, v8, v14, vcc
	v_mul_f32_e32 v14, 0.5, v8
	v_max_f32_e64 v8, |v3|, |v3|
	v_max_f32_e64 v11, |v2|, |v2|
	v_min_f32_e32 v13, v11, v8
	v_max_f32_e32 v8, v11, v8
	v_frexp_mant_f32_e32 v11, v8
	v_rcp_f32_e32 v11, v11
	v_frexp_exp_i32_f32_e32 v8, v8
	v_frexp_exp_i32_f32_e32 v15, v13
	v_frexp_mant_f32_e32 v13, v13
	v_mul_f32_e32 v11, v13, v11
	v_sub_u32_e32 v8, v15, v8
	v_ldexp_f32 v8, v11, v8
	v_mul_f32_e32 v11, v8, v8
	v_mov_b32_e32 v13, 0xbc7a590c
	v_fmac_f32_e32 v13, 0x3b2d2a58, v11
	v_fma_f32 v13, v11, v13, v30
	v_fma_f32 v13, v11, v13, v31
	;; [unrolled: 1-line block ×6, first 2 shown]
	v_mul_f32_e32 v11, v11, v13
	v_fmac_f32_e32 v8, v8, v11
	v_sub_f32_e32 v11, 0x3fc90fdb, v8
	v_cndmask_b32_e64 v8, v8, v11, s[0:1]
	v_sub_f32_e32 v11, 0x40490fdb, v8
	v_cmp_gt_f32_e32 vcc, 0, v2
	v_cmp_gt_i32_e64 s[2:3], 0, v2
	v_cndmask_b32_e32 v8, v8, v11, vcc
	v_cndmask_b32_e64 v11, 0, v38, s[2:3]
	v_cmp_eq_f32_e64 s[2:3], 0, v3
	v_cndmask_b32_e64 v8, v8, v11, s[2:3]
	v_cmp_class_f32_e64 s[2:3], v2, s45
	v_cmp_class_f32_e64 s[26:27], v3, s45
	v_cndmask_b32_e32 v11, v39, v40, vcc
	s_and_b64 vcc, s[2:3], s[26:27]
	v_cndmask_b32_e32 v8, v8, v11, vcc
                                        ; implicit-def: $vgpr16
.LBB169_94:                             ;   in Loop: Header=BB169_5 Depth=1
	s_andn2_saveexec_b64 s[24:25], s[24:25]
	s_cbranch_execz .LBB169_96
; %bb.95:                               ;   in Loop: Header=BB169_5 Depth=1
	v_mul_f32_e32 v8, 0.5, v16
	v_mul_f32_e32 v14, v16, v8
	v_max_f32_e64 v8, |v3|, |v3|
	v_max_f32_e64 v11, |v2|, |v2|
	v_min_f32_e32 v13, v11, v8
	v_max_f32_e32 v8, v11, v8
	v_frexp_mant_f32_e32 v11, v8
	v_rcp_f32_e32 v11, v11
	v_frexp_exp_i32_f32_e32 v8, v8
	v_frexp_exp_i32_f32_e32 v15, v13
	v_frexp_mant_f32_e32 v13, v13
	v_mul_f32_e32 v11, v13, v11
	v_sub_u32_e32 v8, v15, v8
	v_ldexp_f32 v8, v11, v8
	v_mul_f32_e32 v11, v8, v8
	v_mov_b32_e32 v13, 0xbc7a590c
	v_fmac_f32_e32 v13, 0x3b2d2a58, v11
	v_fma_f32 v13, v11, v13, v30
	v_fma_f32 v13, v11, v13, v31
	;; [unrolled: 1-line block ×6, first 2 shown]
	v_mul_f32_e32 v11, v11, v13
	v_fmac_f32_e32 v8, v8, v11
	v_sub_f32_e32 v11, 0x3fc90fdb, v8
	v_cndmask_b32_e64 v8, v8, v11, s[0:1]
	v_sub_f32_e32 v11, 0x40490fdb, v8
	v_cmp_gt_f32_e32 vcc, 0, v2
	v_cmp_gt_i32_e64 s[2:3], 0, v2
	v_cndmask_b32_e32 v8, v8, v11, vcc
	v_cndmask_b32_e64 v11, 0, v38, s[2:3]
	v_cmp_eq_f32_e64 s[2:3], 0, v3
	v_cndmask_b32_e64 v8, v8, v11, s[2:3]
	v_cmp_class_f32_e64 s[2:3], v2, s45
	v_cmp_class_f32_e64 s[26:27], v3, s45
	v_cndmask_b32_e32 v11, v39, v40, vcc
	s_and_b64 vcc, s[2:3], s[26:27]
	v_cndmask_b32_e32 v8, v8, v11, vcc
.LBB169_96:                             ;   in Loop: Header=BB169_5 Depth=1
	s_or_b64 exec, exec, s[24:25]
.LBB169_97:                             ;   in Loop: Header=BB169_5 Depth=1
	s_or_b64 exec, exec, s[22:23]
.LBB169_98:                             ;   in Loop: Header=BB169_5 Depth=1
	s_andn2_saveexec_b64 s[20:21], s[20:21]
	s_cbranch_execz .LBB169_100
; %bb.99:                               ;   in Loop: Header=BB169_5 Depth=1
	v_div_scale_f32 v8, s[2:3], s50, s50, v2
	v_rcp_f32_e32 v11, v8
	v_div_scale_f32 v13, vcc, v2, s50, v2
	v_fma_f32 v14, -v8, v11, 1.0
	v_fmac_f32_e32 v11, v14, v11
	v_mul_f32_e32 v14, v13, v11
	v_fma_f32 v15, -v8, v14, v13
	v_fmac_f32_e32 v14, v15, v11
	v_fma_f32 v8, -v8, v14, v13
	v_div_scale_f32 v13, s[2:3], s50, s50, v3
	v_rcp_f32_e32 v15, v13
	v_div_fmas_f32 v8, v8, v11, v14
	v_div_fixup_f32 v8, v8, s50, v2
	v_fma_f32 v11, -v13, v15, 1.0
	v_fmac_f32_e32 v15, v11, v15
	v_div_scale_f32 v11, vcc, v3, s50, v3
	v_mul_f32_e32 v14, v11, v15
	v_fma_f32 v16, -v13, v14, v11
	v_fmac_f32_e32 v14, v16, v15
	v_fma_f32 v11, -v13, v14, v11
	v_div_fmas_f32 v11, v11, v15, v14
	v_div_fixup_f32 v11, v11, s50, v3
	v_max_f32_e64 v13, |v8|, |v11|
	v_cvt_f64_f32_e32 v[14:15], v13
	v_frexp_exp_i32_f64_e32 v14, v[14:15]
	v_sub_u32_e32 v15, 0, v14
	v_ldexp_f32 v11, |v11|, v15
	v_ldexp_f32 v8, |v8|, v15
	v_mul_f32_e32 v11, v11, v11
	v_fmac_f32_e32 v11, v8, v8
	v_sqrt_f32_e32 v8, v11
	v_cmp_neq_f32_e32 vcc, s43, v13
	v_ldexp_f32 v8, v8, v14
	v_cndmask_b32_e32 v8, v43, v8, vcc
	v_cmp_gt_f32_e32 vcc, s47, v8
	v_cndmask_b32_e32 v11, 1.0, v41, vcc
	v_mul_f32_e32 v8, v8, v11
	v_log_f32_e32 v8, v8
	v_mul_f32_e32 v11, 0x3f317217, v8
	v_fma_f32 v13, v8, s48, -v11
	v_fmac_f32_e32 v13, 0x3377d1cf, v8
	v_add_f32_e32 v11, v11, v13
	v_cmp_lt_f32_e64 s[2:3], |v8|, s43
	v_cndmask_b32_e64 v8, v8, v11, s[2:3]
	v_cndmask_b32_e32 v11, 0, v42, vcc
	v_sub_f32_e32 v8, v8, v11
	v_add_f32_e32 v14, 1.0, v8
	v_max_f32_e64 v8, |v3|, |v3|
	v_max_f32_e64 v11, |v2|, |v2|
	v_min_f32_e32 v13, v11, v8
	v_max_f32_e32 v8, v11, v8
	v_frexp_mant_f32_e32 v11, v8
	v_rcp_f32_e32 v11, v11
	v_frexp_exp_i32_f32_e32 v8, v8
	v_frexp_exp_i32_f32_e32 v15, v13
	v_frexp_mant_f32_e32 v13, v13
	v_mul_f32_e32 v11, v13, v11
	v_sub_u32_e32 v8, v15, v8
	v_ldexp_f32 v8, v11, v8
	v_mul_f32_e32 v11, v8, v8
	v_mov_b32_e32 v13, 0xbc7a590c
	v_fmac_f32_e32 v13, 0x3b2d2a58, v11
	v_fma_f32 v13, v11, v13, v30
	v_fma_f32 v13, v11, v13, v31
	;; [unrolled: 1-line block ×6, first 2 shown]
	v_mul_f32_e32 v11, v11, v13
	v_fmac_f32_e32 v8, v8, v11
	v_sub_f32_e32 v11, 0x3fc90fdb, v8
	v_cndmask_b32_e64 v8, v8, v11, s[0:1]
	v_sub_f32_e32 v11, 0x40490fdb, v8
	v_cmp_gt_f32_e32 vcc, 0, v2
	v_cmp_gt_i32_e64 s[0:1], 0, v2
	v_cndmask_b32_e32 v8, v8, v11, vcc
	v_cndmask_b32_e64 v11, 0, v38, s[0:1]
	v_cmp_eq_f32_e64 s[0:1], 0, v3
	v_cndmask_b32_e64 v8, v8, v11, s[0:1]
	v_cmp_class_f32_e64 s[0:1], v2, s45
	v_cmp_class_f32_e64 s[2:3], v3, s45
	v_cndmask_b32_e32 v11, v39, v40, vcc
	s_and_b64 vcc, s[0:1], s[2:3]
	v_cndmask_b32_e32 v8, v8, v11, vcc
.LBB169_100:                            ;   in Loop: Header=BB169_5 Depth=1
	s_or_b64 exec, exec, s[20:21]
.LBB169_101:                            ;   in Loop: Header=BB169_5 Depth=1
	s_andn2_saveexec_b64 s[0:1], s[18:19]
	s_cbranch_execz .LBB169_107
; %bb.102:                              ;   in Loop: Header=BB169_5 Depth=1
	v_cmp_nlt_f32_e64 s[2:3], |v2|, s51
	v_cmp_nlt_f32_e64 s[18:19], |v3|, s51
	s_or_b64 s[2:3], s[2:3], s[18:19]
                                        ; implicit-def: $vgpr8
	s_and_saveexec_b64 s[18:19], s[2:3]
	s_xor_b64 s[2:3], exec, s[18:19]
; %bb.103:                              ;   in Loop: Header=BB169_5 Depth=1
	v_pk_mul_f32 v[14:15], v[2:3], v[2:3]
	v_add_f32_e32 v8, v14, v15
; %bb.104:                              ;   in Loop: Header=BB169_5 Depth=1
	s_andn2_saveexec_b64 s[2:3], s[2:3]
; %bb.105:                              ;   in Loop: Header=BB169_5 Depth=1
	v_pk_mul_f32 v[14:15], v[2:3], 4.0 op_sel_hi:[1,0]
	v_pk_mul_f32 v[14:15], v[14:15], v[14:15]
	v_add_f32_e32 v2, v14, v15
	v_mul_f32_e32 v8, 0x3d800000, v2
; %bb.106:                              ;   in Loop: Header=BB169_5 Depth=1
	s_or_b64 exec, exec, s[2:3]
	v_cmp_gt_f32_e32 vcc, s47, v8
	v_cndmask_b32_e32 v2, 1.0, v41, vcc
	v_mul_f32_e32 v2, v8, v2
	v_log_f32_e32 v2, v2
	v_cndmask_b32_e32 v8, 0, v42, vcc
	v_mul_f32_e32 v11, 0x3f317217, v2
	v_fma_f32 v13, v2, s48, -v11
	v_fmac_f32_e32 v13, 0x3377d1cf, v2
	v_add_f32_e32 v11, v11, v13
	v_cmp_lt_f32_e64 vcc, |v2|, s43
	v_cndmask_b32_e32 v2, v2, v11, vcc
	v_sub_f32_e32 v14, v2, v8
	v_mov_b32_e32 v8, 0x7fc00000
.LBB169_107:                            ;   in Loop: Header=BB169_5 Depth=1
	s_or_b64 exec, exec, s[0:1]
	v_cmp_o_f32_e32 vcc, v5, v4
                                        ; implicit-def: $vgpr2
	s_and_saveexec_b64 s[0:1], vcc
	s_xor_b64 s[18:19], exec, s[0:1]
	s_cbranch_execz .LBB169_135
; %bb.108:                              ;   in Loop: Header=BB169_5 Depth=1
	v_cmp_lt_f32_e64 s[0:1], |v4|, |v5|
	v_cndmask_b32_e64 v11, v5, v4, s[0:1]
	v_cmp_ngt_f32_e64 s[2:3], |v11|, s35
                                        ; implicit-def: $vgpr2
	s_and_saveexec_b64 s[20:21], s[2:3]
	s_xor_b64 s[20:21], exec, s[20:21]
	s_cbranch_execz .LBB169_132
; %bb.109:                              ;   in Loop: Header=BB169_5 Depth=1
	v_cndmask_b32_e64 v2, v4, v5, s[0:1]
	v_and_b32_e32 v25, 0x7fffffff, v2
	v_and_b32_e32 v24, 0x7fffffff, v11
	v_cmp_neq_f32_e32 vcc, 1.0, v25
                                        ; implicit-def: $vgpr2
	s_and_saveexec_b64 s[2:3], vcc
	s_xor_b64 s[22:23], exec, s[2:3]
	s_cbranch_execz .LBB169_125
; %bb.110:                              ;   in Loop: Header=BB169_5 Depth=1
	v_max_f32_e32 v2, v24, v24
	v_max_f32_e32 v11, v25, v25
	v_min_f32_e32 v13, v11, v2
	v_max_f32_e32 v2, v11, v2
	v_cmp_ngt_f32_e32 vcc, s39, v13
	v_cmp_nlt_f32_e64 s[2:3], s40, v2
	s_and_b64 s[2:3], s[2:3], vcc
                                        ; implicit-def: $vgpr2
	s_and_saveexec_b64 s[24:25], s[2:3]
	s_xor_b64 s[24:25], exec, s[24:25]
	s_cbranch_execz .LBB169_122
; %bb.111:                              ;   in Loop: Header=BB169_5 Depth=1
	v_cmp_le_f32_e32 vcc, 1.0, v25
                                        ; implicit-def: $vgpr2
	s_and_saveexec_b64 s[2:3], vcc
	s_xor_b64 s[26:27], exec, s[2:3]
	s_cbranch_execz .LBB169_113
; %bb.112:                              ;   in Loop: Header=BB169_5 Depth=1
	v_pk_add_f32 v[16:17], v[24:25], s[14:15] op_sel:[1,0]
	v_mov_b32_e32 v2, v17
	v_pk_mul_f32 v[16:17], v[16:17], v[2:3]
	v_pk_fma_f32 v[16:17], v[24:25], v[24:25], v[16:17]
	v_add_f32_e32 v25, 1.0, v16
	v_add_f32_e32 v17, -1.0, v25
	v_mov_b32_e32 v24, v17
	v_pk_add_f32 v[26:27], v[16:17], v[24:25] neg_lo:[0,1] neg_hi:[0,1]
	v_add_f32_e32 v2, 1.0, v27
	v_add_f32_e32 v2, v26, v2
	v_frexp_mant_f32_e32 v11, v25
	v_cvt_f64_f32_e32 v[26:27], v25
	v_frexp_exp_i32_f64_e32 v13, v[26:27]
	v_cmp_gt_f32_e32 vcc, s41, v11
	v_subbrev_co_u32_e32 v11, vcc, 0, v13, vcc
	v_sub_u32_e32 v13, 0, v11
	v_ldexp_f32 v15, v25, v13
	v_ldexp_f32 v2, v2, v13
	v_add_f32_e32 v13, -1.0, v15
	v_add_f32_e32 v19, 1.0, v15
	v_add_f32_e32 v17, 1.0, v13
	v_add_f32_e32 v24, -1.0, v19
	v_sub_f32_e32 v17, v15, v17
	v_sub_f32_e32 v15, v15, v24
	v_add_f32_e32 v17, v2, v17
	v_add_f32_e32 v2, v2, v15
	;; [unrolled: 1-line block ×3, first 2 shown]
	v_sub_f32_e32 v19, v15, v19
	v_sub_f32_e32 v2, v2, v19
	v_rcp_f32_e32 v19, v15
	v_add_f32_e32 v25, v13, v17
	v_sub_f32_e32 v13, v25, v13
	v_sub_f32_e32 v13, v17, v13
	v_mul_f32_e32 v17, v25, v19
	v_mul_f32_e32 v26, v15, v17
	v_fma_f32 v44, v17, v15, -v26
	v_fmac_f32_e32 v44, v17, v2
	v_add_f32_e32 v24, v26, v44
	v_sub_f32_e32 v27, v25, v24
	v_pk_add_f32 v[46:47], v[24:25], v[26:27] neg_lo:[0,1] neg_hi:[0,1]
	v_mov_b32_e32 v45, v24
	v_pk_add_f32 v[24:25], v[46:47], v[44:45] neg_lo:[0,1] neg_hi:[0,1]
	v_add_f32_e32 v13, v13, v25
	v_add_f32_e32 v13, v24, v13
	;; [unrolled: 1-line block ×3, first 2 shown]
	v_mul_f32_e32 v48, v19, v25
	v_mul_f32_e32 v26, v15, v48
	v_fma_f32 v44, v48, v15, -v26
	v_fmac_f32_e32 v44, v48, v2
	v_add_f32_e32 v24, v26, v44
	v_sub_f32_e32 v2, v27, v25
	v_sub_f32_e32 v27, v25, v24
	v_pk_add_f32 v[46:47], v[24:25], v[26:27] neg_lo:[0,1] neg_hi:[0,1]
	v_mov_b32_e32 v45, v24
	v_add_f32_e32 v2, v13, v2
	v_pk_add_f32 v[24:25], v[46:47], v[44:45] neg_lo:[0,1] neg_hi:[0,1]
	v_add_f32_e32 v2, v2, v25
	v_add_f32_e32 v2, v24, v2
	;; [unrolled: 1-line block ×4, first 2 shown]
	v_sub_f32_e32 v15, v13, v17
	v_mul_f32_e32 v2, v19, v2
	v_sub_f32_e32 v15, v48, v15
	v_add_f32_e32 v2, v15, v2
	v_add_f32_e32 v15, v13, v2
	v_cvt_f32_i32_e32 v24, v11
	v_mul_f32_e32 v17, v15, v15
	v_mov_b32_e32 v19, 0x3ecc95a3
	v_fmac_f32_e32 v19, 0x3e9b6dac, v17
	v_fma_f32 v19, v17, v19, v29
	v_mul_f32_e32 v25, v15, v17
	v_pk_mul_f32 v[44:45], v[24:25], v[18:19]
	v_fma_f32 v26, v24, s42, -v44
	v_ldexp_f32 v27, v15, 1
	v_fmac_f32_e32 v26, 0xb102e308, v24
	v_sub_f32_e32 v11, v15, v13
	v_pk_add_f32 v[24:25], v[44:45], v[26:27]
	v_sub_f32_e32 v2, v2, v11
	v_sub_f32_e32 v11, v25, v27
	v_ldexp_f32 v2, v2, 1
	v_sub_f32_e32 v11, v45, v11
	v_add_f32_e32 v47, v2, v11
	v_mov_b32_e32 v46, v44
	v_pk_add_f32 v[44:45], v[24:25], v[44:45] neg_lo:[0,1] neg_hi:[0,1]
	v_pk_add_f32 v[48:49], v[24:25], v[46:47]
	v_mov_b32_e32 v45, v49
	v_mov_b32_e32 v27, v24
	v_pk_add_f32 v[50:51], v[26:27], v[44:45] neg_lo:[0,1] neg_hi:[0,1]
	v_pk_add_f32 v[26:27], v[26:27], v[44:45]
	v_mov_b32_e32 v2, v27
	v_pk_add_f32 v[44:45], v[2:3], v[24:25] neg_lo:[0,1] neg_hi:[0,1]
	v_mov_b32_e32 v11, v44
	v_pk_add_f32 v[52:53], v[48:49], v[10:11] neg_lo:[0,1] neg_hi:[0,1]
	v_mov_b32_e32 v26, v49
	v_mov_b32_e32 v48, v25
	;; [unrolled: 1-line block ×4, first 2 shown]
	v_pk_add_f32 v[26:27], v[26:27], v[48:49] neg_lo:[0,1] neg_hi:[0,1]
	v_mov_b32_e32 v44, v47
	v_mov_b32_e32 v45, v24
	v_pk_add_f32 v[24:25], v[44:45], v[26:27] neg_lo:[0,1] neg_hi:[0,1]
	v_mov_b32_e32 v52, v50
	v_pk_add_f32 v[26:27], v[52:53], v[24:25]
	v_mov_b32_e32 v44, v27
	v_pk_add_f32 v[44:45], v[26:27], v[44:45]
	v_pk_add_f32 v[46:47], v[2:3], v[44:45]
	v_mov_b32_e32 v27, v46
	v_pk_add_f32 v[48:49], v[26:27], v[50:51] neg_lo:[0,1] neg_hi:[0,1]
	v_mov_b32_e32 v25, v44
	v_sub_f32_e32 v2, v26, v48
	v_pk_add_f32 v[24:25], v[24:25], v[48:49] neg_lo:[0,1] neg_hi:[0,1]
	v_sub_f32_e32 v2, v50, v2
	v_add_f32_e32 v2, v24, v2
	v_add_f32_e32 v2, v2, v25
	;; [unrolled: 1-line block ×3, first 2 shown]
	v_cmp_eq_f32_e32 vcc, s43, v16
	v_cndmask_b32_e32 v2, v2, v16, vcc
	v_cmp_ngt_f32_e32 vcc, -1.0, v16
	v_cndmask_b32_e32 v2, v36, v2, vcc
	v_cmp_neq_f32_e32 vcc, -1.0, v16
	v_cndmask_b32_e32 v2, v37, v2, vcc
	v_cmp_lt_f32_e64 vcc, |v16|, s44
	v_cndmask_b32_e32 v2, v2, v16, vcc
	v_mul_f32_e32 v16, 0.5, v2
	v_max_f32_e64 v2, |v5|, |v5|
	v_max_f32_e64 v11, |v4|, |v4|
	v_min_f32_e32 v13, v11, v2
	v_max_f32_e32 v2, v11, v2
	v_frexp_mant_f32_e32 v11, v2
	v_rcp_f32_e32 v11, v11
	v_frexp_exp_i32_f32_e32 v2, v2
	v_frexp_exp_i32_f32_e32 v15, v13
	v_frexp_mant_f32_e32 v13, v13
	v_mul_f32_e32 v11, v13, v11
	v_sub_u32_e32 v2, v15, v2
	v_ldexp_f32 v2, v11, v2
	v_mul_f32_e32 v11, v2, v2
	v_mov_b32_e32 v13, 0xbc7a590c
	v_fmac_f32_e32 v13, 0x3b2d2a58, v11
	v_fma_f32 v13, v11, v13, v30
	v_fma_f32 v13, v11, v13, v31
	;; [unrolled: 1-line block ×6, first 2 shown]
	v_mul_f32_e32 v11, v11, v13
	v_fmac_f32_e32 v2, v2, v11
	v_sub_f32_e32 v11, 0x3fc90fdb, v2
	v_cndmask_b32_e64 v2, v2, v11, s[0:1]
	v_sub_f32_e32 v11, 0x40490fdb, v2
	v_cmp_gt_f32_e32 vcc, 0, v4
	v_cmp_gt_i32_e64 s[2:3], 0, v4
	v_cndmask_b32_e32 v2, v2, v11, vcc
	v_cndmask_b32_e64 v11, 0, v38, s[2:3]
	v_cmp_eq_f32_e64 s[2:3], 0, v5
	v_cndmask_b32_e64 v2, v2, v11, s[2:3]
	v_cmp_class_f32_e64 s[2:3], v4, s45
	v_cmp_class_f32_e64 s[28:29], v5, s45
	v_cndmask_b32_e32 v11, v39, v40, vcc
	s_and_b64 vcc, s[2:3], s[28:29]
	v_cndmask_b32_e32 v2, v2, v11, vcc
                                        ; implicit-def: $vgpr24_vgpr25
.LBB169_113:                            ;   in Loop: Header=BB169_5 Depth=1
	s_andn2_saveexec_b64 s[26:27], s[26:27]
	s_cbranch_execz .LBB169_121
; %bb.114:                              ;   in Loop: Header=BB169_5 Depth=1
	v_pk_mul_f32 v[16:17], v[24:25], v[24:25]
	v_add_f32_e32 v11, v17, v16
	v_cmp_ge_f32_e32 vcc, s46, v11
                                        ; implicit-def: $vgpr2
	s_and_saveexec_b64 s[2:3], vcc
	s_xor_b64 s[28:29], exec, s[2:3]
	s_cbranch_execz .LBB169_116
; %bb.115:                              ;   in Loop: Header=BB169_5 Depth=1
	v_cmp_gt_f32_e32 vcc, s47, v11
	v_cndmask_b32_e32 v2, 1.0, v41, vcc
	v_mul_f32_e32 v2, v11, v2
	v_log_f32_e32 v2, v2
	v_cndmask_b32_e32 v11, 0, v42, vcc
	v_cmp_gt_i32_e64 s[2:3], 0, v4
	v_cmp_class_f32_e64 s[30:31], v5, s45
	v_mul_f32_e32 v13, 0x3f317217, v2
	v_fma_f32 v15, v2, s48, -v13
	v_fmac_f32_e32 v15, 0x3377d1cf, v2
	v_add_f32_e32 v13, v13, v15
	v_cmp_lt_f32_e64 vcc, |v2|, s43
	v_cndmask_b32_e32 v2, v2, v13, vcc
	v_sub_f32_e32 v2, v2, v11
	v_mul_f32_e32 v16, 0.5, v2
	v_max_f32_e64 v2, |v5|, |v5|
	v_max_f32_e64 v11, |v4|, |v4|
	v_min_f32_e32 v13, v11, v2
	v_max_f32_e32 v2, v11, v2
	v_frexp_mant_f32_e32 v11, v2
	v_rcp_f32_e32 v11, v11
	v_frexp_exp_i32_f32_e32 v2, v2
	v_frexp_exp_i32_f32_e32 v15, v13
	v_frexp_mant_f32_e32 v13, v13
	v_mul_f32_e32 v11, v13, v11
	v_sub_u32_e32 v2, v15, v2
	v_ldexp_f32 v2, v11, v2
	v_mul_f32_e32 v11, v2, v2
	v_mov_b32_e32 v13, 0xbc7a590c
	v_fmac_f32_e32 v13, 0x3b2d2a58, v11
	v_fma_f32 v13, v11, v13, v30
	v_fma_f32 v13, v11, v13, v31
	;; [unrolled: 1-line block ×6, first 2 shown]
	v_mul_f32_e32 v11, v11, v13
	v_fmac_f32_e32 v2, v2, v11
	v_sub_f32_e32 v11, 0x3fc90fdb, v2
	v_cndmask_b32_e64 v2, v2, v11, s[0:1]
	v_sub_f32_e32 v11, 0x40490fdb, v2
	v_cmp_gt_f32_e32 vcc, 0, v4
	v_cndmask_b32_e32 v2, v2, v11, vcc
	v_cndmask_b32_e64 v11, 0, v38, s[2:3]
	v_cmp_eq_f32_e64 s[2:3], 0, v5
	v_cndmask_b32_e64 v2, v2, v11, s[2:3]
	v_cmp_class_f32_e64 s[2:3], v4, s45
	v_cndmask_b32_e32 v11, v39, v40, vcc
	s_and_b64 vcc, s[2:3], s[30:31]
	v_cndmask_b32_e32 v2, v2, v11, vcc
                                        ; implicit-def: $vgpr24_vgpr25
.LBB169_116:                            ;   in Loop: Header=BB169_5 Depth=1
	s_andn2_saveexec_b64 s[28:29], s[28:29]
	s_cbranch_execz .LBB169_120
; %bb.117:                              ;   in Loop: Header=BB169_5 Depth=1
	v_and_b32_e32 v27, 0x7fff0000, v24
	v_and_b32_e32 v26, 0x7fff0000, v25
	v_pk_add_f32 v[16:17], v[24:25], v[26:27] op_sel:[1,0] op_sel_hi:[0,1] neg_lo:[0,1] neg_hi:[0,1]
	v_and_b32_e32 v45, 0xffff0000, v17
	v_and_b32_e32 v44, 0xffff0000, v16
	v_pk_add_f32 v[46:47], v[16:17], v[44:45] neg_lo:[0,1] neg_hi:[0,1]
	v_add_f32_e32 v13, v26, v26
	v_add_f32_e32 v19, v27, v27
	v_pk_mul_f32 v[16:17], v[26:27], v[26:27]
	v_mul_f32_e32 v11, v13, v44
	v_mul_f32_e32 v2, v19, v45
	;; [unrolled: 1-line block ×4, first 2 shown]
	v_add_f32_e32 v19, v44, v44
	v_add_f32_e32 v26, v45, v45
	v_pk_mul_f32 v[24:25], v[44:45], v[44:45]
	v_mul_f32_e32 v19, v19, v46
	v_mul_f32_e32 v44, v26, v47
	v_pk_mul_f32 v[26:27], v[46:47], v[46:47]
	s_mov_b64 s[30:31], 0
.LBB169_118:                            ;   Parent Loop BB169_5 Depth=1
                                        ; =>  This Inner Loop Header: Depth=2
	v_cmp_nlt_f32_e32 vcc, v16, v17
	v_cndmask_b32_e32 v45, v16, v17, vcc
	v_cmp_nlt_f32_e64 s[2:3], v45, v11
	v_cndmask_b32_e64 v46, v45, v11, s[2:3]
	v_cndmask_b32_e32 v16, v17, v16, vcc
	s_and_b64 s[52:53], vcc, s[2:3]
	v_cmp_nlt_f32_e32 vcc, v46, v2
	v_cndmask_b32_e64 v17, v11, v45, s[2:3]
	v_cndmask_b32_e32 v45, v46, v2, vcc
	v_cmp_nlt_f32_e64 s[2:3], v45, v24
	v_cndmask_b32_e32 v11, v2, v46, vcc
	v_cndmask_b32_e64 v46, v45, v24, s[2:3]
	s_and_b64 s[54:55], vcc, s[2:3]
	v_cmp_nlt_f32_e32 vcc, v46, v25
	v_cndmask_b32_e64 v2, v24, v45, s[2:3]
	v_cndmask_b32_e32 v45, v46, v25, vcc
	v_cmp_nlt_f32_e64 s[2:3], v45, v15
	v_cndmask_b32_e32 v24, v25, v46, vcc
	v_cndmask_b32_e64 v46, v45, v15, s[2:3]
	v_cndmask_b32_e64 v25, v15, v45, s[2:3]
	s_and_b64 s[2:3], vcc, s[2:3]
	v_cmp_nlt_f32_e32 vcc, v46, v13
	v_cndmask_b32_e32 v45, v46, v13, vcc
	v_cndmask_b32_e32 v15, v13, v46, vcc
	s_and_b64 s[2:3], s[2:3], vcc
	v_cmp_nlt_f32_e32 vcc, v45, v19
	v_cndmask_b32_e32 v46, v45, v19, vcc
	v_cndmask_b32_e32 v13, v19, v45, vcc
	s_and_b64 s[2:3], s[2:3], vcc
	;; [unrolled: 4-line block ×4, first 2 shown]
	v_cmp_nlt_f32_e32 vcc, v46, v27
	s_and_b64 s[2:3], s[2:3], vcc
	s_and_b64 s[2:3], s[2:3], s[54:55]
	s_and_b64 s[2:3], s[2:3], s[52:53]
	s_and_b64 s[2:3], exec, s[2:3]
	v_cndmask_b32_e32 v26, v27, v46, vcc
	s_or_b64 s[30:31], s[2:3], s[30:31]
	v_cndmask_b32_e32 v27, v46, v27, vcc
	s_andn2_b64 exec, exec, s[30:31]
	s_cbranch_execnz .LBB169_118
; %bb.119:                              ;   in Loop: Header=BB169_5 Depth=1
	s_or_b64 exec, exec, s[30:31]
	v_add_f32_e32 v16, -1.0, v16
	v_add_f32_e32 v16, v16, v17
	v_add_f32_e32 v11, v16, v11
	;; [unrolled: 1-line block ×11, first 2 shown]
	v_add_f32_e32 v25, 1.0, v16
	v_add_f32_e32 v17, -1.0, v25
	v_mov_b32_e32 v24, v17
	v_pk_add_f32 v[26:27], v[16:17], v[24:25] neg_lo:[0,1] neg_hi:[0,1]
	v_add_f32_e32 v2, 1.0, v27
	v_add_f32_e32 v2, v26, v2
	v_frexp_mant_f32_e32 v11, v25
	v_cvt_f64_f32_e32 v[26:27], v25
	v_frexp_exp_i32_f64_e32 v13, v[26:27]
	v_cmp_gt_f32_e32 vcc, s41, v11
	v_subbrev_co_u32_e32 v11, vcc, 0, v13, vcc
	v_sub_u32_e32 v13, 0, v11
	v_ldexp_f32 v15, v25, v13
	v_ldexp_f32 v2, v2, v13
	v_add_f32_e32 v13, -1.0, v15
	v_add_f32_e32 v19, 1.0, v15
	v_add_f32_e32 v17, 1.0, v13
	v_add_f32_e32 v24, -1.0, v19
	v_sub_f32_e32 v17, v15, v17
	v_sub_f32_e32 v15, v15, v24
	v_add_f32_e32 v17, v2, v17
	v_add_f32_e32 v2, v2, v15
	;; [unrolled: 1-line block ×3, first 2 shown]
	v_sub_f32_e32 v19, v15, v19
	v_sub_f32_e32 v2, v2, v19
	v_rcp_f32_e32 v19, v15
	v_add_f32_e32 v25, v13, v17
	v_sub_f32_e32 v13, v25, v13
	v_sub_f32_e32 v13, v17, v13
	v_mul_f32_e32 v17, v25, v19
	v_mul_f32_e32 v26, v15, v17
	v_fma_f32 v44, v17, v15, -v26
	v_fmac_f32_e32 v44, v17, v2
	v_add_f32_e32 v24, v26, v44
	v_sub_f32_e32 v27, v25, v24
	v_pk_add_f32 v[46:47], v[24:25], v[26:27] neg_lo:[0,1] neg_hi:[0,1]
	v_mov_b32_e32 v45, v24
	v_pk_add_f32 v[24:25], v[46:47], v[44:45] neg_lo:[0,1] neg_hi:[0,1]
	v_add_f32_e32 v13, v13, v25
	v_add_f32_e32 v13, v24, v13
	;; [unrolled: 1-line block ×3, first 2 shown]
	v_mul_f32_e32 v48, v19, v25
	v_mul_f32_e32 v26, v15, v48
	v_fma_f32 v44, v48, v15, -v26
	v_fmac_f32_e32 v44, v48, v2
	v_add_f32_e32 v24, v26, v44
	v_sub_f32_e32 v2, v27, v25
	v_sub_f32_e32 v27, v25, v24
	v_pk_add_f32 v[46:47], v[24:25], v[26:27] neg_lo:[0,1] neg_hi:[0,1]
	v_mov_b32_e32 v45, v24
	v_add_f32_e32 v2, v13, v2
	v_pk_add_f32 v[24:25], v[46:47], v[44:45] neg_lo:[0,1] neg_hi:[0,1]
	v_add_f32_e32 v2, v2, v25
	v_add_f32_e32 v2, v24, v2
	;; [unrolled: 1-line block ×4, first 2 shown]
	v_sub_f32_e32 v15, v13, v17
	v_mul_f32_e32 v2, v19, v2
	v_sub_f32_e32 v15, v48, v15
	v_add_f32_e32 v2, v15, v2
	v_add_f32_e32 v15, v13, v2
	v_cvt_f32_i32_e32 v24, v11
	v_mul_f32_e32 v17, v15, v15
	v_mov_b32_e32 v19, 0x3ecc95a3
	v_fmac_f32_e32 v19, 0x3e9b6dac, v17
	v_fma_f32 v19, v17, v19, v29
	v_mul_f32_e32 v25, v15, v17
	v_pk_mul_f32 v[44:45], v[24:25], v[18:19]
	v_fma_f32 v26, v24, s42, -v44
	v_ldexp_f32 v27, v15, 1
	v_fmac_f32_e32 v26, 0xb102e308, v24
	v_sub_f32_e32 v11, v15, v13
	v_pk_add_f32 v[24:25], v[44:45], v[26:27]
	v_sub_f32_e32 v2, v2, v11
	v_sub_f32_e32 v11, v25, v27
	v_ldexp_f32 v2, v2, 1
	v_sub_f32_e32 v11, v45, v11
	v_add_f32_e32 v47, v2, v11
	v_mov_b32_e32 v46, v44
	v_pk_add_f32 v[44:45], v[24:25], v[44:45] neg_lo:[0,1] neg_hi:[0,1]
	v_pk_add_f32 v[48:49], v[24:25], v[46:47]
	v_mov_b32_e32 v45, v49
	v_mov_b32_e32 v27, v24
	v_pk_add_f32 v[50:51], v[26:27], v[44:45] neg_lo:[0,1] neg_hi:[0,1]
	v_pk_add_f32 v[26:27], v[26:27], v[44:45]
	v_mov_b32_e32 v2, v27
	v_pk_add_f32 v[44:45], v[2:3], v[24:25] neg_lo:[0,1] neg_hi:[0,1]
	v_mov_b32_e32 v11, v44
	v_pk_add_f32 v[52:53], v[48:49], v[10:11] neg_lo:[0,1] neg_hi:[0,1]
	v_mov_b32_e32 v26, v49
	v_mov_b32_e32 v48, v25
	;; [unrolled: 1-line block ×4, first 2 shown]
	v_pk_add_f32 v[26:27], v[26:27], v[48:49] neg_lo:[0,1] neg_hi:[0,1]
	v_mov_b32_e32 v44, v47
	v_mov_b32_e32 v45, v24
	v_pk_add_f32 v[24:25], v[44:45], v[26:27] neg_lo:[0,1] neg_hi:[0,1]
	v_mov_b32_e32 v52, v50
	v_pk_add_f32 v[26:27], v[52:53], v[24:25]
	v_mov_b32_e32 v44, v27
	v_pk_add_f32 v[44:45], v[26:27], v[44:45]
	v_pk_add_f32 v[46:47], v[2:3], v[44:45]
	v_mov_b32_e32 v27, v46
	v_pk_add_f32 v[48:49], v[26:27], v[50:51] neg_lo:[0,1] neg_hi:[0,1]
	v_mov_b32_e32 v25, v44
	v_sub_f32_e32 v2, v26, v48
	v_pk_add_f32 v[24:25], v[24:25], v[48:49] neg_lo:[0,1] neg_hi:[0,1]
	v_sub_f32_e32 v2, v50, v2
	v_add_f32_e32 v2, v24, v2
	v_add_f32_e32 v2, v2, v25
	v_add_f32_e32 v2, v46, v2
	v_cmp_eq_f32_e32 vcc, s43, v16
	v_cndmask_b32_e32 v2, v2, v16, vcc
	v_cmp_ngt_f32_e32 vcc, -1.0, v16
	v_cndmask_b32_e32 v2, v36, v2, vcc
	v_cmp_neq_f32_e32 vcc, -1.0, v16
	v_cndmask_b32_e32 v2, v37, v2, vcc
	v_cmp_lt_f32_e64 vcc, |v16|, s44
	v_cndmask_b32_e32 v2, v2, v16, vcc
	v_mul_f32_e32 v16, 0.5, v2
	v_max_f32_e64 v2, |v5|, |v5|
	v_max_f32_e64 v11, |v4|, |v4|
	v_min_f32_e32 v13, v11, v2
	v_max_f32_e32 v2, v11, v2
	v_frexp_mant_f32_e32 v11, v2
	v_rcp_f32_e32 v11, v11
	v_frexp_exp_i32_f32_e32 v2, v2
	v_frexp_exp_i32_f32_e32 v15, v13
	v_frexp_mant_f32_e32 v13, v13
	v_mul_f32_e32 v11, v13, v11
	v_sub_u32_e32 v2, v15, v2
	v_ldexp_f32 v2, v11, v2
	v_mul_f32_e32 v11, v2, v2
	v_mov_b32_e32 v13, 0xbc7a590c
	v_fmac_f32_e32 v13, 0x3b2d2a58, v11
	v_fma_f32 v13, v11, v13, v30
	v_fma_f32 v13, v11, v13, v31
	;; [unrolled: 1-line block ×6, first 2 shown]
	v_mul_f32_e32 v11, v11, v13
	v_fmac_f32_e32 v2, v2, v11
	v_sub_f32_e32 v11, 0x3fc90fdb, v2
	v_cndmask_b32_e64 v2, v2, v11, s[0:1]
	v_sub_f32_e32 v11, 0x40490fdb, v2
	v_cmp_gt_f32_e32 vcc, 0, v4
	v_cmp_gt_i32_e64 s[2:3], 0, v4
	v_cndmask_b32_e32 v2, v2, v11, vcc
	v_cndmask_b32_e64 v11, 0, v38, s[2:3]
	v_cmp_eq_f32_e64 s[2:3], 0, v5
	v_cndmask_b32_e64 v2, v2, v11, s[2:3]
	v_cmp_class_f32_e64 s[2:3], v4, s45
	v_cmp_class_f32_e64 s[30:31], v5, s45
	v_cndmask_b32_e32 v11, v39, v40, vcc
	s_and_b64 vcc, s[2:3], s[30:31]
	v_cndmask_b32_e32 v2, v2, v11, vcc
.LBB169_120:                            ;   in Loop: Header=BB169_5 Depth=1
	s_or_b64 exec, exec, s[28:29]
.LBB169_121:                            ;   in Loop: Header=BB169_5 Depth=1
	s_or_b64 exec, exec, s[26:27]
.LBB169_122:                            ;   in Loop: Header=BB169_5 Depth=1
	s_andn2_saveexec_b64 s[24:25], s[24:25]
	s_cbranch_execz .LBB169_124
; %bb.123:                              ;   in Loop: Header=BB169_5 Depth=1
	v_max_f32_e64 v2, |v5|, |v5|
	v_max_f32_e64 v11, |v4|, |v4|
	v_max_f32_e32 v13, v11, v2
	v_cvt_f64_f32_e32 v[16:17], v13
	v_frexp_exp_i32_f64_e32 v15, v[16:17]
	v_sub_u32_e32 v16, 0, v15
	v_ldexp_f32 v17, |v4|, v16
	v_ldexp_f32 v16, |v5|, v16
	v_mul_f32_e32 v16, v16, v16
	v_fmac_f32_e32 v16, v17, v17
	v_sqrt_f32_e32 v16, v16
	v_cmp_neq_f32_e32 vcc, s43, v13
	v_min_f32_e32 v2, v11, v2
	v_frexp_mant_f32_e32 v11, v13
	v_ldexp_f32 v15, v16, v15
	v_cndmask_b32_e32 v15, v43, v15, vcc
	v_cmp_gt_f32_e32 vcc, s47, v15
	v_cndmask_b32_e32 v16, 1.0, v41, vcc
	v_mul_f32_e32 v15, v15, v16
	v_log_f32_e32 v15, v15
	v_rcp_f32_e32 v11, v11
	v_cndmask_b32_e32 v16, 0, v42, vcc
	v_frexp_exp_i32_f32_e32 v13, v13
	v_mul_f32_e32 v17, 0x3f317217, v15
	v_fma_f32 v19, v15, s48, -v17
	v_fmac_f32_e32 v19, 0x3377d1cf, v15
	v_add_f32_e32 v17, v17, v19
	v_cmp_lt_f32_e64 vcc, |v15|, s43
	v_cndmask_b32_e32 v15, v15, v17, vcc
	v_sub_f32_e32 v16, v15, v16
	v_frexp_exp_i32_f32_e32 v15, v2
	v_frexp_mant_f32_e32 v2, v2
	v_mul_f32_e32 v2, v2, v11
	v_sub_u32_e32 v11, v15, v13
	v_ldexp_f32 v2, v2, v11
	v_mul_f32_e32 v11, v2, v2
	v_mov_b32_e32 v13, 0xbc7a590c
	v_fmac_f32_e32 v13, 0x3b2d2a58, v11
	v_fma_f32 v13, v11, v13, v30
	v_fma_f32 v13, v11, v13, v31
	;; [unrolled: 1-line block ×6, first 2 shown]
	v_mul_f32_e32 v11, v11, v13
	v_fmac_f32_e32 v2, v2, v11
	v_sub_f32_e32 v11, 0x3fc90fdb, v2
	v_cndmask_b32_e64 v2, v2, v11, s[0:1]
	v_sub_f32_e32 v11, 0x40490fdb, v2
	v_cmp_gt_f32_e32 vcc, 0, v4
	v_cmp_gt_i32_e64 s[2:3], 0, v4
	v_cndmask_b32_e32 v2, v2, v11, vcc
	v_cndmask_b32_e64 v11, 0, v38, s[2:3]
	v_cmp_eq_f32_e64 s[2:3], 0, v5
	v_cndmask_b32_e64 v2, v2, v11, s[2:3]
	v_cmp_class_f32_e64 s[2:3], v4, s45
	v_cmp_class_f32_e64 s[26:27], v5, s45
	v_cndmask_b32_e32 v11, v39, v40, vcc
	s_and_b64 vcc, s[2:3], s[26:27]
	v_cndmask_b32_e32 v2, v2, v11, vcc
.LBB169_124:                            ;   in Loop: Header=BB169_5 Depth=1
	s_or_b64 exec, exec, s[24:25]
                                        ; implicit-def: $vgpr24
.LBB169_125:                            ;   in Loop: Header=BB169_5 Depth=1
	s_andn2_saveexec_b64 s[22:23], s[22:23]
	s_cbranch_execz .LBB169_131
; %bb.126:                              ;   in Loop: Header=BB169_5 Depth=1
	v_cmp_ngt_f32_e32 vcc, s49, v24
                                        ; implicit-def: $vgpr2
	s_and_saveexec_b64 s[2:3], vcc
	s_xor_b64 s[24:25], exec, s[2:3]
	s_cbranch_execz .LBB169_128
; %bb.127:                              ;   in Loop: Header=BB169_5 Depth=1
	v_pk_mul_f32 v[16:17], v[24:25], v[24:25]
	v_add_f32_e32 v25, 1.0, v16
	v_add_f32_e32 v17, -1.0, v25
	v_mov_b32_e32 v24, v17
	v_pk_add_f32 v[26:27], v[16:17], v[24:25] neg_lo:[0,1] neg_hi:[0,1]
	v_add_f32_e32 v2, 1.0, v27
	v_add_f32_e32 v2, v26, v2
	v_frexp_mant_f32_e32 v11, v25
	v_cvt_f64_f32_e32 v[26:27], v25
	v_frexp_exp_i32_f64_e32 v13, v[26:27]
	v_cmp_gt_f32_e32 vcc, s41, v11
	v_subbrev_co_u32_e32 v11, vcc, 0, v13, vcc
	v_sub_u32_e32 v13, 0, v11
	v_ldexp_f32 v15, v25, v13
	v_ldexp_f32 v2, v2, v13
	v_add_f32_e32 v13, -1.0, v15
	v_add_f32_e32 v19, 1.0, v15
	v_add_f32_e32 v17, 1.0, v13
	v_add_f32_e32 v24, -1.0, v19
	v_sub_f32_e32 v17, v15, v17
	v_sub_f32_e32 v15, v15, v24
	v_add_f32_e32 v17, v2, v17
	v_add_f32_e32 v2, v2, v15
	;; [unrolled: 1-line block ×3, first 2 shown]
	v_sub_f32_e32 v19, v19, v15
	v_add_f32_e32 v2, v2, v19
	v_rcp_f32_e32 v19, v15
	v_add_f32_e32 v25, v13, v17
	v_sub_f32_e32 v13, v13, v25
	v_add_f32_e32 v13, v17, v13
	v_mul_f32_e32 v17, v25, v19
	v_mul_f32_e32 v26, v15, v17
	v_fma_f32 v44, v17, v15, -v26
	v_fmac_f32_e32 v44, v17, v2
	v_add_f32_e32 v24, v26, v44
	v_sub_f32_e32 v27, v25, v24
	v_pk_add_f32 v[46:47], v[24:25], v[26:27] neg_lo:[0,1] neg_hi:[0,1]
	v_mov_b32_e32 v45, v24
	v_pk_add_f32 v[24:25], v[46:47], v[44:45] neg_lo:[0,1] neg_hi:[0,1]
	v_add_f32_e32 v13, v13, v25
	v_add_f32_e32 v13, v24, v13
	;; [unrolled: 1-line block ×3, first 2 shown]
	v_mul_f32_e32 v48, v19, v25
	v_mul_f32_e32 v26, v15, v48
	v_fma_f32 v44, v48, v15, -v26
	v_fmac_f32_e32 v44, v48, v2
	v_add_f32_e32 v24, v26, v44
	v_sub_f32_e32 v2, v27, v25
	v_sub_f32_e32 v27, v25, v24
	v_pk_add_f32 v[46:47], v[24:25], v[26:27] neg_lo:[0,1] neg_hi:[0,1]
	v_mov_b32_e32 v45, v24
	v_add_f32_e32 v2, v13, v2
	v_pk_add_f32 v[24:25], v[46:47], v[44:45] neg_lo:[0,1] neg_hi:[0,1]
	v_add_f32_e32 v2, v2, v25
	v_add_f32_e32 v2, v24, v2
	;; [unrolled: 1-line block ×4, first 2 shown]
	v_sub_f32_e32 v15, v13, v17
	v_mul_f32_e32 v2, v19, v2
	v_sub_f32_e32 v15, v48, v15
	v_add_f32_e32 v2, v15, v2
	v_add_f32_e32 v15, v13, v2
	v_cvt_f32_i32_e32 v24, v11
	v_mul_f32_e32 v17, v15, v15
	v_mov_b32_e32 v19, 0x3ecc95a3
	v_fmac_f32_e32 v19, 0x3e9b6dac, v17
	v_fma_f32 v19, v17, v19, v29
	v_mul_f32_e32 v25, v15, v17
	v_pk_mul_f32 v[44:45], v[24:25], v[18:19]
	v_fma_f32 v26, v24, s42, -v44
	v_ldexp_f32 v27, v15, 1
	v_fmac_f32_e32 v26, 0xb102e308, v24
	v_sub_f32_e32 v11, v15, v13
	v_pk_add_f32 v[24:25], v[44:45], v[26:27]
	v_sub_f32_e32 v2, v2, v11
	v_sub_f32_e32 v11, v25, v27
	v_ldexp_f32 v2, v2, 1
	v_sub_f32_e32 v11, v45, v11
	v_add_f32_e32 v47, v2, v11
	v_mov_b32_e32 v46, v44
	v_pk_add_f32 v[44:45], v[24:25], v[44:45] neg_lo:[0,1] neg_hi:[0,1]
	v_pk_add_f32 v[48:49], v[24:25], v[46:47]
	v_mov_b32_e32 v45, v49
	v_mov_b32_e32 v27, v24
	v_pk_add_f32 v[50:51], v[26:27], v[44:45] neg_lo:[0,1] neg_hi:[0,1]
	v_pk_add_f32 v[26:27], v[26:27], v[44:45]
	v_mov_b32_e32 v2, v27
	v_pk_add_f32 v[44:45], v[2:3], v[24:25] neg_lo:[0,1] neg_hi:[0,1]
	v_mov_b32_e32 v11, v44
	v_pk_add_f32 v[52:53], v[48:49], v[10:11] neg_lo:[0,1] neg_hi:[0,1]
	v_mov_b32_e32 v26, v49
	v_mov_b32_e32 v48, v25
	;; [unrolled: 1-line block ×4, first 2 shown]
	v_pk_add_f32 v[26:27], v[26:27], v[48:49] neg_lo:[0,1] neg_hi:[0,1]
	v_mov_b32_e32 v44, v47
	v_mov_b32_e32 v45, v24
	v_pk_add_f32 v[24:25], v[44:45], v[26:27] neg_lo:[0,1] neg_hi:[0,1]
	v_mov_b32_e32 v52, v50
	v_pk_add_f32 v[26:27], v[52:53], v[24:25]
	v_mov_b32_e32 v44, v27
	v_pk_add_f32 v[44:45], v[26:27], v[44:45]
	v_pk_add_f32 v[46:47], v[2:3], v[44:45]
	v_mov_b32_e32 v27, v46
	v_pk_add_f32 v[48:49], v[26:27], v[50:51] neg_lo:[0,1] neg_hi:[0,1]
	v_mov_b32_e32 v25, v44
	v_sub_f32_e32 v2, v26, v48
	v_pk_add_f32 v[24:25], v[24:25], v[48:49] neg_lo:[0,1] neg_hi:[0,1]
	v_sub_f32_e32 v2, v50, v2
	v_add_f32_e32 v2, v24, v2
	v_add_f32_e32 v2, v2, v25
	v_cmp_eq_f32_e32 vcc, s43, v16
	v_cmp_lt_f32_e64 s[2:3], |v16|, s44
	v_add_f32_e32 v2, v46, v2
	s_or_b64 vcc, vcc, s[2:3]
	v_cndmask_b32_e32 v2, v2, v16, vcc
	v_mul_f32_e32 v16, 0.5, v2
	v_max_f32_e64 v2, |v5|, |v5|
	v_max_f32_e64 v11, |v4|, |v4|
	v_min_f32_e32 v13, v11, v2
	v_max_f32_e32 v2, v11, v2
	v_frexp_mant_f32_e32 v11, v2
	v_rcp_f32_e32 v11, v11
	v_frexp_exp_i32_f32_e32 v2, v2
	v_frexp_exp_i32_f32_e32 v15, v13
	v_frexp_mant_f32_e32 v13, v13
	v_mul_f32_e32 v11, v13, v11
	v_sub_u32_e32 v2, v15, v2
	v_ldexp_f32 v2, v11, v2
	v_mul_f32_e32 v11, v2, v2
	v_mov_b32_e32 v13, 0xbc7a590c
	v_fmac_f32_e32 v13, 0x3b2d2a58, v11
	v_fma_f32 v13, v11, v13, v30
	v_fma_f32 v13, v11, v13, v31
	;; [unrolled: 1-line block ×6, first 2 shown]
	v_mul_f32_e32 v11, v11, v13
	v_fmac_f32_e32 v2, v2, v11
	v_sub_f32_e32 v11, 0x3fc90fdb, v2
	v_cndmask_b32_e64 v2, v2, v11, s[0:1]
	v_sub_f32_e32 v11, 0x40490fdb, v2
	v_cmp_gt_f32_e32 vcc, 0, v4
	v_cmp_gt_i32_e64 s[2:3], 0, v4
	v_cndmask_b32_e32 v2, v2, v11, vcc
	v_cndmask_b32_e64 v11, 0, v38, s[2:3]
	v_cmp_eq_f32_e64 s[2:3], 0, v5
	v_cndmask_b32_e64 v2, v2, v11, s[2:3]
	v_cmp_class_f32_e64 s[2:3], v4, s45
	v_cmp_class_f32_e64 s[26:27], v5, s45
	v_cndmask_b32_e32 v11, v39, v40, vcc
	s_and_b64 vcc, s[2:3], s[26:27]
	v_cndmask_b32_e32 v2, v2, v11, vcc
                                        ; implicit-def: $vgpr24
.LBB169_128:                            ;   in Loop: Header=BB169_5 Depth=1
	s_andn2_saveexec_b64 s[24:25], s[24:25]
	s_cbranch_execz .LBB169_130
; %bb.129:                              ;   in Loop: Header=BB169_5 Depth=1
	v_mul_f32_e32 v2, 0.5, v24
	v_mul_f32_e32 v16, v24, v2
	v_max_f32_e64 v2, |v5|, |v5|
	v_max_f32_e64 v11, |v4|, |v4|
	v_min_f32_e32 v13, v11, v2
	v_max_f32_e32 v2, v11, v2
	v_frexp_mant_f32_e32 v11, v2
	v_rcp_f32_e32 v11, v11
	v_frexp_exp_i32_f32_e32 v2, v2
	v_frexp_exp_i32_f32_e32 v15, v13
	v_frexp_mant_f32_e32 v13, v13
	v_mul_f32_e32 v11, v13, v11
	v_sub_u32_e32 v2, v15, v2
	v_ldexp_f32 v2, v11, v2
	v_mul_f32_e32 v11, v2, v2
	v_mov_b32_e32 v13, 0xbc7a590c
	v_fmac_f32_e32 v13, 0x3b2d2a58, v11
	v_fma_f32 v13, v11, v13, v30
	v_fma_f32 v13, v11, v13, v31
	;; [unrolled: 1-line block ×6, first 2 shown]
	v_mul_f32_e32 v11, v11, v13
	v_fmac_f32_e32 v2, v2, v11
	v_sub_f32_e32 v11, 0x3fc90fdb, v2
	v_cndmask_b32_e64 v2, v2, v11, s[0:1]
	v_sub_f32_e32 v11, 0x40490fdb, v2
	v_cmp_gt_f32_e32 vcc, 0, v4
	v_cmp_gt_i32_e64 s[2:3], 0, v4
	v_cndmask_b32_e32 v2, v2, v11, vcc
	v_cndmask_b32_e64 v11, 0, v38, s[2:3]
	v_cmp_eq_f32_e64 s[2:3], 0, v5
	v_cndmask_b32_e64 v2, v2, v11, s[2:3]
	v_cmp_class_f32_e64 s[2:3], v4, s45
	v_cmp_class_f32_e64 s[26:27], v5, s45
	v_cndmask_b32_e32 v11, v39, v40, vcc
	s_and_b64 vcc, s[2:3], s[26:27]
	v_cndmask_b32_e32 v2, v2, v11, vcc
.LBB169_130:                            ;   in Loop: Header=BB169_5 Depth=1
	s_or_b64 exec, exec, s[24:25]
.LBB169_131:                            ;   in Loop: Header=BB169_5 Depth=1
	s_or_b64 exec, exec, s[22:23]
.LBB169_132:                            ;   in Loop: Header=BB169_5 Depth=1
	s_andn2_saveexec_b64 s[20:21], s[20:21]
	s_cbranch_execz .LBB169_134
; %bb.133:                              ;   in Loop: Header=BB169_5 Depth=1
	v_div_scale_f32 v2, s[2:3], s50, s50, v4
	v_rcp_f32_e32 v11, v2
	v_div_scale_f32 v13, vcc, v4, s50, v4
	v_fma_f32 v15, -v2, v11, 1.0
	v_fmac_f32_e32 v11, v15, v11
	v_mul_f32_e32 v15, v13, v11
	v_fma_f32 v16, -v2, v15, v13
	v_fmac_f32_e32 v15, v16, v11
	v_fma_f32 v2, -v2, v15, v13
	v_div_scale_f32 v13, s[2:3], s50, s50, v5
	v_rcp_f32_e32 v16, v13
	v_div_fmas_f32 v2, v2, v11, v15
	v_div_fixup_f32 v2, v2, s50, v4
	v_fma_f32 v11, -v13, v16, 1.0
	v_fmac_f32_e32 v16, v11, v16
	v_div_scale_f32 v11, vcc, v5, s50, v5
	v_mul_f32_e32 v15, v11, v16
	v_fma_f32 v17, -v13, v15, v11
	v_fmac_f32_e32 v15, v17, v16
	v_fma_f32 v11, -v13, v15, v11
	v_div_fmas_f32 v11, v11, v16, v15
	v_div_fixup_f32 v11, v11, s50, v5
	v_max_f32_e64 v13, |v2|, |v11|
	v_cvt_f64_f32_e32 v[16:17], v13
	v_frexp_exp_i32_f64_e32 v15, v[16:17]
	v_sub_u32_e32 v16, 0, v15
	v_ldexp_f32 v11, |v11|, v16
	v_ldexp_f32 v2, |v2|, v16
	v_mul_f32_e32 v11, v11, v11
	v_fmac_f32_e32 v11, v2, v2
	v_sqrt_f32_e32 v2, v11
	v_cmp_neq_f32_e32 vcc, s43, v13
	v_ldexp_f32 v2, v2, v15
	v_cndmask_b32_e32 v2, v43, v2, vcc
	v_cmp_gt_f32_e32 vcc, s47, v2
	v_cndmask_b32_e32 v11, 1.0, v41, vcc
	v_mul_f32_e32 v2, v2, v11
	v_log_f32_e32 v2, v2
	v_mul_f32_e32 v11, 0x3f317217, v2
	v_fma_f32 v13, v2, s48, -v11
	v_fmac_f32_e32 v13, 0x3377d1cf, v2
	v_add_f32_e32 v11, v11, v13
	v_cmp_lt_f32_e64 s[2:3], |v2|, s43
	v_cndmask_b32_e64 v2, v2, v11, s[2:3]
	v_cndmask_b32_e32 v11, 0, v42, vcc
	v_sub_f32_e32 v2, v2, v11
	v_add_f32_e32 v16, 1.0, v2
	v_max_f32_e64 v2, |v5|, |v5|
	v_max_f32_e64 v11, |v4|, |v4|
	v_min_f32_e32 v13, v11, v2
	v_max_f32_e32 v2, v11, v2
	v_frexp_mant_f32_e32 v11, v2
	v_rcp_f32_e32 v11, v11
	v_frexp_exp_i32_f32_e32 v2, v2
	v_frexp_exp_i32_f32_e32 v15, v13
	v_frexp_mant_f32_e32 v13, v13
	v_mul_f32_e32 v11, v13, v11
	v_sub_u32_e32 v2, v15, v2
	v_ldexp_f32 v2, v11, v2
	v_mul_f32_e32 v11, v2, v2
	v_mov_b32_e32 v13, 0xbc7a590c
	v_fmac_f32_e32 v13, 0x3b2d2a58, v11
	v_fma_f32 v13, v11, v13, v30
	v_fma_f32 v13, v11, v13, v31
	;; [unrolled: 1-line block ×6, first 2 shown]
	v_mul_f32_e32 v11, v11, v13
	v_fmac_f32_e32 v2, v2, v11
	v_sub_f32_e32 v11, 0x3fc90fdb, v2
	v_cndmask_b32_e64 v2, v2, v11, s[0:1]
	v_sub_f32_e32 v11, 0x40490fdb, v2
	v_cmp_gt_f32_e32 vcc, 0, v4
	v_cmp_gt_i32_e64 s[0:1], 0, v4
	v_cndmask_b32_e32 v2, v2, v11, vcc
	v_cndmask_b32_e64 v11, 0, v38, s[0:1]
	v_cmp_eq_f32_e64 s[0:1], 0, v5
	v_cndmask_b32_e64 v2, v2, v11, s[0:1]
	v_cmp_class_f32_e64 s[0:1], v4, s45
	v_cmp_class_f32_e64 s[2:3], v5, s45
	v_cndmask_b32_e32 v11, v39, v40, vcc
	s_and_b64 vcc, s[0:1], s[2:3]
	v_cndmask_b32_e32 v2, v2, v11, vcc
.LBB169_134:                            ;   in Loop: Header=BB169_5 Depth=1
	s_or_b64 exec, exec, s[20:21]
.LBB169_135:                            ;   in Loop: Header=BB169_5 Depth=1
	s_andn2_saveexec_b64 s[0:1], s[18:19]
	s_cbranch_execz .LBB169_4
; %bb.136:                              ;   in Loop: Header=BB169_5 Depth=1
	v_cmp_nlt_f32_e64 s[2:3], |v4|, s51
	v_cmp_nlt_f32_e64 s[18:19], |v5|, s51
	s_or_b64 s[2:3], s[2:3], s[18:19]
                                        ; implicit-def: $vgpr2
	s_and_saveexec_b64 s[18:19], s[2:3]
	s_xor_b64 s[2:3], exec, s[18:19]
; %bb.137:                              ;   in Loop: Header=BB169_5 Depth=1
	v_pk_mul_f32 v[16:17], v[4:5], v[4:5]
	v_add_f32_e32 v2, v16, v17
; %bb.138:                              ;   in Loop: Header=BB169_5 Depth=1
	s_andn2_saveexec_b64 s[2:3], s[2:3]
	s_cbranch_execz .LBB169_3
; %bb.139:                              ;   in Loop: Header=BB169_5 Depth=1
	v_pk_mul_f32 v[16:17], v[4:5], 4.0 op_sel_hi:[1,0]
	v_pk_mul_f32 v[16:17], v[16:17], v[16:17]
	v_add_f32_e32 v2, v16, v17
	v_mul_f32_e32 v2, 0x3d800000, v2
	s_branch .LBB169_3
.LBB169_140:
	s_or_b64 exec, exec, s[8:9]
	s_mov_b64 s[0:1], 0
.LBB169_141:
	s_andn2_b64 vcc, exec, s[0:1]
	s_cbranch_vccnz .LBB169_297
; %bb.142:
	v_cmp_lt_i64_e64 s[0:1], s[12:13], 1
	s_and_b64 vcc, exec, s[0:1]
	s_cbranch_vccnz .LBB169_297
; %bb.143:
	s_load_dword s0, s[4:5], 0xc5c
	v_mov_b32_e32 v2, 0x10000
	v_mov_b32_e32 v3, 0
	v_cmp_lt_u64_e32 vcc, s[12:13], v[2:3]
	s_mov_b32 s2, 0
	s_waitcnt lgkmcnt(0)
	s_and_b32 s39, s0, 0xffff
	s_and_b64 s[0:1], vcc, exec
	s_mov_b32 s18, -1.0
	s_cselect_b32 s15, s13, 0
	s_cselect_b32 s14, s12, 0x10000
	s_lshl_b32 s40, s39, 1
	s_mul_i32 s41, s39, 3
	s_lshl_b32 s42, s39, 2
	s_mov_b64 s[16:17], 0
	v_mov_b32_e32 v1, s2
	v_mov_b32_e32 v28, s2
	;; [unrolled: 1-line block ×3, first 2 shown]
	s_brev_b32 s43, -2
	s_mov_b32 s44, 0x77f684df
	s_mov_b32 s19, 1.0
	s_mov_b32 s45, 0x358637bd
	s_mov_b32 s46, 0x49742400
	;; [unrolled: 1-line block ×3, first 2 shown]
	v_mov_b32_e32 v30, 0x3f2aaada
	s_mov_b32 s48, 0x3f317218
	s_mov_b32 s49, 0x7f800000
	s_mov_b32 s50, 0x33800000
	v_mov_b32_e32 v31, 0x3d29fb3f
	v_mov_b32_e32 v32, 0xbd97d4d7
	;; [unrolled: 1-line block ×6, first 2 shown]
	s_movk_i32 s51, 0x204
	s_mov_b32 s52, 0x3f333333
	s_mov_b32 s53, 0x800000
	;; [unrolled: 1-line block ×5, first 2 shown]
	s_brev_b32 s57, 4
	v_mov_b32_e32 v2, 0x3f317218
	v_mov_b32_e32 v37, 0x7fc00000
	;; [unrolled: 1-line block ×9, first 2 shown]
	s_branch .LBB169_145
.LBB169_144:                            ;   in Loop: Header=BB169_145 Depth=1
	s_or_b64 exec, exec, s[0:1]
	s_add_u32 s16, s16, s42
	s_addc_u32 s17, s17, 0
	v_pk_mov_b32 v[4:5], s[12:13], s[12:13] op_sel:[0,1]
	v_cmp_ge_i64_e32 vcc, s[16:17], v[4:5]
	v_mov_b32_e32 v4, 0xffff
	v_mov_b32_e32 v5, 0
	v_cmp_gt_u64_e64 s[0:1], s[16:17], v[4:5]
	s_or_b64 s[0:1], vcc, s[0:1]
	s_and_b64 vcc, exec, s[0:1]
	s_cbranch_vccnz .LBB169_297
.LBB169_145:                            ; =>This Loop Header: Depth=1
                                        ;     Child Loop BB169_164 Depth 2
                                        ;     Child Loop BB169_198 Depth 2
	;; [unrolled: 1-line block ×4, first 2 shown]
	v_mov_b32_e32 v3, s17
	v_add_co_u32_e32 v4, vcc, s16, v0
	v_addc_co_u32_e32 v5, vcc, 0, v3, vcc
	v_cmp_gt_u64_e64 s[0:1], s[14:15], v[4:5]
	v_mov_b32_e32 v10, 0
	v_mov_b32_e32 v11, 0
	s_and_saveexec_b64 s[2:3], s[0:1]
	s_cbranch_execz .LBB169_147
; %bb.146:                              ;   in Loop: Header=BB169_145 Depth=1
	v_lshlrev_b64 v[6:7], 3, v[4:5]
	v_mov_b32_e32 v3, s36
	v_add_co_u32_e32 v6, vcc, s33, v6
	v_addc_co_u32_e32 v7, vcc, v3, v7, vcc
	global_load_dwordx2 v[10:11], v[6:7], off
.LBB169_147:                            ;   in Loop: Header=BB169_145 Depth=1
	s_or_b64 exec, exec, s[2:3]
	v_add_co_u32_e32 v8, vcc, s39, v4
	v_addc_co_u32_e32 v9, vcc, v5, v1, vcc
	v_cmp_gt_u64_e64 s[2:3], s[14:15], v[8:9]
	v_mov_b32_e32 v6, 0
	v_mov_b32_e32 v14, 0
	;; [unrolled: 1-line block ×3, first 2 shown]
	s_and_saveexec_b64 s[4:5], s[2:3]
	s_cbranch_execz .LBB169_149
; %bb.148:                              ;   in Loop: Header=BB169_145 Depth=1
	v_lshlrev_b64 v[12:13], 3, v[8:9]
	v_mov_b32_e32 v3, s36
	v_add_co_u32_e32 v12, vcc, s33, v12
	v_addc_co_u32_e32 v13, vcc, v3, v13, vcc
	global_load_dwordx2 v[14:15], v[12:13], off
.LBB169_149:                            ;   in Loop: Header=BB169_145 Depth=1
	s_or_b64 exec, exec, s[4:5]
	v_add_co_u32_e32 v12, vcc, s40, v4
	v_addc_co_u32_e32 v13, vcc, v5, v28, vcc
	v_cmp_gt_u64_e64 s[4:5], s[14:15], v[12:13]
	v_mov_b32_e32 v7, 0
	s_and_saveexec_b64 s[6:7], s[4:5]
	s_cbranch_execz .LBB169_151
; %bb.150:                              ;   in Loop: Header=BB169_145 Depth=1
	v_lshlrev_b64 v[6:7], 3, v[12:13]
	v_mov_b32_e32 v3, s36
	v_add_co_u32_e32 v6, vcc, s33, v6
	v_addc_co_u32_e32 v7, vcc, v3, v7, vcc
	global_load_dwordx2 v[6:7], v[6:7], off
.LBB169_151:                            ;   in Loop: Header=BB169_145 Depth=1
	s_or_b64 exec, exec, s[6:7]
	v_add_co_u32_e32 v16, vcc, s41, v4
	v_addc_co_u32_e32 v17, vcc, v5, v29, vcc
	v_mov_b32_e32 v18, 0
	v_cmp_gt_u64_e64 s[6:7], s[14:15], v[16:17]
	v_mov_b32_e32 v19, v18
	s_and_saveexec_b64 s[8:9], s[6:7]
	s_cbranch_execz .LBB169_153
; %bb.152:                              ;   in Loop: Header=BB169_145 Depth=1
	v_lshlrev_b64 v[18:19], 3, v[16:17]
	v_mov_b32_e32 v3, s36
	v_add_co_u32_e32 v18, vcc, s33, v18
	v_addc_co_u32_e32 v19, vcc, v3, v19, vcc
	global_load_dwordx2 v[18:19], v[18:19], off
.LBB169_153:                            ;   in Loop: Header=BB169_145 Depth=1
	s_or_b64 exec, exec, s[8:9]
	s_waitcnt vmcnt(0)
	v_cmp_o_f32_e32 vcc, v11, v10
                                        ; implicit-def: $vgpr20
                                        ; implicit-def: $vgpr21
	s_and_saveexec_b64 s[8:9], vcc
	s_xor_b64 s[20:21], exec, s[8:9]
	s_cbranch_execz .LBB169_181
; %bb.154:                              ;   in Loop: Header=BB169_145 Depth=1
	v_cmp_lt_f32_e64 s[8:9], |v10|, |v11|
	v_cndmask_b32_e64 v3, v11, v10, s[8:9]
	v_cmp_ngt_f32_e64 s[10:11], |v3|, s44
                                        ; implicit-def: $vgpr20
                                        ; implicit-def: $vgpr21
	s_and_saveexec_b64 s[22:23], s[10:11]
	s_xor_b64 s[22:23], exec, s[22:23]
	s_cbranch_execz .LBB169_178
; %bb.155:                              ;   in Loop: Header=BB169_145 Depth=1
	v_cndmask_b32_e64 v20, v10, v11, s[8:9]
	v_and_b32_e32 v23, 0x7fffffff, v20
	v_and_b32_e32 v22, 0x7fffffff, v3
	v_cmp_neq_f32_e32 vcc, 1.0, v23
                                        ; implicit-def: $vgpr20
                                        ; implicit-def: $vgpr21
	s_and_saveexec_b64 s[10:11], vcc
	s_xor_b64 s[24:25], exec, s[10:11]
	s_cbranch_execz .LBB169_171
; %bb.156:                              ;   in Loop: Header=BB169_145 Depth=1
	v_max_f32_e32 v3, v22, v22
	v_max_f32_e32 v20, v23, v23
	v_min_f32_e32 v21, v20, v3
	v_max_f32_e32 v3, v20, v3
	v_cmp_ngt_f32_e32 vcc, s45, v21
	v_cmp_nlt_f32_e64 s[10:11], s46, v3
	s_and_b64 s[10:11], s[10:11], vcc
                                        ; implicit-def: $vgpr20
                                        ; implicit-def: $vgpr21
	s_and_saveexec_b64 s[26:27], s[10:11]
	s_xor_b64 s[26:27], exec, s[26:27]
	s_cbranch_execz .LBB169_168
; %bb.157:                              ;   in Loop: Header=BB169_145 Depth=1
	v_cmp_le_f32_e32 vcc, 1.0, v23
                                        ; implicit-def: $vgpr20
                                        ; implicit-def: $vgpr21
	s_and_saveexec_b64 s[10:11], vcc
	s_xor_b64 s[28:29], exec, s[10:11]
	s_cbranch_execz .LBB169_159
; %bb.158:                              ;   in Loop: Header=BB169_145 Depth=1
	v_pk_add_f32 v[20:21], v[22:23], s[18:19] op_sel:[1,0]
	v_mov_b32_e32 v24, v21
	v_pk_mul_f32 v[20:21], v[20:21], v[24:25]
	v_pk_fma_f32 v[20:21], v[22:23], v[22:23], v[20:21]
	v_add_f32_e32 v23, 1.0, v20
	v_add_f32_e32 v21, -1.0, v23
	v_mov_b32_e32 v22, v21
	v_pk_add_f32 v[24:25], v[20:21], v[22:23] neg_lo:[0,1] neg_hi:[0,1]
	v_add_f32_e32 v3, 1.0, v25
	v_add_f32_e32 v3, v24, v3
	v_frexp_mant_f32_e32 v21, v23
	v_cvt_f64_f32_e32 v[24:25], v23
	v_frexp_exp_i32_f64_e32 v22, v[24:25]
	v_cmp_gt_f32_e32 vcc, s47, v21
	v_subbrev_co_u32_e32 v21, vcc, 0, v22, vcc
	v_sub_u32_e32 v22, 0, v21
	v_ldexp_f32 v23, v23, v22
	v_ldexp_f32 v3, v3, v22
	v_add_f32_e32 v22, -1.0, v23
	v_add_f32_e32 v25, 1.0, v23
	v_add_f32_e32 v24, 1.0, v22
	v_add_f32_e32 v26, -1.0, v25
	v_sub_f32_e32 v24, v23, v24
	v_sub_f32_e32 v23, v23, v26
	v_add_f32_e32 v24, v3, v24
	v_add_f32_e32 v3, v3, v23
	;; [unrolled: 1-line block ×3, first 2 shown]
	v_rcp_f32_e32 v48, v45
	v_sub_f32_e32 v23, v45, v25
	v_sub_f32_e32 v3, v3, v23
	v_add_f32_e32 v23, v22, v24
	v_sub_f32_e32 v22, v23, v22
	v_mul_f32_e32 v50, v23, v48
	v_sub_f32_e32 v49, v24, v22
	v_mul_f32_e32 v24, v45, v50
	v_fma_f32 v26, v50, v45, -v24
	v_fmac_f32_e32 v26, v50, v3
	v_add_f32_e32 v22, v24, v26
	v_sub_f32_e32 v25, v23, v22
	v_pk_add_f32 v[46:47], v[22:23], v[24:25] neg_lo:[0,1] neg_hi:[0,1]
	v_mov_b32_e32 v27, v22
	v_pk_add_f32 v[22:23], v[46:47], v[26:27] neg_lo:[0,1] neg_hi:[0,1]
	v_add_f32_e32 v23, v49, v23
	v_add_f32_e32 v22, v22, v23
	;; [unrolled: 1-line block ×3, first 2 shown]
	v_mul_f32_e32 v49, v48, v23
	v_mul_f32_e32 v24, v45, v49
	v_fma_f32 v26, v49, v45, -v24
	v_fmac_f32_e32 v26, v49, v3
	v_sub_f32_e32 v3, v25, v23
	v_add_f32_e32 v3, v22, v3
	v_add_f32_e32 v22, v24, v26
	v_sub_f32_e32 v25, v23, v22
	v_pk_add_f32 v[46:47], v[22:23], v[24:25] neg_lo:[0,1] neg_hi:[0,1]
	v_mov_b32_e32 v27, v22
	v_pk_add_f32 v[22:23], v[46:47], v[26:27] neg_lo:[0,1] neg_hi:[0,1]
	v_add_f32_e32 v3, v3, v23
	v_add_f32_e32 v3, v22, v3
	;; [unrolled: 1-line block ×4, first 2 shown]
	v_sub_f32_e32 v22, v23, v50
	v_mul_f32_e32 v3, v48, v3
	v_sub_f32_e32 v22, v49, v22
	v_add_f32_e32 v24, v22, v3
	v_add_f32_e32 v26, v23, v24
	v_cvt_f32_i32_e32 v22, v21
	v_mul_f32_e32 v27, v26, v26
	v_mov_b32_e32 v3, 0x3ecc95a3
	v_fmac_f32_e32 v3, 0x3e9b6dac, v27
	v_fma_f32 v3, v27, v3, v30
	v_sub_f32_e32 v21, v26, v23
	v_mul_f32_e32 v23, v26, v27
	v_ldexp_f32 v25, v26, 1
	v_pk_mul_f32 v[26:27], v[22:23], v[2:3]
	v_sub_f32_e32 v21, v24, v21
	v_fma_f32 v24, v22, s48, -v26
	v_fmac_f32_e32 v24, 0xb102e308, v22
	v_pk_add_f32 v[22:23], v[26:27], v[24:25]
	v_sub_f32_e32 v3, v23, v25
	v_ldexp_f32 v21, v21, 1
	v_sub_f32_e32 v3, v27, v3
	v_add_f32_e32 v47, v21, v3
	v_mov_b32_e32 v46, v26
	v_pk_add_f32 v[26:27], v[22:23], v[26:27] neg_lo:[0,1] neg_hi:[0,1]
	v_pk_add_f32 v[48:49], v[22:23], v[46:47]
	v_mov_b32_e32 v27, v49
	v_mov_b32_e32 v25, v22
	v_pk_add_f32 v[50:51], v[24:25], v[26:27] neg_lo:[0,1] neg_hi:[0,1]
	v_pk_add_f32 v[24:25], v[24:25], v[26:27]
	v_mov_b32_e32 v26, v25
	v_pk_add_f32 v[52:53], v[26:27], v[22:23] neg_lo:[0,1] neg_hi:[0,1]
	v_mov_b32_e32 v3, v52
	v_pk_add_f32 v[54:55], v[48:49], v[2:3] neg_lo:[0,1] neg_hi:[0,1]
	v_mov_b32_e32 v24, v49
	v_mov_b32_e32 v48, v23
	;; [unrolled: 1-line block ×4, first 2 shown]
	v_pk_add_f32 v[24:25], v[24:25], v[48:49] neg_lo:[0,1] neg_hi:[0,1]
	v_mov_b32_e32 v46, v47
	v_mov_b32_e32 v47, v22
	v_pk_add_f32 v[22:23], v[46:47], v[24:25] neg_lo:[0,1] neg_hi:[0,1]
	v_mov_b32_e32 v54, v50
	v_pk_add_f32 v[24:25], v[54:55], v[22:23]
	v_mov_b32_e32 v46, v25
	v_pk_add_f32 v[46:47], v[24:25], v[46:47]
	v_pk_add_f32 v[26:27], v[26:27], v[46:47]
	v_mov_b32_e32 v25, v26
	v_pk_add_f32 v[48:49], v[24:25], v[50:51] neg_lo:[0,1] neg_hi:[0,1]
	v_mov_b32_e32 v23, v46
	v_sub_f32_e32 v3, v24, v48
	v_pk_add_f32 v[22:23], v[22:23], v[48:49] neg_lo:[0,1] neg_hi:[0,1]
	v_sub_f32_e32 v3, v50, v3
	v_add_f32_e32 v3, v22, v3
	v_add_f32_e32 v3, v3, v23
	;; [unrolled: 1-line block ×3, first 2 shown]
	v_cmp_eq_f32_e32 vcc, s49, v20
	v_cndmask_b32_e32 v3, v3, v20, vcc
	v_cmp_ngt_f32_e32 vcc, -1.0, v20
	v_cndmask_b32_e32 v3, v37, v3, vcc
	v_cmp_neq_f32_e32 vcc, -1.0, v20
	v_cndmask_b32_e32 v3, v38, v3, vcc
	v_cmp_lt_f32_e64 vcc, |v20|, s50
	v_cndmask_b32_e32 v3, v3, v20, vcc
	v_mul_f32_e32 v20, 0.5, v3
	v_max_f32_e64 v3, |v11|, |v11|
	v_max_f32_e64 v21, |v10|, |v10|
	v_min_f32_e32 v22, v21, v3
	v_max_f32_e32 v3, v21, v3
	v_frexp_mant_f32_e32 v21, v3
	v_rcp_f32_e32 v21, v21
	v_frexp_exp_i32_f32_e32 v3, v3
	v_frexp_exp_i32_f32_e32 v23, v22
	v_frexp_mant_f32_e32 v22, v22
	v_mul_f32_e32 v21, v22, v21
	v_sub_u32_e32 v3, v23, v3
	v_ldexp_f32 v3, v21, v3
	v_mul_f32_e32 v21, v3, v3
	v_mov_b32_e32 v22, 0xbc7a590c
	v_fmac_f32_e32 v22, 0x3b2d2a58, v21
	v_fma_f32 v22, v21, v22, v31
	v_fma_f32 v22, v21, v22, v32
	;; [unrolled: 1-line block ×6, first 2 shown]
	v_mul_f32_e32 v21, v21, v22
	v_fmac_f32_e32 v3, v3, v21
	v_sub_f32_e32 v21, 0x3fc90fdb, v3
	v_cndmask_b32_e64 v3, v3, v21, s[8:9]
	v_sub_f32_e32 v21, 0x40490fdb, v3
	v_cmp_gt_f32_e32 vcc, 0, v10
	v_cmp_gt_i32_e64 s[10:11], 0, v10
	v_cndmask_b32_e32 v3, v3, v21, vcc
	v_cndmask_b32_e64 v21, 0, v39, s[10:11]
	v_cmp_eq_f32_e64 s[10:11], 0, v11
	v_cndmask_b32_e64 v3, v3, v21, s[10:11]
	v_cmp_class_f32_e64 s[10:11], v10, s51
	v_cmp_class_f32_e64 s[30:31], v11, s51
	v_cndmask_b32_e32 v21, v40, v41, vcc
	s_and_b64 vcc, s[30:31], s[10:11]
	v_cndmask_b32_e32 v21, v3, v21, vcc
                                        ; implicit-def: $vgpr22_vgpr23
.LBB169_159:                            ;   in Loop: Header=BB169_145 Depth=1
	s_andn2_saveexec_b64 s[28:29], s[28:29]
	s_cbranch_execz .LBB169_167
; %bb.160:                              ;   in Loop: Header=BB169_145 Depth=1
	v_pk_mul_f32 v[20:21], v[22:23], v[22:23]
	v_add_f32_e32 v3, v21, v20
	v_cmp_ge_f32_e32 vcc, s52, v3
                                        ; implicit-def: $vgpr20
                                        ; implicit-def: $vgpr21
	s_and_saveexec_b64 s[10:11], vcc
	s_xor_b64 s[30:31], exec, s[10:11]
	s_cbranch_execz .LBB169_162
; %bb.161:                              ;   in Loop: Header=BB169_145 Depth=1
	v_cmp_gt_f32_e32 vcc, s53, v3
	v_cndmask_b32_e32 v20, 1.0, v42, vcc
	v_mul_f32_e32 v3, v3, v20
	v_log_f32_e32 v3, v3
	v_cndmask_b32_e32 v20, 0, v43, vcc
	v_cmp_gt_i32_e64 s[10:11], 0, v10
	v_cmp_class_f32_e64 s[34:35], v11, s51
	v_mul_f32_e32 v21, 0x3f317217, v3
	v_fma_f32 v22, v3, s54, -v21
	v_fmac_f32_e32 v22, 0x3377d1cf, v3
	v_add_f32_e32 v21, v21, v22
	v_cmp_lt_f32_e64 vcc, |v3|, s49
	v_cndmask_b32_e32 v3, v3, v21, vcc
	v_sub_f32_e32 v3, v3, v20
	v_mul_f32_e32 v20, 0.5, v3
	v_max_f32_e64 v3, |v11|, |v11|
	v_max_f32_e64 v21, |v10|, |v10|
	v_min_f32_e32 v22, v21, v3
	v_max_f32_e32 v3, v21, v3
	v_frexp_mant_f32_e32 v21, v3
	v_rcp_f32_e32 v21, v21
	v_frexp_exp_i32_f32_e32 v3, v3
	v_frexp_exp_i32_f32_e32 v23, v22
	v_frexp_mant_f32_e32 v22, v22
	v_mul_f32_e32 v21, v22, v21
	v_sub_u32_e32 v3, v23, v3
	v_ldexp_f32 v3, v21, v3
	v_mul_f32_e32 v21, v3, v3
	v_mov_b32_e32 v22, 0xbc7a590c
	v_fmac_f32_e32 v22, 0x3b2d2a58, v21
	v_fma_f32 v22, v21, v22, v31
	v_fma_f32 v22, v21, v22, v32
	;; [unrolled: 1-line block ×6, first 2 shown]
	v_mul_f32_e32 v21, v21, v22
	v_fmac_f32_e32 v3, v3, v21
	v_sub_f32_e32 v21, 0x3fc90fdb, v3
	v_cndmask_b32_e64 v3, v3, v21, s[8:9]
	v_sub_f32_e32 v21, 0x40490fdb, v3
	v_cmp_gt_f32_e32 vcc, 0, v10
	v_cndmask_b32_e32 v3, v3, v21, vcc
	v_cndmask_b32_e64 v21, 0, v39, s[10:11]
	v_cmp_eq_f32_e64 s[10:11], 0, v11
	v_cndmask_b32_e64 v3, v3, v21, s[10:11]
	v_cmp_class_f32_e64 s[10:11], v10, s51
	v_cndmask_b32_e32 v21, v40, v41, vcc
	s_and_b64 vcc, s[34:35], s[10:11]
	v_cndmask_b32_e32 v21, v3, v21, vcc
                                        ; implicit-def: $vgpr22_vgpr23
.LBB169_162:                            ;   in Loop: Header=BB169_145 Depth=1
	s_andn2_saveexec_b64 s[30:31], s[30:31]
	s_cbranch_execz .LBB169_166
; %bb.163:                              ;   in Loop: Header=BB169_145 Depth=1
	v_and_b32_e32 v25, 0x7fff0000, v22
	v_and_b32_e32 v24, 0x7fff0000, v23
	v_pk_add_f32 v[20:21], v[22:23], v[24:25] op_sel:[1,0] op_sel_hi:[0,1] neg_lo:[0,1] neg_hi:[0,1]
	v_and_b32_e32 v47, 0xffff0000, v21
	v_and_b32_e32 v46, 0xffff0000, v20
	v_pk_add_f32 v[48:49], v[20:21], v[46:47] neg_lo:[0,1] neg_hi:[0,1]
	v_pk_mul_f32 v[20:21], v[24:25], v[24:25]
	v_add_f32_e32 v24, v24, v24
	v_mul_f32_e32 v26, v24, v46
	v_mul_f32_e32 v45, v24, v48
	v_add_f32_e32 v24, v46, v46
	v_add_f32_e32 v25, v25, v25
	v_pk_mul_f32 v[22:23], v[46:47], v[46:47]
	v_mul_f32_e32 v46, v24, v48
	v_add_f32_e32 v24, v47, v47
	v_mul_f32_e32 v3, v25, v47
	v_mul_f32_e32 v27, v25, v49
	;; [unrolled: 1-line block ×3, first 2 shown]
	v_pk_mul_f32 v[24:25], v[48:49], v[48:49]
	s_mov_b64 s[34:35], 0
.LBB169_164:                            ;   Parent Loop BB169_145 Depth=1
                                        ; =>  This Inner Loop Header: Depth=2
	v_cmp_nlt_f32_e32 vcc, v20, v21
	v_cndmask_b32_e32 v48, v20, v21, vcc
	v_cmp_nlt_f32_e64 s[10:11], v48, v26
	v_cndmask_b32_e64 v49, v48, v26, s[10:11]
	v_cndmask_b32_e32 v20, v21, v20, vcc
	s_and_b64 s[58:59], vcc, s[10:11]
	v_cmp_nlt_f32_e32 vcc, v49, v3
	v_cndmask_b32_e64 v21, v26, v48, s[10:11]
	v_cndmask_b32_e32 v48, v49, v3, vcc
	v_cmp_nlt_f32_e64 s[10:11], v48, v22
	v_cndmask_b32_e32 v26, v3, v49, vcc
	v_cndmask_b32_e64 v49, v48, v22, s[10:11]
	s_and_b64 s[60:61], vcc, s[10:11]
	v_cmp_nlt_f32_e32 vcc, v49, v23
	v_cndmask_b32_e64 v3, v22, v48, s[10:11]
	v_cndmask_b32_e32 v48, v49, v23, vcc
	v_cmp_nlt_f32_e64 s[10:11], v48, v45
	v_cndmask_b32_e32 v22, v23, v49, vcc
	v_cndmask_b32_e64 v49, v48, v45, s[10:11]
	v_cndmask_b32_e64 v23, v45, v48, s[10:11]
	s_and_b64 s[10:11], vcc, s[10:11]
	v_cmp_nlt_f32_e32 vcc, v49, v27
	v_cndmask_b32_e32 v48, v49, v27, vcc
	v_cndmask_b32_e32 v45, v27, v49, vcc
	s_and_b64 s[10:11], s[10:11], vcc
	v_cmp_nlt_f32_e32 vcc, v48, v46
	v_cndmask_b32_e32 v49, v48, v46, vcc
	v_cndmask_b32_e32 v27, v46, v48, vcc
	s_and_b64 s[10:11], s[10:11], vcc
	;; [unrolled: 4-line block ×4, first 2 shown]
	v_cmp_nlt_f32_e32 vcc, v49, v25
	s_and_b64 s[10:11], s[10:11], vcc
	s_and_b64 s[10:11], s[10:11], s[60:61]
	s_and_b64 s[10:11], s[10:11], s[58:59]
	s_and_b64 s[10:11], exec, s[10:11]
	v_cndmask_b32_e32 v24, v25, v49, vcc
	s_or_b64 s[34:35], s[10:11], s[34:35]
	v_cndmask_b32_e32 v25, v49, v25, vcc
	s_andn2_b64 exec, exec, s[34:35]
	s_cbranch_execnz .LBB169_164
; %bb.165:                              ;   in Loop: Header=BB169_145 Depth=1
	s_or_b64 exec, exec, s[34:35]
	v_add_f32_e32 v20, -1.0, v20
	v_add_f32_e32 v20, v20, v21
	v_add_f32_e32 v20, v20, v26
	;; [unrolled: 1-line block ×11, first 2 shown]
	v_add_f32_e32 v23, 1.0, v20
	v_add_f32_e32 v21, -1.0, v23
	v_mov_b32_e32 v22, v21
	v_pk_add_f32 v[24:25], v[20:21], v[22:23] neg_lo:[0,1] neg_hi:[0,1]
	v_add_f32_e32 v3, 1.0, v25
	v_add_f32_e32 v3, v24, v3
	v_frexp_mant_f32_e32 v21, v23
	v_cvt_f64_f32_e32 v[24:25], v23
	v_frexp_exp_i32_f64_e32 v22, v[24:25]
	v_cmp_gt_f32_e32 vcc, s47, v21
	v_subbrev_co_u32_e32 v21, vcc, 0, v22, vcc
	v_sub_u32_e32 v22, 0, v21
	v_ldexp_f32 v23, v23, v22
	v_ldexp_f32 v3, v3, v22
	v_add_f32_e32 v22, -1.0, v23
	v_add_f32_e32 v25, 1.0, v23
	v_add_f32_e32 v24, 1.0, v22
	v_add_f32_e32 v26, -1.0, v25
	v_sub_f32_e32 v24, v23, v24
	v_sub_f32_e32 v23, v23, v26
	v_add_f32_e32 v24, v3, v24
	v_add_f32_e32 v3, v3, v23
	;; [unrolled: 1-line block ×3, first 2 shown]
	v_rcp_f32_e32 v48, v45
	v_sub_f32_e32 v23, v45, v25
	v_sub_f32_e32 v3, v3, v23
	v_add_f32_e32 v23, v22, v24
	v_sub_f32_e32 v22, v23, v22
	v_mul_f32_e32 v50, v23, v48
	v_sub_f32_e32 v49, v24, v22
	v_mul_f32_e32 v24, v45, v50
	v_fma_f32 v26, v50, v45, -v24
	v_fmac_f32_e32 v26, v50, v3
	v_add_f32_e32 v22, v24, v26
	v_sub_f32_e32 v25, v23, v22
	v_pk_add_f32 v[46:47], v[22:23], v[24:25] neg_lo:[0,1] neg_hi:[0,1]
	v_mov_b32_e32 v27, v22
	v_pk_add_f32 v[22:23], v[46:47], v[26:27] neg_lo:[0,1] neg_hi:[0,1]
	v_add_f32_e32 v23, v49, v23
	v_add_f32_e32 v22, v22, v23
	;; [unrolled: 1-line block ×3, first 2 shown]
	v_mul_f32_e32 v49, v48, v23
	v_mul_f32_e32 v24, v45, v49
	v_fma_f32 v26, v49, v45, -v24
	v_fmac_f32_e32 v26, v49, v3
	v_sub_f32_e32 v3, v25, v23
	v_add_f32_e32 v3, v22, v3
	v_add_f32_e32 v22, v24, v26
	v_sub_f32_e32 v25, v23, v22
	v_pk_add_f32 v[46:47], v[22:23], v[24:25] neg_lo:[0,1] neg_hi:[0,1]
	v_mov_b32_e32 v27, v22
	v_pk_add_f32 v[22:23], v[46:47], v[26:27] neg_lo:[0,1] neg_hi:[0,1]
	v_add_f32_e32 v3, v3, v23
	v_add_f32_e32 v3, v22, v3
	;; [unrolled: 1-line block ×4, first 2 shown]
	v_sub_f32_e32 v22, v23, v50
	v_mul_f32_e32 v3, v48, v3
	v_sub_f32_e32 v22, v49, v22
	v_add_f32_e32 v24, v22, v3
	v_add_f32_e32 v26, v23, v24
	v_cvt_f32_i32_e32 v22, v21
	v_mul_f32_e32 v27, v26, v26
	v_mov_b32_e32 v3, 0x3ecc95a3
	v_fmac_f32_e32 v3, 0x3e9b6dac, v27
	v_fma_f32 v3, v27, v3, v30
	v_sub_f32_e32 v21, v26, v23
	v_mul_f32_e32 v23, v26, v27
	v_ldexp_f32 v25, v26, 1
	v_pk_mul_f32 v[26:27], v[22:23], v[2:3]
	v_sub_f32_e32 v21, v24, v21
	v_fma_f32 v24, v22, s48, -v26
	v_fmac_f32_e32 v24, 0xb102e308, v22
	v_pk_add_f32 v[22:23], v[26:27], v[24:25]
	v_sub_f32_e32 v3, v23, v25
	v_ldexp_f32 v21, v21, 1
	v_sub_f32_e32 v3, v27, v3
	v_add_f32_e32 v47, v21, v3
	v_mov_b32_e32 v46, v26
	v_pk_add_f32 v[26:27], v[22:23], v[26:27] neg_lo:[0,1] neg_hi:[0,1]
	v_pk_add_f32 v[48:49], v[22:23], v[46:47]
	v_mov_b32_e32 v27, v49
	v_mov_b32_e32 v25, v22
	v_pk_add_f32 v[50:51], v[24:25], v[26:27] neg_lo:[0,1] neg_hi:[0,1]
	v_pk_add_f32 v[24:25], v[24:25], v[26:27]
	v_mov_b32_e32 v26, v25
	v_pk_add_f32 v[52:53], v[26:27], v[22:23] neg_lo:[0,1] neg_hi:[0,1]
	v_mov_b32_e32 v3, v52
	v_pk_add_f32 v[54:55], v[48:49], v[2:3] neg_lo:[0,1] neg_hi:[0,1]
	v_mov_b32_e32 v24, v49
	v_mov_b32_e32 v48, v23
	;; [unrolled: 1-line block ×4, first 2 shown]
	v_pk_add_f32 v[24:25], v[24:25], v[48:49] neg_lo:[0,1] neg_hi:[0,1]
	v_mov_b32_e32 v46, v47
	v_mov_b32_e32 v47, v22
	v_pk_add_f32 v[22:23], v[46:47], v[24:25] neg_lo:[0,1] neg_hi:[0,1]
	v_mov_b32_e32 v54, v50
	v_pk_add_f32 v[24:25], v[54:55], v[22:23]
	v_mov_b32_e32 v46, v25
	v_pk_add_f32 v[46:47], v[24:25], v[46:47]
	v_pk_add_f32 v[26:27], v[26:27], v[46:47]
	v_mov_b32_e32 v25, v26
	v_pk_add_f32 v[48:49], v[24:25], v[50:51] neg_lo:[0,1] neg_hi:[0,1]
	v_mov_b32_e32 v23, v46
	v_sub_f32_e32 v3, v24, v48
	v_pk_add_f32 v[22:23], v[22:23], v[48:49] neg_lo:[0,1] neg_hi:[0,1]
	v_sub_f32_e32 v3, v50, v3
	v_add_f32_e32 v3, v22, v3
	v_add_f32_e32 v3, v3, v23
	v_add_f32_e32 v3, v26, v3
	v_cmp_eq_f32_e32 vcc, s49, v20
	v_cndmask_b32_e32 v3, v3, v20, vcc
	v_cmp_ngt_f32_e32 vcc, -1.0, v20
	v_cndmask_b32_e32 v3, v37, v3, vcc
	v_cmp_neq_f32_e32 vcc, -1.0, v20
	v_cndmask_b32_e32 v3, v38, v3, vcc
	v_cmp_lt_f32_e64 vcc, |v20|, s50
	v_cndmask_b32_e32 v3, v3, v20, vcc
	v_mul_f32_e32 v20, 0.5, v3
	v_max_f32_e64 v3, |v11|, |v11|
	v_max_f32_e64 v21, |v10|, |v10|
	v_min_f32_e32 v22, v21, v3
	v_max_f32_e32 v3, v21, v3
	v_frexp_mant_f32_e32 v21, v3
	v_rcp_f32_e32 v21, v21
	v_frexp_exp_i32_f32_e32 v3, v3
	v_frexp_exp_i32_f32_e32 v23, v22
	v_frexp_mant_f32_e32 v22, v22
	v_mul_f32_e32 v21, v22, v21
	v_sub_u32_e32 v3, v23, v3
	v_ldexp_f32 v3, v21, v3
	v_mul_f32_e32 v21, v3, v3
	v_mov_b32_e32 v22, 0xbc7a590c
	v_fmac_f32_e32 v22, 0x3b2d2a58, v21
	v_fma_f32 v22, v21, v22, v31
	v_fma_f32 v22, v21, v22, v32
	;; [unrolled: 1-line block ×6, first 2 shown]
	v_mul_f32_e32 v21, v21, v22
	v_fmac_f32_e32 v3, v3, v21
	v_sub_f32_e32 v21, 0x3fc90fdb, v3
	v_cndmask_b32_e64 v3, v3, v21, s[8:9]
	v_sub_f32_e32 v21, 0x40490fdb, v3
	v_cmp_gt_f32_e32 vcc, 0, v10
	v_cmp_gt_i32_e64 s[10:11], 0, v10
	v_cndmask_b32_e32 v3, v3, v21, vcc
	v_cndmask_b32_e64 v21, 0, v39, s[10:11]
	v_cmp_eq_f32_e64 s[10:11], 0, v11
	v_cndmask_b32_e64 v3, v3, v21, s[10:11]
	v_cmp_class_f32_e64 s[10:11], v10, s51
	v_cmp_class_f32_e64 s[34:35], v11, s51
	v_cndmask_b32_e32 v21, v40, v41, vcc
	s_and_b64 vcc, s[34:35], s[10:11]
	v_cndmask_b32_e32 v21, v3, v21, vcc
.LBB169_166:                            ;   in Loop: Header=BB169_145 Depth=1
	s_or_b64 exec, exec, s[30:31]
.LBB169_167:                            ;   in Loop: Header=BB169_145 Depth=1
	s_or_b64 exec, exec, s[28:29]
.LBB169_168:                            ;   in Loop: Header=BB169_145 Depth=1
	s_andn2_saveexec_b64 s[26:27], s[26:27]
	s_cbranch_execz .LBB169_170
; %bb.169:                              ;   in Loop: Header=BB169_145 Depth=1
	v_max_f32_e64 v3, |v11|, |v11|
	v_max_f32_e64 v22, |v10|, |v10|
	v_max_f32_e32 v23, v22, v3
	v_cvt_f64_f32_e32 v[20:21], v23
	v_frexp_exp_i32_f64_e32 v20, v[20:21]
	v_sub_u32_e32 v21, 0, v20
	v_ldexp_f32 v24, |v10|, v21
	v_ldexp_f32 v21, |v11|, v21
	v_mul_f32_e32 v21, v21, v21
	v_fmac_f32_e32 v21, v24, v24
	v_sqrt_f32_e32 v21, v21
	v_cmp_neq_f32_e32 vcc, s49, v23
	v_min_f32_e32 v3, v22, v3
	v_frexp_exp_i32_f32_e32 v22, v23
	v_ldexp_f32 v20, v21, v20
	v_cndmask_b32_e32 v20, v44, v20, vcc
	v_cmp_gt_f32_e32 vcc, s53, v20
	v_cndmask_b32_e32 v21, 1.0, v42, vcc
	v_mul_f32_e32 v20, v20, v21
	v_log_f32_e32 v20, v20
	v_cndmask_b32_e32 v21, 0, v43, vcc
	v_cmp_gt_i32_e64 s[10:11], 0, v10
	v_cmp_class_f32_e64 s[28:29], v11, s51
	v_mul_f32_e32 v24, 0x3f317217, v20
	v_fma_f32 v25, v20, s54, -v24
	v_fmac_f32_e32 v25, 0x3377d1cf, v20
	v_add_f32_e32 v24, v24, v25
	v_cmp_lt_f32_e64 vcc, |v20|, s49
	v_cndmask_b32_e32 v20, v20, v24, vcc
	v_sub_f32_e32 v20, v20, v21
	v_frexp_mant_f32_e32 v21, v23
	v_rcp_f32_e32 v21, v21
	v_frexp_exp_i32_f32_e32 v23, v3
	v_frexp_mant_f32_e32 v3, v3
	v_cmp_gt_f32_e32 vcc, 0, v10
	v_mul_f32_e32 v3, v3, v21
	v_sub_u32_e32 v21, v23, v22
	v_ldexp_f32 v3, v3, v21
	v_mul_f32_e32 v21, v3, v3
	v_mov_b32_e32 v22, 0xbc7a590c
	v_fmac_f32_e32 v22, 0x3b2d2a58, v21
	v_fma_f32 v22, v21, v22, v31
	v_fma_f32 v22, v21, v22, v32
	;; [unrolled: 1-line block ×6, first 2 shown]
	v_mul_f32_e32 v21, v21, v22
	v_fmac_f32_e32 v3, v3, v21
	v_sub_f32_e32 v21, 0x3fc90fdb, v3
	v_cndmask_b32_e64 v3, v3, v21, s[8:9]
	v_sub_f32_e32 v21, 0x40490fdb, v3
	v_cndmask_b32_e32 v3, v3, v21, vcc
	v_cndmask_b32_e64 v21, 0, v39, s[10:11]
	v_cmp_eq_f32_e64 s[10:11], 0, v11
	v_cndmask_b32_e64 v3, v3, v21, s[10:11]
	v_cmp_class_f32_e64 s[10:11], v10, s51
	v_cndmask_b32_e32 v21, v40, v41, vcc
	s_and_b64 vcc, s[28:29], s[10:11]
	v_cndmask_b32_e32 v21, v3, v21, vcc
.LBB169_170:                            ;   in Loop: Header=BB169_145 Depth=1
	s_or_b64 exec, exec, s[26:27]
                                        ; implicit-def: $vgpr22
.LBB169_171:                            ;   in Loop: Header=BB169_145 Depth=1
	s_andn2_saveexec_b64 s[24:25], s[24:25]
	s_cbranch_execz .LBB169_177
; %bb.172:                              ;   in Loop: Header=BB169_145 Depth=1
	v_cmp_ngt_f32_e32 vcc, s55, v22
                                        ; implicit-def: $vgpr20
                                        ; implicit-def: $vgpr21
	s_and_saveexec_b64 s[10:11], vcc
	s_xor_b64 s[26:27], exec, s[10:11]
	s_cbranch_execz .LBB169_174
; %bb.173:                              ;   in Loop: Header=BB169_145 Depth=1
	v_pk_mul_f32 v[20:21], v[22:23], v[22:23]
	v_add_f32_e32 v23, 1.0, v20
	v_add_f32_e32 v21, -1.0, v23
	v_mov_b32_e32 v22, v21
	v_pk_add_f32 v[24:25], v[20:21], v[22:23] neg_lo:[0,1] neg_hi:[0,1]
	v_add_f32_e32 v3, 1.0, v25
	v_add_f32_e32 v3, v24, v3
	v_frexp_mant_f32_e32 v21, v23
	v_cvt_f64_f32_e32 v[24:25], v23
	v_frexp_exp_i32_f64_e32 v22, v[24:25]
	v_cmp_gt_f32_e32 vcc, s47, v21
	v_subbrev_co_u32_e32 v21, vcc, 0, v22, vcc
	v_sub_u32_e32 v22, 0, v21
	v_ldexp_f32 v23, v23, v22
	v_ldexp_f32 v3, v3, v22
	v_add_f32_e32 v22, -1.0, v23
	v_add_f32_e32 v25, 1.0, v23
	v_add_f32_e32 v24, 1.0, v22
	v_add_f32_e32 v26, -1.0, v25
	v_sub_f32_e32 v24, v23, v24
	v_sub_f32_e32 v23, v23, v26
	v_add_f32_e32 v24, v3, v24
	v_add_f32_e32 v3, v3, v23
	;; [unrolled: 1-line block ×3, first 2 shown]
	v_rcp_f32_e32 v48, v45
	v_sub_f32_e32 v23, v25, v45
	v_add_f32_e32 v3, v3, v23
	v_add_f32_e32 v23, v22, v24
	v_sub_f32_e32 v22, v22, v23
	v_mul_f32_e32 v50, v23, v48
	v_add_f32_e32 v49, v24, v22
	v_mul_f32_e32 v24, v45, v50
	v_fma_f32 v26, v50, v45, -v24
	v_fmac_f32_e32 v26, v50, v3
	v_add_f32_e32 v22, v24, v26
	v_sub_f32_e32 v25, v23, v22
	v_pk_add_f32 v[46:47], v[22:23], v[24:25] neg_lo:[0,1] neg_hi:[0,1]
	v_mov_b32_e32 v27, v22
	v_pk_add_f32 v[22:23], v[46:47], v[26:27] neg_lo:[0,1] neg_hi:[0,1]
	v_add_f32_e32 v23, v49, v23
	v_add_f32_e32 v22, v22, v23
	;; [unrolled: 1-line block ×3, first 2 shown]
	v_mul_f32_e32 v49, v48, v23
	v_mul_f32_e32 v24, v45, v49
	v_fma_f32 v26, v49, v45, -v24
	v_fmac_f32_e32 v26, v49, v3
	v_sub_f32_e32 v3, v25, v23
	v_add_f32_e32 v3, v22, v3
	v_add_f32_e32 v22, v24, v26
	v_sub_f32_e32 v25, v23, v22
	v_pk_add_f32 v[46:47], v[22:23], v[24:25] neg_lo:[0,1] neg_hi:[0,1]
	v_mov_b32_e32 v27, v22
	v_pk_add_f32 v[22:23], v[46:47], v[26:27] neg_lo:[0,1] neg_hi:[0,1]
	v_add_f32_e32 v3, v3, v23
	v_add_f32_e32 v3, v22, v3
	;; [unrolled: 1-line block ×4, first 2 shown]
	v_sub_f32_e32 v22, v23, v50
	v_mul_f32_e32 v3, v48, v3
	v_sub_f32_e32 v22, v49, v22
	v_add_f32_e32 v24, v22, v3
	v_add_f32_e32 v26, v23, v24
	v_cvt_f32_i32_e32 v22, v21
	v_mul_f32_e32 v27, v26, v26
	v_mov_b32_e32 v3, 0x3ecc95a3
	v_fmac_f32_e32 v3, 0x3e9b6dac, v27
	v_fma_f32 v3, v27, v3, v30
	v_sub_f32_e32 v21, v26, v23
	v_mul_f32_e32 v23, v26, v27
	v_ldexp_f32 v25, v26, 1
	v_pk_mul_f32 v[26:27], v[22:23], v[2:3]
	v_sub_f32_e32 v21, v24, v21
	v_fma_f32 v24, v22, s48, -v26
	v_fmac_f32_e32 v24, 0xb102e308, v22
	v_pk_add_f32 v[22:23], v[26:27], v[24:25]
	v_sub_f32_e32 v3, v23, v25
	v_ldexp_f32 v21, v21, 1
	v_sub_f32_e32 v3, v27, v3
	v_add_f32_e32 v47, v21, v3
	v_mov_b32_e32 v46, v26
	v_pk_add_f32 v[26:27], v[22:23], v[26:27] neg_lo:[0,1] neg_hi:[0,1]
	v_pk_add_f32 v[48:49], v[22:23], v[46:47]
	v_mov_b32_e32 v27, v49
	v_mov_b32_e32 v25, v22
	v_pk_add_f32 v[50:51], v[24:25], v[26:27] neg_lo:[0,1] neg_hi:[0,1]
	v_pk_add_f32 v[24:25], v[24:25], v[26:27]
	v_mov_b32_e32 v26, v25
	v_pk_add_f32 v[52:53], v[26:27], v[22:23] neg_lo:[0,1] neg_hi:[0,1]
	v_mov_b32_e32 v3, v52
	v_pk_add_f32 v[54:55], v[48:49], v[2:3] neg_lo:[0,1] neg_hi:[0,1]
	v_mov_b32_e32 v24, v49
	v_mov_b32_e32 v48, v23
	;; [unrolled: 1-line block ×4, first 2 shown]
	v_pk_add_f32 v[24:25], v[24:25], v[48:49] neg_lo:[0,1] neg_hi:[0,1]
	v_mov_b32_e32 v46, v47
	v_mov_b32_e32 v47, v22
	v_pk_add_f32 v[22:23], v[46:47], v[24:25] neg_lo:[0,1] neg_hi:[0,1]
	v_mov_b32_e32 v54, v50
	v_pk_add_f32 v[24:25], v[54:55], v[22:23]
	v_mov_b32_e32 v46, v25
	v_pk_add_f32 v[46:47], v[24:25], v[46:47]
	v_pk_add_f32 v[26:27], v[26:27], v[46:47]
	v_mov_b32_e32 v25, v26
	v_pk_add_f32 v[48:49], v[24:25], v[50:51] neg_lo:[0,1] neg_hi:[0,1]
	v_mov_b32_e32 v23, v46
	v_sub_f32_e32 v3, v24, v48
	v_pk_add_f32 v[22:23], v[22:23], v[48:49] neg_lo:[0,1] neg_hi:[0,1]
	v_sub_f32_e32 v3, v50, v3
	v_add_f32_e32 v3, v22, v3
	v_add_f32_e32 v3, v3, v23
	v_cmp_eq_f32_e32 vcc, s49, v20
	v_cmp_lt_f32_e64 s[10:11], |v20|, s50
	v_add_f32_e32 v3, v26, v3
	s_or_b64 vcc, vcc, s[10:11]
	v_cndmask_b32_e32 v3, v3, v20, vcc
	v_mul_f32_e32 v20, 0.5, v3
	v_max_f32_e64 v3, |v11|, |v11|
	v_max_f32_e64 v21, |v10|, |v10|
	v_min_f32_e32 v22, v21, v3
	v_max_f32_e32 v3, v21, v3
	v_frexp_mant_f32_e32 v21, v3
	v_rcp_f32_e32 v21, v21
	v_frexp_exp_i32_f32_e32 v3, v3
	v_frexp_exp_i32_f32_e32 v23, v22
	v_frexp_mant_f32_e32 v22, v22
	v_mul_f32_e32 v21, v22, v21
	v_sub_u32_e32 v3, v23, v3
	v_ldexp_f32 v3, v21, v3
	v_mul_f32_e32 v21, v3, v3
	v_mov_b32_e32 v22, 0xbc7a590c
	v_fmac_f32_e32 v22, 0x3b2d2a58, v21
	v_fma_f32 v22, v21, v22, v31
	v_fma_f32 v22, v21, v22, v32
	;; [unrolled: 1-line block ×6, first 2 shown]
	v_mul_f32_e32 v21, v21, v22
	v_fmac_f32_e32 v3, v3, v21
	v_sub_f32_e32 v21, 0x3fc90fdb, v3
	v_cndmask_b32_e64 v3, v3, v21, s[8:9]
	v_sub_f32_e32 v21, 0x40490fdb, v3
	v_cmp_gt_f32_e32 vcc, 0, v10
	v_cmp_gt_i32_e64 s[10:11], 0, v10
	v_cndmask_b32_e32 v3, v3, v21, vcc
	v_cndmask_b32_e64 v21, 0, v39, s[10:11]
	v_cmp_eq_f32_e64 s[10:11], 0, v11
	v_cndmask_b32_e64 v3, v3, v21, s[10:11]
	v_cmp_class_f32_e64 s[10:11], v10, s51
	v_cmp_class_f32_e64 s[28:29], v11, s51
	v_cndmask_b32_e32 v21, v40, v41, vcc
	s_and_b64 vcc, s[28:29], s[10:11]
	v_cndmask_b32_e32 v21, v3, v21, vcc
                                        ; implicit-def: $vgpr22
.LBB169_174:                            ;   in Loop: Header=BB169_145 Depth=1
	s_andn2_saveexec_b64 s[26:27], s[26:27]
	s_cbranch_execz .LBB169_176
; %bb.175:                              ;   in Loop: Header=BB169_145 Depth=1
	v_mul_f32_e32 v3, 0.5, v22
	v_mul_f32_e32 v20, v22, v3
	v_max_f32_e64 v3, |v11|, |v11|
	v_max_f32_e64 v21, |v10|, |v10|
	v_min_f32_e32 v22, v21, v3
	v_max_f32_e32 v3, v21, v3
	v_frexp_mant_f32_e32 v21, v3
	v_rcp_f32_e32 v21, v21
	v_frexp_exp_i32_f32_e32 v3, v3
	v_frexp_exp_i32_f32_e32 v23, v22
	v_frexp_mant_f32_e32 v22, v22
	v_mul_f32_e32 v21, v22, v21
	v_sub_u32_e32 v3, v23, v3
	v_ldexp_f32 v3, v21, v3
	v_mul_f32_e32 v21, v3, v3
	v_mov_b32_e32 v22, 0xbc7a590c
	v_fmac_f32_e32 v22, 0x3b2d2a58, v21
	v_fma_f32 v22, v21, v22, v31
	v_fma_f32 v22, v21, v22, v32
	;; [unrolled: 1-line block ×6, first 2 shown]
	v_mul_f32_e32 v21, v21, v22
	v_fmac_f32_e32 v3, v3, v21
	v_sub_f32_e32 v21, 0x3fc90fdb, v3
	v_cndmask_b32_e64 v3, v3, v21, s[8:9]
	v_sub_f32_e32 v21, 0x40490fdb, v3
	v_cmp_gt_f32_e32 vcc, 0, v10
	v_cmp_gt_i32_e64 s[10:11], 0, v10
	v_cndmask_b32_e32 v3, v3, v21, vcc
	v_cndmask_b32_e64 v21, 0, v39, s[10:11]
	v_cmp_eq_f32_e64 s[10:11], 0, v11
	v_cndmask_b32_e64 v3, v3, v21, s[10:11]
	v_cmp_class_f32_e64 s[10:11], v10, s51
	v_cmp_class_f32_e64 s[28:29], v11, s51
	v_cndmask_b32_e32 v21, v40, v41, vcc
	s_and_b64 vcc, s[28:29], s[10:11]
	v_cndmask_b32_e32 v21, v3, v21, vcc
.LBB169_176:                            ;   in Loop: Header=BB169_145 Depth=1
	s_or_b64 exec, exec, s[26:27]
.LBB169_177:                            ;   in Loop: Header=BB169_145 Depth=1
	s_or_b64 exec, exec, s[24:25]
.LBB169_178:                            ;   in Loop: Header=BB169_145 Depth=1
	s_andn2_saveexec_b64 s[22:23], s[22:23]
	s_cbranch_execz .LBB169_180
; %bb.179:                              ;   in Loop: Header=BB169_145 Depth=1
	v_div_scale_f32 v3, s[10:11], s56, s56, v10
	v_rcp_f32_e32 v20, v3
	v_div_scale_f32 v21, vcc, v10, s56, v10
	v_fma_f32 v22, -v3, v20, 1.0
	v_fmac_f32_e32 v20, v22, v20
	v_mul_f32_e32 v22, v21, v20
	v_fma_f32 v23, -v3, v22, v21
	v_fmac_f32_e32 v22, v23, v20
	v_fma_f32 v3, -v3, v22, v21
	v_div_scale_f32 v21, s[10:11], s56, s56, v11
	v_rcp_f32_e32 v23, v21
	v_div_fmas_f32 v3, v3, v20, v22
	v_div_fixup_f32 v3, v3, s56, v10
	v_fma_f32 v20, -v21, v23, 1.0
	v_fmac_f32_e32 v23, v20, v23
	v_div_scale_f32 v20, vcc, v11, s56, v11
	v_mul_f32_e32 v22, v20, v23
	v_fma_f32 v24, -v21, v22, v20
	v_fmac_f32_e32 v22, v24, v23
	v_fma_f32 v20, -v21, v22, v20
	v_div_fmas_f32 v20, v20, v23, v22
	v_div_fixup_f32 v22, v20, s56, v11
	v_max_f32_e64 v23, |v3|, |v22|
	v_cvt_f64_f32_e32 v[20:21], v23
	v_frexp_exp_i32_f64_e32 v20, v[20:21]
	v_sub_u32_e32 v21, 0, v20
	v_ldexp_f32 v3, |v3|, v21
	v_ldexp_f32 v21, |v22|, v21
	v_mul_f32_e32 v21, v21, v21
	v_fmac_f32_e32 v21, v3, v3
	v_sqrt_f32_e32 v3, v21
	v_cmp_neq_f32_e32 vcc, s49, v23
	v_ldexp_f32 v3, v3, v20
	v_cndmask_b32_e32 v3, v44, v3, vcc
	v_cmp_gt_f32_e32 vcc, s53, v3
	v_cndmask_b32_e32 v20, 1.0, v42, vcc
	v_mul_f32_e32 v3, v3, v20
	v_log_f32_e32 v3, v3
	v_mul_f32_e32 v20, 0x3f317217, v3
	v_fma_f32 v21, v3, s54, -v20
	v_fmac_f32_e32 v21, 0x3377d1cf, v3
	v_add_f32_e32 v20, v20, v21
	v_cmp_lt_f32_e64 s[10:11], |v3|, s49
	v_cndmask_b32_e64 v3, v3, v20, s[10:11]
	v_cndmask_b32_e32 v20, 0, v43, vcc
	v_sub_f32_e32 v3, v3, v20
	v_add_f32_e32 v20, 1.0, v3
	v_max_f32_e64 v3, |v11|, |v11|
	v_max_f32_e64 v21, |v10|, |v10|
	v_min_f32_e32 v22, v21, v3
	v_max_f32_e32 v3, v21, v3
	v_frexp_mant_f32_e32 v21, v3
	v_rcp_f32_e32 v21, v21
	v_frexp_exp_i32_f32_e32 v3, v3
	v_frexp_exp_i32_f32_e32 v23, v22
	v_frexp_mant_f32_e32 v22, v22
	v_mul_f32_e32 v21, v22, v21
	v_sub_u32_e32 v3, v23, v3
	v_ldexp_f32 v3, v21, v3
	v_mul_f32_e32 v21, v3, v3
	v_mov_b32_e32 v22, 0xbc7a590c
	v_fmac_f32_e32 v22, 0x3b2d2a58, v21
	v_fma_f32 v22, v21, v22, v31
	v_fma_f32 v22, v21, v22, v32
	;; [unrolled: 1-line block ×6, first 2 shown]
	v_mul_f32_e32 v21, v21, v22
	v_fmac_f32_e32 v3, v3, v21
	v_sub_f32_e32 v21, 0x3fc90fdb, v3
	v_cndmask_b32_e64 v3, v3, v21, s[8:9]
	v_sub_f32_e32 v21, 0x40490fdb, v3
	v_cmp_gt_f32_e32 vcc, 0, v10
	v_cmp_gt_i32_e64 s[8:9], 0, v10
	v_cndmask_b32_e32 v3, v3, v21, vcc
	v_cndmask_b32_e64 v21, 0, v39, s[8:9]
	v_cmp_eq_f32_e64 s[8:9], 0, v11
	v_cndmask_b32_e64 v3, v3, v21, s[8:9]
	v_cmp_class_f32_e64 s[8:9], v10, s51
	v_cmp_class_f32_e64 s[10:11], v11, s51
	v_cndmask_b32_e32 v21, v40, v41, vcc
	s_and_b64 vcc, s[10:11], s[8:9]
	v_cndmask_b32_e32 v21, v3, v21, vcc
.LBB169_180:                            ;   in Loop: Header=BB169_145 Depth=1
	s_or_b64 exec, exec, s[22:23]
.LBB169_181:                            ;   in Loop: Header=BB169_145 Depth=1
	s_andn2_saveexec_b64 s[8:9], s[20:21]
	s_cbranch_execz .LBB169_187
; %bb.182:                              ;   in Loop: Header=BB169_145 Depth=1
	v_cmp_nlt_f32_e64 s[10:11], |v10|, s57
	v_cmp_nlt_f32_e64 s[20:21], |v11|, s57
	s_or_b64 s[10:11], s[20:21], s[10:11]
                                        ; implicit-def: $vgpr3
	s_and_saveexec_b64 s[20:21], s[10:11]
	s_xor_b64 s[10:11], exec, s[20:21]
; %bb.183:                              ;   in Loop: Header=BB169_145 Depth=1
	v_pk_mul_f32 v[20:21], v[10:11], v[10:11]
	v_add_f32_e32 v3, v21, v20
; %bb.184:                              ;   in Loop: Header=BB169_145 Depth=1
	s_andn2_saveexec_b64 s[10:11], s[10:11]
; %bb.185:                              ;   in Loop: Header=BB169_145 Depth=1
	v_pk_mul_f32 v[20:21], v[10:11], 4.0 op_sel_hi:[1,0]
	v_pk_mul_f32 v[20:21], v[20:21], v[20:21]
	v_add_f32_e32 v3, v21, v20
	v_mul_f32_e32 v3, 0x3d800000, v3
; %bb.186:                              ;   in Loop: Header=BB169_145 Depth=1
	s_or_b64 exec, exec, s[10:11]
	v_cmp_gt_f32_e32 vcc, s53, v3
	v_cndmask_b32_e32 v10, 1.0, v42, vcc
	v_mul_f32_e32 v3, v3, v10
	v_log_f32_e32 v3, v3
	v_cndmask_b32_e32 v10, 0, v43, vcc
	v_mul_f32_e32 v20, 0x3f317217, v3
	v_fma_f32 v21, v3, s54, -v20
	v_fmac_f32_e32 v21, 0x3377d1cf, v3
	v_add_f32_e32 v20, v20, v21
	v_cmp_lt_f32_e64 vcc, |v3|, s49
	v_cndmask_b32_e32 v3, v3, v20, vcc
	v_sub_f32_e32 v20, v3, v10
	v_mov_b32_e32 v21, 0x7fc00000
.LBB169_187:                            ;   in Loop: Header=BB169_145 Depth=1
	s_or_b64 exec, exec, s[8:9]
	v_cmp_o_f32_e32 vcc, v15, v14
                                        ; implicit-def: $vgpr10
                                        ; implicit-def: $vgpr45
	s_and_saveexec_b64 s[8:9], vcc
	s_xor_b64 s[20:21], exec, s[8:9]
	s_cbranch_execz .LBB169_215
; %bb.188:                              ;   in Loop: Header=BB169_145 Depth=1
	v_cmp_lt_f32_e64 s[8:9], |v14|, |v15|
	v_cndmask_b32_e64 v3, v15, v14, s[8:9]
	v_cmp_ngt_f32_e64 s[10:11], |v3|, s44
                                        ; implicit-def: $vgpr10
                                        ; implicit-def: $vgpr45
	s_and_saveexec_b64 s[22:23], s[10:11]
	s_xor_b64 s[22:23], exec, s[22:23]
	s_cbranch_execz .LBB169_212
; %bb.189:                              ;   in Loop: Header=BB169_145 Depth=1
	v_cndmask_b32_e64 v10, v14, v15, s[8:9]
	v_and_b32_e32 v23, 0x7fffffff, v10
	v_and_b32_e32 v22, 0x7fffffff, v3
	v_cmp_neq_f32_e32 vcc, 1.0, v23
                                        ; implicit-def: $vgpr10
                                        ; implicit-def: $vgpr45
	s_and_saveexec_b64 s[10:11], vcc
	s_xor_b64 s[24:25], exec, s[10:11]
	s_cbranch_execz .LBB169_205
; %bb.190:                              ;   in Loop: Header=BB169_145 Depth=1
	v_max_f32_e32 v3, v22, v22
	v_max_f32_e32 v10, v23, v23
	v_min_f32_e32 v24, v10, v3
	v_max_f32_e32 v3, v10, v3
	v_cmp_ngt_f32_e32 vcc, s45, v24
	v_cmp_nlt_f32_e64 s[10:11], s46, v3
	s_and_b64 s[10:11], s[10:11], vcc
                                        ; implicit-def: $vgpr10
                                        ; implicit-def: $vgpr45
	s_and_saveexec_b64 s[26:27], s[10:11]
	s_xor_b64 s[26:27], exec, s[26:27]
	s_cbranch_execz .LBB169_202
; %bb.191:                              ;   in Loop: Header=BB169_145 Depth=1
	v_cmp_le_f32_e32 vcc, 1.0, v23
                                        ; implicit-def: $vgpr10
                                        ; implicit-def: $vgpr45
	s_and_saveexec_b64 s[10:11], vcc
	s_xor_b64 s[28:29], exec, s[10:11]
	s_cbranch_execz .LBB169_193
; %bb.192:                              ;   in Loop: Header=BB169_145 Depth=1
	v_pk_add_f32 v[24:25], v[22:23], s[18:19] op_sel:[1,0]
	v_mov_b32_e32 v10, v25
	v_pk_mul_f32 v[24:25], v[24:25], v[10:11]
	v_pk_fma_f32 v[22:23], v[22:23], v[22:23], v[24:25]
	v_add_f32_e32 v25, 1.0, v22
	v_add_f32_e32 v23, -1.0, v25
	v_mov_b32_e32 v24, v23
	v_pk_add_f32 v[26:27], v[22:23], v[24:25] neg_lo:[0,1] neg_hi:[0,1]
	v_add_f32_e32 v3, 1.0, v27
	v_add_f32_e32 v3, v26, v3
	v_frexp_mant_f32_e32 v10, v25
	v_cvt_f64_f32_e32 v[26:27], v25
	v_frexp_exp_i32_f64_e32 v23, v[26:27]
	v_cmp_gt_f32_e32 vcc, s47, v10
	v_subbrev_co_u32_e32 v10, vcc, 0, v23, vcc
	v_sub_u32_e32 v23, 0, v10
	v_ldexp_f32 v24, v25, v23
	v_ldexp_f32 v3, v3, v23
	v_add_f32_e32 v23, -1.0, v24
	v_add_f32_e32 v25, 1.0, v23
	v_sub_f32_e32 v25, v24, v25
	v_add_f32_e32 v26, v3, v25
	v_add_f32_e32 v25, 1.0, v24
	v_add_f32_e32 v27, -1.0, v25
	v_sub_f32_e32 v24, v24, v27
	v_add_f32_e32 v3, v3, v24
	v_add_f32_e32 v45, v25, v3
	v_rcp_f32_e32 v50, v45
	v_sub_f32_e32 v24, v45, v25
	v_add_f32_e32 v25, v23, v26
	v_sub_f32_e32 v23, v25, v23
	v_mul_f32_e32 v51, v25, v50
	v_sub_f32_e32 v23, v26, v23
	v_mul_f32_e32 v26, v45, v51
	v_sub_f32_e32 v3, v3, v24
	v_fma_f32 v46, v51, v45, -v26
	v_fmac_f32_e32 v46, v51, v3
	v_add_f32_e32 v24, v26, v46
	v_sub_f32_e32 v27, v25, v24
	v_pk_add_f32 v[48:49], v[24:25], v[26:27] neg_lo:[0,1] neg_hi:[0,1]
	v_mov_b32_e32 v47, v24
	v_pk_add_f32 v[24:25], v[48:49], v[46:47] neg_lo:[0,1] neg_hi:[0,1]
	v_add_f32_e32 v23, v23, v25
	v_add_f32_e32 v23, v24, v23
	;; [unrolled: 1-line block ×3, first 2 shown]
	v_mul_f32_e32 v52, v50, v25
	v_mul_f32_e32 v26, v45, v52
	v_fma_f32 v46, v52, v45, -v26
	v_fmac_f32_e32 v46, v52, v3
	v_add_f32_e32 v24, v26, v46
	v_sub_f32_e32 v3, v27, v25
	v_sub_f32_e32 v27, v25, v24
	v_pk_add_f32 v[48:49], v[24:25], v[26:27] neg_lo:[0,1] neg_hi:[0,1]
	v_mov_b32_e32 v47, v24
	v_add_f32_e32 v3, v23, v3
	v_pk_add_f32 v[24:25], v[48:49], v[46:47] neg_lo:[0,1] neg_hi:[0,1]
	v_add_f32_e32 v3, v3, v25
	v_add_f32_e32 v3, v24, v3
	;; [unrolled: 1-line block ×4, first 2 shown]
	v_sub_f32_e32 v24, v23, v51
	v_mul_f32_e32 v3, v50, v3
	v_sub_f32_e32 v24, v52, v24
	v_add_f32_e32 v25, v24, v3
	v_add_f32_e32 v26, v23, v25
	v_cvt_f32_i32_e32 v24, v10
	v_mul_f32_e32 v45, v26, v26
	v_mov_b32_e32 v3, 0x3ecc95a3
	v_fmac_f32_e32 v3, 0x3e9b6dac, v45
	v_sub_f32_e32 v10, v26, v23
	v_fma_f32 v3, v45, v3, v30
	v_sub_f32_e32 v10, v25, v10
	v_mul_f32_e32 v25, v26, v45
	v_pk_mul_f32 v[46:47], v[24:25], v[2:3]
	v_ldexp_f32 v27, v26, 1
	v_fma_f32 v26, v24, s48, -v46
	v_fmac_f32_e32 v26, 0xb102e308, v24
	v_pk_add_f32 v[24:25], v[46:47], v[26:27]
	v_sub_f32_e32 v3, v25, v27
	v_ldexp_f32 v10, v10, 1
	v_sub_f32_e32 v3, v47, v3
	v_add_f32_e32 v49, v10, v3
	v_mov_b32_e32 v48, v46
	v_pk_add_f32 v[46:47], v[24:25], v[46:47] neg_lo:[0,1] neg_hi:[0,1]
	v_pk_add_f32 v[50:51], v[24:25], v[48:49]
	v_mov_b32_e32 v47, v51
	v_mov_b32_e32 v27, v24
	v_pk_add_f32 v[52:53], v[26:27], v[46:47] neg_lo:[0,1] neg_hi:[0,1]
	v_pk_add_f32 v[26:27], v[26:27], v[46:47]
	v_mov_b32_e32 v10, v27
	v_pk_add_f32 v[46:47], v[10:11], v[24:25] neg_lo:[0,1] neg_hi:[0,1]
	v_mov_b32_e32 v3, v46
	v_pk_add_f32 v[54:55], v[50:51], v[2:3] neg_lo:[0,1] neg_hi:[0,1]
	v_mov_b32_e32 v26, v51
	v_mov_b32_e32 v50, v25
	;; [unrolled: 1-line block ×4, first 2 shown]
	v_pk_add_f32 v[26:27], v[26:27], v[50:51] neg_lo:[0,1] neg_hi:[0,1]
	v_mov_b32_e32 v46, v49
	v_mov_b32_e32 v47, v24
	v_pk_add_f32 v[24:25], v[46:47], v[26:27] neg_lo:[0,1] neg_hi:[0,1]
	v_mov_b32_e32 v54, v52
	v_pk_add_f32 v[26:27], v[54:55], v[24:25]
	v_mov_b32_e32 v46, v27
	v_pk_add_f32 v[46:47], v[26:27], v[46:47]
	v_pk_add_f32 v[48:49], v[10:11], v[46:47]
	v_mov_b32_e32 v27, v48
	v_pk_add_f32 v[50:51], v[26:27], v[52:53] neg_lo:[0,1] neg_hi:[0,1]
	v_mov_b32_e32 v25, v46
	v_sub_f32_e32 v3, v26, v50
	v_pk_add_f32 v[24:25], v[24:25], v[50:51] neg_lo:[0,1] neg_hi:[0,1]
	v_sub_f32_e32 v3, v52, v3
	v_add_f32_e32 v3, v24, v3
	v_add_f32_e32 v3, v3, v25
	;; [unrolled: 1-line block ×3, first 2 shown]
	v_cmp_eq_f32_e32 vcc, s49, v22
	v_cndmask_b32_e32 v3, v3, v22, vcc
	v_cmp_ngt_f32_e32 vcc, -1.0, v22
	v_cndmask_b32_e32 v3, v37, v3, vcc
	v_cmp_neq_f32_e32 vcc, -1.0, v22
	v_cndmask_b32_e32 v3, v38, v3, vcc
	v_cmp_lt_f32_e64 vcc, |v22|, s50
	v_cndmask_b32_e32 v3, v3, v22, vcc
	v_mul_f32_e32 v10, 0.5, v3
	v_max_f32_e64 v3, |v15|, |v15|
	v_max_f32_e64 v22, |v14|, |v14|
	v_min_f32_e32 v23, v22, v3
	v_max_f32_e32 v3, v22, v3
	v_frexp_mant_f32_e32 v22, v3
	v_rcp_f32_e32 v22, v22
	v_frexp_exp_i32_f32_e32 v3, v3
	v_frexp_exp_i32_f32_e32 v24, v23
	v_frexp_mant_f32_e32 v23, v23
	v_mul_f32_e32 v22, v23, v22
	v_sub_u32_e32 v3, v24, v3
	v_ldexp_f32 v3, v22, v3
	v_mul_f32_e32 v22, v3, v3
	v_mov_b32_e32 v23, 0xbc7a590c
	v_fmac_f32_e32 v23, 0x3b2d2a58, v22
	v_fma_f32 v23, v22, v23, v31
	v_fma_f32 v23, v22, v23, v32
	v_fma_f32 v23, v22, v23, v33
	v_fma_f32 v23, v22, v23, v34
	v_fma_f32 v23, v22, v23, v35
	v_fma_f32 v23, v22, v23, v36
	v_mul_f32_e32 v22, v22, v23
	v_fmac_f32_e32 v3, v3, v22
	v_sub_f32_e32 v22, 0x3fc90fdb, v3
	v_cndmask_b32_e64 v3, v3, v22, s[8:9]
	v_sub_f32_e32 v22, 0x40490fdb, v3
	v_cmp_gt_f32_e32 vcc, 0, v14
	v_cmp_gt_i32_e64 s[10:11], 0, v14
	v_cndmask_b32_e32 v3, v3, v22, vcc
	v_cndmask_b32_e64 v22, 0, v39, s[10:11]
	v_cmp_eq_f32_e64 s[10:11], 0, v15
	v_cndmask_b32_e64 v3, v3, v22, s[10:11]
	v_cmp_class_f32_e64 s[10:11], v14, s51
	v_cmp_class_f32_e64 s[30:31], v15, s51
	v_cndmask_b32_e32 v22, v40, v41, vcc
	s_and_b64 vcc, s[30:31], s[10:11]
	v_cndmask_b32_e32 v45, v3, v22, vcc
                                        ; implicit-def: $vgpr22_vgpr23
.LBB169_193:                            ;   in Loop: Header=BB169_145 Depth=1
	s_andn2_saveexec_b64 s[28:29], s[28:29]
	s_cbranch_execz .LBB169_201
; %bb.194:                              ;   in Loop: Header=BB169_145 Depth=1
	v_pk_mul_f32 v[24:25], v[22:23], v[22:23]
	v_add_f32_e32 v3, v25, v24
	v_cmp_ge_f32_e32 vcc, s52, v3
                                        ; implicit-def: $vgpr10
                                        ; implicit-def: $vgpr45
	s_and_saveexec_b64 s[10:11], vcc
	s_xor_b64 s[30:31], exec, s[10:11]
	s_cbranch_execz .LBB169_196
; %bb.195:                              ;   in Loop: Header=BB169_145 Depth=1
	v_cmp_gt_f32_e32 vcc, s53, v3
	v_cndmask_b32_e32 v10, 1.0, v42, vcc
	v_mul_f32_e32 v3, v3, v10
	v_log_f32_e32 v3, v3
	v_cndmask_b32_e32 v10, 0, v43, vcc
	v_cmp_gt_i32_e64 s[10:11], 0, v14
	v_cmp_class_f32_e64 s[34:35], v15, s51
	v_mul_f32_e32 v22, 0x3f317217, v3
	v_fma_f32 v23, v3, s54, -v22
	v_fmac_f32_e32 v23, 0x3377d1cf, v3
	v_add_f32_e32 v22, v22, v23
	v_cmp_lt_f32_e64 vcc, |v3|, s49
	v_cndmask_b32_e32 v3, v3, v22, vcc
	v_sub_f32_e32 v3, v3, v10
	v_mul_f32_e32 v10, 0.5, v3
	v_max_f32_e64 v3, |v15|, |v15|
	v_max_f32_e64 v22, |v14|, |v14|
	v_min_f32_e32 v23, v22, v3
	v_max_f32_e32 v3, v22, v3
	v_frexp_mant_f32_e32 v22, v3
	v_rcp_f32_e32 v22, v22
	v_frexp_exp_i32_f32_e32 v3, v3
	v_frexp_exp_i32_f32_e32 v24, v23
	v_frexp_mant_f32_e32 v23, v23
	v_mul_f32_e32 v22, v23, v22
	v_sub_u32_e32 v3, v24, v3
	v_ldexp_f32 v3, v22, v3
	v_mul_f32_e32 v22, v3, v3
	v_mov_b32_e32 v23, 0xbc7a590c
	v_fmac_f32_e32 v23, 0x3b2d2a58, v22
	v_fma_f32 v23, v22, v23, v31
	v_fma_f32 v23, v22, v23, v32
	;; [unrolled: 1-line block ×6, first 2 shown]
	v_mul_f32_e32 v22, v22, v23
	v_fmac_f32_e32 v3, v3, v22
	v_sub_f32_e32 v22, 0x3fc90fdb, v3
	v_cndmask_b32_e64 v3, v3, v22, s[8:9]
	v_sub_f32_e32 v22, 0x40490fdb, v3
	v_cmp_gt_f32_e32 vcc, 0, v14
	v_cndmask_b32_e32 v3, v3, v22, vcc
	v_cndmask_b32_e64 v22, 0, v39, s[10:11]
	v_cmp_eq_f32_e64 s[10:11], 0, v15
	v_cndmask_b32_e64 v3, v3, v22, s[10:11]
	v_cmp_class_f32_e64 s[10:11], v14, s51
	v_cndmask_b32_e32 v22, v40, v41, vcc
	s_and_b64 vcc, s[34:35], s[10:11]
	v_cndmask_b32_e32 v45, v3, v22, vcc
                                        ; implicit-def: $vgpr22_vgpr23
.LBB169_196:                            ;   in Loop: Header=BB169_145 Depth=1
	s_andn2_saveexec_b64 s[30:31], s[30:31]
	s_cbranch_execz .LBB169_200
; %bb.197:                              ;   in Loop: Header=BB169_145 Depth=1
	v_and_b32_e32 v25, 0x7fff0000, v22
	v_and_b32_e32 v24, 0x7fff0000, v23
	v_pk_add_f32 v[22:23], v[22:23], v[24:25] op_sel:[1,0] op_sel_hi:[0,1] neg_lo:[0,1] neg_hi:[0,1]
	v_and_b32_e32 v27, 0xffff0000, v23
	v_and_b32_e32 v26, 0xffff0000, v22
	v_add_f32_e32 v45, v24, v24
	v_pk_add_f32 v[50:51], v[22:23], v[26:27] neg_lo:[0,1] neg_hi:[0,1]
	v_pk_mul_f32 v[22:23], v[24:25], v[24:25]
	v_mul_f32_e32 v10, v45, v26
	v_add_f32_e32 v47, v25, v25
	v_pk_mul_f32 v[24:25], v[26:27], v[26:27]
	v_add_f32_e32 v26, v26, v26
	v_mul_f32_e32 v3, v47, v27
	v_mul_f32_e32 v46, v45, v50
	;; [unrolled: 1-line block ×4, first 2 shown]
	v_add_f32_e32 v26, v27, v27
	v_mul_f32_e32 v48, v26, v51
	v_pk_mul_f32 v[26:27], v[50:51], v[50:51]
	s_mov_b64 s[34:35], 0
.LBB169_198:                            ;   Parent Loop BB169_145 Depth=1
                                        ; =>  This Inner Loop Header: Depth=2
	v_cmp_nlt_f32_e32 vcc, v22, v23
	v_cndmask_b32_e32 v49, v22, v23, vcc
	v_cmp_nlt_f32_e64 s[10:11], v49, v10
	v_cndmask_b32_e64 v50, v49, v10, s[10:11]
	v_cndmask_b32_e32 v22, v23, v22, vcc
	s_and_b64 s[58:59], vcc, s[10:11]
	v_cmp_nlt_f32_e32 vcc, v50, v3
	v_cndmask_b32_e64 v23, v10, v49, s[10:11]
	v_cndmask_b32_e32 v49, v50, v3, vcc
	v_cmp_nlt_f32_e64 s[10:11], v49, v24
	v_cndmask_b32_e32 v10, v3, v50, vcc
	v_cndmask_b32_e64 v50, v49, v24, s[10:11]
	s_and_b64 s[60:61], vcc, s[10:11]
	v_cmp_nlt_f32_e32 vcc, v50, v25
	v_cndmask_b32_e64 v3, v24, v49, s[10:11]
	v_cndmask_b32_e32 v49, v50, v25, vcc
	v_cmp_nlt_f32_e64 s[10:11], v49, v46
	v_cndmask_b32_e32 v24, v25, v50, vcc
	v_cndmask_b32_e64 v50, v49, v46, s[10:11]
	v_cndmask_b32_e64 v25, v46, v49, s[10:11]
	s_and_b64 s[10:11], vcc, s[10:11]
	v_cmp_nlt_f32_e32 vcc, v50, v45
	v_cndmask_b32_e32 v49, v50, v45, vcc
	v_cndmask_b32_e32 v46, v45, v50, vcc
	s_and_b64 s[10:11], s[10:11], vcc
	v_cmp_nlt_f32_e32 vcc, v49, v47
	v_cndmask_b32_e32 v50, v49, v47, vcc
	v_cndmask_b32_e32 v45, v47, v49, vcc
	s_and_b64 s[10:11], s[10:11], vcc
	;; [unrolled: 4-line block ×4, first 2 shown]
	v_cmp_nlt_f32_e32 vcc, v50, v27
	s_and_b64 s[10:11], s[10:11], vcc
	s_and_b64 s[10:11], s[10:11], s[60:61]
	s_and_b64 s[10:11], s[10:11], s[58:59]
	s_and_b64 s[10:11], exec, s[10:11]
	v_cndmask_b32_e32 v26, v27, v50, vcc
	s_or_b64 s[34:35], s[10:11], s[34:35]
	v_cndmask_b32_e32 v27, v50, v27, vcc
	s_andn2_b64 exec, exec, s[34:35]
	s_cbranch_execnz .LBB169_198
; %bb.199:                              ;   in Loop: Header=BB169_145 Depth=1
	s_or_b64 exec, exec, s[34:35]
	v_add_f32_e32 v22, -1.0, v22
	v_add_f32_e32 v22, v22, v23
	v_add_f32_e32 v10, v22, v10
	v_add_f32_e32 v3, v10, v3
	v_add_f32_e32 v3, v3, v24
	v_add_f32_e32 v3, v3, v25
	v_add_f32_e32 v3, v3, v46
	v_add_f32_e32 v3, v3, v45
	v_add_f32_e32 v3, v3, v47
	v_add_f32_e32 v3, v3, v48
	v_add_f32_e32 v3, v3, v26
	v_add_f32_e32 v22, v27, v3
	v_add_f32_e32 v25, 1.0, v22
	v_add_f32_e32 v23, -1.0, v25
	v_mov_b32_e32 v24, v23
	v_pk_add_f32 v[26:27], v[22:23], v[24:25] neg_lo:[0,1] neg_hi:[0,1]
	v_add_f32_e32 v3, 1.0, v27
	v_add_f32_e32 v3, v26, v3
	v_frexp_mant_f32_e32 v10, v25
	v_cvt_f64_f32_e32 v[26:27], v25
	v_frexp_exp_i32_f64_e32 v23, v[26:27]
	v_cmp_gt_f32_e32 vcc, s47, v10
	v_subbrev_co_u32_e32 v10, vcc, 0, v23, vcc
	v_sub_u32_e32 v23, 0, v10
	v_ldexp_f32 v24, v25, v23
	v_ldexp_f32 v3, v3, v23
	v_add_f32_e32 v23, -1.0, v24
	v_add_f32_e32 v25, 1.0, v23
	v_sub_f32_e32 v25, v24, v25
	v_add_f32_e32 v26, v3, v25
	v_add_f32_e32 v25, 1.0, v24
	v_add_f32_e32 v27, -1.0, v25
	v_sub_f32_e32 v24, v24, v27
	v_add_f32_e32 v3, v3, v24
	v_add_f32_e32 v45, v25, v3
	v_rcp_f32_e32 v50, v45
	v_sub_f32_e32 v24, v45, v25
	v_add_f32_e32 v25, v23, v26
	v_sub_f32_e32 v23, v25, v23
	v_mul_f32_e32 v51, v25, v50
	v_sub_f32_e32 v23, v26, v23
	v_mul_f32_e32 v26, v45, v51
	v_sub_f32_e32 v3, v3, v24
	v_fma_f32 v46, v51, v45, -v26
	v_fmac_f32_e32 v46, v51, v3
	v_add_f32_e32 v24, v26, v46
	v_sub_f32_e32 v27, v25, v24
	v_pk_add_f32 v[48:49], v[24:25], v[26:27] neg_lo:[0,1] neg_hi:[0,1]
	v_mov_b32_e32 v47, v24
	v_pk_add_f32 v[24:25], v[48:49], v[46:47] neg_lo:[0,1] neg_hi:[0,1]
	v_add_f32_e32 v23, v23, v25
	v_add_f32_e32 v23, v24, v23
	;; [unrolled: 1-line block ×3, first 2 shown]
	v_mul_f32_e32 v52, v50, v25
	v_mul_f32_e32 v26, v45, v52
	v_fma_f32 v46, v52, v45, -v26
	v_fmac_f32_e32 v46, v52, v3
	v_add_f32_e32 v24, v26, v46
	v_sub_f32_e32 v3, v27, v25
	v_sub_f32_e32 v27, v25, v24
	v_pk_add_f32 v[48:49], v[24:25], v[26:27] neg_lo:[0,1] neg_hi:[0,1]
	v_mov_b32_e32 v47, v24
	v_add_f32_e32 v3, v23, v3
	v_pk_add_f32 v[24:25], v[48:49], v[46:47] neg_lo:[0,1] neg_hi:[0,1]
	v_add_f32_e32 v3, v3, v25
	v_add_f32_e32 v3, v24, v3
	;; [unrolled: 1-line block ×4, first 2 shown]
	v_sub_f32_e32 v24, v23, v51
	v_mul_f32_e32 v3, v50, v3
	v_sub_f32_e32 v24, v52, v24
	v_add_f32_e32 v25, v24, v3
	v_add_f32_e32 v26, v23, v25
	v_cvt_f32_i32_e32 v24, v10
	v_mul_f32_e32 v45, v26, v26
	v_mov_b32_e32 v3, 0x3ecc95a3
	v_fmac_f32_e32 v3, 0x3e9b6dac, v45
	v_sub_f32_e32 v10, v26, v23
	v_fma_f32 v3, v45, v3, v30
	v_sub_f32_e32 v10, v25, v10
	v_mul_f32_e32 v25, v26, v45
	v_pk_mul_f32 v[46:47], v[24:25], v[2:3]
	v_ldexp_f32 v27, v26, 1
	v_fma_f32 v26, v24, s48, -v46
	v_fmac_f32_e32 v26, 0xb102e308, v24
	v_pk_add_f32 v[24:25], v[46:47], v[26:27]
	v_sub_f32_e32 v3, v25, v27
	v_ldexp_f32 v10, v10, 1
	v_sub_f32_e32 v3, v47, v3
	v_add_f32_e32 v49, v10, v3
	v_mov_b32_e32 v48, v46
	v_pk_add_f32 v[46:47], v[24:25], v[46:47] neg_lo:[0,1] neg_hi:[0,1]
	v_pk_add_f32 v[50:51], v[24:25], v[48:49]
	v_mov_b32_e32 v47, v51
	v_mov_b32_e32 v27, v24
	v_pk_add_f32 v[52:53], v[26:27], v[46:47] neg_lo:[0,1] neg_hi:[0,1]
	v_pk_add_f32 v[26:27], v[26:27], v[46:47]
	v_mov_b32_e32 v10, v27
	v_pk_add_f32 v[46:47], v[10:11], v[24:25] neg_lo:[0,1] neg_hi:[0,1]
	v_mov_b32_e32 v3, v46
	v_pk_add_f32 v[54:55], v[50:51], v[2:3] neg_lo:[0,1] neg_hi:[0,1]
	v_mov_b32_e32 v26, v51
	v_mov_b32_e32 v50, v25
	;; [unrolled: 1-line block ×4, first 2 shown]
	v_pk_add_f32 v[26:27], v[26:27], v[50:51] neg_lo:[0,1] neg_hi:[0,1]
	v_mov_b32_e32 v46, v49
	v_mov_b32_e32 v47, v24
	v_pk_add_f32 v[24:25], v[46:47], v[26:27] neg_lo:[0,1] neg_hi:[0,1]
	v_mov_b32_e32 v54, v52
	v_pk_add_f32 v[26:27], v[54:55], v[24:25]
	v_mov_b32_e32 v46, v27
	v_pk_add_f32 v[46:47], v[26:27], v[46:47]
	v_pk_add_f32 v[48:49], v[10:11], v[46:47]
	v_mov_b32_e32 v27, v48
	v_pk_add_f32 v[50:51], v[26:27], v[52:53] neg_lo:[0,1] neg_hi:[0,1]
	v_mov_b32_e32 v25, v46
	v_sub_f32_e32 v3, v26, v50
	v_pk_add_f32 v[24:25], v[24:25], v[50:51] neg_lo:[0,1] neg_hi:[0,1]
	v_sub_f32_e32 v3, v52, v3
	v_add_f32_e32 v3, v24, v3
	v_add_f32_e32 v3, v3, v25
	;; [unrolled: 1-line block ×3, first 2 shown]
	v_cmp_eq_f32_e32 vcc, s49, v22
	v_cndmask_b32_e32 v3, v3, v22, vcc
	v_cmp_ngt_f32_e32 vcc, -1.0, v22
	v_cndmask_b32_e32 v3, v37, v3, vcc
	v_cmp_neq_f32_e32 vcc, -1.0, v22
	v_cndmask_b32_e32 v3, v38, v3, vcc
	v_cmp_lt_f32_e64 vcc, |v22|, s50
	v_cndmask_b32_e32 v3, v3, v22, vcc
	v_mul_f32_e32 v10, 0.5, v3
	v_max_f32_e64 v3, |v15|, |v15|
	v_max_f32_e64 v22, |v14|, |v14|
	v_min_f32_e32 v23, v22, v3
	v_max_f32_e32 v3, v22, v3
	v_frexp_mant_f32_e32 v22, v3
	v_rcp_f32_e32 v22, v22
	v_frexp_exp_i32_f32_e32 v3, v3
	v_frexp_exp_i32_f32_e32 v24, v23
	v_frexp_mant_f32_e32 v23, v23
	v_mul_f32_e32 v22, v23, v22
	v_sub_u32_e32 v3, v24, v3
	v_ldexp_f32 v3, v22, v3
	v_mul_f32_e32 v22, v3, v3
	v_mov_b32_e32 v23, 0xbc7a590c
	v_fmac_f32_e32 v23, 0x3b2d2a58, v22
	v_fma_f32 v23, v22, v23, v31
	v_fma_f32 v23, v22, v23, v32
	v_fma_f32 v23, v22, v23, v33
	v_fma_f32 v23, v22, v23, v34
	v_fma_f32 v23, v22, v23, v35
	v_fma_f32 v23, v22, v23, v36
	v_mul_f32_e32 v22, v22, v23
	v_fmac_f32_e32 v3, v3, v22
	v_sub_f32_e32 v22, 0x3fc90fdb, v3
	v_cndmask_b32_e64 v3, v3, v22, s[8:9]
	v_sub_f32_e32 v22, 0x40490fdb, v3
	v_cmp_gt_f32_e32 vcc, 0, v14
	v_cmp_gt_i32_e64 s[10:11], 0, v14
	v_cndmask_b32_e32 v3, v3, v22, vcc
	v_cndmask_b32_e64 v22, 0, v39, s[10:11]
	v_cmp_eq_f32_e64 s[10:11], 0, v15
	v_cndmask_b32_e64 v3, v3, v22, s[10:11]
	v_cmp_class_f32_e64 s[10:11], v14, s51
	v_cmp_class_f32_e64 s[34:35], v15, s51
	v_cndmask_b32_e32 v22, v40, v41, vcc
	s_and_b64 vcc, s[34:35], s[10:11]
	v_cndmask_b32_e32 v45, v3, v22, vcc
.LBB169_200:                            ;   in Loop: Header=BB169_145 Depth=1
	s_or_b64 exec, exec, s[30:31]
.LBB169_201:                            ;   in Loop: Header=BB169_145 Depth=1
	s_or_b64 exec, exec, s[28:29]
.LBB169_202:                            ;   in Loop: Header=BB169_145 Depth=1
	s_andn2_saveexec_b64 s[26:27], s[26:27]
	s_cbranch_execz .LBB169_204
; %bb.203:                              ;   in Loop: Header=BB169_145 Depth=1
	v_max_f32_e64 v3, |v15|, |v15|
	v_max_f32_e64 v24, |v14|, |v14|
	v_max_f32_e32 v25, v24, v3
	v_cvt_f64_f32_e32 v[22:23], v25
	v_frexp_exp_i32_f64_e32 v10, v[22:23]
	v_sub_u32_e32 v22, 0, v10
	v_ldexp_f32 v23, |v14|, v22
	v_ldexp_f32 v22, |v15|, v22
	v_mul_f32_e32 v22, v22, v22
	v_fmac_f32_e32 v22, v23, v23
	v_sqrt_f32_e32 v22, v22
	v_cmp_neq_f32_e32 vcc, s49, v25
	v_min_f32_e32 v3, v24, v3
	v_frexp_exp_i32_f32_e32 v24, v3
	v_ldexp_f32 v10, v22, v10
	v_cndmask_b32_e32 v10, v44, v10, vcc
	v_cmp_gt_f32_e32 vcc, s53, v10
	v_cndmask_b32_e32 v22, 1.0, v42, vcc
	v_mul_f32_e32 v10, v10, v22
	v_log_f32_e32 v10, v10
	v_cndmask_b32_e32 v22, 0, v43, vcc
	v_frexp_mant_f32_e32 v3, v3
	v_cmp_gt_i32_e64 s[10:11], 0, v14
	v_mul_f32_e32 v23, 0x3f317217, v10
	v_fma_f32 v26, v10, s54, -v23
	v_fmac_f32_e32 v26, 0x3377d1cf, v10
	v_add_f32_e32 v23, v23, v26
	v_cmp_lt_f32_e64 vcc, |v10|, s49
	v_cndmask_b32_e32 v10, v10, v23, vcc
	v_sub_f32_e32 v10, v10, v22
	v_frexp_mant_f32_e32 v22, v25
	v_rcp_f32_e32 v22, v22
	v_frexp_exp_i32_f32_e32 v23, v25
	v_cmp_gt_f32_e32 vcc, 0, v14
	v_cmp_class_f32_e64 s[28:29], v15, s51
	v_mul_f32_e32 v3, v3, v22
	v_sub_u32_e32 v22, v24, v23
	v_ldexp_f32 v3, v3, v22
	v_mul_f32_e32 v22, v3, v3
	v_mov_b32_e32 v23, 0xbc7a590c
	v_fmac_f32_e32 v23, 0x3b2d2a58, v22
	v_fma_f32 v23, v22, v23, v31
	v_fma_f32 v23, v22, v23, v32
	v_fma_f32 v23, v22, v23, v33
	v_fma_f32 v23, v22, v23, v34
	v_fma_f32 v23, v22, v23, v35
	v_fma_f32 v23, v22, v23, v36
	v_mul_f32_e32 v22, v22, v23
	v_fmac_f32_e32 v3, v3, v22
	v_sub_f32_e32 v22, 0x3fc90fdb, v3
	v_cndmask_b32_e64 v3, v3, v22, s[8:9]
	v_sub_f32_e32 v22, 0x40490fdb, v3
	v_cndmask_b32_e32 v3, v3, v22, vcc
	v_cndmask_b32_e64 v22, 0, v39, s[10:11]
	v_cmp_eq_f32_e64 s[10:11], 0, v15
	v_cndmask_b32_e64 v3, v3, v22, s[10:11]
	v_cmp_class_f32_e64 s[10:11], v14, s51
	v_cndmask_b32_e32 v22, v40, v41, vcc
	s_and_b64 vcc, s[28:29], s[10:11]
	v_cndmask_b32_e32 v45, v3, v22, vcc
.LBB169_204:                            ;   in Loop: Header=BB169_145 Depth=1
	s_or_b64 exec, exec, s[26:27]
                                        ; implicit-def: $vgpr22
.LBB169_205:                            ;   in Loop: Header=BB169_145 Depth=1
	s_andn2_saveexec_b64 s[24:25], s[24:25]
	s_cbranch_execz .LBB169_211
; %bb.206:                              ;   in Loop: Header=BB169_145 Depth=1
	v_cmp_ngt_f32_e32 vcc, s55, v22
                                        ; implicit-def: $vgpr10
                                        ; implicit-def: $vgpr45
	s_and_saveexec_b64 s[10:11], vcc
	s_xor_b64 s[26:27], exec, s[10:11]
	s_cbranch_execz .LBB169_208
; %bb.207:                              ;   in Loop: Header=BB169_145 Depth=1
	v_pk_mul_f32 v[22:23], v[22:23], v[22:23]
	v_add_f32_e32 v25, 1.0, v22
	v_add_f32_e32 v23, -1.0, v25
	v_mov_b32_e32 v24, v23
	v_pk_add_f32 v[26:27], v[22:23], v[24:25] neg_lo:[0,1] neg_hi:[0,1]
	v_add_f32_e32 v3, 1.0, v27
	v_add_f32_e32 v3, v26, v3
	v_frexp_mant_f32_e32 v10, v25
	v_cvt_f64_f32_e32 v[26:27], v25
	v_frexp_exp_i32_f64_e32 v23, v[26:27]
	v_cmp_gt_f32_e32 vcc, s47, v10
	v_subbrev_co_u32_e32 v10, vcc, 0, v23, vcc
	v_sub_u32_e32 v23, 0, v10
	v_ldexp_f32 v24, v25, v23
	v_ldexp_f32 v3, v3, v23
	v_add_f32_e32 v23, -1.0, v24
	v_add_f32_e32 v25, 1.0, v23
	v_sub_f32_e32 v25, v24, v25
	v_add_f32_e32 v26, v3, v25
	v_add_f32_e32 v25, 1.0, v24
	v_add_f32_e32 v27, -1.0, v25
	v_sub_f32_e32 v24, v24, v27
	v_add_f32_e32 v3, v3, v24
	v_add_f32_e32 v45, v25, v3
	v_rcp_f32_e32 v50, v45
	v_sub_f32_e32 v24, v25, v45
	v_add_f32_e32 v25, v23, v26
	v_sub_f32_e32 v23, v23, v25
	v_mul_f32_e32 v51, v25, v50
	v_add_f32_e32 v23, v26, v23
	v_mul_f32_e32 v26, v45, v51
	v_add_f32_e32 v3, v3, v24
	v_fma_f32 v46, v51, v45, -v26
	v_fmac_f32_e32 v46, v51, v3
	v_add_f32_e32 v24, v26, v46
	v_sub_f32_e32 v27, v25, v24
	v_pk_add_f32 v[48:49], v[24:25], v[26:27] neg_lo:[0,1] neg_hi:[0,1]
	v_mov_b32_e32 v47, v24
	v_pk_add_f32 v[24:25], v[48:49], v[46:47] neg_lo:[0,1] neg_hi:[0,1]
	v_add_f32_e32 v23, v23, v25
	v_add_f32_e32 v23, v24, v23
	;; [unrolled: 1-line block ×3, first 2 shown]
	v_mul_f32_e32 v52, v50, v25
	v_mul_f32_e32 v26, v45, v52
	v_fma_f32 v46, v52, v45, -v26
	v_fmac_f32_e32 v46, v52, v3
	v_add_f32_e32 v24, v26, v46
	v_sub_f32_e32 v3, v27, v25
	v_sub_f32_e32 v27, v25, v24
	v_pk_add_f32 v[48:49], v[24:25], v[26:27] neg_lo:[0,1] neg_hi:[0,1]
	v_mov_b32_e32 v47, v24
	v_add_f32_e32 v3, v23, v3
	v_pk_add_f32 v[24:25], v[48:49], v[46:47] neg_lo:[0,1] neg_hi:[0,1]
	v_add_f32_e32 v3, v3, v25
	v_add_f32_e32 v3, v24, v3
	;; [unrolled: 1-line block ×4, first 2 shown]
	v_sub_f32_e32 v24, v23, v51
	v_mul_f32_e32 v3, v50, v3
	v_sub_f32_e32 v24, v52, v24
	v_add_f32_e32 v25, v24, v3
	v_add_f32_e32 v26, v23, v25
	v_cvt_f32_i32_e32 v24, v10
	v_mul_f32_e32 v45, v26, v26
	v_mov_b32_e32 v3, 0x3ecc95a3
	v_fmac_f32_e32 v3, 0x3e9b6dac, v45
	v_sub_f32_e32 v10, v26, v23
	v_fma_f32 v3, v45, v3, v30
	v_sub_f32_e32 v10, v25, v10
	v_mul_f32_e32 v25, v26, v45
	v_pk_mul_f32 v[46:47], v[24:25], v[2:3]
	v_ldexp_f32 v27, v26, 1
	v_fma_f32 v26, v24, s48, -v46
	v_fmac_f32_e32 v26, 0xb102e308, v24
	v_pk_add_f32 v[24:25], v[46:47], v[26:27]
	v_sub_f32_e32 v3, v25, v27
	v_ldexp_f32 v10, v10, 1
	v_sub_f32_e32 v3, v47, v3
	v_add_f32_e32 v49, v10, v3
	v_mov_b32_e32 v48, v46
	v_pk_add_f32 v[46:47], v[24:25], v[46:47] neg_lo:[0,1] neg_hi:[0,1]
	v_pk_add_f32 v[50:51], v[24:25], v[48:49]
	v_mov_b32_e32 v47, v51
	v_mov_b32_e32 v27, v24
	v_pk_add_f32 v[52:53], v[26:27], v[46:47] neg_lo:[0,1] neg_hi:[0,1]
	v_pk_add_f32 v[26:27], v[26:27], v[46:47]
	v_mov_b32_e32 v10, v27
	v_pk_add_f32 v[46:47], v[10:11], v[24:25] neg_lo:[0,1] neg_hi:[0,1]
	v_mov_b32_e32 v3, v46
	v_pk_add_f32 v[54:55], v[50:51], v[2:3] neg_lo:[0,1] neg_hi:[0,1]
	v_mov_b32_e32 v26, v51
	v_mov_b32_e32 v50, v25
	;; [unrolled: 1-line block ×4, first 2 shown]
	v_pk_add_f32 v[26:27], v[26:27], v[50:51] neg_lo:[0,1] neg_hi:[0,1]
	v_mov_b32_e32 v46, v49
	v_mov_b32_e32 v47, v24
	v_pk_add_f32 v[24:25], v[46:47], v[26:27] neg_lo:[0,1] neg_hi:[0,1]
	v_mov_b32_e32 v54, v52
	v_pk_add_f32 v[26:27], v[54:55], v[24:25]
	v_mov_b32_e32 v46, v27
	v_pk_add_f32 v[46:47], v[26:27], v[46:47]
	v_pk_add_f32 v[48:49], v[10:11], v[46:47]
	v_mov_b32_e32 v27, v48
	v_pk_add_f32 v[50:51], v[26:27], v[52:53] neg_lo:[0,1] neg_hi:[0,1]
	v_mov_b32_e32 v25, v46
	v_sub_f32_e32 v3, v26, v50
	v_pk_add_f32 v[24:25], v[24:25], v[50:51] neg_lo:[0,1] neg_hi:[0,1]
	v_sub_f32_e32 v3, v52, v3
	v_add_f32_e32 v3, v24, v3
	v_add_f32_e32 v3, v3, v25
	v_cmp_eq_f32_e32 vcc, s49, v22
	v_cmp_lt_f32_e64 s[10:11], |v22|, s50
	v_add_f32_e32 v3, v48, v3
	s_or_b64 vcc, vcc, s[10:11]
	v_cndmask_b32_e32 v3, v3, v22, vcc
	v_mul_f32_e32 v10, 0.5, v3
	v_max_f32_e64 v3, |v15|, |v15|
	v_max_f32_e64 v22, |v14|, |v14|
	v_min_f32_e32 v23, v22, v3
	v_max_f32_e32 v3, v22, v3
	v_frexp_mant_f32_e32 v22, v3
	v_rcp_f32_e32 v22, v22
	v_frexp_exp_i32_f32_e32 v3, v3
	v_frexp_exp_i32_f32_e32 v24, v23
	v_frexp_mant_f32_e32 v23, v23
	v_mul_f32_e32 v22, v23, v22
	v_sub_u32_e32 v3, v24, v3
	v_ldexp_f32 v3, v22, v3
	v_mul_f32_e32 v22, v3, v3
	v_mov_b32_e32 v23, 0xbc7a590c
	v_fmac_f32_e32 v23, 0x3b2d2a58, v22
	v_fma_f32 v23, v22, v23, v31
	v_fma_f32 v23, v22, v23, v32
	;; [unrolled: 1-line block ×6, first 2 shown]
	v_mul_f32_e32 v22, v22, v23
	v_fmac_f32_e32 v3, v3, v22
	v_sub_f32_e32 v22, 0x3fc90fdb, v3
	v_cndmask_b32_e64 v3, v3, v22, s[8:9]
	v_sub_f32_e32 v22, 0x40490fdb, v3
	v_cmp_gt_f32_e32 vcc, 0, v14
	v_cmp_gt_i32_e64 s[10:11], 0, v14
	v_cndmask_b32_e32 v3, v3, v22, vcc
	v_cndmask_b32_e64 v22, 0, v39, s[10:11]
	v_cmp_eq_f32_e64 s[10:11], 0, v15
	v_cndmask_b32_e64 v3, v3, v22, s[10:11]
	v_cmp_class_f32_e64 s[10:11], v14, s51
	v_cmp_class_f32_e64 s[28:29], v15, s51
	v_cndmask_b32_e32 v22, v40, v41, vcc
	s_and_b64 vcc, s[28:29], s[10:11]
	v_cndmask_b32_e32 v45, v3, v22, vcc
                                        ; implicit-def: $vgpr22
.LBB169_208:                            ;   in Loop: Header=BB169_145 Depth=1
	s_andn2_saveexec_b64 s[26:27], s[26:27]
	s_cbranch_execz .LBB169_210
; %bb.209:                              ;   in Loop: Header=BB169_145 Depth=1
	v_mul_f32_e32 v3, 0.5, v22
	v_mul_f32_e32 v10, v22, v3
	v_max_f32_e64 v3, |v15|, |v15|
	v_max_f32_e64 v22, |v14|, |v14|
	v_min_f32_e32 v23, v22, v3
	v_max_f32_e32 v3, v22, v3
	v_frexp_mant_f32_e32 v22, v3
	v_rcp_f32_e32 v22, v22
	v_frexp_exp_i32_f32_e32 v3, v3
	v_frexp_exp_i32_f32_e32 v24, v23
	v_frexp_mant_f32_e32 v23, v23
	v_mul_f32_e32 v22, v23, v22
	v_sub_u32_e32 v3, v24, v3
	v_ldexp_f32 v3, v22, v3
	v_mul_f32_e32 v22, v3, v3
	v_mov_b32_e32 v23, 0xbc7a590c
	v_fmac_f32_e32 v23, 0x3b2d2a58, v22
	v_fma_f32 v23, v22, v23, v31
	v_fma_f32 v23, v22, v23, v32
	;; [unrolled: 1-line block ×6, first 2 shown]
	v_mul_f32_e32 v22, v22, v23
	v_fmac_f32_e32 v3, v3, v22
	v_sub_f32_e32 v22, 0x3fc90fdb, v3
	v_cndmask_b32_e64 v3, v3, v22, s[8:9]
	v_sub_f32_e32 v22, 0x40490fdb, v3
	v_cmp_gt_f32_e32 vcc, 0, v14
	v_cmp_gt_i32_e64 s[10:11], 0, v14
	v_cndmask_b32_e32 v3, v3, v22, vcc
	v_cndmask_b32_e64 v22, 0, v39, s[10:11]
	v_cmp_eq_f32_e64 s[10:11], 0, v15
	v_cndmask_b32_e64 v3, v3, v22, s[10:11]
	v_cmp_class_f32_e64 s[10:11], v14, s51
	v_cmp_class_f32_e64 s[28:29], v15, s51
	v_cndmask_b32_e32 v22, v40, v41, vcc
	s_and_b64 vcc, s[28:29], s[10:11]
	v_cndmask_b32_e32 v45, v3, v22, vcc
.LBB169_210:                            ;   in Loop: Header=BB169_145 Depth=1
	s_or_b64 exec, exec, s[26:27]
.LBB169_211:                            ;   in Loop: Header=BB169_145 Depth=1
	s_or_b64 exec, exec, s[24:25]
.LBB169_212:                            ;   in Loop: Header=BB169_145 Depth=1
	s_andn2_saveexec_b64 s[22:23], s[22:23]
	s_cbranch_execz .LBB169_214
; %bb.213:                              ;   in Loop: Header=BB169_145 Depth=1
	v_div_scale_f32 v3, s[10:11], s56, s56, v14
	v_rcp_f32_e32 v10, v3
	v_div_scale_f32 v22, vcc, v14, s56, v14
	v_fma_f32 v23, -v3, v10, 1.0
	v_fmac_f32_e32 v10, v23, v10
	v_mul_f32_e32 v23, v22, v10
	v_fma_f32 v24, -v3, v23, v22
	v_fmac_f32_e32 v23, v24, v10
	v_fma_f32 v3, -v3, v23, v22
	v_div_scale_f32 v22, s[10:11], s56, s56, v15
	v_rcp_f32_e32 v24, v22
	v_div_fmas_f32 v3, v3, v10, v23
	v_div_fixup_f32 v3, v3, s56, v14
	v_fma_f32 v10, -v22, v24, 1.0
	v_fmac_f32_e32 v24, v10, v24
	v_div_scale_f32 v10, vcc, v15, s56, v15
	v_mul_f32_e32 v23, v10, v24
	v_fma_f32 v25, -v22, v23, v10
	v_fmac_f32_e32 v23, v25, v24
	v_fma_f32 v10, -v22, v23, v10
	v_div_fmas_f32 v10, v10, v24, v23
	v_div_fixup_f32 v10, v10, s56, v15
	v_max_f32_e64 v24, |v3|, |v10|
	v_cvt_f64_f32_e32 v[22:23], v24
	v_frexp_exp_i32_f64_e32 v22, v[22:23]
	v_sub_u32_e32 v23, 0, v22
	v_ldexp_f32 v10, |v10|, v23
	v_ldexp_f32 v3, |v3|, v23
	v_mul_f32_e32 v10, v10, v10
	v_fmac_f32_e32 v10, v3, v3
	v_sqrt_f32_e32 v3, v10
	v_cmp_neq_f32_e32 vcc, s49, v24
	v_ldexp_f32 v3, v3, v22
	v_cndmask_b32_e32 v3, v44, v3, vcc
	v_cmp_gt_f32_e32 vcc, s53, v3
	v_cndmask_b32_e32 v10, 1.0, v42, vcc
	v_mul_f32_e32 v3, v3, v10
	v_log_f32_e32 v3, v3
	v_mul_f32_e32 v10, 0x3f317217, v3
	v_fma_f32 v22, v3, s54, -v10
	v_fmac_f32_e32 v22, 0x3377d1cf, v3
	v_add_f32_e32 v10, v10, v22
	v_cmp_lt_f32_e64 s[10:11], |v3|, s49
	v_cndmask_b32_e64 v3, v3, v10, s[10:11]
	v_cndmask_b32_e32 v10, 0, v43, vcc
	v_sub_f32_e32 v3, v3, v10
	v_add_f32_e32 v10, 1.0, v3
	v_max_f32_e64 v3, |v15|, |v15|
	v_max_f32_e64 v22, |v14|, |v14|
	v_min_f32_e32 v23, v22, v3
	v_max_f32_e32 v3, v22, v3
	v_frexp_mant_f32_e32 v22, v3
	v_rcp_f32_e32 v22, v22
	v_frexp_exp_i32_f32_e32 v3, v3
	v_frexp_exp_i32_f32_e32 v24, v23
	v_frexp_mant_f32_e32 v23, v23
	v_mul_f32_e32 v22, v23, v22
	v_sub_u32_e32 v3, v24, v3
	v_ldexp_f32 v3, v22, v3
	v_mul_f32_e32 v22, v3, v3
	v_mov_b32_e32 v23, 0xbc7a590c
	v_fmac_f32_e32 v23, 0x3b2d2a58, v22
	v_fma_f32 v23, v22, v23, v31
	v_fma_f32 v23, v22, v23, v32
	;; [unrolled: 1-line block ×6, first 2 shown]
	v_mul_f32_e32 v22, v22, v23
	v_fmac_f32_e32 v3, v3, v22
	v_sub_f32_e32 v22, 0x3fc90fdb, v3
	v_cndmask_b32_e64 v3, v3, v22, s[8:9]
	v_sub_f32_e32 v22, 0x40490fdb, v3
	v_cmp_gt_f32_e32 vcc, 0, v14
	v_cmp_gt_i32_e64 s[8:9], 0, v14
	v_cndmask_b32_e32 v3, v3, v22, vcc
	v_cndmask_b32_e64 v22, 0, v39, s[8:9]
	v_cmp_eq_f32_e64 s[8:9], 0, v15
	v_cndmask_b32_e64 v3, v3, v22, s[8:9]
	v_cmp_class_f32_e64 s[8:9], v14, s51
	v_cmp_class_f32_e64 s[10:11], v15, s51
	v_cndmask_b32_e32 v22, v40, v41, vcc
	s_and_b64 vcc, s[10:11], s[8:9]
	v_cndmask_b32_e32 v45, v3, v22, vcc
.LBB169_214:                            ;   in Loop: Header=BB169_145 Depth=1
	s_or_b64 exec, exec, s[22:23]
.LBB169_215:                            ;   in Loop: Header=BB169_145 Depth=1
	s_andn2_saveexec_b64 s[8:9], s[20:21]
	s_cbranch_execz .LBB169_221
; %bb.216:                              ;   in Loop: Header=BB169_145 Depth=1
	v_cmp_nlt_f32_e64 s[10:11], |v14|, s57
	v_cmp_nlt_f32_e64 s[20:21], |v15|, s57
	s_or_b64 s[10:11], s[20:21], s[10:11]
                                        ; implicit-def: $vgpr3
	s_and_saveexec_b64 s[20:21], s[10:11]
	s_xor_b64 s[10:11], exec, s[20:21]
; %bb.217:                              ;   in Loop: Header=BB169_145 Depth=1
	v_pk_mul_f32 v[22:23], v[14:15], v[14:15]
	v_add_f32_e32 v3, v23, v22
; %bb.218:                              ;   in Loop: Header=BB169_145 Depth=1
	s_andn2_saveexec_b64 s[10:11], s[10:11]
; %bb.219:                              ;   in Loop: Header=BB169_145 Depth=1
	v_pk_mul_f32 v[22:23], v[14:15], 4.0 op_sel_hi:[1,0]
	v_pk_mul_f32 v[22:23], v[22:23], v[22:23]
	v_add_f32_e32 v3, v23, v22
	v_mul_f32_e32 v3, 0x3d800000, v3
; %bb.220:                              ;   in Loop: Header=BB169_145 Depth=1
	s_or_b64 exec, exec, s[10:11]
	v_cmp_gt_f32_e32 vcc, s53, v3
	v_cndmask_b32_e32 v10, 1.0, v42, vcc
	v_mul_f32_e32 v3, v3, v10
	v_log_f32_e32 v3, v3
	v_cndmask_b32_e32 v10, 0, v43, vcc
	v_mov_b32_e32 v45, 0x7fc00000
	v_mul_f32_e32 v14, 0x3f317217, v3
	v_fma_f32 v22, v3, s54, -v14
	v_fmac_f32_e32 v22, 0x3377d1cf, v3
	v_add_f32_e32 v14, v14, v22
	v_cmp_lt_f32_e64 vcc, |v3|, s49
	v_cndmask_b32_e32 v3, v3, v14, vcc
	v_sub_f32_e32 v10, v3, v10
.LBB169_221:                            ;   in Loop: Header=BB169_145 Depth=1
	s_or_b64 exec, exec, s[8:9]
	v_cmp_o_f32_e32 vcc, v7, v6
                                        ; implicit-def: $vgpr14
                                        ; implicit-def: $vgpr46
	s_and_saveexec_b64 s[8:9], vcc
	s_xor_b64 s[20:21], exec, s[8:9]
	s_cbranch_execz .LBB169_249
; %bb.222:                              ;   in Loop: Header=BB169_145 Depth=1
	v_cmp_lt_f32_e64 s[8:9], |v6|, |v7|
	v_cndmask_b32_e64 v3, v7, v6, s[8:9]
	v_cmp_ngt_f32_e64 s[10:11], |v3|, s44
                                        ; implicit-def: $vgpr14
                                        ; implicit-def: $vgpr46
	s_and_saveexec_b64 s[22:23], s[10:11]
	s_xor_b64 s[22:23], exec, s[22:23]
	s_cbranch_execz .LBB169_246
; %bb.223:                              ;   in Loop: Header=BB169_145 Depth=1
	v_cndmask_b32_e64 v14, v6, v7, s[8:9]
	v_and_b32_e32 v23, 0x7fffffff, v14
	v_and_b32_e32 v22, 0x7fffffff, v3
	v_cmp_neq_f32_e32 vcc, 1.0, v23
                                        ; implicit-def: $vgpr14
                                        ; implicit-def: $vgpr46
	s_and_saveexec_b64 s[10:11], vcc
	s_xor_b64 s[24:25], exec, s[10:11]
	s_cbranch_execz .LBB169_239
; %bb.224:                              ;   in Loop: Header=BB169_145 Depth=1
	v_max_f32_e32 v3, v22, v22
	v_max_f32_e32 v14, v23, v23
	v_min_f32_e32 v24, v14, v3
	v_max_f32_e32 v3, v14, v3
	v_cmp_ngt_f32_e32 vcc, s45, v24
	v_cmp_nlt_f32_e64 s[10:11], s46, v3
	s_and_b64 s[10:11], s[10:11], vcc
                                        ; implicit-def: $vgpr14
                                        ; implicit-def: $vgpr46
	s_and_saveexec_b64 s[26:27], s[10:11]
	s_xor_b64 s[26:27], exec, s[26:27]
	s_cbranch_execz .LBB169_236
; %bb.225:                              ;   in Loop: Header=BB169_145 Depth=1
	v_cmp_le_f32_e32 vcc, 1.0, v23
                                        ; implicit-def: $vgpr14
                                        ; implicit-def: $vgpr46
	s_and_saveexec_b64 s[10:11], vcc
	s_xor_b64 s[28:29], exec, s[10:11]
	s_cbranch_execz .LBB169_227
; %bb.226:                              ;   in Loop: Header=BB169_145 Depth=1
	v_pk_add_f32 v[24:25], v[22:23], s[18:19] op_sel:[1,0]
	v_mov_b32_e32 v14, v25
	v_pk_mul_f32 v[24:25], v[24:25], v[14:15]
	v_pk_fma_f32 v[22:23], v[22:23], v[22:23], v[24:25]
	v_add_f32_e32 v25, 1.0, v22
	v_add_f32_e32 v23, -1.0, v25
	v_mov_b32_e32 v24, v23
	v_pk_add_f32 v[26:27], v[22:23], v[24:25] neg_lo:[0,1] neg_hi:[0,1]
	v_add_f32_e32 v3, 1.0, v27
	v_add_f32_e32 v3, v26, v3
	v_frexp_mant_f32_e32 v14, v25
	v_cvt_f64_f32_e32 v[26:27], v25
	v_frexp_exp_i32_f64_e32 v23, v[26:27]
	v_cmp_gt_f32_e32 vcc, s47, v14
	v_subbrev_co_u32_e32 v14, vcc, 0, v23, vcc
	v_sub_u32_e32 v23, 0, v14
	v_ldexp_f32 v24, v25, v23
	v_ldexp_f32 v3, v3, v23
	v_add_f32_e32 v23, -1.0, v24
	v_add_f32_e32 v25, 1.0, v23
	v_sub_f32_e32 v25, v24, v25
	v_add_f32_e32 v26, v3, v25
	v_add_f32_e32 v25, 1.0, v24
	v_add_f32_e32 v27, -1.0, v25
	v_sub_f32_e32 v24, v24, v27
	v_add_f32_e32 v3, v3, v24
	v_add_f32_e32 v50, v25, v3
	v_rcp_f32_e32 v51, v50
	v_sub_f32_e32 v24, v50, v25
	v_add_f32_e32 v25, v23, v26
	v_sub_f32_e32 v23, v25, v23
	v_mul_f32_e32 v52, v25, v51
	v_sub_f32_e32 v23, v26, v23
	v_mul_f32_e32 v26, v50, v52
	v_sub_f32_e32 v3, v3, v24
	v_fma_f32 v46, v52, v50, -v26
	v_fmac_f32_e32 v46, v52, v3
	v_add_f32_e32 v24, v26, v46
	v_sub_f32_e32 v27, v25, v24
	v_pk_add_f32 v[48:49], v[24:25], v[26:27] neg_lo:[0,1] neg_hi:[0,1]
	v_mov_b32_e32 v47, v24
	v_pk_add_f32 v[24:25], v[48:49], v[46:47] neg_lo:[0,1] neg_hi:[0,1]
	v_add_f32_e32 v23, v23, v25
	v_add_f32_e32 v23, v24, v23
	;; [unrolled: 1-line block ×3, first 2 shown]
	v_mul_f32_e32 v53, v51, v25
	v_mul_f32_e32 v26, v50, v53
	v_fma_f32 v46, v53, v50, -v26
	v_fmac_f32_e32 v46, v53, v3
	v_add_f32_e32 v24, v26, v46
	v_sub_f32_e32 v3, v27, v25
	v_sub_f32_e32 v27, v25, v24
	v_pk_add_f32 v[48:49], v[24:25], v[26:27] neg_lo:[0,1] neg_hi:[0,1]
	v_mov_b32_e32 v47, v24
	v_add_f32_e32 v3, v23, v3
	v_pk_add_f32 v[24:25], v[48:49], v[46:47] neg_lo:[0,1] neg_hi:[0,1]
	v_add_f32_e32 v3, v3, v25
	v_add_f32_e32 v3, v24, v3
	;; [unrolled: 1-line block ×4, first 2 shown]
	v_sub_f32_e32 v24, v23, v52
	v_mul_f32_e32 v3, v51, v3
	v_sub_f32_e32 v24, v53, v24
	v_add_f32_e32 v25, v24, v3
	v_add_f32_e32 v26, v23, v25
	v_cvt_f32_i32_e32 v24, v14
	v_mul_f32_e32 v46, v26, v26
	v_mov_b32_e32 v3, 0x3ecc95a3
	v_fmac_f32_e32 v3, 0x3e9b6dac, v46
	v_sub_f32_e32 v14, v26, v23
	v_fma_f32 v3, v46, v3, v30
	v_sub_f32_e32 v14, v25, v14
	v_mul_f32_e32 v25, v26, v46
	v_pk_mul_f32 v[46:47], v[24:25], v[2:3]
	v_ldexp_f32 v27, v26, 1
	v_fma_f32 v26, v24, s48, -v46
	v_fmac_f32_e32 v26, 0xb102e308, v24
	v_pk_add_f32 v[24:25], v[46:47], v[26:27]
	v_sub_f32_e32 v3, v25, v27
	v_ldexp_f32 v14, v14, 1
	v_sub_f32_e32 v3, v47, v3
	v_add_f32_e32 v49, v14, v3
	v_mov_b32_e32 v48, v46
	v_pk_add_f32 v[46:47], v[24:25], v[46:47] neg_lo:[0,1] neg_hi:[0,1]
	v_pk_add_f32 v[50:51], v[24:25], v[48:49]
	v_mov_b32_e32 v47, v51
	v_mov_b32_e32 v27, v24
	v_pk_add_f32 v[52:53], v[26:27], v[46:47] neg_lo:[0,1] neg_hi:[0,1]
	v_pk_add_f32 v[26:27], v[26:27], v[46:47]
	v_mov_b32_e32 v14, v27
	v_pk_add_f32 v[46:47], v[14:15], v[24:25] neg_lo:[0,1] neg_hi:[0,1]
	v_mov_b32_e32 v3, v46
	v_pk_add_f32 v[54:55], v[50:51], v[2:3] neg_lo:[0,1] neg_hi:[0,1]
	v_mov_b32_e32 v26, v51
	v_mov_b32_e32 v50, v25
	;; [unrolled: 1-line block ×4, first 2 shown]
	v_pk_add_f32 v[26:27], v[26:27], v[50:51] neg_lo:[0,1] neg_hi:[0,1]
	v_mov_b32_e32 v46, v49
	v_mov_b32_e32 v47, v24
	v_pk_add_f32 v[24:25], v[46:47], v[26:27] neg_lo:[0,1] neg_hi:[0,1]
	v_mov_b32_e32 v54, v52
	v_pk_add_f32 v[26:27], v[54:55], v[24:25]
	v_mov_b32_e32 v46, v27
	v_pk_add_f32 v[46:47], v[26:27], v[46:47]
	v_pk_add_f32 v[48:49], v[14:15], v[46:47]
	v_mov_b32_e32 v27, v48
	v_pk_add_f32 v[50:51], v[26:27], v[52:53] neg_lo:[0,1] neg_hi:[0,1]
	v_mov_b32_e32 v25, v46
	v_sub_f32_e32 v3, v26, v50
	v_pk_add_f32 v[24:25], v[24:25], v[50:51] neg_lo:[0,1] neg_hi:[0,1]
	v_sub_f32_e32 v3, v52, v3
	v_add_f32_e32 v3, v24, v3
	v_add_f32_e32 v3, v3, v25
	;; [unrolled: 1-line block ×3, first 2 shown]
	v_cmp_eq_f32_e32 vcc, s49, v22
	v_cndmask_b32_e32 v3, v3, v22, vcc
	v_cmp_ngt_f32_e32 vcc, -1.0, v22
	v_cndmask_b32_e32 v3, v37, v3, vcc
	v_cmp_neq_f32_e32 vcc, -1.0, v22
	v_cndmask_b32_e32 v3, v38, v3, vcc
	v_cmp_lt_f32_e64 vcc, |v22|, s50
	v_cndmask_b32_e32 v3, v3, v22, vcc
	v_mul_f32_e32 v14, 0.5, v3
	v_max_f32_e64 v3, |v7|, |v7|
	v_max_f32_e64 v22, |v6|, |v6|
	v_min_f32_e32 v23, v22, v3
	v_max_f32_e32 v3, v22, v3
	v_frexp_mant_f32_e32 v22, v3
	v_rcp_f32_e32 v22, v22
	v_frexp_exp_i32_f32_e32 v3, v3
	v_frexp_exp_i32_f32_e32 v24, v23
	v_frexp_mant_f32_e32 v23, v23
	v_mul_f32_e32 v22, v23, v22
	v_sub_u32_e32 v3, v24, v3
	v_ldexp_f32 v3, v22, v3
	v_mul_f32_e32 v22, v3, v3
	v_mov_b32_e32 v23, 0xbc7a590c
	v_fmac_f32_e32 v23, 0x3b2d2a58, v22
	v_fma_f32 v23, v22, v23, v31
	v_fma_f32 v23, v22, v23, v32
	;; [unrolled: 1-line block ×6, first 2 shown]
	v_mul_f32_e32 v22, v22, v23
	v_fmac_f32_e32 v3, v3, v22
	v_sub_f32_e32 v22, 0x3fc90fdb, v3
	v_cndmask_b32_e64 v3, v3, v22, s[8:9]
	v_sub_f32_e32 v22, 0x40490fdb, v3
	v_cmp_gt_f32_e32 vcc, 0, v6
	v_cmp_gt_i32_e64 s[10:11], 0, v6
	v_cndmask_b32_e32 v3, v3, v22, vcc
	v_cndmask_b32_e64 v22, 0, v39, s[10:11]
	v_cmp_eq_f32_e64 s[10:11], 0, v7
	v_cndmask_b32_e64 v3, v3, v22, s[10:11]
	v_cmp_class_f32_e64 s[10:11], v6, s51
	v_cmp_class_f32_e64 s[30:31], v7, s51
	v_cndmask_b32_e32 v22, v40, v41, vcc
	s_and_b64 vcc, s[30:31], s[10:11]
	v_cndmask_b32_e32 v46, v3, v22, vcc
                                        ; implicit-def: $vgpr22_vgpr23
.LBB169_227:                            ;   in Loop: Header=BB169_145 Depth=1
	s_andn2_saveexec_b64 s[28:29], s[28:29]
	s_cbranch_execz .LBB169_235
; %bb.228:                              ;   in Loop: Header=BB169_145 Depth=1
	v_pk_mul_f32 v[24:25], v[22:23], v[22:23]
	v_add_f32_e32 v3, v25, v24
	v_cmp_ge_f32_e32 vcc, s52, v3
                                        ; implicit-def: $vgpr14
                                        ; implicit-def: $vgpr46
	s_and_saveexec_b64 s[10:11], vcc
	s_xor_b64 s[30:31], exec, s[10:11]
	s_cbranch_execz .LBB169_230
; %bb.229:                              ;   in Loop: Header=BB169_145 Depth=1
	v_cmp_gt_f32_e32 vcc, s53, v3
	v_cndmask_b32_e32 v14, 1.0, v42, vcc
	v_mul_f32_e32 v3, v3, v14
	v_log_f32_e32 v3, v3
	v_cndmask_b32_e32 v14, 0, v43, vcc
	v_cmp_gt_i32_e64 s[10:11], 0, v6
	v_cmp_class_f32_e64 s[34:35], v7, s51
	v_mul_f32_e32 v22, 0x3f317217, v3
	v_fma_f32 v23, v3, s54, -v22
	v_fmac_f32_e32 v23, 0x3377d1cf, v3
	v_add_f32_e32 v22, v22, v23
	v_cmp_lt_f32_e64 vcc, |v3|, s49
	v_cndmask_b32_e32 v3, v3, v22, vcc
	v_sub_f32_e32 v3, v3, v14
	v_mul_f32_e32 v14, 0.5, v3
	v_max_f32_e64 v3, |v7|, |v7|
	v_max_f32_e64 v22, |v6|, |v6|
	v_min_f32_e32 v23, v22, v3
	v_max_f32_e32 v3, v22, v3
	v_frexp_mant_f32_e32 v22, v3
	v_rcp_f32_e32 v22, v22
	v_frexp_exp_i32_f32_e32 v3, v3
	v_frexp_exp_i32_f32_e32 v24, v23
	v_frexp_mant_f32_e32 v23, v23
	v_mul_f32_e32 v22, v23, v22
	v_sub_u32_e32 v3, v24, v3
	v_ldexp_f32 v3, v22, v3
	v_mul_f32_e32 v22, v3, v3
	v_mov_b32_e32 v23, 0xbc7a590c
	v_fmac_f32_e32 v23, 0x3b2d2a58, v22
	v_fma_f32 v23, v22, v23, v31
	v_fma_f32 v23, v22, v23, v32
	;; [unrolled: 1-line block ×6, first 2 shown]
	v_mul_f32_e32 v22, v22, v23
	v_fmac_f32_e32 v3, v3, v22
	v_sub_f32_e32 v22, 0x3fc90fdb, v3
	v_cndmask_b32_e64 v3, v3, v22, s[8:9]
	v_sub_f32_e32 v22, 0x40490fdb, v3
	v_cmp_gt_f32_e32 vcc, 0, v6
	v_cndmask_b32_e32 v3, v3, v22, vcc
	v_cndmask_b32_e64 v22, 0, v39, s[10:11]
	v_cmp_eq_f32_e64 s[10:11], 0, v7
	v_cndmask_b32_e64 v3, v3, v22, s[10:11]
	v_cmp_class_f32_e64 s[10:11], v6, s51
	v_cndmask_b32_e32 v22, v40, v41, vcc
	s_and_b64 vcc, s[34:35], s[10:11]
	v_cndmask_b32_e32 v46, v3, v22, vcc
                                        ; implicit-def: $vgpr22_vgpr23
.LBB169_230:                            ;   in Loop: Header=BB169_145 Depth=1
	s_andn2_saveexec_b64 s[30:31], s[30:31]
	s_cbranch_execz .LBB169_234
; %bb.231:                              ;   in Loop: Header=BB169_145 Depth=1
	v_and_b32_e32 v25, 0x7fff0000, v22
	v_and_b32_e32 v24, 0x7fff0000, v23
	v_pk_add_f32 v[22:23], v[22:23], v[24:25] op_sel:[1,0] op_sel_hi:[0,1] neg_lo:[0,1] neg_hi:[0,1]
	v_and_b32_e32 v27, 0xffff0000, v23
	v_and_b32_e32 v26, 0xffff0000, v22
	v_add_f32_e32 v46, v24, v24
	v_pk_add_f32 v[50:51], v[22:23], v[26:27] neg_lo:[0,1] neg_hi:[0,1]
	v_pk_mul_f32 v[22:23], v[24:25], v[24:25]
	v_mul_f32_e32 v14, v46, v26
	v_add_f32_e32 v48, v25, v25
	v_pk_mul_f32 v[24:25], v[26:27], v[26:27]
	v_add_f32_e32 v26, v26, v26
	v_mul_f32_e32 v3, v48, v27
	v_mul_f32_e32 v47, v46, v50
	;; [unrolled: 1-line block ×4, first 2 shown]
	v_add_f32_e32 v26, v27, v27
	v_mul_f32_e32 v49, v26, v51
	v_pk_mul_f32 v[26:27], v[50:51], v[50:51]
	s_mov_b64 s[34:35], 0
.LBB169_232:                            ;   Parent Loop BB169_145 Depth=1
                                        ; =>  This Inner Loop Header: Depth=2
	v_cmp_nlt_f32_e32 vcc, v22, v23
	v_cndmask_b32_e32 v50, v22, v23, vcc
	v_cmp_nlt_f32_e64 s[10:11], v50, v14
	v_cndmask_b32_e64 v51, v50, v14, s[10:11]
	v_cndmask_b32_e32 v22, v23, v22, vcc
	s_and_b64 s[58:59], vcc, s[10:11]
	v_cmp_nlt_f32_e32 vcc, v51, v3
	v_cndmask_b32_e64 v23, v14, v50, s[10:11]
	v_cndmask_b32_e32 v50, v51, v3, vcc
	v_cmp_nlt_f32_e64 s[10:11], v50, v24
	v_cndmask_b32_e32 v14, v3, v51, vcc
	v_cndmask_b32_e64 v51, v50, v24, s[10:11]
	s_and_b64 s[60:61], vcc, s[10:11]
	v_cmp_nlt_f32_e32 vcc, v51, v25
	v_cndmask_b32_e64 v3, v24, v50, s[10:11]
	v_cndmask_b32_e32 v50, v51, v25, vcc
	v_cmp_nlt_f32_e64 s[10:11], v50, v47
	v_cndmask_b32_e32 v24, v25, v51, vcc
	v_cndmask_b32_e64 v51, v50, v47, s[10:11]
	v_cndmask_b32_e64 v25, v47, v50, s[10:11]
	s_and_b64 s[10:11], vcc, s[10:11]
	v_cmp_nlt_f32_e32 vcc, v51, v46
	v_cndmask_b32_e32 v50, v51, v46, vcc
	v_cndmask_b32_e32 v47, v46, v51, vcc
	s_and_b64 s[10:11], s[10:11], vcc
	v_cmp_nlt_f32_e32 vcc, v50, v48
	v_cndmask_b32_e32 v51, v50, v48, vcc
	v_cndmask_b32_e32 v46, v48, v50, vcc
	s_and_b64 s[10:11], s[10:11], vcc
	;; [unrolled: 4-line block ×4, first 2 shown]
	v_cmp_nlt_f32_e32 vcc, v51, v27
	s_and_b64 s[10:11], s[10:11], vcc
	s_and_b64 s[10:11], s[10:11], s[60:61]
	s_and_b64 s[10:11], s[10:11], s[58:59]
	s_and_b64 s[10:11], exec, s[10:11]
	v_cndmask_b32_e32 v26, v27, v51, vcc
	s_or_b64 s[34:35], s[10:11], s[34:35]
	v_cndmask_b32_e32 v27, v51, v27, vcc
	s_andn2_b64 exec, exec, s[34:35]
	s_cbranch_execnz .LBB169_232
; %bb.233:                              ;   in Loop: Header=BB169_145 Depth=1
	s_or_b64 exec, exec, s[34:35]
	v_add_f32_e32 v22, -1.0, v22
	v_add_f32_e32 v22, v22, v23
	v_add_f32_e32 v14, v22, v14
	;; [unrolled: 1-line block ×11, first 2 shown]
	v_add_f32_e32 v25, 1.0, v22
	v_add_f32_e32 v23, -1.0, v25
	v_mov_b32_e32 v24, v23
	v_pk_add_f32 v[26:27], v[22:23], v[24:25] neg_lo:[0,1] neg_hi:[0,1]
	v_add_f32_e32 v3, 1.0, v27
	v_add_f32_e32 v3, v26, v3
	v_frexp_mant_f32_e32 v14, v25
	v_cvt_f64_f32_e32 v[26:27], v25
	v_frexp_exp_i32_f64_e32 v23, v[26:27]
	v_cmp_gt_f32_e32 vcc, s47, v14
	v_subbrev_co_u32_e32 v14, vcc, 0, v23, vcc
	v_sub_u32_e32 v23, 0, v14
	v_ldexp_f32 v24, v25, v23
	v_ldexp_f32 v3, v3, v23
	v_add_f32_e32 v23, -1.0, v24
	v_add_f32_e32 v25, 1.0, v23
	v_sub_f32_e32 v25, v24, v25
	v_add_f32_e32 v26, v3, v25
	v_add_f32_e32 v25, 1.0, v24
	v_add_f32_e32 v27, -1.0, v25
	v_sub_f32_e32 v24, v24, v27
	v_add_f32_e32 v3, v3, v24
	v_add_f32_e32 v50, v25, v3
	v_rcp_f32_e32 v51, v50
	v_sub_f32_e32 v24, v50, v25
	v_add_f32_e32 v25, v23, v26
	v_sub_f32_e32 v23, v25, v23
	v_mul_f32_e32 v52, v25, v51
	v_sub_f32_e32 v23, v26, v23
	v_mul_f32_e32 v26, v50, v52
	v_sub_f32_e32 v3, v3, v24
	v_fma_f32 v46, v52, v50, -v26
	v_fmac_f32_e32 v46, v52, v3
	v_add_f32_e32 v24, v26, v46
	v_sub_f32_e32 v27, v25, v24
	v_pk_add_f32 v[48:49], v[24:25], v[26:27] neg_lo:[0,1] neg_hi:[0,1]
	v_mov_b32_e32 v47, v24
	v_pk_add_f32 v[24:25], v[48:49], v[46:47] neg_lo:[0,1] neg_hi:[0,1]
	v_add_f32_e32 v23, v23, v25
	v_add_f32_e32 v23, v24, v23
	;; [unrolled: 1-line block ×3, first 2 shown]
	v_mul_f32_e32 v53, v51, v25
	v_mul_f32_e32 v26, v50, v53
	v_fma_f32 v46, v53, v50, -v26
	v_fmac_f32_e32 v46, v53, v3
	v_add_f32_e32 v24, v26, v46
	v_sub_f32_e32 v3, v27, v25
	v_sub_f32_e32 v27, v25, v24
	v_pk_add_f32 v[48:49], v[24:25], v[26:27] neg_lo:[0,1] neg_hi:[0,1]
	v_mov_b32_e32 v47, v24
	v_add_f32_e32 v3, v23, v3
	v_pk_add_f32 v[24:25], v[48:49], v[46:47] neg_lo:[0,1] neg_hi:[0,1]
	v_add_f32_e32 v3, v3, v25
	v_add_f32_e32 v3, v24, v3
	;; [unrolled: 1-line block ×4, first 2 shown]
	v_sub_f32_e32 v24, v23, v52
	v_mul_f32_e32 v3, v51, v3
	v_sub_f32_e32 v24, v53, v24
	v_add_f32_e32 v25, v24, v3
	v_add_f32_e32 v26, v23, v25
	v_cvt_f32_i32_e32 v24, v14
	v_mul_f32_e32 v46, v26, v26
	v_mov_b32_e32 v3, 0x3ecc95a3
	v_fmac_f32_e32 v3, 0x3e9b6dac, v46
	v_sub_f32_e32 v14, v26, v23
	v_fma_f32 v3, v46, v3, v30
	v_sub_f32_e32 v14, v25, v14
	v_mul_f32_e32 v25, v26, v46
	v_pk_mul_f32 v[46:47], v[24:25], v[2:3]
	v_ldexp_f32 v27, v26, 1
	v_fma_f32 v26, v24, s48, -v46
	v_fmac_f32_e32 v26, 0xb102e308, v24
	v_pk_add_f32 v[24:25], v[46:47], v[26:27]
	v_sub_f32_e32 v3, v25, v27
	v_ldexp_f32 v14, v14, 1
	v_sub_f32_e32 v3, v47, v3
	v_add_f32_e32 v49, v14, v3
	v_mov_b32_e32 v48, v46
	v_pk_add_f32 v[46:47], v[24:25], v[46:47] neg_lo:[0,1] neg_hi:[0,1]
	v_pk_add_f32 v[50:51], v[24:25], v[48:49]
	v_mov_b32_e32 v47, v51
	v_mov_b32_e32 v27, v24
	v_pk_add_f32 v[52:53], v[26:27], v[46:47] neg_lo:[0,1] neg_hi:[0,1]
	v_pk_add_f32 v[26:27], v[26:27], v[46:47]
	v_mov_b32_e32 v14, v27
	v_pk_add_f32 v[46:47], v[14:15], v[24:25] neg_lo:[0,1] neg_hi:[0,1]
	v_mov_b32_e32 v3, v46
	v_pk_add_f32 v[54:55], v[50:51], v[2:3] neg_lo:[0,1] neg_hi:[0,1]
	v_mov_b32_e32 v26, v51
	v_mov_b32_e32 v50, v25
	;; [unrolled: 1-line block ×4, first 2 shown]
	v_pk_add_f32 v[26:27], v[26:27], v[50:51] neg_lo:[0,1] neg_hi:[0,1]
	v_mov_b32_e32 v46, v49
	v_mov_b32_e32 v47, v24
	v_pk_add_f32 v[24:25], v[46:47], v[26:27] neg_lo:[0,1] neg_hi:[0,1]
	v_mov_b32_e32 v54, v52
	v_pk_add_f32 v[26:27], v[54:55], v[24:25]
	v_mov_b32_e32 v46, v27
	v_pk_add_f32 v[46:47], v[26:27], v[46:47]
	v_pk_add_f32 v[48:49], v[14:15], v[46:47]
	v_mov_b32_e32 v27, v48
	v_pk_add_f32 v[50:51], v[26:27], v[52:53] neg_lo:[0,1] neg_hi:[0,1]
	v_mov_b32_e32 v25, v46
	v_sub_f32_e32 v3, v26, v50
	v_pk_add_f32 v[24:25], v[24:25], v[50:51] neg_lo:[0,1] neg_hi:[0,1]
	v_sub_f32_e32 v3, v52, v3
	v_add_f32_e32 v3, v24, v3
	v_add_f32_e32 v3, v3, v25
	;; [unrolled: 1-line block ×3, first 2 shown]
	v_cmp_eq_f32_e32 vcc, s49, v22
	v_cndmask_b32_e32 v3, v3, v22, vcc
	v_cmp_ngt_f32_e32 vcc, -1.0, v22
	v_cndmask_b32_e32 v3, v37, v3, vcc
	v_cmp_neq_f32_e32 vcc, -1.0, v22
	v_cndmask_b32_e32 v3, v38, v3, vcc
	v_cmp_lt_f32_e64 vcc, |v22|, s50
	v_cndmask_b32_e32 v3, v3, v22, vcc
	v_mul_f32_e32 v14, 0.5, v3
	v_max_f32_e64 v3, |v7|, |v7|
	v_max_f32_e64 v22, |v6|, |v6|
	v_min_f32_e32 v23, v22, v3
	v_max_f32_e32 v3, v22, v3
	v_frexp_mant_f32_e32 v22, v3
	v_rcp_f32_e32 v22, v22
	v_frexp_exp_i32_f32_e32 v3, v3
	v_frexp_exp_i32_f32_e32 v24, v23
	v_frexp_mant_f32_e32 v23, v23
	v_mul_f32_e32 v22, v23, v22
	v_sub_u32_e32 v3, v24, v3
	v_ldexp_f32 v3, v22, v3
	v_mul_f32_e32 v22, v3, v3
	v_mov_b32_e32 v23, 0xbc7a590c
	v_fmac_f32_e32 v23, 0x3b2d2a58, v22
	v_fma_f32 v23, v22, v23, v31
	v_fma_f32 v23, v22, v23, v32
	;; [unrolled: 1-line block ×6, first 2 shown]
	v_mul_f32_e32 v22, v22, v23
	v_fmac_f32_e32 v3, v3, v22
	v_sub_f32_e32 v22, 0x3fc90fdb, v3
	v_cndmask_b32_e64 v3, v3, v22, s[8:9]
	v_sub_f32_e32 v22, 0x40490fdb, v3
	v_cmp_gt_f32_e32 vcc, 0, v6
	v_cmp_gt_i32_e64 s[10:11], 0, v6
	v_cndmask_b32_e32 v3, v3, v22, vcc
	v_cndmask_b32_e64 v22, 0, v39, s[10:11]
	v_cmp_eq_f32_e64 s[10:11], 0, v7
	v_cndmask_b32_e64 v3, v3, v22, s[10:11]
	v_cmp_class_f32_e64 s[10:11], v6, s51
	v_cmp_class_f32_e64 s[34:35], v7, s51
	v_cndmask_b32_e32 v22, v40, v41, vcc
	s_and_b64 vcc, s[34:35], s[10:11]
	v_cndmask_b32_e32 v46, v3, v22, vcc
.LBB169_234:                            ;   in Loop: Header=BB169_145 Depth=1
	s_or_b64 exec, exec, s[30:31]
.LBB169_235:                            ;   in Loop: Header=BB169_145 Depth=1
	s_or_b64 exec, exec, s[28:29]
.LBB169_236:                            ;   in Loop: Header=BB169_145 Depth=1
	s_andn2_saveexec_b64 s[26:27], s[26:27]
	s_cbranch_execz .LBB169_238
; %bb.237:                              ;   in Loop: Header=BB169_145 Depth=1
	v_max_f32_e64 v3, |v7|, |v7|
	v_max_f32_e64 v24, |v6|, |v6|
	v_max_f32_e32 v25, v24, v3
	v_cvt_f64_f32_e32 v[22:23], v25
	v_frexp_exp_i32_f64_e32 v14, v[22:23]
	v_sub_u32_e32 v22, 0, v14
	v_ldexp_f32 v23, |v6|, v22
	v_ldexp_f32 v22, |v7|, v22
	v_mul_f32_e32 v22, v22, v22
	v_fmac_f32_e32 v22, v23, v23
	v_sqrt_f32_e32 v22, v22
	v_cmp_neq_f32_e32 vcc, s49, v25
	v_min_f32_e32 v3, v24, v3
	v_frexp_exp_i32_f32_e32 v24, v3
	v_ldexp_f32 v14, v22, v14
	v_cndmask_b32_e32 v14, v44, v14, vcc
	v_cmp_gt_f32_e32 vcc, s53, v14
	v_cndmask_b32_e32 v22, 1.0, v42, vcc
	v_mul_f32_e32 v14, v14, v22
	v_log_f32_e32 v14, v14
	v_cndmask_b32_e32 v22, 0, v43, vcc
	v_frexp_mant_f32_e32 v3, v3
	v_cmp_gt_i32_e64 s[10:11], 0, v6
	v_mul_f32_e32 v23, 0x3f317217, v14
	v_fma_f32 v26, v14, s54, -v23
	v_fmac_f32_e32 v26, 0x3377d1cf, v14
	v_add_f32_e32 v23, v23, v26
	v_cmp_lt_f32_e64 vcc, |v14|, s49
	v_cndmask_b32_e32 v14, v14, v23, vcc
	v_sub_f32_e32 v14, v14, v22
	v_frexp_mant_f32_e32 v22, v25
	v_rcp_f32_e32 v22, v22
	v_frexp_exp_i32_f32_e32 v23, v25
	v_cmp_gt_f32_e32 vcc, 0, v6
	v_cmp_class_f32_e64 s[28:29], v7, s51
	v_mul_f32_e32 v3, v3, v22
	v_sub_u32_e32 v22, v24, v23
	v_ldexp_f32 v3, v3, v22
	v_mul_f32_e32 v22, v3, v3
	v_mov_b32_e32 v23, 0xbc7a590c
	v_fmac_f32_e32 v23, 0x3b2d2a58, v22
	v_fma_f32 v23, v22, v23, v31
	v_fma_f32 v23, v22, v23, v32
	;; [unrolled: 1-line block ×6, first 2 shown]
	v_mul_f32_e32 v22, v22, v23
	v_fmac_f32_e32 v3, v3, v22
	v_sub_f32_e32 v22, 0x3fc90fdb, v3
	v_cndmask_b32_e64 v3, v3, v22, s[8:9]
	v_sub_f32_e32 v22, 0x40490fdb, v3
	v_cndmask_b32_e32 v3, v3, v22, vcc
	v_cndmask_b32_e64 v22, 0, v39, s[10:11]
	v_cmp_eq_f32_e64 s[10:11], 0, v7
	v_cndmask_b32_e64 v3, v3, v22, s[10:11]
	v_cmp_class_f32_e64 s[10:11], v6, s51
	v_cndmask_b32_e32 v22, v40, v41, vcc
	s_and_b64 vcc, s[28:29], s[10:11]
	v_cndmask_b32_e32 v46, v3, v22, vcc
.LBB169_238:                            ;   in Loop: Header=BB169_145 Depth=1
	s_or_b64 exec, exec, s[26:27]
                                        ; implicit-def: $vgpr22
.LBB169_239:                            ;   in Loop: Header=BB169_145 Depth=1
	s_andn2_saveexec_b64 s[24:25], s[24:25]
	s_cbranch_execz .LBB169_245
; %bb.240:                              ;   in Loop: Header=BB169_145 Depth=1
	v_cmp_ngt_f32_e32 vcc, s55, v22
                                        ; implicit-def: $vgpr14
                                        ; implicit-def: $vgpr46
	s_and_saveexec_b64 s[10:11], vcc
	s_xor_b64 s[26:27], exec, s[10:11]
	s_cbranch_execz .LBB169_242
; %bb.241:                              ;   in Loop: Header=BB169_145 Depth=1
	v_pk_mul_f32 v[22:23], v[22:23], v[22:23]
	v_add_f32_e32 v25, 1.0, v22
	v_add_f32_e32 v23, -1.0, v25
	v_mov_b32_e32 v24, v23
	v_pk_add_f32 v[26:27], v[22:23], v[24:25] neg_lo:[0,1] neg_hi:[0,1]
	v_add_f32_e32 v3, 1.0, v27
	v_add_f32_e32 v3, v26, v3
	v_frexp_mant_f32_e32 v14, v25
	v_cvt_f64_f32_e32 v[26:27], v25
	v_frexp_exp_i32_f64_e32 v23, v[26:27]
	v_cmp_gt_f32_e32 vcc, s47, v14
	v_subbrev_co_u32_e32 v14, vcc, 0, v23, vcc
	v_sub_u32_e32 v23, 0, v14
	v_ldexp_f32 v24, v25, v23
	v_ldexp_f32 v3, v3, v23
	v_add_f32_e32 v23, -1.0, v24
	v_add_f32_e32 v25, 1.0, v23
	v_sub_f32_e32 v25, v24, v25
	v_add_f32_e32 v26, v3, v25
	v_add_f32_e32 v25, 1.0, v24
	v_add_f32_e32 v27, -1.0, v25
	v_sub_f32_e32 v24, v24, v27
	v_add_f32_e32 v3, v3, v24
	v_add_f32_e32 v50, v25, v3
	v_rcp_f32_e32 v51, v50
	v_sub_f32_e32 v24, v25, v50
	v_add_f32_e32 v25, v23, v26
	v_sub_f32_e32 v23, v23, v25
	v_mul_f32_e32 v52, v25, v51
	v_add_f32_e32 v23, v26, v23
	v_mul_f32_e32 v26, v50, v52
	v_add_f32_e32 v3, v3, v24
	v_fma_f32 v46, v52, v50, -v26
	v_fmac_f32_e32 v46, v52, v3
	v_add_f32_e32 v24, v26, v46
	v_sub_f32_e32 v27, v25, v24
	v_pk_add_f32 v[48:49], v[24:25], v[26:27] neg_lo:[0,1] neg_hi:[0,1]
	v_mov_b32_e32 v47, v24
	v_pk_add_f32 v[24:25], v[48:49], v[46:47] neg_lo:[0,1] neg_hi:[0,1]
	v_add_f32_e32 v23, v23, v25
	v_add_f32_e32 v23, v24, v23
	;; [unrolled: 1-line block ×3, first 2 shown]
	v_mul_f32_e32 v53, v51, v25
	v_mul_f32_e32 v26, v50, v53
	v_fma_f32 v46, v53, v50, -v26
	v_fmac_f32_e32 v46, v53, v3
	v_add_f32_e32 v24, v26, v46
	v_sub_f32_e32 v3, v27, v25
	v_sub_f32_e32 v27, v25, v24
	v_pk_add_f32 v[48:49], v[24:25], v[26:27] neg_lo:[0,1] neg_hi:[0,1]
	v_mov_b32_e32 v47, v24
	v_add_f32_e32 v3, v23, v3
	v_pk_add_f32 v[24:25], v[48:49], v[46:47] neg_lo:[0,1] neg_hi:[0,1]
	v_add_f32_e32 v3, v3, v25
	v_add_f32_e32 v3, v24, v3
	;; [unrolled: 1-line block ×4, first 2 shown]
	v_sub_f32_e32 v24, v23, v52
	v_mul_f32_e32 v3, v51, v3
	v_sub_f32_e32 v24, v53, v24
	v_add_f32_e32 v25, v24, v3
	v_add_f32_e32 v26, v23, v25
	v_cvt_f32_i32_e32 v24, v14
	v_mul_f32_e32 v46, v26, v26
	v_mov_b32_e32 v3, 0x3ecc95a3
	v_fmac_f32_e32 v3, 0x3e9b6dac, v46
	v_sub_f32_e32 v14, v26, v23
	v_fma_f32 v3, v46, v3, v30
	v_sub_f32_e32 v14, v25, v14
	v_mul_f32_e32 v25, v26, v46
	v_pk_mul_f32 v[46:47], v[24:25], v[2:3]
	v_ldexp_f32 v27, v26, 1
	v_fma_f32 v26, v24, s48, -v46
	v_fmac_f32_e32 v26, 0xb102e308, v24
	v_pk_add_f32 v[24:25], v[46:47], v[26:27]
	v_sub_f32_e32 v3, v25, v27
	v_ldexp_f32 v14, v14, 1
	v_sub_f32_e32 v3, v47, v3
	v_add_f32_e32 v49, v14, v3
	v_mov_b32_e32 v48, v46
	v_pk_add_f32 v[46:47], v[24:25], v[46:47] neg_lo:[0,1] neg_hi:[0,1]
	v_pk_add_f32 v[50:51], v[24:25], v[48:49]
	v_mov_b32_e32 v47, v51
	v_mov_b32_e32 v27, v24
	v_pk_add_f32 v[52:53], v[26:27], v[46:47] neg_lo:[0,1] neg_hi:[0,1]
	v_pk_add_f32 v[26:27], v[26:27], v[46:47]
	v_mov_b32_e32 v14, v27
	v_pk_add_f32 v[46:47], v[14:15], v[24:25] neg_lo:[0,1] neg_hi:[0,1]
	v_mov_b32_e32 v3, v46
	v_pk_add_f32 v[54:55], v[50:51], v[2:3] neg_lo:[0,1] neg_hi:[0,1]
	v_mov_b32_e32 v26, v51
	v_mov_b32_e32 v50, v25
	;; [unrolled: 1-line block ×4, first 2 shown]
	v_pk_add_f32 v[26:27], v[26:27], v[50:51] neg_lo:[0,1] neg_hi:[0,1]
	v_mov_b32_e32 v46, v49
	v_mov_b32_e32 v47, v24
	v_pk_add_f32 v[24:25], v[46:47], v[26:27] neg_lo:[0,1] neg_hi:[0,1]
	v_mov_b32_e32 v54, v52
	v_pk_add_f32 v[26:27], v[54:55], v[24:25]
	v_mov_b32_e32 v46, v27
	v_pk_add_f32 v[46:47], v[26:27], v[46:47]
	v_pk_add_f32 v[48:49], v[14:15], v[46:47]
	v_mov_b32_e32 v27, v48
	v_pk_add_f32 v[50:51], v[26:27], v[52:53] neg_lo:[0,1] neg_hi:[0,1]
	v_mov_b32_e32 v25, v46
	v_sub_f32_e32 v3, v26, v50
	v_pk_add_f32 v[24:25], v[24:25], v[50:51] neg_lo:[0,1] neg_hi:[0,1]
	v_sub_f32_e32 v3, v52, v3
	v_add_f32_e32 v3, v24, v3
	v_add_f32_e32 v3, v3, v25
	v_cmp_eq_f32_e32 vcc, s49, v22
	v_cmp_lt_f32_e64 s[10:11], |v22|, s50
	v_add_f32_e32 v3, v48, v3
	s_or_b64 vcc, vcc, s[10:11]
	v_cndmask_b32_e32 v3, v3, v22, vcc
	v_mul_f32_e32 v14, 0.5, v3
	v_max_f32_e64 v3, |v7|, |v7|
	v_max_f32_e64 v22, |v6|, |v6|
	v_min_f32_e32 v23, v22, v3
	v_max_f32_e32 v3, v22, v3
	v_frexp_mant_f32_e32 v22, v3
	v_rcp_f32_e32 v22, v22
	v_frexp_exp_i32_f32_e32 v3, v3
	v_frexp_exp_i32_f32_e32 v24, v23
	v_frexp_mant_f32_e32 v23, v23
	v_mul_f32_e32 v22, v23, v22
	v_sub_u32_e32 v3, v24, v3
	v_ldexp_f32 v3, v22, v3
	v_mul_f32_e32 v22, v3, v3
	v_mov_b32_e32 v23, 0xbc7a590c
	v_fmac_f32_e32 v23, 0x3b2d2a58, v22
	v_fma_f32 v23, v22, v23, v31
	v_fma_f32 v23, v22, v23, v32
	;; [unrolled: 1-line block ×6, first 2 shown]
	v_mul_f32_e32 v22, v22, v23
	v_fmac_f32_e32 v3, v3, v22
	v_sub_f32_e32 v22, 0x3fc90fdb, v3
	v_cndmask_b32_e64 v3, v3, v22, s[8:9]
	v_sub_f32_e32 v22, 0x40490fdb, v3
	v_cmp_gt_f32_e32 vcc, 0, v6
	v_cmp_gt_i32_e64 s[10:11], 0, v6
	v_cndmask_b32_e32 v3, v3, v22, vcc
	v_cndmask_b32_e64 v22, 0, v39, s[10:11]
	v_cmp_eq_f32_e64 s[10:11], 0, v7
	v_cndmask_b32_e64 v3, v3, v22, s[10:11]
	v_cmp_class_f32_e64 s[10:11], v6, s51
	v_cmp_class_f32_e64 s[28:29], v7, s51
	v_cndmask_b32_e32 v22, v40, v41, vcc
	s_and_b64 vcc, s[28:29], s[10:11]
	v_cndmask_b32_e32 v46, v3, v22, vcc
                                        ; implicit-def: $vgpr22
.LBB169_242:                            ;   in Loop: Header=BB169_145 Depth=1
	s_andn2_saveexec_b64 s[26:27], s[26:27]
	s_cbranch_execz .LBB169_244
; %bb.243:                              ;   in Loop: Header=BB169_145 Depth=1
	v_mul_f32_e32 v3, 0.5, v22
	v_mul_f32_e32 v14, v22, v3
	v_max_f32_e64 v3, |v7|, |v7|
	v_max_f32_e64 v22, |v6|, |v6|
	v_min_f32_e32 v23, v22, v3
	v_max_f32_e32 v3, v22, v3
	v_frexp_mant_f32_e32 v22, v3
	v_rcp_f32_e32 v22, v22
	v_frexp_exp_i32_f32_e32 v3, v3
	v_frexp_exp_i32_f32_e32 v24, v23
	v_frexp_mant_f32_e32 v23, v23
	v_mul_f32_e32 v22, v23, v22
	v_sub_u32_e32 v3, v24, v3
	v_ldexp_f32 v3, v22, v3
	v_mul_f32_e32 v22, v3, v3
	v_mov_b32_e32 v23, 0xbc7a590c
	v_fmac_f32_e32 v23, 0x3b2d2a58, v22
	v_fma_f32 v23, v22, v23, v31
	v_fma_f32 v23, v22, v23, v32
	;; [unrolled: 1-line block ×6, first 2 shown]
	v_mul_f32_e32 v22, v22, v23
	v_fmac_f32_e32 v3, v3, v22
	v_sub_f32_e32 v22, 0x3fc90fdb, v3
	v_cndmask_b32_e64 v3, v3, v22, s[8:9]
	v_sub_f32_e32 v22, 0x40490fdb, v3
	v_cmp_gt_f32_e32 vcc, 0, v6
	v_cmp_gt_i32_e64 s[10:11], 0, v6
	v_cndmask_b32_e32 v3, v3, v22, vcc
	v_cndmask_b32_e64 v22, 0, v39, s[10:11]
	v_cmp_eq_f32_e64 s[10:11], 0, v7
	v_cndmask_b32_e64 v3, v3, v22, s[10:11]
	v_cmp_class_f32_e64 s[10:11], v6, s51
	v_cmp_class_f32_e64 s[28:29], v7, s51
	v_cndmask_b32_e32 v22, v40, v41, vcc
	s_and_b64 vcc, s[28:29], s[10:11]
	v_cndmask_b32_e32 v46, v3, v22, vcc
.LBB169_244:                            ;   in Loop: Header=BB169_145 Depth=1
	s_or_b64 exec, exec, s[26:27]
.LBB169_245:                            ;   in Loop: Header=BB169_145 Depth=1
	s_or_b64 exec, exec, s[24:25]
.LBB169_246:                            ;   in Loop: Header=BB169_145 Depth=1
	s_andn2_saveexec_b64 s[22:23], s[22:23]
	s_cbranch_execz .LBB169_248
; %bb.247:                              ;   in Loop: Header=BB169_145 Depth=1
	v_div_scale_f32 v3, s[10:11], s56, s56, v6
	v_rcp_f32_e32 v14, v3
	v_div_scale_f32 v22, vcc, v6, s56, v6
	v_fma_f32 v23, -v3, v14, 1.0
	v_fmac_f32_e32 v14, v23, v14
	v_mul_f32_e32 v23, v22, v14
	v_fma_f32 v24, -v3, v23, v22
	v_fmac_f32_e32 v23, v24, v14
	v_fma_f32 v3, -v3, v23, v22
	v_div_scale_f32 v22, s[10:11], s56, s56, v7
	v_rcp_f32_e32 v24, v22
	v_div_fmas_f32 v3, v3, v14, v23
	v_div_fixup_f32 v3, v3, s56, v6
	v_fma_f32 v14, -v22, v24, 1.0
	v_fmac_f32_e32 v24, v14, v24
	v_div_scale_f32 v14, vcc, v7, s56, v7
	v_mul_f32_e32 v23, v14, v24
	v_fma_f32 v25, -v22, v23, v14
	v_fmac_f32_e32 v23, v25, v24
	v_fma_f32 v14, -v22, v23, v14
	v_div_fmas_f32 v14, v14, v24, v23
	v_div_fixup_f32 v14, v14, s56, v7
	v_max_f32_e64 v24, |v3|, |v14|
	v_cvt_f64_f32_e32 v[22:23], v24
	v_frexp_exp_i32_f64_e32 v22, v[22:23]
	v_sub_u32_e32 v23, 0, v22
	v_ldexp_f32 v14, |v14|, v23
	v_ldexp_f32 v3, |v3|, v23
	v_mul_f32_e32 v14, v14, v14
	v_fmac_f32_e32 v14, v3, v3
	v_sqrt_f32_e32 v3, v14
	v_cmp_neq_f32_e32 vcc, s49, v24
	v_ldexp_f32 v3, v3, v22
	v_cndmask_b32_e32 v3, v44, v3, vcc
	v_cmp_gt_f32_e32 vcc, s53, v3
	v_cndmask_b32_e32 v14, 1.0, v42, vcc
	v_mul_f32_e32 v3, v3, v14
	v_log_f32_e32 v3, v3
	v_mul_f32_e32 v14, 0x3f317217, v3
	v_fma_f32 v22, v3, s54, -v14
	v_fmac_f32_e32 v22, 0x3377d1cf, v3
	v_add_f32_e32 v14, v14, v22
	v_cmp_lt_f32_e64 s[10:11], |v3|, s49
	v_cndmask_b32_e64 v3, v3, v14, s[10:11]
	v_cndmask_b32_e32 v14, 0, v43, vcc
	v_sub_f32_e32 v3, v3, v14
	v_add_f32_e32 v14, 1.0, v3
	v_max_f32_e64 v3, |v7|, |v7|
	v_max_f32_e64 v22, |v6|, |v6|
	v_min_f32_e32 v23, v22, v3
	v_max_f32_e32 v3, v22, v3
	v_frexp_mant_f32_e32 v22, v3
	v_rcp_f32_e32 v22, v22
	v_frexp_exp_i32_f32_e32 v3, v3
	v_frexp_exp_i32_f32_e32 v24, v23
	v_frexp_mant_f32_e32 v23, v23
	v_mul_f32_e32 v22, v23, v22
	v_sub_u32_e32 v3, v24, v3
	v_ldexp_f32 v3, v22, v3
	v_mul_f32_e32 v22, v3, v3
	v_mov_b32_e32 v23, 0xbc7a590c
	v_fmac_f32_e32 v23, 0x3b2d2a58, v22
	v_fma_f32 v23, v22, v23, v31
	v_fma_f32 v23, v22, v23, v32
	;; [unrolled: 1-line block ×6, first 2 shown]
	v_mul_f32_e32 v22, v22, v23
	v_fmac_f32_e32 v3, v3, v22
	v_sub_f32_e32 v22, 0x3fc90fdb, v3
	v_cndmask_b32_e64 v3, v3, v22, s[8:9]
	v_sub_f32_e32 v22, 0x40490fdb, v3
	v_cmp_gt_f32_e32 vcc, 0, v6
	v_cmp_gt_i32_e64 s[8:9], 0, v6
	v_cndmask_b32_e32 v3, v3, v22, vcc
	v_cndmask_b32_e64 v22, 0, v39, s[8:9]
	v_cmp_eq_f32_e64 s[8:9], 0, v7
	v_cndmask_b32_e64 v3, v3, v22, s[8:9]
	v_cmp_class_f32_e64 s[8:9], v6, s51
	v_cmp_class_f32_e64 s[10:11], v7, s51
	v_cndmask_b32_e32 v22, v40, v41, vcc
	s_and_b64 vcc, s[10:11], s[8:9]
	v_cndmask_b32_e32 v46, v3, v22, vcc
.LBB169_248:                            ;   in Loop: Header=BB169_145 Depth=1
	s_or_b64 exec, exec, s[22:23]
.LBB169_249:                            ;   in Loop: Header=BB169_145 Depth=1
	s_andn2_saveexec_b64 s[8:9], s[20:21]
	s_cbranch_execz .LBB169_255
; %bb.250:                              ;   in Loop: Header=BB169_145 Depth=1
	v_cmp_nlt_f32_e64 s[10:11], |v6|, s57
	v_cmp_nlt_f32_e64 s[20:21], |v7|, s57
	s_or_b64 s[10:11], s[20:21], s[10:11]
                                        ; implicit-def: $vgpr3
	s_and_saveexec_b64 s[20:21], s[10:11]
	s_xor_b64 s[10:11], exec, s[20:21]
; %bb.251:                              ;   in Loop: Header=BB169_145 Depth=1
	v_pk_mul_f32 v[22:23], v[6:7], v[6:7]
	v_add_f32_e32 v3, v23, v22
; %bb.252:                              ;   in Loop: Header=BB169_145 Depth=1
	s_andn2_saveexec_b64 s[10:11], s[10:11]
; %bb.253:                              ;   in Loop: Header=BB169_145 Depth=1
	v_pk_mul_f32 v[22:23], v[6:7], 4.0 op_sel_hi:[1,0]
	v_pk_mul_f32 v[22:23], v[22:23], v[22:23]
	v_add_f32_e32 v3, v23, v22
	v_mul_f32_e32 v3, 0x3d800000, v3
; %bb.254:                              ;   in Loop: Header=BB169_145 Depth=1
	s_or_b64 exec, exec, s[10:11]
	v_cmp_gt_f32_e32 vcc, s53, v3
	v_cndmask_b32_e32 v6, 1.0, v42, vcc
	v_mul_f32_e32 v3, v3, v6
	v_log_f32_e32 v3, v3
	v_cndmask_b32_e32 v6, 0, v43, vcc
	v_mov_b32_e32 v46, 0x7fc00000
	v_mul_f32_e32 v14, 0x3f317217, v3
	v_fma_f32 v22, v3, s54, -v14
	v_fmac_f32_e32 v22, 0x3377d1cf, v3
	v_add_f32_e32 v14, v14, v22
	v_cmp_lt_f32_e64 vcc, |v3|, s49
	v_cndmask_b32_e32 v3, v3, v14, vcc
	v_sub_f32_e32 v14, v3, v6
.LBB169_255:                            ;   in Loop: Header=BB169_145 Depth=1
	s_or_b64 exec, exec, s[8:9]
	v_cmp_o_f32_e32 vcc, v19, v18
                                        ; implicit-def: $vgpr6
                                        ; implicit-def: $vgpr3
	s_and_saveexec_b64 s[8:9], vcc
	s_xor_b64 s[20:21], exec, s[8:9]
	s_cbranch_execnz .LBB169_261
; %bb.256:                              ;   in Loop: Header=BB169_145 Depth=1
	s_andn2_saveexec_b64 s[8:9], s[20:21]
	s_cbranch_execnz .LBB169_288
.LBB169_257:                            ;   in Loop: Header=BB169_145 Depth=1
	s_or_b64 exec, exec, s[8:9]
	s_and_saveexec_b64 s[8:9], s[0:1]
	s_xor_b64 s[0:1], exec, s[8:9]
	s_cbranch_execnz .LBB169_293
.LBB169_258:                            ;   in Loop: Header=BB169_145 Depth=1
	s_or_b64 exec, exec, s[0:1]
	s_and_saveexec_b64 s[0:1], s[2:3]
	s_cbranch_execnz .LBB169_294
.LBB169_259:                            ;   in Loop: Header=BB169_145 Depth=1
	s_or_b64 exec, exec, s[0:1]
	s_and_saveexec_b64 s[0:1], s[4:5]
	s_cbranch_execnz .LBB169_295
.LBB169_260:                            ;   in Loop: Header=BB169_145 Depth=1
	s_or_b64 exec, exec, s[0:1]
	s_and_saveexec_b64 s[0:1], s[6:7]
	s_cbranch_execz .LBB169_144
	s_branch .LBB169_296
.LBB169_261:                            ;   in Loop: Header=BB169_145 Depth=1
	v_cmp_lt_f32_e64 s[8:9], |v18|, |v19|
	v_cndmask_b32_e64 v22, v19, v18, s[8:9]
	v_cmp_ngt_f32_e64 s[10:11], |v22|, s44
                                        ; implicit-def: $vgpr6
                                        ; implicit-def: $vgpr3
	s_and_saveexec_b64 s[22:23], s[10:11]
	s_xor_b64 s[22:23], exec, s[22:23]
	s_cbranch_execz .LBB169_285
; %bb.262:                              ;   in Loop: Header=BB169_145 Depth=1
	v_cndmask_b32_e64 v3, v18, v19, s[8:9]
	v_and_b32_e32 v23, 0x7fffffff, v3
	v_and_b32_e32 v22, 0x7fffffff, v22
	v_cmp_neq_f32_e32 vcc, 1.0, v23
                                        ; implicit-def: $vgpr6
                                        ; implicit-def: $vgpr3
	s_and_saveexec_b64 s[10:11], vcc
	s_xor_b64 s[24:25], exec, s[10:11]
	s_cbranch_execz .LBB169_278
; %bb.263:                              ;   in Loop: Header=BB169_145 Depth=1
	v_max_f32_e32 v3, v22, v22
	v_max_f32_e32 v6, v23, v23
	v_min_f32_e32 v24, v6, v3
	v_max_f32_e32 v3, v6, v3
	v_cmp_ngt_f32_e32 vcc, s45, v24
	v_cmp_nlt_f32_e64 s[10:11], s46, v3
	s_and_b64 s[10:11], s[10:11], vcc
                                        ; implicit-def: $vgpr6
                                        ; implicit-def: $vgpr3
	s_and_saveexec_b64 s[26:27], s[10:11]
	s_xor_b64 s[26:27], exec, s[26:27]
	s_cbranch_execz .LBB169_275
; %bb.264:                              ;   in Loop: Header=BB169_145 Depth=1
	v_cmp_le_f32_e32 vcc, 1.0, v23
                                        ; implicit-def: $vgpr6
                                        ; implicit-def: $vgpr3
	s_and_saveexec_b64 s[10:11], vcc
	s_xor_b64 s[28:29], exec, s[10:11]
	s_cbranch_execz .LBB169_266
; %bb.265:                              ;   in Loop: Header=BB169_145 Depth=1
	v_pk_add_f32 v[24:25], v[22:23], s[18:19] op_sel:[1,0]
	v_mov_b32_e32 v6, v25
	v_pk_mul_f32 v[24:25], v[24:25], v[6:7]
	v_pk_fma_f32 v[22:23], v[22:23], v[22:23], v[24:25]
	v_add_f32_e32 v25, 1.0, v22
	v_add_f32_e32 v23, -1.0, v25
	v_mov_b32_e32 v24, v23
	v_pk_add_f32 v[26:27], v[22:23], v[24:25] neg_lo:[0,1] neg_hi:[0,1]
	v_add_f32_e32 v3, 1.0, v27
	v_add_f32_e32 v3, v26, v3
	v_frexp_mant_f32_e32 v6, v25
	v_cvt_f64_f32_e32 v[26:27], v25
	v_frexp_exp_i32_f64_e32 v23, v[26:27]
	v_cmp_gt_f32_e32 vcc, s47, v6
	v_subbrev_co_u32_e32 v6, vcc, 0, v23, vcc
	v_sub_u32_e32 v23, 0, v6
	v_ldexp_f32 v24, v25, v23
	v_ldexp_f32 v3, v3, v23
	v_add_f32_e32 v23, -1.0, v24
	v_add_f32_e32 v25, 1.0, v23
	v_sub_f32_e32 v25, v24, v25
	v_add_f32_e32 v26, v3, v25
	v_add_f32_e32 v25, 1.0, v24
	v_add_f32_e32 v27, -1.0, v25
	v_sub_f32_e32 v24, v24, v27
	v_add_f32_e32 v3, v3, v24
	v_add_f32_e32 v47, v25, v3
	v_rcp_f32_e32 v52, v47
	v_sub_f32_e32 v24, v47, v25
	v_add_f32_e32 v25, v23, v26
	v_sub_f32_e32 v23, v25, v23
	v_mul_f32_e32 v53, v25, v52
	v_sub_f32_e32 v23, v26, v23
	v_mul_f32_e32 v26, v47, v53
	v_sub_f32_e32 v3, v3, v24
	v_fma_f32 v48, v53, v47, -v26
	v_fmac_f32_e32 v48, v53, v3
	v_add_f32_e32 v24, v26, v48
	v_sub_f32_e32 v27, v25, v24
	v_pk_add_f32 v[50:51], v[24:25], v[26:27] neg_lo:[0,1] neg_hi:[0,1]
	v_mov_b32_e32 v49, v24
	v_pk_add_f32 v[24:25], v[50:51], v[48:49] neg_lo:[0,1] neg_hi:[0,1]
	v_add_f32_e32 v23, v23, v25
	v_add_f32_e32 v23, v24, v23
	;; [unrolled: 1-line block ×3, first 2 shown]
	v_mul_f32_e32 v54, v52, v25
	v_mul_f32_e32 v26, v47, v54
	v_fma_f32 v48, v54, v47, -v26
	v_fmac_f32_e32 v48, v54, v3
	v_add_f32_e32 v24, v26, v48
	v_sub_f32_e32 v3, v27, v25
	v_sub_f32_e32 v27, v25, v24
	v_pk_add_f32 v[50:51], v[24:25], v[26:27] neg_lo:[0,1] neg_hi:[0,1]
	v_mov_b32_e32 v49, v24
	v_add_f32_e32 v3, v23, v3
	v_pk_add_f32 v[24:25], v[50:51], v[48:49] neg_lo:[0,1] neg_hi:[0,1]
	v_add_f32_e32 v3, v3, v25
	v_add_f32_e32 v3, v24, v3
	;; [unrolled: 1-line block ×4, first 2 shown]
	v_sub_f32_e32 v24, v23, v53
	v_mul_f32_e32 v3, v52, v3
	v_sub_f32_e32 v24, v54, v24
	v_add_f32_e32 v25, v24, v3
	v_add_f32_e32 v26, v23, v25
	v_cvt_f32_i32_e32 v24, v6
	v_mul_f32_e32 v47, v26, v26
	v_mov_b32_e32 v3, 0x3ecc95a3
	v_fmac_f32_e32 v3, 0x3e9b6dac, v47
	v_sub_f32_e32 v6, v26, v23
	v_fma_f32 v3, v47, v3, v30
	v_sub_f32_e32 v6, v25, v6
	v_mul_f32_e32 v25, v26, v47
	v_pk_mul_f32 v[48:49], v[24:25], v[2:3]
	v_ldexp_f32 v27, v26, 1
	v_fma_f32 v26, v24, s48, -v48
	v_fmac_f32_e32 v26, 0xb102e308, v24
	v_pk_add_f32 v[24:25], v[48:49], v[26:27]
	v_sub_f32_e32 v3, v25, v27
	v_ldexp_f32 v6, v6, 1
	v_sub_f32_e32 v3, v49, v3
	v_add_f32_e32 v51, v6, v3
	v_mov_b32_e32 v50, v48
	v_pk_add_f32 v[48:49], v[24:25], v[48:49] neg_lo:[0,1] neg_hi:[0,1]
	v_pk_add_f32 v[52:53], v[24:25], v[50:51]
	v_mov_b32_e32 v49, v53
	v_mov_b32_e32 v27, v24
	v_pk_add_f32 v[54:55], v[26:27], v[48:49] neg_lo:[0,1] neg_hi:[0,1]
	v_pk_add_f32 v[26:27], v[26:27], v[48:49]
	v_mov_b32_e32 v6, v27
	v_pk_add_f32 v[48:49], v[6:7], v[24:25] neg_lo:[0,1] neg_hi:[0,1]
	v_mov_b32_e32 v3, v48
	v_pk_add_f32 v[56:57], v[52:53], v[2:3] neg_lo:[0,1] neg_hi:[0,1]
	v_mov_b32_e32 v26, v53
	v_mov_b32_e32 v52, v25
	;; [unrolled: 1-line block ×4, first 2 shown]
	v_pk_add_f32 v[26:27], v[26:27], v[52:53] neg_lo:[0,1] neg_hi:[0,1]
	v_mov_b32_e32 v48, v51
	v_mov_b32_e32 v49, v24
	v_pk_add_f32 v[24:25], v[48:49], v[26:27] neg_lo:[0,1] neg_hi:[0,1]
	v_mov_b32_e32 v56, v54
	v_pk_add_f32 v[26:27], v[56:57], v[24:25]
	v_mov_b32_e32 v48, v27
	v_pk_add_f32 v[48:49], v[26:27], v[48:49]
	v_pk_add_f32 v[50:51], v[6:7], v[48:49]
	v_mov_b32_e32 v27, v50
	v_pk_add_f32 v[52:53], v[26:27], v[54:55] neg_lo:[0,1] neg_hi:[0,1]
	v_mov_b32_e32 v25, v48
	v_sub_f32_e32 v3, v26, v52
	v_pk_add_f32 v[24:25], v[24:25], v[52:53] neg_lo:[0,1] neg_hi:[0,1]
	v_sub_f32_e32 v3, v54, v3
	v_add_f32_e32 v3, v24, v3
	v_add_f32_e32 v3, v3, v25
	;; [unrolled: 1-line block ×3, first 2 shown]
	v_cmp_eq_f32_e32 vcc, s49, v22
	v_cndmask_b32_e32 v3, v3, v22, vcc
	v_cmp_ngt_f32_e32 vcc, -1.0, v22
	v_cndmask_b32_e32 v3, v37, v3, vcc
	v_cmp_neq_f32_e32 vcc, -1.0, v22
	v_cndmask_b32_e32 v3, v38, v3, vcc
	v_cmp_lt_f32_e64 vcc, |v22|, s50
	v_cndmask_b32_e32 v3, v3, v22, vcc
	v_mul_f32_e32 v6, 0.5, v3
	v_max_f32_e64 v3, |v19|, |v19|
	v_max_f32_e64 v22, |v18|, |v18|
	v_min_f32_e32 v23, v22, v3
	v_max_f32_e32 v3, v22, v3
	v_frexp_mant_f32_e32 v22, v3
	v_rcp_f32_e32 v22, v22
	v_frexp_exp_i32_f32_e32 v3, v3
	v_frexp_exp_i32_f32_e32 v24, v23
	v_frexp_mant_f32_e32 v23, v23
	v_mul_f32_e32 v22, v23, v22
	v_sub_u32_e32 v3, v24, v3
	v_ldexp_f32 v3, v22, v3
	v_mul_f32_e32 v22, v3, v3
	v_mov_b32_e32 v23, 0xbc7a590c
	v_fmac_f32_e32 v23, 0x3b2d2a58, v22
	v_fma_f32 v23, v22, v23, v31
	v_fma_f32 v23, v22, v23, v32
	;; [unrolled: 1-line block ×6, first 2 shown]
	v_mul_f32_e32 v22, v22, v23
	v_fmac_f32_e32 v3, v3, v22
	v_sub_f32_e32 v22, 0x3fc90fdb, v3
	v_cndmask_b32_e64 v3, v3, v22, s[8:9]
	v_sub_f32_e32 v22, 0x40490fdb, v3
	v_cmp_gt_f32_e32 vcc, 0, v18
	v_cmp_gt_i32_e64 s[10:11], 0, v18
	v_cndmask_b32_e32 v3, v3, v22, vcc
	v_cndmask_b32_e64 v22, 0, v39, s[10:11]
	v_cmp_eq_f32_e64 s[10:11], 0, v19
	v_cndmask_b32_e64 v3, v3, v22, s[10:11]
	v_cmp_class_f32_e64 s[10:11], v18, s51
	v_cmp_class_f32_e64 s[30:31], v19, s51
	v_cndmask_b32_e32 v22, v40, v41, vcc
	s_and_b64 vcc, s[30:31], s[10:11]
	v_cndmask_b32_e32 v3, v3, v22, vcc
                                        ; implicit-def: $vgpr22_vgpr23
.LBB169_266:                            ;   in Loop: Header=BB169_145 Depth=1
	s_andn2_saveexec_b64 s[28:29], s[28:29]
	s_cbranch_execz .LBB169_274
; %bb.267:                              ;   in Loop: Header=BB169_145 Depth=1
	v_pk_mul_f32 v[24:25], v[22:23], v[22:23]
	v_add_f32_e32 v24, v25, v24
	v_cmp_ge_f32_e32 vcc, s52, v24
                                        ; implicit-def: $vgpr6
                                        ; implicit-def: $vgpr3
	s_and_saveexec_b64 s[10:11], vcc
	s_xor_b64 s[30:31], exec, s[10:11]
	s_cbranch_execz .LBB169_269
; %bb.268:                              ;   in Loop: Header=BB169_145 Depth=1
	v_cmp_gt_f32_e32 vcc, s53, v24
	v_cndmask_b32_e32 v3, 1.0, v42, vcc
	v_mul_f32_e32 v3, v24, v3
	v_log_f32_e32 v3, v3
	v_cndmask_b32_e32 v6, 0, v43, vcc
	v_cmp_gt_i32_e64 s[10:11], 0, v18
	v_cmp_class_f32_e64 s[34:35], v19, s51
	v_mul_f32_e32 v22, 0x3f317217, v3
	v_fma_f32 v23, v3, s54, -v22
	v_fmac_f32_e32 v23, 0x3377d1cf, v3
	v_add_f32_e32 v22, v22, v23
	v_cmp_lt_f32_e64 vcc, |v3|, s49
	v_cndmask_b32_e32 v3, v3, v22, vcc
	v_sub_f32_e32 v3, v3, v6
	v_mul_f32_e32 v6, 0.5, v3
	v_max_f32_e64 v3, |v19|, |v19|
	v_max_f32_e64 v22, |v18|, |v18|
	v_min_f32_e32 v23, v22, v3
	v_max_f32_e32 v3, v22, v3
	v_frexp_mant_f32_e32 v22, v3
	v_rcp_f32_e32 v22, v22
	v_frexp_exp_i32_f32_e32 v3, v3
	v_frexp_exp_i32_f32_e32 v24, v23
	v_frexp_mant_f32_e32 v23, v23
	v_mul_f32_e32 v22, v23, v22
	v_sub_u32_e32 v3, v24, v3
	v_ldexp_f32 v3, v22, v3
	v_mul_f32_e32 v22, v3, v3
	v_mov_b32_e32 v23, 0xbc7a590c
	v_fmac_f32_e32 v23, 0x3b2d2a58, v22
	v_fma_f32 v23, v22, v23, v31
	v_fma_f32 v23, v22, v23, v32
	;; [unrolled: 1-line block ×6, first 2 shown]
	v_mul_f32_e32 v22, v22, v23
	v_fmac_f32_e32 v3, v3, v22
	v_sub_f32_e32 v22, 0x3fc90fdb, v3
	v_cndmask_b32_e64 v3, v3, v22, s[8:9]
	v_sub_f32_e32 v22, 0x40490fdb, v3
	v_cmp_gt_f32_e32 vcc, 0, v18
	v_cndmask_b32_e32 v3, v3, v22, vcc
	v_cndmask_b32_e64 v22, 0, v39, s[10:11]
	v_cmp_eq_f32_e64 s[10:11], 0, v19
	v_cndmask_b32_e64 v3, v3, v22, s[10:11]
	v_cmp_class_f32_e64 s[10:11], v18, s51
	v_cndmask_b32_e32 v22, v40, v41, vcc
	s_and_b64 vcc, s[34:35], s[10:11]
	v_cndmask_b32_e32 v3, v3, v22, vcc
                                        ; implicit-def: $vgpr22_vgpr23
.LBB169_269:                            ;   in Loop: Header=BB169_145 Depth=1
	s_andn2_saveexec_b64 s[30:31], s[30:31]
	s_cbranch_execz .LBB169_273
; %bb.270:                              ;   in Loop: Header=BB169_145 Depth=1
	v_and_b32_e32 v25, 0x7fff0000, v22
	v_and_b32_e32 v24, 0x7fff0000, v23
	v_pk_add_f32 v[22:23], v[22:23], v[24:25] op_sel:[1,0] op_sel_hi:[0,1] neg_lo:[0,1] neg_hi:[0,1]
	v_and_b32_e32 v27, 0xffff0000, v23
	v_and_b32_e32 v26, 0xffff0000, v22
	v_add_f32_e32 v47, v24, v24
	v_pk_add_f32 v[52:53], v[22:23], v[26:27] neg_lo:[0,1] neg_hi:[0,1]
	v_pk_mul_f32 v[22:23], v[24:25], v[24:25]
	v_mul_f32_e32 v6, v47, v26
	v_add_f32_e32 v49, v25, v25
	v_pk_mul_f32 v[24:25], v[26:27], v[26:27]
	v_add_f32_e32 v26, v26, v26
	v_mul_f32_e32 v3, v49, v27
	v_mul_f32_e32 v48, v47, v52
	;; [unrolled: 1-line block ×4, first 2 shown]
	v_add_f32_e32 v26, v27, v27
	v_mul_f32_e32 v50, v26, v53
	v_pk_mul_f32 v[26:27], v[52:53], v[52:53]
	s_mov_b64 s[34:35], 0
.LBB169_271:                            ;   Parent Loop BB169_145 Depth=1
                                        ; =>  This Inner Loop Header: Depth=2
	v_cmp_nlt_f32_e32 vcc, v22, v23
	v_cndmask_b32_e32 v51, v22, v23, vcc
	v_cmp_nlt_f32_e64 s[10:11], v51, v6
	v_cndmask_b32_e64 v52, v51, v6, s[10:11]
	v_cndmask_b32_e32 v22, v23, v22, vcc
	s_and_b64 s[58:59], vcc, s[10:11]
	v_cmp_nlt_f32_e32 vcc, v52, v3
	v_cndmask_b32_e64 v23, v6, v51, s[10:11]
	v_cndmask_b32_e32 v51, v52, v3, vcc
	v_cmp_nlt_f32_e64 s[10:11], v51, v24
	v_cndmask_b32_e32 v6, v3, v52, vcc
	v_cndmask_b32_e64 v52, v51, v24, s[10:11]
	s_and_b64 s[60:61], vcc, s[10:11]
	v_cmp_nlt_f32_e32 vcc, v52, v25
	v_cndmask_b32_e64 v3, v24, v51, s[10:11]
	v_cndmask_b32_e32 v51, v52, v25, vcc
	v_cmp_nlt_f32_e64 s[10:11], v51, v48
	v_cndmask_b32_e32 v24, v25, v52, vcc
	v_cndmask_b32_e64 v52, v51, v48, s[10:11]
	v_cndmask_b32_e64 v25, v48, v51, s[10:11]
	s_and_b64 s[10:11], vcc, s[10:11]
	v_cmp_nlt_f32_e32 vcc, v52, v47
	v_cndmask_b32_e32 v51, v52, v47, vcc
	v_cndmask_b32_e32 v48, v47, v52, vcc
	s_and_b64 s[10:11], s[10:11], vcc
	v_cmp_nlt_f32_e32 vcc, v51, v49
	v_cndmask_b32_e32 v52, v51, v49, vcc
	v_cndmask_b32_e32 v47, v49, v51, vcc
	s_and_b64 s[10:11], s[10:11], vcc
	;; [unrolled: 4-line block ×4, first 2 shown]
	v_cmp_nlt_f32_e32 vcc, v52, v27
	s_and_b64 s[10:11], s[10:11], vcc
	s_and_b64 s[10:11], s[10:11], s[60:61]
	s_and_b64 s[10:11], s[10:11], s[58:59]
	s_and_b64 s[10:11], exec, s[10:11]
	v_cndmask_b32_e32 v26, v27, v52, vcc
	s_or_b64 s[34:35], s[10:11], s[34:35]
	v_cndmask_b32_e32 v27, v52, v27, vcc
	s_andn2_b64 exec, exec, s[34:35]
	s_cbranch_execnz .LBB169_271
; %bb.272:                              ;   in Loop: Header=BB169_145 Depth=1
	s_or_b64 exec, exec, s[34:35]
	v_add_f32_e32 v22, -1.0, v22
	v_add_f32_e32 v22, v22, v23
	v_add_f32_e32 v6, v22, v6
	v_add_f32_e32 v3, v6, v3
	v_add_f32_e32 v3, v3, v24
	v_add_f32_e32 v3, v3, v25
	v_add_f32_e32 v3, v3, v48
	v_add_f32_e32 v3, v3, v47
	v_add_f32_e32 v3, v3, v49
	v_add_f32_e32 v3, v3, v50
	v_add_f32_e32 v3, v3, v26
	v_add_f32_e32 v22, v27, v3
	v_add_f32_e32 v25, 1.0, v22
	v_add_f32_e32 v23, -1.0, v25
	v_mov_b32_e32 v24, v23
	v_pk_add_f32 v[26:27], v[22:23], v[24:25] neg_lo:[0,1] neg_hi:[0,1]
	v_add_f32_e32 v3, 1.0, v27
	v_add_f32_e32 v3, v26, v3
	v_frexp_mant_f32_e32 v6, v25
	v_cvt_f64_f32_e32 v[26:27], v25
	v_frexp_exp_i32_f64_e32 v23, v[26:27]
	v_cmp_gt_f32_e32 vcc, s47, v6
	v_subbrev_co_u32_e32 v6, vcc, 0, v23, vcc
	v_sub_u32_e32 v23, 0, v6
	v_ldexp_f32 v24, v25, v23
	v_ldexp_f32 v3, v3, v23
	v_add_f32_e32 v23, -1.0, v24
	v_add_f32_e32 v25, 1.0, v23
	v_sub_f32_e32 v25, v24, v25
	v_add_f32_e32 v26, v3, v25
	v_add_f32_e32 v25, 1.0, v24
	v_add_f32_e32 v27, -1.0, v25
	v_sub_f32_e32 v24, v24, v27
	v_add_f32_e32 v3, v3, v24
	v_add_f32_e32 v47, v25, v3
	v_rcp_f32_e32 v52, v47
	v_sub_f32_e32 v24, v47, v25
	v_add_f32_e32 v25, v23, v26
	v_sub_f32_e32 v23, v25, v23
	v_mul_f32_e32 v53, v25, v52
	v_sub_f32_e32 v23, v26, v23
	v_mul_f32_e32 v26, v47, v53
	v_sub_f32_e32 v3, v3, v24
	v_fma_f32 v48, v53, v47, -v26
	v_fmac_f32_e32 v48, v53, v3
	v_add_f32_e32 v24, v26, v48
	v_sub_f32_e32 v27, v25, v24
	v_pk_add_f32 v[50:51], v[24:25], v[26:27] neg_lo:[0,1] neg_hi:[0,1]
	v_mov_b32_e32 v49, v24
	v_pk_add_f32 v[24:25], v[50:51], v[48:49] neg_lo:[0,1] neg_hi:[0,1]
	v_add_f32_e32 v23, v23, v25
	v_add_f32_e32 v23, v24, v23
	;; [unrolled: 1-line block ×3, first 2 shown]
	v_mul_f32_e32 v54, v52, v25
	v_mul_f32_e32 v26, v47, v54
	v_fma_f32 v48, v54, v47, -v26
	v_fmac_f32_e32 v48, v54, v3
	v_add_f32_e32 v24, v26, v48
	v_sub_f32_e32 v3, v27, v25
	v_sub_f32_e32 v27, v25, v24
	v_pk_add_f32 v[50:51], v[24:25], v[26:27] neg_lo:[0,1] neg_hi:[0,1]
	v_mov_b32_e32 v49, v24
	v_add_f32_e32 v3, v23, v3
	v_pk_add_f32 v[24:25], v[50:51], v[48:49] neg_lo:[0,1] neg_hi:[0,1]
	v_add_f32_e32 v3, v3, v25
	v_add_f32_e32 v3, v24, v3
	;; [unrolled: 1-line block ×4, first 2 shown]
	v_sub_f32_e32 v24, v23, v53
	v_mul_f32_e32 v3, v52, v3
	v_sub_f32_e32 v24, v54, v24
	v_add_f32_e32 v25, v24, v3
	v_add_f32_e32 v26, v23, v25
	v_cvt_f32_i32_e32 v24, v6
	v_mul_f32_e32 v47, v26, v26
	v_mov_b32_e32 v3, 0x3ecc95a3
	v_fmac_f32_e32 v3, 0x3e9b6dac, v47
	v_sub_f32_e32 v6, v26, v23
	v_fma_f32 v3, v47, v3, v30
	v_sub_f32_e32 v6, v25, v6
	v_mul_f32_e32 v25, v26, v47
	v_pk_mul_f32 v[48:49], v[24:25], v[2:3]
	v_ldexp_f32 v27, v26, 1
	v_fma_f32 v26, v24, s48, -v48
	v_fmac_f32_e32 v26, 0xb102e308, v24
	v_pk_add_f32 v[24:25], v[48:49], v[26:27]
	v_sub_f32_e32 v3, v25, v27
	v_ldexp_f32 v6, v6, 1
	v_sub_f32_e32 v3, v49, v3
	v_add_f32_e32 v51, v6, v3
	v_mov_b32_e32 v50, v48
	v_pk_add_f32 v[48:49], v[24:25], v[48:49] neg_lo:[0,1] neg_hi:[0,1]
	v_pk_add_f32 v[52:53], v[24:25], v[50:51]
	v_mov_b32_e32 v49, v53
	v_mov_b32_e32 v27, v24
	v_pk_add_f32 v[54:55], v[26:27], v[48:49] neg_lo:[0,1] neg_hi:[0,1]
	v_pk_add_f32 v[26:27], v[26:27], v[48:49]
	v_mov_b32_e32 v6, v27
	v_pk_add_f32 v[48:49], v[6:7], v[24:25] neg_lo:[0,1] neg_hi:[0,1]
	v_mov_b32_e32 v3, v48
	v_pk_add_f32 v[56:57], v[52:53], v[2:3] neg_lo:[0,1] neg_hi:[0,1]
	v_mov_b32_e32 v26, v53
	v_mov_b32_e32 v52, v25
	;; [unrolled: 1-line block ×4, first 2 shown]
	v_pk_add_f32 v[26:27], v[26:27], v[52:53] neg_lo:[0,1] neg_hi:[0,1]
	v_mov_b32_e32 v48, v51
	v_mov_b32_e32 v49, v24
	v_pk_add_f32 v[24:25], v[48:49], v[26:27] neg_lo:[0,1] neg_hi:[0,1]
	v_mov_b32_e32 v56, v54
	v_pk_add_f32 v[26:27], v[56:57], v[24:25]
	v_mov_b32_e32 v48, v27
	v_pk_add_f32 v[48:49], v[26:27], v[48:49]
	v_pk_add_f32 v[50:51], v[6:7], v[48:49]
	v_mov_b32_e32 v27, v50
	v_pk_add_f32 v[52:53], v[26:27], v[54:55] neg_lo:[0,1] neg_hi:[0,1]
	v_mov_b32_e32 v25, v48
	v_sub_f32_e32 v3, v26, v52
	v_pk_add_f32 v[24:25], v[24:25], v[52:53] neg_lo:[0,1] neg_hi:[0,1]
	v_sub_f32_e32 v3, v54, v3
	v_add_f32_e32 v3, v24, v3
	v_add_f32_e32 v3, v3, v25
	;; [unrolled: 1-line block ×3, first 2 shown]
	v_cmp_eq_f32_e32 vcc, s49, v22
	v_cndmask_b32_e32 v3, v3, v22, vcc
	v_cmp_ngt_f32_e32 vcc, -1.0, v22
	v_cndmask_b32_e32 v3, v37, v3, vcc
	v_cmp_neq_f32_e32 vcc, -1.0, v22
	v_cndmask_b32_e32 v3, v38, v3, vcc
	v_cmp_lt_f32_e64 vcc, |v22|, s50
	v_cndmask_b32_e32 v3, v3, v22, vcc
	v_mul_f32_e32 v6, 0.5, v3
	v_max_f32_e64 v3, |v19|, |v19|
	v_max_f32_e64 v22, |v18|, |v18|
	v_min_f32_e32 v23, v22, v3
	v_max_f32_e32 v3, v22, v3
	v_frexp_mant_f32_e32 v22, v3
	v_rcp_f32_e32 v22, v22
	v_frexp_exp_i32_f32_e32 v3, v3
	v_frexp_exp_i32_f32_e32 v24, v23
	v_frexp_mant_f32_e32 v23, v23
	v_mul_f32_e32 v22, v23, v22
	v_sub_u32_e32 v3, v24, v3
	v_ldexp_f32 v3, v22, v3
	v_mul_f32_e32 v22, v3, v3
	v_mov_b32_e32 v23, 0xbc7a590c
	v_fmac_f32_e32 v23, 0x3b2d2a58, v22
	v_fma_f32 v23, v22, v23, v31
	v_fma_f32 v23, v22, v23, v32
	;; [unrolled: 1-line block ×6, first 2 shown]
	v_mul_f32_e32 v22, v22, v23
	v_fmac_f32_e32 v3, v3, v22
	v_sub_f32_e32 v22, 0x3fc90fdb, v3
	v_cndmask_b32_e64 v3, v3, v22, s[8:9]
	v_sub_f32_e32 v22, 0x40490fdb, v3
	v_cmp_gt_f32_e32 vcc, 0, v18
	v_cmp_gt_i32_e64 s[10:11], 0, v18
	v_cndmask_b32_e32 v3, v3, v22, vcc
	v_cndmask_b32_e64 v22, 0, v39, s[10:11]
	v_cmp_eq_f32_e64 s[10:11], 0, v19
	v_cndmask_b32_e64 v3, v3, v22, s[10:11]
	v_cmp_class_f32_e64 s[10:11], v18, s51
	v_cmp_class_f32_e64 s[34:35], v19, s51
	v_cndmask_b32_e32 v22, v40, v41, vcc
	s_and_b64 vcc, s[34:35], s[10:11]
	v_cndmask_b32_e32 v3, v3, v22, vcc
.LBB169_273:                            ;   in Loop: Header=BB169_145 Depth=1
	s_or_b64 exec, exec, s[30:31]
.LBB169_274:                            ;   in Loop: Header=BB169_145 Depth=1
	s_or_b64 exec, exec, s[28:29]
.LBB169_275:                            ;   in Loop: Header=BB169_145 Depth=1
	s_andn2_saveexec_b64 s[26:27], s[26:27]
	s_cbranch_execz .LBB169_277
; %bb.276:                              ;   in Loop: Header=BB169_145 Depth=1
	v_max_f32_e64 v3, |v19|, |v19|
	v_max_f32_e64 v24, |v18|, |v18|
	v_max_f32_e32 v25, v24, v3
	v_cvt_f64_f32_e32 v[22:23], v25
	v_frexp_exp_i32_f64_e32 v6, v[22:23]
	v_sub_u32_e32 v22, 0, v6
	v_ldexp_f32 v23, |v18|, v22
	v_ldexp_f32 v22, |v19|, v22
	v_mul_f32_e32 v22, v22, v22
	v_fmac_f32_e32 v22, v23, v23
	v_sqrt_f32_e32 v22, v22
	v_cmp_neq_f32_e32 vcc, s49, v25
	v_min_f32_e32 v3, v24, v3
	v_frexp_exp_i32_f32_e32 v24, v3
	v_ldexp_f32 v6, v22, v6
	v_cndmask_b32_e32 v6, v44, v6, vcc
	v_cmp_gt_f32_e32 vcc, s53, v6
	v_cndmask_b32_e32 v22, 1.0, v42, vcc
	v_mul_f32_e32 v6, v6, v22
	v_log_f32_e32 v6, v6
	v_cndmask_b32_e32 v22, 0, v43, vcc
	v_frexp_mant_f32_e32 v3, v3
	v_cmp_gt_i32_e64 s[10:11], 0, v18
	v_mul_f32_e32 v23, 0x3f317217, v6
	v_fma_f32 v26, v6, s54, -v23
	v_fmac_f32_e32 v26, 0x3377d1cf, v6
	v_add_f32_e32 v23, v23, v26
	v_cmp_lt_f32_e64 vcc, |v6|, s49
	v_cndmask_b32_e32 v6, v6, v23, vcc
	v_sub_f32_e32 v6, v6, v22
	v_frexp_mant_f32_e32 v22, v25
	v_rcp_f32_e32 v22, v22
	v_frexp_exp_i32_f32_e32 v23, v25
	v_cmp_gt_f32_e32 vcc, 0, v18
	v_cmp_class_f32_e64 s[28:29], v19, s51
	v_mul_f32_e32 v3, v3, v22
	v_sub_u32_e32 v22, v24, v23
	v_ldexp_f32 v3, v3, v22
	v_mul_f32_e32 v22, v3, v3
	v_mov_b32_e32 v23, 0xbc7a590c
	v_fmac_f32_e32 v23, 0x3b2d2a58, v22
	v_fma_f32 v23, v22, v23, v31
	v_fma_f32 v23, v22, v23, v32
	v_fma_f32 v23, v22, v23, v33
	v_fma_f32 v23, v22, v23, v34
	v_fma_f32 v23, v22, v23, v35
	v_fma_f32 v23, v22, v23, v36
	v_mul_f32_e32 v22, v22, v23
	v_fmac_f32_e32 v3, v3, v22
	v_sub_f32_e32 v22, 0x3fc90fdb, v3
	v_cndmask_b32_e64 v3, v3, v22, s[8:9]
	v_sub_f32_e32 v22, 0x40490fdb, v3
	v_cndmask_b32_e32 v3, v3, v22, vcc
	v_cndmask_b32_e64 v22, 0, v39, s[10:11]
	v_cmp_eq_f32_e64 s[10:11], 0, v19
	v_cndmask_b32_e64 v3, v3, v22, s[10:11]
	v_cmp_class_f32_e64 s[10:11], v18, s51
	v_cndmask_b32_e32 v22, v40, v41, vcc
	s_and_b64 vcc, s[28:29], s[10:11]
	v_cndmask_b32_e32 v3, v3, v22, vcc
.LBB169_277:                            ;   in Loop: Header=BB169_145 Depth=1
	s_or_b64 exec, exec, s[26:27]
                                        ; implicit-def: $vgpr22
.LBB169_278:                            ;   in Loop: Header=BB169_145 Depth=1
	s_andn2_saveexec_b64 s[24:25], s[24:25]
	s_cbranch_execz .LBB169_284
; %bb.279:                              ;   in Loop: Header=BB169_145 Depth=1
	v_cmp_ngt_f32_e32 vcc, s55, v22
                                        ; implicit-def: $vgpr6
                                        ; implicit-def: $vgpr3
	s_and_saveexec_b64 s[10:11], vcc
	s_xor_b64 s[26:27], exec, s[10:11]
	s_cbranch_execz .LBB169_281
; %bb.280:                              ;   in Loop: Header=BB169_145 Depth=1
	v_pk_mul_f32 v[22:23], v[22:23], v[22:23]
	v_add_f32_e32 v25, 1.0, v22
	v_add_f32_e32 v23, -1.0, v25
	v_mov_b32_e32 v24, v23
	v_pk_add_f32 v[26:27], v[22:23], v[24:25] neg_lo:[0,1] neg_hi:[0,1]
	v_add_f32_e32 v3, 1.0, v27
	v_add_f32_e32 v3, v26, v3
	v_frexp_mant_f32_e32 v6, v25
	v_cvt_f64_f32_e32 v[26:27], v25
	v_frexp_exp_i32_f64_e32 v23, v[26:27]
	v_cmp_gt_f32_e32 vcc, s47, v6
	v_subbrev_co_u32_e32 v6, vcc, 0, v23, vcc
	v_sub_u32_e32 v23, 0, v6
	v_ldexp_f32 v24, v25, v23
	v_ldexp_f32 v3, v3, v23
	v_add_f32_e32 v23, -1.0, v24
	v_add_f32_e32 v25, 1.0, v23
	v_sub_f32_e32 v25, v24, v25
	v_add_f32_e32 v26, v3, v25
	v_add_f32_e32 v25, 1.0, v24
	v_add_f32_e32 v27, -1.0, v25
	v_sub_f32_e32 v24, v24, v27
	v_add_f32_e32 v3, v3, v24
	v_add_f32_e32 v47, v25, v3
	v_rcp_f32_e32 v52, v47
	v_sub_f32_e32 v24, v25, v47
	v_add_f32_e32 v25, v23, v26
	v_sub_f32_e32 v23, v23, v25
	v_mul_f32_e32 v53, v25, v52
	v_add_f32_e32 v23, v26, v23
	v_mul_f32_e32 v26, v47, v53
	v_add_f32_e32 v3, v3, v24
	v_fma_f32 v48, v53, v47, -v26
	v_fmac_f32_e32 v48, v53, v3
	v_add_f32_e32 v24, v26, v48
	v_sub_f32_e32 v27, v25, v24
	v_pk_add_f32 v[50:51], v[24:25], v[26:27] neg_lo:[0,1] neg_hi:[0,1]
	v_mov_b32_e32 v49, v24
	v_pk_add_f32 v[24:25], v[50:51], v[48:49] neg_lo:[0,1] neg_hi:[0,1]
	v_add_f32_e32 v23, v23, v25
	v_add_f32_e32 v23, v24, v23
	;; [unrolled: 1-line block ×3, first 2 shown]
	v_mul_f32_e32 v54, v52, v25
	v_mul_f32_e32 v26, v47, v54
	v_fma_f32 v48, v54, v47, -v26
	v_fmac_f32_e32 v48, v54, v3
	v_add_f32_e32 v24, v26, v48
	v_sub_f32_e32 v3, v27, v25
	v_sub_f32_e32 v27, v25, v24
	v_pk_add_f32 v[50:51], v[24:25], v[26:27] neg_lo:[0,1] neg_hi:[0,1]
	v_mov_b32_e32 v49, v24
	v_add_f32_e32 v3, v23, v3
	v_pk_add_f32 v[24:25], v[50:51], v[48:49] neg_lo:[0,1] neg_hi:[0,1]
	v_add_f32_e32 v3, v3, v25
	v_add_f32_e32 v3, v24, v3
	;; [unrolled: 1-line block ×4, first 2 shown]
	v_sub_f32_e32 v24, v23, v53
	v_mul_f32_e32 v3, v52, v3
	v_sub_f32_e32 v24, v54, v24
	v_add_f32_e32 v25, v24, v3
	v_add_f32_e32 v26, v23, v25
	v_cvt_f32_i32_e32 v24, v6
	v_mul_f32_e32 v47, v26, v26
	v_mov_b32_e32 v3, 0x3ecc95a3
	v_fmac_f32_e32 v3, 0x3e9b6dac, v47
	v_sub_f32_e32 v6, v26, v23
	v_fma_f32 v3, v47, v3, v30
	v_sub_f32_e32 v6, v25, v6
	v_mul_f32_e32 v25, v26, v47
	v_pk_mul_f32 v[48:49], v[24:25], v[2:3]
	v_ldexp_f32 v27, v26, 1
	v_fma_f32 v26, v24, s48, -v48
	v_fmac_f32_e32 v26, 0xb102e308, v24
	v_pk_add_f32 v[24:25], v[48:49], v[26:27]
	v_sub_f32_e32 v3, v25, v27
	v_ldexp_f32 v6, v6, 1
	v_sub_f32_e32 v3, v49, v3
	v_add_f32_e32 v51, v6, v3
	v_mov_b32_e32 v50, v48
	v_pk_add_f32 v[48:49], v[24:25], v[48:49] neg_lo:[0,1] neg_hi:[0,1]
	v_pk_add_f32 v[52:53], v[24:25], v[50:51]
	v_mov_b32_e32 v49, v53
	v_mov_b32_e32 v27, v24
	v_pk_add_f32 v[54:55], v[26:27], v[48:49] neg_lo:[0,1] neg_hi:[0,1]
	v_pk_add_f32 v[26:27], v[26:27], v[48:49]
	v_mov_b32_e32 v6, v27
	v_pk_add_f32 v[48:49], v[6:7], v[24:25] neg_lo:[0,1] neg_hi:[0,1]
	v_mov_b32_e32 v3, v48
	v_pk_add_f32 v[56:57], v[52:53], v[2:3] neg_lo:[0,1] neg_hi:[0,1]
	v_mov_b32_e32 v26, v53
	v_mov_b32_e32 v52, v25
	;; [unrolled: 1-line block ×4, first 2 shown]
	v_pk_add_f32 v[26:27], v[26:27], v[52:53] neg_lo:[0,1] neg_hi:[0,1]
	v_mov_b32_e32 v48, v51
	v_mov_b32_e32 v49, v24
	v_pk_add_f32 v[24:25], v[48:49], v[26:27] neg_lo:[0,1] neg_hi:[0,1]
	v_mov_b32_e32 v56, v54
	v_pk_add_f32 v[26:27], v[56:57], v[24:25]
	v_mov_b32_e32 v48, v27
	v_pk_add_f32 v[48:49], v[26:27], v[48:49]
	v_pk_add_f32 v[50:51], v[6:7], v[48:49]
	v_mov_b32_e32 v27, v50
	v_pk_add_f32 v[52:53], v[26:27], v[54:55] neg_lo:[0,1] neg_hi:[0,1]
	v_mov_b32_e32 v25, v48
	v_sub_f32_e32 v3, v26, v52
	v_pk_add_f32 v[24:25], v[24:25], v[52:53] neg_lo:[0,1] neg_hi:[0,1]
	v_sub_f32_e32 v3, v54, v3
	v_add_f32_e32 v3, v24, v3
	v_add_f32_e32 v3, v3, v25
	v_cmp_eq_f32_e32 vcc, s49, v22
	v_cmp_lt_f32_e64 s[10:11], |v22|, s50
	v_add_f32_e32 v3, v50, v3
	s_or_b64 vcc, vcc, s[10:11]
	v_cndmask_b32_e32 v3, v3, v22, vcc
	v_mul_f32_e32 v6, 0.5, v3
	v_max_f32_e64 v3, |v19|, |v19|
	v_max_f32_e64 v22, |v18|, |v18|
	v_min_f32_e32 v23, v22, v3
	v_max_f32_e32 v3, v22, v3
	v_frexp_mant_f32_e32 v22, v3
	v_rcp_f32_e32 v22, v22
	v_frexp_exp_i32_f32_e32 v3, v3
	v_frexp_exp_i32_f32_e32 v24, v23
	v_frexp_mant_f32_e32 v23, v23
	v_mul_f32_e32 v22, v23, v22
	v_sub_u32_e32 v3, v24, v3
	v_ldexp_f32 v3, v22, v3
	v_mul_f32_e32 v22, v3, v3
	v_mov_b32_e32 v23, 0xbc7a590c
	v_fmac_f32_e32 v23, 0x3b2d2a58, v22
	v_fma_f32 v23, v22, v23, v31
	v_fma_f32 v23, v22, v23, v32
	v_fma_f32 v23, v22, v23, v33
	v_fma_f32 v23, v22, v23, v34
	v_fma_f32 v23, v22, v23, v35
	v_fma_f32 v23, v22, v23, v36
	v_mul_f32_e32 v22, v22, v23
	v_fmac_f32_e32 v3, v3, v22
	v_sub_f32_e32 v22, 0x3fc90fdb, v3
	v_cndmask_b32_e64 v3, v3, v22, s[8:9]
	v_sub_f32_e32 v22, 0x40490fdb, v3
	v_cmp_gt_f32_e32 vcc, 0, v18
	v_cmp_gt_i32_e64 s[10:11], 0, v18
	v_cndmask_b32_e32 v3, v3, v22, vcc
	v_cndmask_b32_e64 v22, 0, v39, s[10:11]
	v_cmp_eq_f32_e64 s[10:11], 0, v19
	v_cndmask_b32_e64 v3, v3, v22, s[10:11]
	v_cmp_class_f32_e64 s[10:11], v18, s51
	v_cmp_class_f32_e64 s[28:29], v19, s51
	v_cndmask_b32_e32 v22, v40, v41, vcc
	s_and_b64 vcc, s[28:29], s[10:11]
	v_cndmask_b32_e32 v3, v3, v22, vcc
                                        ; implicit-def: $vgpr22
.LBB169_281:                            ;   in Loop: Header=BB169_145 Depth=1
	s_andn2_saveexec_b64 s[26:27], s[26:27]
	s_cbranch_execz .LBB169_283
; %bb.282:                              ;   in Loop: Header=BB169_145 Depth=1
	v_mul_f32_e32 v3, 0.5, v22
	v_mul_f32_e32 v6, v22, v3
	v_max_f32_e64 v3, |v19|, |v19|
	v_max_f32_e64 v22, |v18|, |v18|
	v_min_f32_e32 v23, v22, v3
	v_max_f32_e32 v3, v22, v3
	v_frexp_mant_f32_e32 v22, v3
	v_rcp_f32_e32 v22, v22
	v_frexp_exp_i32_f32_e32 v3, v3
	v_frexp_exp_i32_f32_e32 v24, v23
	v_frexp_mant_f32_e32 v23, v23
	v_mul_f32_e32 v22, v23, v22
	v_sub_u32_e32 v3, v24, v3
	v_ldexp_f32 v3, v22, v3
	v_mul_f32_e32 v22, v3, v3
	v_mov_b32_e32 v23, 0xbc7a590c
	v_fmac_f32_e32 v23, 0x3b2d2a58, v22
	v_fma_f32 v23, v22, v23, v31
	v_fma_f32 v23, v22, v23, v32
	;; [unrolled: 1-line block ×6, first 2 shown]
	v_mul_f32_e32 v22, v22, v23
	v_fmac_f32_e32 v3, v3, v22
	v_sub_f32_e32 v22, 0x3fc90fdb, v3
	v_cndmask_b32_e64 v3, v3, v22, s[8:9]
	v_sub_f32_e32 v22, 0x40490fdb, v3
	v_cmp_gt_f32_e32 vcc, 0, v18
	v_cmp_gt_i32_e64 s[10:11], 0, v18
	v_cndmask_b32_e32 v3, v3, v22, vcc
	v_cndmask_b32_e64 v22, 0, v39, s[10:11]
	v_cmp_eq_f32_e64 s[10:11], 0, v19
	v_cndmask_b32_e64 v3, v3, v22, s[10:11]
	v_cmp_class_f32_e64 s[10:11], v18, s51
	v_cmp_class_f32_e64 s[28:29], v19, s51
	v_cndmask_b32_e32 v22, v40, v41, vcc
	s_and_b64 vcc, s[28:29], s[10:11]
	v_cndmask_b32_e32 v3, v3, v22, vcc
.LBB169_283:                            ;   in Loop: Header=BB169_145 Depth=1
	s_or_b64 exec, exec, s[26:27]
.LBB169_284:                            ;   in Loop: Header=BB169_145 Depth=1
	s_or_b64 exec, exec, s[24:25]
.LBB169_285:                            ;   in Loop: Header=BB169_145 Depth=1
	s_andn2_saveexec_b64 s[22:23], s[22:23]
	s_cbranch_execz .LBB169_287
; %bb.286:                              ;   in Loop: Header=BB169_145 Depth=1
	v_div_scale_f32 v3, s[10:11], s56, s56, v18
	v_rcp_f32_e32 v6, v3
	v_div_scale_f32 v22, vcc, v18, s56, v18
	v_fma_f32 v23, -v3, v6, 1.0
	v_fmac_f32_e32 v6, v23, v6
	v_mul_f32_e32 v23, v22, v6
	v_fma_f32 v24, -v3, v23, v22
	v_fmac_f32_e32 v23, v24, v6
	v_fma_f32 v3, -v3, v23, v22
	v_div_scale_f32 v22, s[10:11], s56, s56, v19
	v_rcp_f32_e32 v24, v22
	v_div_fmas_f32 v3, v3, v6, v23
	v_div_fixup_f32 v3, v3, s56, v18
	v_fma_f32 v6, -v22, v24, 1.0
	v_fmac_f32_e32 v24, v6, v24
	v_div_scale_f32 v6, vcc, v19, s56, v19
	v_mul_f32_e32 v23, v6, v24
	v_fma_f32 v25, -v22, v23, v6
	v_fmac_f32_e32 v23, v25, v24
	v_fma_f32 v6, -v22, v23, v6
	v_div_fmas_f32 v6, v6, v24, v23
	v_div_fixup_f32 v6, v6, s56, v19
	v_max_f32_e64 v24, |v3|, |v6|
	v_cvt_f64_f32_e32 v[22:23], v24
	v_frexp_exp_i32_f64_e32 v22, v[22:23]
	v_sub_u32_e32 v23, 0, v22
	v_ldexp_f32 v6, |v6|, v23
	v_ldexp_f32 v3, |v3|, v23
	v_mul_f32_e32 v6, v6, v6
	v_fmac_f32_e32 v6, v3, v3
	v_sqrt_f32_e32 v3, v6
	v_cmp_neq_f32_e32 vcc, s49, v24
	v_ldexp_f32 v3, v3, v22
	v_cndmask_b32_e32 v3, v44, v3, vcc
	v_cmp_gt_f32_e32 vcc, s53, v3
	v_cndmask_b32_e32 v6, 1.0, v42, vcc
	v_mul_f32_e32 v3, v3, v6
	v_log_f32_e32 v3, v3
	v_mul_f32_e32 v6, 0x3f317217, v3
	v_fma_f32 v22, v3, s54, -v6
	v_fmac_f32_e32 v22, 0x3377d1cf, v3
	v_add_f32_e32 v6, v6, v22
	v_cmp_lt_f32_e64 s[10:11], |v3|, s49
	v_cndmask_b32_e64 v3, v3, v6, s[10:11]
	v_cndmask_b32_e32 v6, 0, v43, vcc
	v_sub_f32_e32 v3, v3, v6
	v_add_f32_e32 v6, 1.0, v3
	v_max_f32_e64 v3, |v19|, |v19|
	v_max_f32_e64 v22, |v18|, |v18|
	v_min_f32_e32 v23, v22, v3
	v_max_f32_e32 v3, v22, v3
	v_frexp_mant_f32_e32 v22, v3
	v_rcp_f32_e32 v22, v22
	v_frexp_exp_i32_f32_e32 v3, v3
	v_frexp_exp_i32_f32_e32 v24, v23
	v_frexp_mant_f32_e32 v23, v23
	v_mul_f32_e32 v22, v23, v22
	v_sub_u32_e32 v3, v24, v3
	v_ldexp_f32 v3, v22, v3
	v_mul_f32_e32 v22, v3, v3
	v_mov_b32_e32 v23, 0xbc7a590c
	v_fmac_f32_e32 v23, 0x3b2d2a58, v22
	v_fma_f32 v23, v22, v23, v31
	v_fma_f32 v23, v22, v23, v32
	;; [unrolled: 1-line block ×6, first 2 shown]
	v_mul_f32_e32 v22, v22, v23
	v_fmac_f32_e32 v3, v3, v22
	v_sub_f32_e32 v22, 0x3fc90fdb, v3
	v_cndmask_b32_e64 v3, v3, v22, s[8:9]
	v_sub_f32_e32 v22, 0x40490fdb, v3
	v_cmp_gt_f32_e32 vcc, 0, v18
	v_cmp_gt_i32_e64 s[8:9], 0, v18
	v_cndmask_b32_e32 v3, v3, v22, vcc
	v_cndmask_b32_e64 v22, 0, v39, s[8:9]
	v_cmp_eq_f32_e64 s[8:9], 0, v19
	v_cndmask_b32_e64 v3, v3, v22, s[8:9]
	v_cmp_class_f32_e64 s[8:9], v18, s51
	v_cmp_class_f32_e64 s[10:11], v19, s51
	v_cndmask_b32_e32 v22, v40, v41, vcc
	s_and_b64 vcc, s[10:11], s[8:9]
	v_cndmask_b32_e32 v3, v3, v22, vcc
.LBB169_287:                            ;   in Loop: Header=BB169_145 Depth=1
	s_or_b64 exec, exec, s[22:23]
	s_andn2_saveexec_b64 s[8:9], s[20:21]
	s_cbranch_execz .LBB169_257
.LBB169_288:                            ;   in Loop: Header=BB169_145 Depth=1
	v_cmp_nlt_f32_e64 s[10:11], |v18|, s57
	v_cmp_nlt_f32_e64 s[20:21], |v19|, s57
	s_or_b64 s[10:11], s[20:21], s[10:11]
                                        ; implicit-def: $vgpr3
	s_and_saveexec_b64 s[20:21], s[10:11]
	s_xor_b64 s[10:11], exec, s[20:21]
; %bb.289:                              ;   in Loop: Header=BB169_145 Depth=1
	v_pk_mul_f32 v[22:23], v[18:19], v[18:19]
	v_add_f32_e32 v3, v23, v22
; %bb.290:                              ;   in Loop: Header=BB169_145 Depth=1
	s_andn2_saveexec_b64 s[10:11], s[10:11]
; %bb.291:                              ;   in Loop: Header=BB169_145 Depth=1
	v_pk_mul_f32 v[22:23], v[18:19], 4.0 op_sel_hi:[1,0]
	v_pk_mul_f32 v[22:23], v[22:23], v[22:23]
	v_add_f32_e32 v3, v23, v22
	v_mul_f32_e32 v3, 0x3d800000, v3
; %bb.292:                              ;   in Loop: Header=BB169_145 Depth=1
	s_or_b64 exec, exec, s[10:11]
	v_cmp_gt_f32_e32 vcc, s53, v3
	v_cndmask_b32_e32 v6, 1.0, v42, vcc
	v_mul_f32_e32 v3, v3, v6
	v_log_f32_e32 v3, v3
	v_cndmask_b32_e32 v6, 0, v43, vcc
	v_mul_f32_e32 v18, 0x3f317217, v3
	v_fma_f32 v22, v3, s54, -v18
	v_fmac_f32_e32 v22, 0x3377d1cf, v3
	v_add_f32_e32 v18, v18, v22
	v_cmp_lt_f32_e64 vcc, |v3|, s49
	v_cndmask_b32_e32 v3, v3, v18, vcc
	v_sub_f32_e32 v6, v3, v6
	v_mov_b32_e32 v3, 0x7fc00000
	s_or_b64 exec, exec, s[8:9]
	s_and_saveexec_b64 s[8:9], s[0:1]
	s_xor_b64 s[0:1], exec, s[8:9]
	s_cbranch_execz .LBB169_258
.LBB169_293:                            ;   in Loop: Header=BB169_145 Depth=1
	v_lshlrev_b64 v[4:5], 3, v[4:5]
	v_bfi_b32 v21, s43, v21, v11
	v_mov_b32_e32 v11, s38
	v_add_co_u32_e32 v4, vcc, s37, v4
	v_addc_co_u32_e32 v5, vcc, v11, v5, vcc
	global_store_dwordx2 v[4:5], v[20:21], off
	s_or_b64 exec, exec, s[0:1]
	s_and_saveexec_b64 s[0:1], s[2:3]
	s_cbranch_execz .LBB169_259
.LBB169_294:                            ;   in Loop: Header=BB169_145 Depth=1
	v_lshlrev_b64 v[4:5], 3, v[8:9]
	v_mov_b32_e32 v8, s38
	v_add_co_u32_e32 v4, vcc, s37, v4
	v_bfi_b32 v11, s43, v45, v15
	v_addc_co_u32_e32 v5, vcc, v8, v5, vcc
	global_store_dwordx2 v[4:5], v[10:11], off
	s_or_b64 exec, exec, s[0:1]
	s_and_saveexec_b64 s[0:1], s[4:5]
	s_cbranch_execz .LBB169_260
.LBB169_295:                            ;   in Loop: Header=BB169_145 Depth=1
	v_lshlrev_b64 v[4:5], 3, v[12:13]
	v_bfi_b32 v15, s43, v46, v7
	v_mov_b32_e32 v7, s38
	v_add_co_u32_e32 v4, vcc, s37, v4
	v_addc_co_u32_e32 v5, vcc, v7, v5, vcc
	global_store_dwordx2 v[4:5], v[14:15], off
	s_or_b64 exec, exec, s[0:1]
	s_and_saveexec_b64 s[0:1], s[6:7]
	s_cbranch_execz .LBB169_144
.LBB169_296:                            ;   in Loop: Header=BB169_145 Depth=1
	v_lshlrev_b64 v[4:5], 3, v[16:17]
	v_bfi_b32 v7, s43, v3, v19
	v_mov_b32_e32 v3, s38
	v_add_co_u32_e32 v4, vcc, s37, v4
	v_addc_co_u32_e32 v5, vcc, v3, v5, vcc
	global_store_dwordx2 v[4:5], v[6:7], off
	s_branch .LBB169_144
.LBB169_297:
	s_endpgm
	.section	.rodata,"a",@progbits
	.p2align	6, 0x0
	.amdhsa_kernel _ZN2at6native12_GLOBAL__N_125multi_tensor_apply_kernelINS1_18TensorListMetadataILi2EEENS1_14UnaryOpFunctorIN3c107complexIfEELi2ELi1ELi1EEEJNS0_3LogIS8_EEEEEvT_T0_DpT1_
		.amdhsa_group_segment_fixed_size 0
		.amdhsa_private_segment_fixed_size 0
		.amdhsa_kernarg_size 3408
		.amdhsa_user_sgpr_count 6
		.amdhsa_user_sgpr_private_segment_buffer 1
		.amdhsa_user_sgpr_dispatch_ptr 0
		.amdhsa_user_sgpr_queue_ptr 0
		.amdhsa_user_sgpr_kernarg_segment_ptr 1
		.amdhsa_user_sgpr_dispatch_id 0
		.amdhsa_user_sgpr_flat_scratch_init 0
		.amdhsa_user_sgpr_kernarg_preload_length 0
		.amdhsa_user_sgpr_kernarg_preload_offset 0
		.amdhsa_user_sgpr_private_segment_size 0
		.amdhsa_uses_dynamic_stack 0
		.amdhsa_system_sgpr_private_segment_wavefront_offset 0
		.amdhsa_system_sgpr_workgroup_id_x 1
		.amdhsa_system_sgpr_workgroup_id_y 0
		.amdhsa_system_sgpr_workgroup_id_z 0
		.amdhsa_system_sgpr_workgroup_info 0
		.amdhsa_system_vgpr_workitem_id 0
		.amdhsa_next_free_vgpr 58
		.amdhsa_next_free_sgpr 62
		.amdhsa_accum_offset 60
		.amdhsa_reserve_vcc 1
		.amdhsa_reserve_flat_scratch 0
		.amdhsa_float_round_mode_32 0
		.amdhsa_float_round_mode_16_64 0
		.amdhsa_float_denorm_mode_32 3
		.amdhsa_float_denorm_mode_16_64 3
		.amdhsa_dx10_clamp 1
		.amdhsa_ieee_mode 1
		.amdhsa_fp16_overflow 0
		.amdhsa_tg_split 0
		.amdhsa_exception_fp_ieee_invalid_op 0
		.amdhsa_exception_fp_denorm_src 0
		.amdhsa_exception_fp_ieee_div_zero 0
		.amdhsa_exception_fp_ieee_overflow 0
		.amdhsa_exception_fp_ieee_underflow 0
		.amdhsa_exception_fp_ieee_inexact 0
		.amdhsa_exception_int_div_zero 0
	.end_amdhsa_kernel
	.section	.text._ZN2at6native12_GLOBAL__N_125multi_tensor_apply_kernelINS1_18TensorListMetadataILi2EEENS1_14UnaryOpFunctorIN3c107complexIfEELi2ELi1ELi1EEEJNS0_3LogIS8_EEEEEvT_T0_DpT1_,"axG",@progbits,_ZN2at6native12_GLOBAL__N_125multi_tensor_apply_kernelINS1_18TensorListMetadataILi2EEENS1_14UnaryOpFunctorIN3c107complexIfEELi2ELi1ELi1EEEJNS0_3LogIS8_EEEEEvT_T0_DpT1_,comdat
.Lfunc_end169:
	.size	_ZN2at6native12_GLOBAL__N_125multi_tensor_apply_kernelINS1_18TensorListMetadataILi2EEENS1_14UnaryOpFunctorIN3c107complexIfEELi2ELi1ELi1EEEJNS0_3LogIS8_EEEEEvT_T0_DpT1_, .Lfunc_end169-_ZN2at6native12_GLOBAL__N_125multi_tensor_apply_kernelINS1_18TensorListMetadataILi2EEENS1_14UnaryOpFunctorIN3c107complexIfEELi2ELi1ELi1EEEJNS0_3LogIS8_EEEEEvT_T0_DpT1_
                                        ; -- End function
	.section	.AMDGPU.csdata,"",@progbits
; Kernel info:
; codeLenInByte = 39480
; NumSgprs: 66
; NumVgprs: 58
; NumAgprs: 0
; TotalNumVgprs: 58
; ScratchSize: 0
; MemoryBound: 1
; FloatMode: 240
; IeeeMode: 1
; LDSByteSize: 0 bytes/workgroup (compile time only)
; SGPRBlocks: 8
; VGPRBlocks: 7
; NumSGPRsForWavesPerEU: 66
; NumVGPRsForWavesPerEU: 58
; AccumOffset: 60
; Occupancy: 8
; WaveLimiterHint : 0
; COMPUTE_PGM_RSRC2:SCRATCH_EN: 0
; COMPUTE_PGM_RSRC2:USER_SGPR: 6
; COMPUTE_PGM_RSRC2:TRAP_HANDLER: 0
; COMPUTE_PGM_RSRC2:TGID_X_EN: 1
; COMPUTE_PGM_RSRC2:TGID_Y_EN: 0
; COMPUTE_PGM_RSRC2:TGID_Z_EN: 0
; COMPUTE_PGM_RSRC2:TIDIG_COMP_CNT: 0
; COMPUTE_PGM_RSRC3_GFX90A:ACCUM_OFFSET: 14
; COMPUTE_PGM_RSRC3_GFX90A:TG_SPLIT: 0
	.section	.text._ZN2at6native12_GLOBAL__N_125multi_tensor_apply_kernelINS1_18TensorListMetadataILi2EEENS1_14UnaryOpFunctorIN3c104HalfELi2ELi1ELi1EEEJNS0_3LogIfEEEEEvT_T0_DpT1_,"axG",@progbits,_ZN2at6native12_GLOBAL__N_125multi_tensor_apply_kernelINS1_18TensorListMetadataILi2EEENS1_14UnaryOpFunctorIN3c104HalfELi2ELi1ELi1EEEJNS0_3LogIfEEEEEvT_T0_DpT1_,comdat
	.globl	_ZN2at6native12_GLOBAL__N_125multi_tensor_apply_kernelINS1_18TensorListMetadataILi2EEENS1_14UnaryOpFunctorIN3c104HalfELi2ELi1ELi1EEEJNS0_3LogIfEEEEEvT_T0_DpT1_ ; -- Begin function _ZN2at6native12_GLOBAL__N_125multi_tensor_apply_kernelINS1_18TensorListMetadataILi2EEENS1_14UnaryOpFunctorIN3c104HalfELi2ELi1ELi1EEEJNS0_3LogIfEEEEEvT_T0_DpT1_
	.p2align	8
	.type	_ZN2at6native12_GLOBAL__N_125multi_tensor_apply_kernelINS1_18TensorListMetadataILi2EEENS1_14UnaryOpFunctorIN3c104HalfELi2ELi1ELi1EEEJNS0_3LogIfEEEEEvT_T0_DpT1_,@function
_ZN2at6native12_GLOBAL__N_125multi_tensor_apply_kernelINS1_18TensorListMetadataILi2EEENS1_14UnaryOpFunctorIN3c104HalfELi2ELi1ELi1EEEJNS0_3LogIfEEEEEvT_T0_DpT1_: ; @_ZN2at6native12_GLOBAL__N_125multi_tensor_apply_kernelINS1_18TensorListMetadataILi2EEENS1_14UnaryOpFunctorIN3c104HalfELi2ELi1ELi1EEEJNS0_3LogIfEEEEEvT_T0_DpT1_
; %bb.0:
	v_mov_b32_e32 v1, s6
	global_load_ubyte v1, v1, s[4:5] offset:1536
	s_add_u32 s0, s4, s6
	s_mul_hi_u32 s2, s6, 3
	s_mul_i32 s6, s6, 3
	s_addc_u32 s9, s5, 0
	s_add_u32 s8, s0, s6
	s_addc_u32 s9, s9, s2
	s_load_dword s10, s[8:9], 0x740
	s_mov_b32 s1, 0
	s_mov_b32 s7, s1
	;; [unrolled: 1-line block ×3, first 2 shown]
	s_waitcnt lgkmcnt(0)
	s_ashr_i32 s11, s10, 31
	s_lshl_b64 s[8:9], s[10:11], 17
	s_waitcnt vmcnt(0)
	v_readfirstlane_b32 s0, v1
	s_lshl_b32 s0, s0, 3
	s_load_dwordx2 s[16:17], s[4:5], s0 offset:0x0
	s_load_dwordx2 s[12:13], s[4:5], s0 offset:0x400
	;; [unrolled: 1-line block ×3, first 2 shown]
	s_waitcnt lgkmcnt(0)
	s_add_u32 s22, s16, s8
	s_addc_u32 s23, s17, s9
	s_and_b32 s0, s22, 7
	s_add_u32 s24, s14, s8
	s_addc_u32 s25, s15, s9
	s_and_b32 s6, s12, 3
	s_and_b32 s2, s24, 7
	s_or_b64 s[6:7], s[0:1], s[6:7]
	s_or_b64 s[2:3], s[2:3], s[6:7]
	s_lshl_b64 s[6:7], s[10:11], 16
	s_sub_u32 s10, s12, s6
	s_subb_u32 s11, s13, s7
	s_cmp_eq_u64 s[2:3], 0
	s_mov_b64 s[2:3], -1
	s_cbranch_scc0 .LBB170_5
; %bb.1:
	v_mov_b32_e32 v3, 0
	v_lshlrev_b32_e32 v2, 2, v0
	v_cmp_gt_i64_e32 vcc, s[10:11], v[2:3]
	s_and_saveexec_b64 s[12:13], vcc
	s_cbranch_execz .LBB170_4
; %bb.2:
	s_load_dword s0, s[4:5], 0xc5c
	v_lshlrev_b32_e32 v4, 3, v0
	s_mov_b64 s[18:19], 0
	s_mov_b32 s28, 0x3f317217
	s_mov_b32 s29, 0x7f800000
	s_waitcnt lgkmcnt(0)
	s_and_b32 s0, s0, 0xffff
	v_add_lshl_u32 v2, v0, s0, 2
	s_lshl_b32 s26, s0, 2
	s_lshl_b32 s27, s0, 3
	s_mov_b64 s[20:21], 0xffff
	v_mov_b32_e32 v1, s1
.LBB170_3:                              ; =>This Inner Loop Header: Depth=1
	v_mov_b32_e32 v5, s23
	v_add_co_u32_e32 v6, vcc, s22, v4
	v_addc_co_u32_e32 v7, vcc, 0, v5, vcc
	global_load_dwordx2 v[6:7], v[6:7], off
	v_cmp_le_i64_e32 vcc, s[10:11], v[2:3]
	v_cmp_lt_u64_e64 s[0:1], s[20:21], v[2:3]
	v_add_co_u32_e64 v2, s[2:3], s26, v2
	v_addc_co_u32_e64 v3, s[2:3], v3, v1, s[2:3]
	v_mov_b32_e32 v5, s25
	v_add_co_u32_e64 v8, s[2:3], s24, v4
	v_addc_co_u32_e64 v9, s[2:3], 0, v5, s[2:3]
	s_or_b64 s[30:31], vcc, s[0:1]
	s_add_u32 s22, s22, s27
	s_addc_u32 s23, s23, 0
	s_add_u32 s24, s24, s27
	s_addc_u32 s25, s25, 0
	s_waitcnt vmcnt(0)
	v_cvt_f32_f16_e32 v5, v6
	v_cvt_f32_f16_sdwa v6, v6 dst_sel:DWORD dst_unused:UNUSED_PAD src0_sel:WORD_1
	v_cvt_f32_f16_e32 v10, v7
	v_cvt_f32_f16_sdwa v7, v7 dst_sel:DWORD dst_unused:UNUSED_PAD src0_sel:WORD_1
	v_log_f32_e32 v5, v5
	v_log_f32_e32 v6, v6
	;; [unrolled: 1-line block ×4, first 2 shown]
	v_mul_f32_e32 v11, 0x3f317217, v5
	v_mul_f32_e32 v12, 0x3f317217, v6
	;; [unrolled: 1-line block ×4, first 2 shown]
	v_fma_f32 v15, v5, s28, -v11
	v_fma_f32 v16, v6, s28, -v12
	v_fma_f32 v17, v10, s28, -v13
	v_fma_f32 v18, v7, s28, -v14
	v_fmac_f32_e32 v15, 0x3377d1cf, v5
	v_fmac_f32_e32 v16, 0x3377d1cf, v6
	;; [unrolled: 1-line block ×4, first 2 shown]
	v_add_f32_e32 v11, v11, v15
	v_add_f32_e32 v12, v12, v16
	v_cmp_lt_f32_e64 vcc, |v6|, s29
	v_add_f32_e32 v13, v13, v17
	v_cmp_lt_f32_e64 s[0:1], |v10|, s29
	v_add_f32_e32 v14, v14, v18
	v_cmp_lt_f32_e64 s[2:3], |v7|, s29
	v_cmp_lt_f32_e64 s[6:7], |v5|, s29
	v_cndmask_b32_e64 v5, v5, v11, s[6:7]
	v_cndmask_b32_e32 v6, v6, v12, vcc
	v_cndmask_b32_e64 v10, v10, v13, s[0:1]
	v_cndmask_b32_e64 v7, v7, v14, s[2:3]
	v_cvt_f16_f32_e32 v5, v5
	v_cvt_f16_f32_e32 v10, v10
	;; [unrolled: 1-line block ×4, first 2 shown]
	s_and_b64 s[0:1], exec, s[30:31]
	s_or_b64 s[18:19], s[0:1], s[18:19]
	v_pack_b32_f16 v7, v10, v7
	v_pack_b32_f16 v6, v5, v6
	global_store_dwordx2 v[8:9], v[6:7], off
	s_andn2_b64 exec, exec, s[18:19]
	s_cbranch_execnz .LBB170_3
.LBB170_4:
	s_or_b64 exec, exec, s[12:13]
	s_mov_b64 s[2:3], 0
.LBB170_5:
	s_andn2_b64 vcc, exec, s[2:3]
	s_cbranch_vccnz .LBB170_25
; %bb.6:
	v_cmp_lt_i64_e64 s[0:1], s[10:11], 1
	s_and_b64 vcc, exec, s[0:1]
	s_cbranch_vccnz .LBB170_25
; %bb.7:
	s_load_dword s0, s[4:5], 0xc5c
	v_mov_b32_e32 v2, 0x10000
	v_mov_b32_e32 v3, 0
	v_cmp_lt_u64_e32 vcc, s[10:11], v[2:3]
	v_lshlrev_b32_e32 v10, 1, v0
	s_waitcnt lgkmcnt(0)
	s_and_b32 s2, s0, 0xffff
	s_and_b64 s[0:1], vcc, exec
	v_mov_b32_e32 v13, s17
	v_add_co_u32_e32 v2, vcc, s16, v10
	v_addc_co_u32_e32 v1, vcc, 0, v13, vcc
	v_mov_b32_e32 v11, 0
	v_mov_b32_e32 v15, s15
	v_add_co_u32_e32 v4, vcc, s14, v10
	v_addc_co_u32_e32 v3, vcc, 0, v15, vcc
	v_mad_u64_u32 v[8:9], s[0:1], s2, 6, v[10:11]
	v_add_co_u32_e32 v6, vcc, s16, v8
	v_addc_co_u32_e32 v5, vcc, v13, v9, vcc
	v_add_co_u32_e32 v8, vcc, s14, v8
	s_mul_i32 s4, s2, 3
	v_addc_co_u32_e32 v7, vcc, v15, v9, vcc
	s_cselect_b32 s13, s11, 0
	s_cselect_b32 s12, s10, 0x10000
	s_lshl_b32 s19, s2, 2
	v_add_co_u32_e32 v17, vcc, s4, v0
	v_addc_co_u32_e64 v18, s[0:1], 0, 0, vcc
	v_add_co_u32_e32 v11, vcc, s19, v10
	v_addc_co_u32_e64 v14, s[0:1], 0, 0, vcc
	v_add_co_u32_e32 v10, vcc, s16, v11
	v_addc_co_u32_e32 v9, vcc, v13, v14, vcc
	v_add_co_u32_e32 v12, vcc, s14, v11
	s_lshl_b32 s3, s2, 1
	v_addc_co_u32_e32 v11, vcc, v15, v14, vcc
	v_add_co_u32_e32 v19, vcc, s3, v0
	v_addc_co_u32_e64 v20, s[0:1], 0, 0, vcc
	v_add_co_u32_e32 v21, vcc, s2, v0
	v_lshlrev_b32_e32 v16, 1, v21
	v_addc_co_u32_e64 v22, s[0:1], 0, 0, vcc
	v_add_co_u32_e32 v14, vcc, s16, v16
	v_addc_co_u32_e32 v13, vcc, 0, v13, vcc
	v_add_co_u32_e32 v16, vcc, s14, v16
	s_mov_b32 s18, 0
	s_lshl_b32 s20, s2, 3
	v_addc_co_u32_e32 v15, vcc, 0, v15, vcc
	s_mov_b64 s[14:15], 0
	s_mov_b32 s21, 0x3f317217
	s_mov_b32 s22, 0x7f800000
	s_branch .LBB170_9
.LBB170_8:                              ;   in Loop: Header=BB170_9 Depth=1
	s_or_b64 exec, exec, s[0:1]
	s_add_u32 s14, s14, s19
	s_addc_u32 s15, s15, 0
	s_waitcnt vmcnt(0)
	v_pk_mov_b32 v[24:25], s[10:11], s[10:11] op_sel:[0,1]
	v_cmp_ge_i64_e32 vcc, s[14:15], v[24:25]
	v_mov_b32_e32 v24, 0xffff
	v_mov_b32_e32 v25, 0
	v_cmp_gt_u64_e64 s[0:1], s[14:15], v[24:25]
	s_or_b64 s[0:1], vcc, s[0:1]
	v_mov_b32_e32 v23, s18
	v_add_co_u32_e32 v2, vcc, s20, v2
	v_addc_co_u32_e32 v1, vcc, v1, v23, vcc
	v_add_co_u32_e32 v4, vcc, s20, v4
	v_addc_co_u32_e32 v3, vcc, v3, v23, vcc
	;; [unrolled: 2-line block ×8, first 2 shown]
	s_and_b64 vcc, exec, s[0:1]
	s_cbranch_vccnz .LBB170_25
.LBB170_9:                              ; =>This Inner Loop Header: Depth=1
	v_mov_b32_e32 v23, s15
	v_add_co_u32_e32 v24, vcc, s14, v0
	v_addc_co_u32_e32 v25, vcc, 0, v23, vcc
	v_cmp_gt_u64_e64 s[4:5], s[12:13], v[24:25]
	v_mov_b32_e32 v25, 0
	s_and_saveexec_b64 s[0:1], s[4:5]
	s_cbranch_execz .LBB170_11
; %bb.10:                               ;   in Loop: Header=BB170_9 Depth=1
	v_mov_b32_e32 v23, s9
	v_add_co_u32_e32 v24, vcc, s8, v2
	v_addc_co_u32_e32 v25, vcc, v1, v23, vcc
	global_load_ushort v25, v[24:25], off
.LBB170_11:                             ;   in Loop: Header=BB170_9 Depth=1
	s_or_b64 exec, exec, s[0:1]
	v_mov_b32_e32 v23, s15
	v_add_co_u32_e32 v26, vcc, s14, v21
	v_addc_co_u32_e32 v27, vcc, v22, v23, vcc
	v_cmp_gt_u64_e64 s[2:3], s[12:13], v[26:27]
	v_mov_b32_e32 v26, 0
	s_and_saveexec_b64 s[0:1], s[2:3]
	s_cbranch_execz .LBB170_13
; %bb.12:                               ;   in Loop: Header=BB170_9 Depth=1
	v_mov_b32_e32 v23, s9
	v_add_co_u32_e32 v26, vcc, s8, v14
	v_addc_co_u32_e32 v27, vcc, v13, v23, vcc
	global_load_ushort v26, v[26:27], off
.LBB170_13:                             ;   in Loop: Header=BB170_9 Depth=1
	s_or_b64 exec, exec, s[0:1]
	v_mov_b32_e32 v23, s15
	v_add_co_u32_e32 v28, vcc, s14, v19
	v_addc_co_u32_e32 v29, vcc, v20, v23, vcc
	v_cmp_gt_u64_e64 s[0:1], s[12:13], v[28:29]
	v_mov_b32_e32 v23, 0
	v_mov_b32_e32 v24, 0
	s_and_saveexec_b64 s[6:7], s[0:1]
	s_cbranch_execz .LBB170_15
; %bb.14:                               ;   in Loop: Header=BB170_9 Depth=1
	v_mov_b32_e32 v24, s9
	v_add_co_u32_e32 v28, vcc, s8, v10
	v_addc_co_u32_e32 v29, vcc, v9, v24, vcc
	global_load_ushort v24, v[28:29], off
.LBB170_15:                             ;   in Loop: Header=BB170_9 Depth=1
	s_or_b64 exec, exec, s[6:7]
	v_mov_b32_e32 v27, s15
	v_add_co_u32_e32 v28, vcc, s14, v17
	v_addc_co_u32_e32 v29, vcc, v18, v27, vcc
	v_cmp_gt_u64_e32 vcc, s[12:13], v[28:29]
	s_and_saveexec_b64 s[16:17], vcc
	s_cbranch_execnz .LBB170_20
; %bb.16:                               ;   in Loop: Header=BB170_9 Depth=1
	s_or_b64 exec, exec, s[16:17]
	s_and_saveexec_b64 s[6:7], s[4:5]
	s_cbranch_execnz .LBB170_21
.LBB170_17:                             ;   in Loop: Header=BB170_9 Depth=1
	s_or_b64 exec, exec, s[6:7]
	s_and_saveexec_b64 s[4:5], s[2:3]
	s_cbranch_execnz .LBB170_22
.LBB170_18:                             ;   in Loop: Header=BB170_9 Depth=1
	s_or_b64 exec, exec, s[4:5]
	s_and_saveexec_b64 s[2:3], s[0:1]
	s_cbranch_execnz .LBB170_23
.LBB170_19:                             ;   in Loop: Header=BB170_9 Depth=1
	s_or_b64 exec, exec, s[2:3]
	s_and_saveexec_b64 s[0:1], vcc
	s_cbranch_execz .LBB170_8
	s_branch .LBB170_24
.LBB170_20:                             ;   in Loop: Header=BB170_9 Depth=1
	v_mov_b32_e32 v23, s9
	v_add_co_u32_e64 v28, s[6:7], s8, v6
	v_addc_co_u32_e64 v29, s[6:7], v5, v23, s[6:7]
	global_load_ushort v23, v[28:29], off
	s_or_b64 exec, exec, s[16:17]
	s_and_saveexec_b64 s[6:7], s[4:5]
	s_cbranch_execz .LBB170_17
.LBB170_21:                             ;   in Loop: Header=BB170_9 Depth=1
	s_waitcnt vmcnt(0)
	v_cvt_f32_f16_e32 v25, v25
	v_mov_b32_e32 v27, s9
	v_log_f32_e32 v25, v25
	v_mul_f32_e32 v28, 0x3f317217, v25
	v_fma_f32 v29, v25, s21, -v28
	v_fmac_f32_e32 v29, 0x3377d1cf, v25
	v_add_f32_e32 v28, v28, v29
	v_cmp_lt_f32_e64 s[4:5], |v25|, s22
	v_cndmask_b32_e64 v25, v25, v28, s[4:5]
	v_cvt_f16_f32_e32 v25, v25
	v_add_co_u32_e64 v28, s[4:5], s8, v4
	v_addc_co_u32_e64 v29, s[4:5], v3, v27, s[4:5]
	global_store_short v[28:29], v25, off
	s_or_b64 exec, exec, s[6:7]
	s_and_saveexec_b64 s[4:5], s[2:3]
	s_cbranch_execz .LBB170_18
.LBB170_22:                             ;   in Loop: Header=BB170_9 Depth=1
	s_waitcnt vmcnt(0)
	v_cvt_f32_f16_e32 v25, v26
	v_mov_b32_e32 v27, s9
	v_log_f32_e32 v25, v25
	v_mul_f32_e32 v26, 0x3f317217, v25
	v_fma_f32 v28, v25, s21, -v26
	v_fmac_f32_e32 v28, 0x3377d1cf, v25
	v_add_f32_e32 v26, v26, v28
	v_cmp_lt_f32_e64 s[2:3], |v25|, s22
	v_cndmask_b32_e64 v25, v25, v26, s[2:3]
	v_cvt_f16_f32_e32 v25, v25
	v_add_co_u32_e64 v26, s[2:3], s8, v16
	v_addc_co_u32_e64 v27, s[2:3], v15, v27, s[2:3]
	global_store_short v[26:27], v25, off
	s_or_b64 exec, exec, s[4:5]
	s_and_saveexec_b64 s[2:3], s[0:1]
	s_cbranch_execz .LBB170_19
.LBB170_23:                             ;   in Loop: Header=BB170_9 Depth=1
	s_waitcnt vmcnt(0)
	v_cvt_f32_f16_e32 v24, v24
	v_mov_b32_e32 v25, s9
	v_log_f32_e32 v24, v24
	v_mul_f32_e32 v26, 0x3f317217, v24
	v_fma_f32 v27, v24, s21, -v26
	v_fmac_f32_e32 v27, 0x3377d1cf, v24
	v_add_f32_e32 v26, v26, v27
	v_cmp_lt_f32_e64 s[0:1], |v24|, s22
	v_cndmask_b32_e64 v24, v24, v26, s[0:1]
	v_cvt_f16_f32_e32 v26, v24
	v_add_co_u32_e64 v24, s[0:1], s8, v12
	v_addc_co_u32_e64 v25, s[0:1], v11, v25, s[0:1]
	global_store_short v[24:25], v26, off
	s_or_b64 exec, exec, s[2:3]
	s_and_saveexec_b64 s[0:1], vcc
	s_cbranch_execz .LBB170_8
.LBB170_24:                             ;   in Loop: Header=BB170_9 Depth=1
	s_waitcnt vmcnt(0)
	v_cvt_f32_f16_e32 v23, v23
	v_mov_b32_e32 v25, s9
	v_log_f32_e32 v23, v23
	v_mul_f32_e32 v24, 0x3f317217, v23
	v_fma_f32 v26, v23, s21, -v24
	v_fmac_f32_e32 v26, 0x3377d1cf, v23
	v_add_f32_e32 v24, v24, v26
	v_cmp_lt_f32_e64 vcc, |v23|, s22
	v_cndmask_b32_e32 v23, v23, v24, vcc
	v_cvt_f16_f32_e32 v23, v23
	v_add_co_u32_e32 v24, vcc, s8, v8
	v_addc_co_u32_e32 v25, vcc, v7, v25, vcc
	global_store_short v[24:25], v23, off
	s_branch .LBB170_8
.LBB170_25:
	s_endpgm
	.section	.rodata,"a",@progbits
	.p2align	6, 0x0
	.amdhsa_kernel _ZN2at6native12_GLOBAL__N_125multi_tensor_apply_kernelINS1_18TensorListMetadataILi2EEENS1_14UnaryOpFunctorIN3c104HalfELi2ELi1ELi1EEEJNS0_3LogIfEEEEEvT_T0_DpT1_
		.amdhsa_group_segment_fixed_size 0
		.amdhsa_private_segment_fixed_size 0
		.amdhsa_kernarg_size 3408
		.amdhsa_user_sgpr_count 6
		.amdhsa_user_sgpr_private_segment_buffer 1
		.amdhsa_user_sgpr_dispatch_ptr 0
		.amdhsa_user_sgpr_queue_ptr 0
		.amdhsa_user_sgpr_kernarg_segment_ptr 1
		.amdhsa_user_sgpr_dispatch_id 0
		.amdhsa_user_sgpr_flat_scratch_init 0
		.amdhsa_user_sgpr_kernarg_preload_length 0
		.amdhsa_user_sgpr_kernarg_preload_offset 0
		.amdhsa_user_sgpr_private_segment_size 0
		.amdhsa_uses_dynamic_stack 0
		.amdhsa_system_sgpr_private_segment_wavefront_offset 0
		.amdhsa_system_sgpr_workgroup_id_x 1
		.amdhsa_system_sgpr_workgroup_id_y 0
		.amdhsa_system_sgpr_workgroup_id_z 0
		.amdhsa_system_sgpr_workgroup_info 0
		.amdhsa_system_vgpr_workitem_id 0
		.amdhsa_next_free_vgpr 30
		.amdhsa_next_free_sgpr 32
		.amdhsa_accum_offset 32
		.amdhsa_reserve_vcc 1
		.amdhsa_reserve_flat_scratch 0
		.amdhsa_float_round_mode_32 0
		.amdhsa_float_round_mode_16_64 0
		.amdhsa_float_denorm_mode_32 3
		.amdhsa_float_denorm_mode_16_64 3
		.amdhsa_dx10_clamp 1
		.amdhsa_ieee_mode 1
		.amdhsa_fp16_overflow 0
		.amdhsa_tg_split 0
		.amdhsa_exception_fp_ieee_invalid_op 0
		.amdhsa_exception_fp_denorm_src 0
		.amdhsa_exception_fp_ieee_div_zero 0
		.amdhsa_exception_fp_ieee_overflow 0
		.amdhsa_exception_fp_ieee_underflow 0
		.amdhsa_exception_fp_ieee_inexact 0
		.amdhsa_exception_int_div_zero 0
	.end_amdhsa_kernel
	.section	.text._ZN2at6native12_GLOBAL__N_125multi_tensor_apply_kernelINS1_18TensorListMetadataILi2EEENS1_14UnaryOpFunctorIN3c104HalfELi2ELi1ELi1EEEJNS0_3LogIfEEEEEvT_T0_DpT1_,"axG",@progbits,_ZN2at6native12_GLOBAL__N_125multi_tensor_apply_kernelINS1_18TensorListMetadataILi2EEENS1_14UnaryOpFunctorIN3c104HalfELi2ELi1ELi1EEEJNS0_3LogIfEEEEEvT_T0_DpT1_,comdat
.Lfunc_end170:
	.size	_ZN2at6native12_GLOBAL__N_125multi_tensor_apply_kernelINS1_18TensorListMetadataILi2EEENS1_14UnaryOpFunctorIN3c104HalfELi2ELi1ELi1EEEJNS0_3LogIfEEEEEvT_T0_DpT1_, .Lfunc_end170-_ZN2at6native12_GLOBAL__N_125multi_tensor_apply_kernelINS1_18TensorListMetadataILi2EEENS1_14UnaryOpFunctorIN3c104HalfELi2ELi1ELi1EEEJNS0_3LogIfEEEEEvT_T0_DpT1_
                                        ; -- End function
	.section	.AMDGPU.csdata,"",@progbits
; Kernel info:
; codeLenInByte = 1688
; NumSgprs: 36
; NumVgprs: 30
; NumAgprs: 0
; TotalNumVgprs: 30
; ScratchSize: 0
; MemoryBound: 0
; FloatMode: 240
; IeeeMode: 1
; LDSByteSize: 0 bytes/workgroup (compile time only)
; SGPRBlocks: 4
; VGPRBlocks: 3
; NumSGPRsForWavesPerEU: 36
; NumVGPRsForWavesPerEU: 30
; AccumOffset: 32
; Occupancy: 8
; WaveLimiterHint : 0
; COMPUTE_PGM_RSRC2:SCRATCH_EN: 0
; COMPUTE_PGM_RSRC2:USER_SGPR: 6
; COMPUTE_PGM_RSRC2:TRAP_HANDLER: 0
; COMPUTE_PGM_RSRC2:TGID_X_EN: 1
; COMPUTE_PGM_RSRC2:TGID_Y_EN: 0
; COMPUTE_PGM_RSRC2:TGID_Z_EN: 0
; COMPUTE_PGM_RSRC2:TIDIG_COMP_CNT: 0
; COMPUTE_PGM_RSRC3_GFX90A:ACCUM_OFFSET: 7
; COMPUTE_PGM_RSRC3_GFX90A:TG_SPLIT: 0
	.section	.text._ZN2at6native12_GLOBAL__N_125multi_tensor_apply_kernelINS1_18TensorListMetadataILi2EEENS1_14UnaryOpFunctorIN3c108BFloat16ELi2ELi1ELi1EEEJNS0_3LogIfEEEEEvT_T0_DpT1_,"axG",@progbits,_ZN2at6native12_GLOBAL__N_125multi_tensor_apply_kernelINS1_18TensorListMetadataILi2EEENS1_14UnaryOpFunctorIN3c108BFloat16ELi2ELi1ELi1EEEJNS0_3LogIfEEEEEvT_T0_DpT1_,comdat
	.globl	_ZN2at6native12_GLOBAL__N_125multi_tensor_apply_kernelINS1_18TensorListMetadataILi2EEENS1_14UnaryOpFunctorIN3c108BFloat16ELi2ELi1ELi1EEEJNS0_3LogIfEEEEEvT_T0_DpT1_ ; -- Begin function _ZN2at6native12_GLOBAL__N_125multi_tensor_apply_kernelINS1_18TensorListMetadataILi2EEENS1_14UnaryOpFunctorIN3c108BFloat16ELi2ELi1ELi1EEEJNS0_3LogIfEEEEEvT_T0_DpT1_
	.p2align	8
	.type	_ZN2at6native12_GLOBAL__N_125multi_tensor_apply_kernelINS1_18TensorListMetadataILi2EEENS1_14UnaryOpFunctorIN3c108BFloat16ELi2ELi1ELi1EEEJNS0_3LogIfEEEEEvT_T0_DpT1_,@function
_ZN2at6native12_GLOBAL__N_125multi_tensor_apply_kernelINS1_18TensorListMetadataILi2EEENS1_14UnaryOpFunctorIN3c108BFloat16ELi2ELi1ELi1EEEJNS0_3LogIfEEEEEvT_T0_DpT1_: ; @_ZN2at6native12_GLOBAL__N_125multi_tensor_apply_kernelINS1_18TensorListMetadataILi2EEENS1_14UnaryOpFunctorIN3c108BFloat16ELi2ELi1ELi1EEEJNS0_3LogIfEEEEEvT_T0_DpT1_
; %bb.0:
	v_mov_b32_e32 v1, s6
	global_load_ubyte v1, v1, s[4:5] offset:1536
	s_add_u32 s0, s4, s6
	s_mul_hi_u32 s2, s6, 3
	s_mul_i32 s6, s6, 3
	s_addc_u32 s7, s5, 0
	s_add_u32 s8, s0, s6
	s_addc_u32 s9, s7, s2
	s_mov_b32 s1, 0
	s_mov_b32 s17, s1
	;; [unrolled: 1-line block ×3, first 2 shown]
	s_waitcnt vmcnt(0)
	v_readfirstlane_b32 s0, v1
	s_lshl_b32 s0, s0, 3
	s_load_dword s10, s[8:9], 0x740
	s_load_dwordx2 s[14:15], s[4:5], s0 offset:0x0
	s_load_dwordx2 s[12:13], s[4:5], s0 offset:0x400
	;; [unrolled: 1-line block ×3, first 2 shown]
	s_waitcnt lgkmcnt(0)
	s_ashr_i32 s11, s10, 31
	s_and_b32 s0, s14, 7
	s_and_b32 s16, s12, 3
	;; [unrolled: 1-line block ×3, first 2 shown]
	s_or_b64 s[16:17], s[0:1], s[16:17]
	s_lshl_b64 s[8:9], s[10:11], 17
	s_or_b64 s[2:3], s[2:3], s[16:17]
	s_lshl_b64 s[10:11], s[10:11], 16
	s_sub_u32 s10, s12, s10
	s_subb_u32 s11, s13, s11
	s_cmp_eq_u64 s[2:3], 0
	s_mov_b64 s[2:3], -1
	s_cbranch_scc0 .LBB171_5
; %bb.1:
	v_mov_b32_e32 v3, 0
	v_lshlrev_b32_e32 v2, 2, v0
	v_cmp_gt_i64_e32 vcc, s[10:11], v[2:3]
	s_and_saveexec_b64 s[12:13], vcc
	s_cbranch_execz .LBB171_4
; %bb.2:
	s_load_dword s0, s[4:5], 0xc5c
	v_lshlrev_b32_e32 v1, 3, v0
	v_mov_b32_e32 v2, s9
	v_add_co_u32_e32 v4, vcc, s8, v1
	s_waitcnt lgkmcnt(0)
	s_and_b32 s0, s0, 0xffff
	v_addc_co_u32_e32 v1, vcc, 0, v2, vcc
	s_lshl_b32 s20, s0, 3
	v_add_lshl_u32 v2, v0, s0, 2
	s_lshl_b32 s21, s0, 2
	s_mov_b64 s[16:17], 0
	v_mov_b32_e32 v5, s15
	s_mov_b32 s22, 0x800000
	v_mov_b32_e32 v6, 0x4f800000
	s_mov_b32 s23, 0x3f317217
	s_mov_b32 s24, 0x7f800000
	v_mov_b32_e32 v7, 0x41b17218
	s_movk_i32 s25, 0x7fff
	v_mov_b32_e32 v8, s7
	v_mov_b32_e32 v9, 0x7fc00000
	;; [unrolled: 1-line block ×3, first 2 shown]
	s_mov_b64 s[18:19], 0xffff
	v_mov_b32_e32 v11, s1
	v_mov_b32_e32 v12, s1
.LBB171_3:                              ; =>This Inner Loop Header: Depth=1
	v_add_co_u32_e32 v14, vcc, s14, v4
	v_addc_co_u32_e32 v15, vcc, v5, v1, vcc
	global_load_dwordx2 v[14:15], v[14:15], off
	v_add_co_u32_e32 v16, vcc, s6, v4
	v_addc_co_u32_e32 v17, vcc, v8, v1, vcc
	v_cmp_le_i64_e32 vcc, s[10:11], v[2:3]
	v_cmp_lt_u64_e64 s[0:1], s[18:19], v[2:3]
	v_add_co_u32_e64 v4, s[2:3], s20, v4
	v_addc_co_u32_e64 v1, s[2:3], v1, v11, s[2:3]
	s_or_b64 s[0:1], vcc, s[0:1]
	v_add_co_u32_e64 v2, s[2:3], s21, v2
	s_and_b64 s[0:1], exec, s[0:1]
	v_addc_co_u32_e64 v3, s[2:3], v3, v12, s[2:3]
	s_or_b64 s[16:17], s[0:1], s[16:17]
	s_waitcnt vmcnt(0)
	v_lshlrev_b32_e32 v18, 16, v14
	v_and_b32_e32 v13, 0xffff0000, v14
	v_alignbit_b32 v14, v15, v14, 16
	v_cmp_gt_f32_e32 vcc, s22, v18
	v_and_b32_e32 v15, 0xffff0000, v15
	v_cndmask_b32_e32 v19, 1.0, v6, vcc
	v_cmp_gt_f32_e64 s[0:1], s22, v13
	v_and_b32_e32 v14, 0xffff0000, v14
	v_cndmask_b32_e64 v20, 1.0, v6, s[0:1]
	v_cmp_gt_f32_e64 s[2:3], s22, v15
	v_mul_f32_e32 v18, v18, v19
	v_cndmask_b32_e32 v19, 0, v7, vcc
	v_cmp_gt_f32_e32 vcc, s22, v14
	v_cndmask_b32_e64 v21, 1.0, v6, s[2:3]
	v_mul_f32_e32 v13, v13, v20
	v_cndmask_b32_e32 v22, 1.0, v6, vcc
	v_mul_f32_e32 v15, v15, v21
	v_log_f32_e32 v18, v18
	v_log_f32_e32 v13, v13
	v_mul_f32_e32 v14, v14, v22
	v_log_f32_e32 v15, v15
	v_log_f32_e32 v14, v14
	v_mul_f32_e32 v23, 0x3f317217, v18
	v_mul_f32_e32 v24, 0x3f317217, v13
	;; [unrolled: 1-line block ×3, first 2 shown]
	v_fma_f32 v26, v18, s23, -v23
	v_fma_f32 v27, v13, s23, -v24
	v_mul_f32_e32 v28, 0x3f317217, v14
	v_fma_f32 v29, v15, s23, -v25
	v_fmac_f32_e32 v26, 0x3377d1cf, v18
	v_fmac_f32_e32 v27, 0x3377d1cf, v13
	v_fma_f32 v30, v14, s23, -v28
	v_cndmask_b32_e64 v21, 0, v7, s[2:3]
	v_cndmask_b32_e32 v22, 0, v7, vcc
	v_fmac_f32_e32 v29, 0x3377d1cf, v15
	v_add_f32_e32 v23, v23, v26
	v_add_f32_e32 v24, v24, v27
	v_cmp_lt_f32_e64 vcc, |v13|, s24
	v_fmac_f32_e32 v30, 0x3377d1cf, v14
	v_cmp_lt_f32_e64 s[2:3], |v18|, s24
	v_cndmask_b32_e64 v20, 0, v7, s[0:1]
	v_add_f32_e32 v25, v25, v29
	v_cmp_lt_f32_e64 s[0:1], |v15|, s24
	v_cndmask_b32_e64 v18, v18, v23, s[2:3]
	v_cndmask_b32_e32 v13, v13, v24, vcc
	v_add_f32_e32 v23, v28, v30
	v_cmp_lt_f32_e64 vcc, |v14|, s24
	v_cndmask_b32_e64 v15, v15, v25, s[0:1]
	v_sub_f32_e32 v18, v18, v19
	v_sub_f32_e32 v13, v13, v20
	v_cndmask_b32_e32 v14, v14, v23, vcc
	v_sub_f32_e32 v15, v15, v21
	v_bfe_u32 v19, v18, 16, 1
	v_bfe_u32 v20, v13, 16, 1
	v_sub_f32_e32 v14, v14, v22
	v_bfe_u32 v21, v15, 16, 1
	v_add3_u32 v19, v18, v19, s25
	v_add3_u32 v20, v13, v20, s25
	v_bfe_u32 v22, v14, 16, 1
	v_add3_u32 v21, v15, v21, s25
	v_lshrrev_b32_e32 v19, 16, v19
	v_and_b32_e32 v20, 0xffff0000, v20
	v_add3_u32 v22, v14, v22, s25
	v_cmp_o_f32_e32 vcc, v13, v13
	v_cmp_o_f32_e64 s[0:1], v18, v18
	v_and_b32_e32 v21, 0xffff0000, v21
	v_cmp_o_f32_e64 s[2:3], v15, v15
	v_lshrrev_b32_e32 v13, 16, v22
	v_cndmask_b32_e32 v18, v9, v20, vcc
	v_cndmask_b32_e64 v19, v10, v19, s[0:1]
	v_cmp_o_f32_e32 vcc, v14, v14
	v_cndmask_b32_e64 v15, v9, v21, s[2:3]
	v_cndmask_b32_e32 v13, v10, v13, vcc
	v_or_b32_e32 v14, v19, v18
	v_or3_b32 v15, 0, v13, v15
	v_or3_b32 v14, v14, 0, 0
	global_store_dwordx2 v[16:17], v[14:15], off
	s_andn2_b64 exec, exec, s[16:17]
	s_cbranch_execnz .LBB171_3
.LBB171_4:
	s_or_b64 exec, exec, s[12:13]
	s_mov_b64 s[2:3], 0
.LBB171_5:
	s_andn2_b64 vcc, exec, s[2:3]
	s_cbranch_vccnz .LBB171_25
; %bb.6:
	v_cmp_lt_i64_e64 s[0:1], s[10:11], 1
	s_and_b64 vcc, exec, s[0:1]
	s_cbranch_vccnz .LBB171_25
; %bb.7:
	s_load_dword s0, s[4:5], 0xc5c
	v_mov_b32_e32 v2, 0x10000
	v_mov_b32_e32 v3, 0
	v_cmp_lt_u64_e32 vcc, s[10:11], v[2:3]
	v_lshlrev_b32_e32 v10, 1, v0
	s_waitcnt lgkmcnt(0)
	s_and_b32 s2, s0, 0xffff
	s_and_b64 s[0:1], vcc, exec
	v_mov_b32_e32 v13, s15
	v_add_co_u32_e32 v2, vcc, s14, v10
	v_addc_co_u32_e32 v1, vcc, 0, v13, vcc
	v_mov_b32_e32 v11, 0
	v_mov_b32_e32 v15, s7
	v_add_co_u32_e32 v4, vcc, s6, v10
	v_addc_co_u32_e32 v3, vcc, 0, v15, vcc
	v_mad_u64_u32 v[8:9], s[0:1], s2, 6, v[10:11]
	v_add_co_u32_e32 v6, vcc, s14, v8
	v_addc_co_u32_e32 v5, vcc, v13, v9, vcc
	v_add_co_u32_e32 v8, vcc, s6, v8
	s_mul_i32 s4, s2, 3
	v_addc_co_u32_e32 v7, vcc, v15, v9, vcc
	s_cselect_b32 s13, s11, 0
	s_cselect_b32 s12, s10, 0x10000
	s_lshl_b32 s19, s2, 2
	v_add_co_u32_e32 v17, vcc, s4, v0
	v_addc_co_u32_e64 v18, s[0:1], 0, 0, vcc
	v_add_co_u32_e32 v11, vcc, s19, v10
	v_addc_co_u32_e64 v14, s[0:1], 0, 0, vcc
	v_add_co_u32_e32 v10, vcc, s14, v11
	v_addc_co_u32_e32 v9, vcc, v13, v14, vcc
	v_add_co_u32_e32 v12, vcc, s6, v11
	s_lshl_b32 s3, s2, 1
	v_addc_co_u32_e32 v11, vcc, v15, v14, vcc
	v_add_co_u32_e32 v19, vcc, s3, v0
	v_addc_co_u32_e64 v20, s[0:1], 0, 0, vcc
	v_add_co_u32_e32 v21, vcc, s2, v0
	v_lshlrev_b32_e32 v16, 1, v21
	v_addc_co_u32_e64 v22, s[0:1], 0, 0, vcc
	v_add_co_u32_e32 v14, vcc, s14, v16
	v_addc_co_u32_e32 v13, vcc, 0, v13, vcc
	v_add_co_u32_e32 v16, vcc, s6, v16
	s_mov_b32 s18, 0
	s_lshl_b32 s20, s2, 3
	v_addc_co_u32_e32 v15, vcc, 0, v15, vcc
	s_mov_b64 s[14:15], 0
	s_mov_b32 s21, 0x800000
	s_mov_b32 s22, 0x3f317217
	;; [unrolled: 1-line block ×3, first 2 shown]
	s_movk_i32 s24, 0x7fff
	v_mov_b32_e32 v23, 0x4f800000
	v_mov_b32_e32 v24, 0x41b17218
	v_mov_b32_e32 v25, 0x7fc0
	s_branch .LBB171_9
.LBB171_8:                              ;   in Loop: Header=BB171_9 Depth=1
	s_or_b64 exec, exec, s[0:1]
	s_add_u32 s14, s14, s19
	s_addc_u32 s15, s15, 0
	s_waitcnt vmcnt(0)
	v_pk_mov_b32 v[26:27], s[10:11], s[10:11] op_sel:[0,1]
	v_cmp_ge_i64_e32 vcc, s[14:15], v[26:27]
	v_mov_b32_e32 v26, 0xffff
	v_mov_b32_e32 v27, 0
	v_cmp_gt_u64_e64 s[0:1], s[14:15], v[26:27]
	s_or_b64 s[0:1], vcc, s[0:1]
	v_mov_b32_e32 v26, s18
	v_add_co_u32_e32 v2, vcc, s20, v2
	v_addc_co_u32_e32 v1, vcc, v1, v26, vcc
	v_add_co_u32_e32 v4, vcc, s20, v4
	v_addc_co_u32_e32 v3, vcc, v3, v26, vcc
	v_add_co_u32_e32 v6, vcc, s20, v6
	v_addc_co_u32_e32 v5, vcc, v5, v26, vcc
	v_add_co_u32_e32 v8, vcc, s20, v8
	v_addc_co_u32_e32 v7, vcc, v7, v26, vcc
	v_add_co_u32_e32 v10, vcc, s20, v10
	v_addc_co_u32_e32 v9, vcc, v9, v26, vcc
	v_add_co_u32_e32 v12, vcc, s20, v12
	v_addc_co_u32_e32 v11, vcc, v11, v26, vcc
	v_add_co_u32_e32 v14, vcc, s20, v14
	v_addc_co_u32_e32 v13, vcc, v13, v26, vcc
	v_add_co_u32_e32 v16, vcc, s20, v16
	v_addc_co_u32_e32 v15, vcc, v15, v26, vcc
	s_and_b64 vcc, exec, s[0:1]
	s_cbranch_vccnz .LBB171_25
.LBB171_9:                              ; =>This Inner Loop Header: Depth=1
	v_mov_b32_e32 v27, s15
	v_add_co_u32_e32 v26, vcc, s14, v0
	v_addc_co_u32_e32 v27, vcc, 0, v27, vcc
	v_cmp_gt_u64_e64 s[4:5], s[12:13], v[26:27]
	v_mov_b32_e32 v29, 0
	s_and_saveexec_b64 s[0:1], s[4:5]
	s_cbranch_execz .LBB171_11
; %bb.10:                               ;   in Loop: Header=BB171_9 Depth=1
	v_mov_b32_e32 v27, s9
	v_add_co_u32_e32 v26, vcc, s8, v2
	v_addc_co_u32_e32 v27, vcc, v1, v27, vcc
	global_load_ushort v29, v[26:27], off
.LBB171_11:                             ;   in Loop: Header=BB171_9 Depth=1
	s_or_b64 exec, exec, s[0:1]
	v_mov_b32_e32 v27, s15
	v_add_co_u32_e32 v26, vcc, s14, v21
	v_addc_co_u32_e32 v27, vcc, v22, v27, vcc
	v_cmp_gt_u64_e64 s[2:3], s[12:13], v[26:27]
	v_mov_b32_e32 v28, 0
	s_and_saveexec_b64 s[0:1], s[2:3]
	s_cbranch_execz .LBB171_13
; %bb.12:                               ;   in Loop: Header=BB171_9 Depth=1
	v_mov_b32_e32 v27, s9
	v_add_co_u32_e32 v26, vcc, s8, v14
	v_addc_co_u32_e32 v27, vcc, v13, v27, vcc
	global_load_ushort v28, v[26:27], off
.LBB171_13:                             ;   in Loop: Header=BB171_9 Depth=1
	s_or_b64 exec, exec, s[0:1]
	v_mov_b32_e32 v27, s15
	v_add_co_u32_e32 v26, vcc, s14, v19
	v_addc_co_u32_e32 v27, vcc, v20, v27, vcc
	v_cmp_gt_u64_e64 s[0:1], s[12:13], v[26:27]
	v_mov_b32_e32 v26, 0
	v_mov_b32_e32 v27, 0
	s_and_saveexec_b64 s[6:7], s[0:1]
	s_cbranch_execz .LBB171_15
; %bb.14:                               ;   in Loop: Header=BB171_9 Depth=1
	v_mov_b32_e32 v27, s9
	v_add_co_u32_e32 v30, vcc, s8, v10
	v_addc_co_u32_e32 v31, vcc, v9, v27, vcc
	global_load_ushort v27, v[30:31], off
.LBB171_15:                             ;   in Loop: Header=BB171_9 Depth=1
	s_or_b64 exec, exec, s[6:7]
	v_mov_b32_e32 v31, s15
	v_add_co_u32_e32 v30, vcc, s14, v17
	v_addc_co_u32_e32 v31, vcc, v18, v31, vcc
	v_cmp_gt_u64_e32 vcc, s[12:13], v[30:31]
	s_and_saveexec_b64 s[16:17], vcc
	s_cbranch_execnz .LBB171_20
; %bb.16:                               ;   in Loop: Header=BB171_9 Depth=1
	s_or_b64 exec, exec, s[16:17]
	s_and_saveexec_b64 s[6:7], s[4:5]
	s_cbranch_execnz .LBB171_21
.LBB171_17:                             ;   in Loop: Header=BB171_9 Depth=1
	s_or_b64 exec, exec, s[6:7]
	s_and_saveexec_b64 s[4:5], s[2:3]
	s_cbranch_execnz .LBB171_22
.LBB171_18:                             ;   in Loop: Header=BB171_9 Depth=1
	s_or_b64 exec, exec, s[4:5]
	s_and_saveexec_b64 s[2:3], s[0:1]
	s_cbranch_execnz .LBB171_23
.LBB171_19:                             ;   in Loop: Header=BB171_9 Depth=1
	s_or_b64 exec, exec, s[2:3]
	s_and_saveexec_b64 s[0:1], vcc
	s_cbranch_execz .LBB171_8
	s_branch .LBB171_24
.LBB171_20:                             ;   in Loop: Header=BB171_9 Depth=1
	v_mov_b32_e32 v26, s9
	v_add_co_u32_e64 v30, s[6:7], s8, v6
	v_addc_co_u32_e64 v31, s[6:7], v5, v26, s[6:7]
	global_load_ushort v26, v[30:31], off
	s_or_b64 exec, exec, s[16:17]
	s_and_saveexec_b64 s[6:7], s[4:5]
	s_cbranch_execz .LBB171_17
.LBB171_21:                             ;   in Loop: Header=BB171_9 Depth=1
	s_waitcnt vmcnt(0)
	v_lshlrev_b32_e32 v29, 16, v29
	v_cmp_gt_f32_e64 s[4:5], s21, v29
	v_cndmask_b32_e64 v30, 1.0, v23, s[4:5]
	v_mul_f32_e32 v29, v29, v30
	v_log_f32_e32 v29, v29
	v_cndmask_b32_e64 v30, 0, v24, s[4:5]
	v_mul_f32_e32 v31, 0x3f317217, v29
	v_fma_f32 v32, v29, s22, -v31
	v_fmac_f32_e32 v32, 0x3377d1cf, v29
	v_add_f32_e32 v31, v31, v32
	v_cmp_lt_f32_e64 s[4:5], |v29|, s23
	v_cndmask_b32_e64 v29, v29, v31, s[4:5]
	v_sub_f32_e32 v29, v29, v30
	v_bfe_u32 v30, v29, 16, 1
	v_add3_u32 v30, v29, v30, s24
	v_lshrrev_b32_e32 v30, 16, v30
	v_cmp_o_f32_e64 s[4:5], v29, v29
	v_cndmask_b32_e64 v29, v25, v30, s[4:5]
	v_mov_b32_e32 v31, s9
	v_add_co_u32_e64 v30, s[4:5], s8, v4
	v_addc_co_u32_e64 v31, s[4:5], v3, v31, s[4:5]
	global_store_short v[30:31], v29, off
	s_or_b64 exec, exec, s[6:7]
	s_and_saveexec_b64 s[4:5], s[2:3]
	s_cbranch_execz .LBB171_18
.LBB171_22:                             ;   in Loop: Header=BB171_9 Depth=1
	s_waitcnt vmcnt(0)
	v_lshlrev_b32_e32 v28, 16, v28
	v_cmp_gt_f32_e64 s[2:3], s21, v28
	v_cndmask_b32_e64 v29, 1.0, v23, s[2:3]
	v_mul_f32_e32 v28, v28, v29
	v_log_f32_e32 v28, v28
	v_cndmask_b32_e64 v29, 0, v24, s[2:3]
	v_mul_f32_e32 v30, 0x3f317217, v28
	v_fma_f32 v31, v28, s22, -v30
	v_fmac_f32_e32 v31, 0x3377d1cf, v28
	v_add_f32_e32 v30, v30, v31
	v_cmp_lt_f32_e64 s[2:3], |v28|, s23
	v_cndmask_b32_e64 v28, v28, v30, s[2:3]
	v_sub_f32_e32 v28, v28, v29
	v_bfe_u32 v29, v28, 16, 1
	v_add3_u32 v29, v28, v29, s24
	v_lshrrev_b32_e32 v29, 16, v29
	v_cmp_o_f32_e64 s[2:3], v28, v28
	v_cndmask_b32_e64 v30, v25, v29, s[2:3]
	v_mov_b32_e32 v29, s9
	v_add_co_u32_e64 v28, s[2:3], s8, v16
	v_addc_co_u32_e64 v29, s[2:3], v15, v29, s[2:3]
	global_store_short v[28:29], v30, off
	s_or_b64 exec, exec, s[4:5]
	s_and_saveexec_b64 s[2:3], s[0:1]
	s_cbranch_execz .LBB171_19
.LBB171_23:                             ;   in Loop: Header=BB171_9 Depth=1
	s_waitcnt vmcnt(0)
	v_lshlrev_b32_e32 v27, 16, v27
	v_cmp_gt_f32_e64 s[0:1], s21, v27
	v_cndmask_b32_e64 v28, 1.0, v23, s[0:1]
	v_mul_f32_e32 v27, v27, v28
	v_log_f32_e32 v27, v27
	v_cndmask_b32_e64 v28, 0, v24, s[0:1]
	v_mul_f32_e32 v29, 0x3f317217, v27
	v_fma_f32 v30, v27, s22, -v29
	v_fmac_f32_e32 v30, 0x3377d1cf, v27
	v_add_f32_e32 v29, v29, v30
	v_cmp_lt_f32_e64 s[0:1], |v27|, s23
	v_cndmask_b32_e64 v27, v27, v29, s[0:1]
	v_sub_f32_e32 v27, v27, v28
	v_bfe_u32 v28, v27, 16, 1
	v_add3_u32 v28, v27, v28, s24
	v_lshrrev_b32_e32 v28, 16, v28
	v_cmp_o_f32_e64 s[0:1], v27, v27
	v_cndmask_b32_e64 v27, v25, v28, s[0:1]
	v_mov_b32_e32 v29, s9
	v_add_co_u32_e64 v28, s[0:1], s8, v12
	v_addc_co_u32_e64 v29, s[0:1], v11, v29, s[0:1]
	global_store_short v[28:29], v27, off
	s_or_b64 exec, exec, s[2:3]
	s_and_saveexec_b64 s[0:1], vcc
	s_cbranch_execz .LBB171_8
.LBB171_24:                             ;   in Loop: Header=BB171_9 Depth=1
	s_waitcnt vmcnt(0)
	v_lshlrev_b32_e32 v26, 16, v26
	v_cmp_gt_f32_e32 vcc, s21, v26
	v_cndmask_b32_e32 v27, 1.0, v23, vcc
	v_mul_f32_e32 v26, v26, v27
	v_log_f32_e32 v26, v26
	v_cndmask_b32_e32 v27, 0, v24, vcc
	v_mul_f32_e32 v28, 0x3f317217, v26
	v_fma_f32 v29, v26, s22, -v28
	v_fmac_f32_e32 v29, 0x3377d1cf, v26
	v_add_f32_e32 v28, v28, v29
	v_cmp_lt_f32_e64 vcc, |v26|, s23
	v_cndmask_b32_e32 v26, v26, v28, vcc
	v_sub_f32_e32 v26, v26, v27
	v_bfe_u32 v27, v26, 16, 1
	v_add3_u32 v27, v26, v27, s24
	v_lshrrev_b32_e32 v27, 16, v27
	v_cmp_o_f32_e32 vcc, v26, v26
	v_cndmask_b32_e32 v28, v25, v27, vcc
	v_mov_b32_e32 v27, s9
	v_add_co_u32_e32 v26, vcc, s8, v8
	v_addc_co_u32_e32 v27, vcc, v7, v27, vcc
	global_store_short v[26:27], v28, off
	s_branch .LBB171_8
.LBB171_25:
	s_endpgm
	.section	.rodata,"a",@progbits
	.p2align	6, 0x0
	.amdhsa_kernel _ZN2at6native12_GLOBAL__N_125multi_tensor_apply_kernelINS1_18TensorListMetadataILi2EEENS1_14UnaryOpFunctorIN3c108BFloat16ELi2ELi1ELi1EEEJNS0_3LogIfEEEEEvT_T0_DpT1_
		.amdhsa_group_segment_fixed_size 0
		.amdhsa_private_segment_fixed_size 0
		.amdhsa_kernarg_size 3408
		.amdhsa_user_sgpr_count 6
		.amdhsa_user_sgpr_private_segment_buffer 1
		.amdhsa_user_sgpr_dispatch_ptr 0
		.amdhsa_user_sgpr_queue_ptr 0
		.amdhsa_user_sgpr_kernarg_segment_ptr 1
		.amdhsa_user_sgpr_dispatch_id 0
		.amdhsa_user_sgpr_flat_scratch_init 0
		.amdhsa_user_sgpr_kernarg_preload_length 0
		.amdhsa_user_sgpr_kernarg_preload_offset 0
		.amdhsa_user_sgpr_private_segment_size 0
		.amdhsa_uses_dynamic_stack 0
		.amdhsa_system_sgpr_private_segment_wavefront_offset 0
		.amdhsa_system_sgpr_workgroup_id_x 1
		.amdhsa_system_sgpr_workgroup_id_y 0
		.amdhsa_system_sgpr_workgroup_id_z 0
		.amdhsa_system_sgpr_workgroup_info 0
		.amdhsa_system_vgpr_workitem_id 0
		.amdhsa_next_free_vgpr 33
		.amdhsa_next_free_sgpr 26
		.amdhsa_accum_offset 36
		.amdhsa_reserve_vcc 1
		.amdhsa_reserve_flat_scratch 0
		.amdhsa_float_round_mode_32 0
		.amdhsa_float_round_mode_16_64 0
		.amdhsa_float_denorm_mode_32 3
		.amdhsa_float_denorm_mode_16_64 3
		.amdhsa_dx10_clamp 1
		.amdhsa_ieee_mode 1
		.amdhsa_fp16_overflow 0
		.amdhsa_tg_split 0
		.amdhsa_exception_fp_ieee_invalid_op 0
		.amdhsa_exception_fp_denorm_src 0
		.amdhsa_exception_fp_ieee_div_zero 0
		.amdhsa_exception_fp_ieee_overflow 0
		.amdhsa_exception_fp_ieee_underflow 0
		.amdhsa_exception_fp_ieee_inexact 0
		.amdhsa_exception_int_div_zero 0
	.end_amdhsa_kernel
	.section	.text._ZN2at6native12_GLOBAL__N_125multi_tensor_apply_kernelINS1_18TensorListMetadataILi2EEENS1_14UnaryOpFunctorIN3c108BFloat16ELi2ELi1ELi1EEEJNS0_3LogIfEEEEEvT_T0_DpT1_,"axG",@progbits,_ZN2at6native12_GLOBAL__N_125multi_tensor_apply_kernelINS1_18TensorListMetadataILi2EEENS1_14UnaryOpFunctorIN3c108BFloat16ELi2ELi1ELi1EEEJNS0_3LogIfEEEEEvT_T0_DpT1_,comdat
.Lfunc_end171:
	.size	_ZN2at6native12_GLOBAL__N_125multi_tensor_apply_kernelINS1_18TensorListMetadataILi2EEENS1_14UnaryOpFunctorIN3c108BFloat16ELi2ELi1ELi1EEEJNS0_3LogIfEEEEEvT_T0_DpT1_, .Lfunc_end171-_ZN2at6native12_GLOBAL__N_125multi_tensor_apply_kernelINS1_18TensorListMetadataILi2EEENS1_14UnaryOpFunctorIN3c108BFloat16ELi2ELi1ELi1EEEJNS0_3LogIfEEEEEvT_T0_DpT1_
                                        ; -- End function
	.section	.AMDGPU.csdata,"",@progbits
; Kernel info:
; codeLenInByte = 2228
; NumSgprs: 30
; NumVgprs: 33
; NumAgprs: 0
; TotalNumVgprs: 33
; ScratchSize: 0
; MemoryBound: 0
; FloatMode: 240
; IeeeMode: 1
; LDSByteSize: 0 bytes/workgroup (compile time only)
; SGPRBlocks: 3
; VGPRBlocks: 4
; NumSGPRsForWavesPerEU: 30
; NumVGPRsForWavesPerEU: 33
; AccumOffset: 36
; Occupancy: 8
; WaveLimiterHint : 0
; COMPUTE_PGM_RSRC2:SCRATCH_EN: 0
; COMPUTE_PGM_RSRC2:USER_SGPR: 6
; COMPUTE_PGM_RSRC2:TRAP_HANDLER: 0
; COMPUTE_PGM_RSRC2:TGID_X_EN: 1
; COMPUTE_PGM_RSRC2:TGID_Y_EN: 0
; COMPUTE_PGM_RSRC2:TGID_Z_EN: 0
; COMPUTE_PGM_RSRC2:TIDIG_COMP_CNT: 0
; COMPUTE_PGM_RSRC3_GFX90A:ACCUM_OFFSET: 8
; COMPUTE_PGM_RSRC3_GFX90A:TG_SPLIT: 0
	.section	.text._ZN2at6native12_GLOBAL__N_125multi_tensor_apply_kernelINS1_18TensorListMetadataILi1EEENS1_14UnaryOpFunctorIdLi1ELi1ELi0EEEJNS0_3LogIdEEEEEvT_T0_DpT1_,"axG",@progbits,_ZN2at6native12_GLOBAL__N_125multi_tensor_apply_kernelINS1_18TensorListMetadataILi1EEENS1_14UnaryOpFunctorIdLi1ELi1ELi0EEEJNS0_3LogIdEEEEEvT_T0_DpT1_,comdat
	.globl	_ZN2at6native12_GLOBAL__N_125multi_tensor_apply_kernelINS1_18TensorListMetadataILi1EEENS1_14UnaryOpFunctorIdLi1ELi1ELi0EEEJNS0_3LogIdEEEEEvT_T0_DpT1_ ; -- Begin function _ZN2at6native12_GLOBAL__N_125multi_tensor_apply_kernelINS1_18TensorListMetadataILi1EEENS1_14UnaryOpFunctorIdLi1ELi1ELi0EEEJNS0_3LogIdEEEEEvT_T0_DpT1_
	.p2align	8
	.type	_ZN2at6native12_GLOBAL__N_125multi_tensor_apply_kernelINS1_18TensorListMetadataILi1EEENS1_14UnaryOpFunctorIdLi1ELi1ELi0EEEJNS0_3LogIdEEEEEvT_T0_DpT1_,@function
_ZN2at6native12_GLOBAL__N_125multi_tensor_apply_kernelINS1_18TensorListMetadataILi1EEENS1_14UnaryOpFunctorIdLi1ELi1ELi0EEEJNS0_3LogIdEEEEEvT_T0_DpT1_: ; @_ZN2at6native12_GLOBAL__N_125multi_tensor_apply_kernelINS1_18TensorListMetadataILi1EEENS1_14UnaryOpFunctorIdLi1ELi1ELi0EEEJNS0_3LogIdEEEEEvT_T0_DpT1_
; %bb.0:
	v_mov_b32_e32 v1, s6
	global_load_ubyte v1, v1, s[4:5] offset:1760
	s_add_u32 s0, s4, s6
	s_mul_hi_u32 s1, s6, 3
	s_mul_i32 s6, s6, 3
	s_addc_u32 s2, s5, 0
	s_add_u32 s0, s0, s6
	s_addc_u32 s1, s2, s1
	s_load_dword s0, s[0:1], 0x820
	s_mov_b32 s7, 0
	s_waitcnt vmcnt(0)
	v_readfirstlane_b32 s2, v1
	s_lshl_b32 s1, s2, 3
	s_load_dwordx2 s[2:3], s[4:5], s1 offset:0x370
	s_load_dwordx2 s[12:13], s[4:5], s1 offset:0x0
	s_waitcnt lgkmcnt(0)
	s_ashr_i32 s1, s0, 31
	s_lshl_b64 s[14:15], s[0:1], 19
	s_lshl_b64 s[0:1], s[0:1], 16
	s_and_b32 s6, s12, 31
	s_sub_u32 s10, s2, s0
	s_subb_u32 s11, s3, s1
	s_and_b32 s0, s2, 3
	s_mov_b32 s1, s7
	s_or_b64 s[0:1], s[6:7], s[0:1]
	s_cmp_eq_u64 s[0:1], 0
	s_cbranch_scc1 .LBB172_21
; %bb.1:
	v_cmp_lt_i64_e64 s[0:1], s[10:11], 1
	s_and_b64 vcc, exec, s[0:1]
	s_cbranch_vccnz .LBB172_20
; %bb.2:
	s_load_dword s0, s[4:5], 0xd3c
	v_mov_b32_e32 v4, 0x10000
	v_mov_b32_e32 v5, 0
	v_cmp_lt_u64_e32 vcc, s[10:11], v[4:5]
	v_lshlrev_b32_e32 v1, 3, v0
	s_waitcnt lgkmcnt(0)
	s_and_b32 s2, s0, 0xffff
	s_and_b64 s[0:1], vcc, exec
	s_cselect_b32 s17, s11, 0
	s_cselect_b32 s16, s10, 0x10000
	s_lshl_b32 s3, s2, 1
	s_lshl_b32 s31, s2, 2
	s_add_u32 s6, s12, s14
	s_addc_u32 s7, s13, s15
	v_mov_b32_e32 v3, s7
	v_add_co_u32_e32 v4, vcc, s6, v1
	s_mul_i32 s0, s2, 3
	v_addc_co_u32_e32 v5, vcc, 0, v3, vcc
	v_add_co_u32_e32 v1, vcc, s0, v0
	v_addc_co_u32_e64 v28, s[0:1], 0, 0, vcc
	v_add_co_u32_e32 v29, vcc, s3, v0
	v_addc_co_u32_e64 v30, s[0:1], 0, 0, vcc
	v_add_co_u32_e32 v31, vcc, s2, v0
	v_lshlrev_b32_e32 v3, 3, v31
	s_mov_b32 s30, 0
	v_addc_co_u32_e64 v32, s[0:1], 0, 0, vcc
	v_mov_b32_e32 v7, s7
	v_add_co_u32_e32 v6, vcc, s6, v3
	s_mov_b32 s20, 0x55555555
	s_mov_b32 s22, 0xfefa39ef
	;; [unrolled: 1-line block ×4, first 2 shown]
	v_mov_b32_e32 v2, 0
	s_lshl_b32 s33, s2, 5
	s_mul_i32 s34, s2, 24
	s_mov_b32 s35, s30
	s_lshl_b32 s36, s2, 4
	s_mov_b32 s37, s30
	v_addc_co_u32_e32 v7, vcc, 0, v7, vcc
	s_mov_b64 s[18:19], 0
	s_movk_i32 s38, 0x204
	s_mov_b32 s21, 0x3fe55555
	s_mov_b32 s23, 0x3fe62e42
	;; [unrolled: 1-line block ×4, first 2 shown]
	v_mov_b32_e32 v33, 0x3ff00000
	v_mov_b32_e32 v8, 0x6b47b09a
	;; [unrolled: 1-line block ×15, first 2 shown]
	s_branch .LBB172_4
.LBB172_3:                              ;   in Loop: Header=BB172_4 Depth=1
	s_or_b64 exec, exec, s[0:1]
	s_add_u32 s18, s18, s31
	s_addc_u32 s19, s19, 0
	s_waitcnt vmcnt(0)
	v_pk_mov_b32 v[20:21], s[10:11], s[10:11] op_sel:[0,1]
	v_cmp_lt_i64_e32 vcc, s[18:19], v[20:21]
	v_mov_b32_e32 v20, 0x10000
	v_mov_b32_e32 v21, 0
	v_cmp_lt_u64_e64 s[0:1], s[18:19], v[20:21]
	s_and_b64 s[0:1], vcc, s[0:1]
	v_mov_b32_e32 v3, s30
	v_add_co_u32_e32 v4, vcc, s33, v4
	v_addc_co_u32_e32 v5, vcc, v5, v3, vcc
	v_add_co_u32_e32 v6, vcc, s33, v6
	v_addc_co_u32_e32 v7, vcc, v7, v3, vcc
	s_and_b64 vcc, exec, s[0:1]
	s_cbranch_vccz .LBB172_20
.LBB172_4:                              ; =>This Inner Loop Header: Depth=1
	v_mov_b32_e32 v3, s19
	v_add_co_u32_e32 v20, vcc, s18, v0
	v_addc_co_u32_e32 v21, vcc, 0, v3, vcc
	v_pk_mov_b32 v[24:25], 0, 0
	v_cmp_gt_u64_e64 s[6:7], s[16:17], v[20:21]
	v_pk_mov_b32 v[26:27], v[24:25], v[24:25] op_sel:[0,1]
	s_and_saveexec_b64 s[0:1], s[6:7]
	s_cbranch_execz .LBB172_6
; %bb.5:                                ;   in Loop: Header=BB172_4 Depth=1
	global_load_dwordx2 v[26:27], v[4:5], off
.LBB172_6:                              ;   in Loop: Header=BB172_4 Depth=1
	s_or_b64 exec, exec, s[0:1]
	v_mov_b32_e32 v3, s19
	v_add_co_u32_e32 v20, vcc, s18, v31
	v_addc_co_u32_e32 v21, vcc, v32, v3, vcc
	v_cmp_gt_u64_e64 s[2:3], s[16:17], v[20:21]
	s_and_saveexec_b64 s[0:1], s[2:3]
	s_cbranch_execz .LBB172_8
; %bb.7:                                ;   in Loop: Header=BB172_4 Depth=1
	global_load_dwordx2 v[24:25], v[6:7], off
.LBB172_8:                              ;   in Loop: Header=BB172_4 Depth=1
	s_or_b64 exec, exec, s[0:1]
	v_mov_b32_e32 v3, s19
	v_add_co_u32_e32 v20, vcc, s18, v29
	v_addc_co_u32_e32 v21, vcc, v30, v3, vcc
	v_cmp_gt_u64_e64 s[0:1], s[16:17], v[20:21]
	v_pk_mov_b32 v[20:21], 0, 0
	v_pk_mov_b32 v[22:23], v[20:21], v[20:21] op_sel:[0,1]
	s_and_saveexec_b64 s[8:9], s[0:1]
	s_cbranch_execz .LBB172_10
; %bb.9:                                ;   in Loop: Header=BB172_4 Depth=1
	v_mov_b32_e32 v3, s37
	v_add_co_u32_e32 v22, vcc, s36, v4
	v_addc_co_u32_e32 v23, vcc, v5, v3, vcc
	global_load_dwordx2 v[22:23], v[22:23], off
.LBB172_10:                             ;   in Loop: Header=BB172_4 Depth=1
	s_or_b64 exec, exec, s[8:9]
	v_mov_b32_e32 v3, s19
	v_add_co_u32_e32 v36, vcc, s18, v1
	v_addc_co_u32_e32 v37, vcc, v28, v3, vcc
	v_cmp_gt_u64_e32 vcc, s[16:17], v[36:37]
	s_and_saveexec_b64 s[28:29], vcc
	s_cbranch_execnz .LBB172_15
; %bb.11:                               ;   in Loop: Header=BB172_4 Depth=1
	s_or_b64 exec, exec, s[28:29]
	s_and_saveexec_b64 s[28:29], s[6:7]
	s_cbranch_execnz .LBB172_16
.LBB172_12:                             ;   in Loop: Header=BB172_4 Depth=1
	s_or_b64 exec, exec, s[28:29]
	s_and_saveexec_b64 s[6:7], s[2:3]
	s_cbranch_execnz .LBB172_17
.LBB172_13:                             ;   in Loop: Header=BB172_4 Depth=1
	s_or_b64 exec, exec, s[6:7]
	s_and_saveexec_b64 s[2:3], s[0:1]
	s_cbranch_execnz .LBB172_18
.LBB172_14:                             ;   in Loop: Header=BB172_4 Depth=1
	s_or_b64 exec, exec, s[2:3]
	s_and_saveexec_b64 s[0:1], vcc
	s_cbranch_execz .LBB172_3
	s_branch .LBB172_19
.LBB172_15:                             ;   in Loop: Header=BB172_4 Depth=1
	v_mov_b32_e32 v3, s35
	v_add_co_u32_e64 v20, s[8:9], s34, v4
	v_addc_co_u32_e64 v21, s[8:9], v5, v3, s[8:9]
	global_load_dwordx2 v[20:21], v[20:21], off
	s_or_b64 exec, exec, s[28:29]
	s_and_saveexec_b64 s[28:29], s[6:7]
	s_cbranch_execz .LBB172_12
.LBB172_16:                             ;   in Loop: Header=BB172_4 Depth=1
	s_waitcnt vmcnt(0)
	v_frexp_mant_f64_e32 v[36:37], v[26:27]
	v_frexp_exp_i32_f64_e32 v3, v[26:27]
	v_cmp_gt_f64_e64 s[6:7], s[20:21], v[36:37]
	v_subbrev_co_u32_e64 v3, s[8:9], 0, v3, s[6:7]
	v_cvt_f64_i32_e32 v[38:39], v3
	v_cndmask_b32_e64 v3, v33, 2.0, s[6:7]
	v_mul_f64 v[36:37], v[36:37], v[2:3]
	v_add_f64 v[44:45], v[36:37], 1.0
	v_rcp_f64_e32 v[46:47], v[44:45]
	v_add_f64 v[48:49], v[36:37], -1.0
	v_add_f64 v[54:55], v[44:45], -1.0
	v_add_f64 v[36:37], v[36:37], -v[54:55]
	v_fma_f64 v[50:51], -v[44:45], v[46:47], 1.0
	v_fmac_f64_e32 v[46:47], v[50:51], v[46:47]
	v_fma_f64 v[50:51], -v[44:45], v[46:47], 1.0
	v_fmac_f64_e32 v[46:47], v[50:51], v[46:47]
	v_mul_f64 v[50:51], v[48:49], v[46:47]
	v_mul_f64 v[52:53], v[44:45], v[50:51]
	v_fma_f64 v[44:45], v[50:51], v[44:45], -v[52:53]
	v_fmac_f64_e32 v[44:45], v[50:51], v[36:37]
	v_add_f64 v[36:37], v[52:53], v[44:45]
	v_add_f64 v[54:55], v[48:49], -v[36:37]
	v_add_f64 v[52:53], v[36:37], -v[52:53]
	;; [unrolled: 1-line block ×5, first 2 shown]
	v_add_f64 v[36:37], v[44:45], v[36:37]
	v_add_f64 v[36:37], v[54:55], v[36:37]
	v_mul_f64 v[36:37], v[46:47], v[36:37]
	v_add_f64 v[44:45], v[50:51], v[36:37]
	v_mul_f64 v[48:49], v[44:45], v[44:45]
	v_pk_mov_b32 v[54:55], v[8:9], v[8:9] op_sel:[0,1]
	v_fmac_f64_e32 v[54:55], s[26:27], v[48:49]
	v_pk_mov_b32 v[56:57], v[10:11], v[10:11] op_sel:[0,1]
	v_fmac_f64_e32 v[56:57], v[48:49], v[54:55]
	;; [unrolled: 2-line block ×5, first 2 shown]
	v_pk_mov_b32 v[56:57], v[18:19], v[18:19] op_sel:[0,1]
	v_mul_f64 v[52:53], v[44:45], v[48:49]
	v_fmac_f64_e32 v[56:57], v[48:49], v[54:55]
	v_ldexp_f64 v[46:47], v[44:45], 1
	v_mul_f64 v[48:49], v[52:53], v[56:57]
	v_add_f64 v[52:53], v[46:47], v[48:49]
	v_add_f64 v[44:45], v[44:45], -v[50:51]
	v_mul_f64 v[40:41], v[38:39], s[22:23]
	v_add_f64 v[36:37], v[36:37], -v[44:45]
	v_add_f64 v[44:45], v[52:53], -v[46:47]
	v_fma_f64 v[42:43], v[38:39], s[22:23], -v[40:41]
	v_ldexp_f64 v[36:37], v[36:37], 1
	v_add_f64 v[44:45], v[48:49], -v[44:45]
	v_fmac_f64_e32 v[42:43], s[24:25], v[38:39]
	v_add_f64 v[36:37], v[36:37], v[44:45]
	v_add_f64 v[38:39], v[40:41], v[42:43]
	;; [unrolled: 1-line block ×4, first 2 shown]
	v_add_f64 v[40:41], v[38:39], -v[40:41]
	v_add_f64 v[40:41], v[42:43], -v[40:41]
	;; [unrolled: 1-line block ×7, first 2 shown]
	v_add_f64 v[42:43], v[40:41], v[36:37]
	v_add_f64 v[38:39], v[38:39], -v[48:49]
	v_add_f64 v[38:39], v[44:45], v[38:39]
	v_add_f64 v[48:49], v[42:43], -v[40:41]
	;; [unrolled: 2-line block ×4, first 2 shown]
	v_add_f64 v[40:41], v[40:41], -v[42:43]
	v_add_f64 v[36:37], v[36:37], v[40:41]
	v_add_f64 v[40:41], v[44:45], -v[46:47]
	v_add_f64 v[38:39], v[38:39], -v[40:41]
	v_add_f64 v[36:37], v[36:37], v[38:39]
	v_add_f64 v[36:37], v[44:45], v[36:37]
	v_cmp_class_f64_e64 s[6:7], v[26:27], s38
	v_cndmask_b32_e64 v3, v36, v26, s[6:7]
	v_cndmask_b32_e64 v36, v37, v27, s[6:7]
	v_cmp_ngt_f64_e64 s[6:7], 0, v[26:27]
	v_cndmask_b32_e64 v37, v34, v36, s[6:7]
	v_cmp_nge_f64_e64 s[6:7], 0, v[26:27]
	v_cndmask_b32_e64 v36, 0, v3, s[6:7]
	v_cmp_neq_f64_e64 s[6:7], 0, v[26:27]
	v_cndmask_b32_e64 v37, v35, v37, s[6:7]
	global_store_dwordx2 v[4:5], v[36:37], off
	s_or_b64 exec, exec, s[28:29]
	s_and_saveexec_b64 s[6:7], s[2:3]
	s_cbranch_execz .LBB172_13
.LBB172_17:                             ;   in Loop: Header=BB172_4 Depth=1
	s_waitcnt vmcnt(0)
	v_frexp_mant_f64_e32 v[26:27], v[24:25]
	v_cmp_gt_f64_e64 s[2:3], s[20:21], v[26:27]
	v_cndmask_b32_e64 v3, v33, 2.0, s[2:3]
	v_frexp_exp_i32_f64_e32 v36, v[24:25]
	v_mul_f64 v[26:27], v[26:27], v[2:3]
	v_subbrev_co_u32_e64 v3, s[2:3], 0, v36, s[2:3]
	v_add_f64 v[36:37], v[26:27], 1.0
	v_rcp_f64_e32 v[38:39], v[36:37]
	v_add_f64 v[42:43], v[36:37], -1.0
	v_add_f64 v[40:41], v[26:27], -1.0
	v_add_f64 v[26:27], v[26:27], -v[42:43]
	v_fma_f64 v[42:43], -v[36:37], v[38:39], 1.0
	v_fmac_f64_e32 v[38:39], v[42:43], v[38:39]
	v_fma_f64 v[42:43], -v[36:37], v[38:39], 1.0
	v_fmac_f64_e32 v[38:39], v[42:43], v[38:39]
	v_mul_f64 v[42:43], v[40:41], v[38:39]
	v_mul_f64 v[44:45], v[36:37], v[42:43]
	v_fma_f64 v[36:37], v[42:43], v[36:37], -v[44:45]
	v_fmac_f64_e32 v[36:37], v[42:43], v[26:27]
	v_add_f64 v[26:27], v[44:45], v[36:37]
	v_add_f64 v[46:47], v[40:41], -v[26:27]
	v_add_f64 v[44:45], v[26:27], -v[44:45]
	;; [unrolled: 1-line block ×5, first 2 shown]
	v_add_f64 v[26:27], v[36:37], v[26:27]
	v_add_f64 v[26:27], v[46:47], v[26:27]
	v_mul_f64 v[26:27], v[38:39], v[26:27]
	v_add_f64 v[36:37], v[42:43], v[26:27]
	v_add_f64 v[38:39], v[36:37], -v[42:43]
	v_add_f64 v[26:27], v[26:27], -v[38:39]
	v_mul_f64 v[38:39], v[36:37], v[36:37]
	v_pk_mov_b32 v[40:41], v[8:9], v[8:9] op_sel:[0,1]
	v_fmac_f64_e32 v[40:41], s[26:27], v[38:39]
	v_pk_mov_b32 v[42:43], v[10:11], v[10:11] op_sel:[0,1]
	v_fmac_f64_e32 v[42:43], v[38:39], v[40:41]
	;; [unrolled: 2-line block ×6, first 2 shown]
	v_ldexp_f64 v[40:41], v[36:37], 1
	v_mul_f64 v[36:37], v[36:37], v[38:39]
	v_mul_f64 v[36:37], v[36:37], v[42:43]
	v_add_f64 v[38:39], v[40:41], v[36:37]
	v_add_f64 v[40:41], v[38:39], -v[40:41]
	v_ldexp_f64 v[26:27], v[26:27], 1
	v_add_f64 v[36:37], v[36:37], -v[40:41]
	v_add_f64 v[26:27], v[26:27], v[36:37]
	v_add_f64 v[36:37], v[38:39], v[26:27]
	v_add_f64 v[38:39], v[36:37], -v[38:39]
	v_add_f64 v[26:27], v[26:27], -v[38:39]
	v_cvt_f64_i32_e32 v[38:39], v3
	v_mul_f64 v[40:41], v[38:39], s[22:23]
	v_fma_f64 v[42:43], v[38:39], s[22:23], -v[40:41]
	v_fmac_f64_e32 v[42:43], s[24:25], v[38:39]
	v_add_f64 v[38:39], v[40:41], v[42:43]
	v_add_f64 v[40:41], v[38:39], -v[40:41]
	v_add_f64 v[40:41], v[42:43], -v[40:41]
	v_add_f64 v[42:43], v[38:39], v[36:37]
	v_add_f64 v[44:45], v[42:43], -v[38:39]
	v_add_f64 v[46:47], v[42:43], -v[44:45]
	;; [unrolled: 1-line block ×4, first 2 shown]
	v_add_f64 v[36:37], v[36:37], v[38:39]
	v_add_f64 v[38:39], v[40:41], v[26:27]
	v_add_f64 v[44:45], v[38:39], -v[40:41]
	v_add_f64 v[46:47], v[38:39], -v[44:45]
	v_add_f64 v[36:37], v[38:39], v[36:37]
	v_add_f64 v[40:41], v[40:41], -v[46:47]
	v_add_f64 v[26:27], v[26:27], -v[44:45]
	v_add_f64 v[38:39], v[42:43], v[36:37]
	v_add_f64 v[26:27], v[26:27], v[40:41]
	v_add_f64 v[40:41], v[38:39], -v[42:43]
	v_add_f64 v[36:37], v[36:37], -v[40:41]
	v_add_f64 v[26:27], v[26:27], v[36:37]
	v_add_f64 v[26:27], v[38:39], v[26:27]
	v_cmp_class_f64_e64 s[2:3], v[24:25], s38
	v_cndmask_b32_e64 v3, v26, v24, s[2:3]
	v_cndmask_b32_e64 v26, v27, v25, s[2:3]
	v_cmp_ngt_f64_e64 s[2:3], 0, v[24:25]
	v_cndmask_b32_e64 v27, v34, v26, s[2:3]
	v_cmp_nge_f64_e64 s[2:3], 0, v[24:25]
	v_cndmask_b32_e64 v26, 0, v3, s[2:3]
	v_cmp_neq_f64_e64 s[2:3], 0, v[24:25]
	v_cndmask_b32_e64 v27, v35, v27, s[2:3]
	global_store_dwordx2 v[6:7], v[26:27], off
	s_or_b64 exec, exec, s[6:7]
	s_and_saveexec_b64 s[2:3], s[0:1]
	s_cbranch_execz .LBB172_14
.LBB172_18:                             ;   in Loop: Header=BB172_4 Depth=1
	s_waitcnt vmcnt(0)
	v_frexp_mant_f64_e32 v[24:25], v[22:23]
	v_cmp_gt_f64_e64 s[0:1], s[20:21], v[24:25]
	v_cndmask_b32_e64 v3, v33, 2.0, s[0:1]
	v_frexp_exp_i32_f64_e32 v26, v[22:23]
	v_mul_f64 v[24:25], v[24:25], v[2:3]
	v_subbrev_co_u32_e64 v3, s[0:1], 0, v26, s[0:1]
	v_add_f64 v[26:27], v[24:25], 1.0
	v_rcp_f64_e32 v[36:37], v[26:27]
	v_add_f64 v[40:41], v[26:27], -1.0
	v_add_f64 v[38:39], v[24:25], -1.0
	v_add_f64 v[24:25], v[24:25], -v[40:41]
	v_fma_f64 v[40:41], -v[26:27], v[36:37], 1.0
	v_fmac_f64_e32 v[36:37], v[40:41], v[36:37]
	v_fma_f64 v[40:41], -v[26:27], v[36:37], 1.0
	v_fmac_f64_e32 v[36:37], v[40:41], v[36:37]
	v_mul_f64 v[40:41], v[38:39], v[36:37]
	v_mul_f64 v[42:43], v[26:27], v[40:41]
	v_fma_f64 v[26:27], v[40:41], v[26:27], -v[42:43]
	v_fmac_f64_e32 v[26:27], v[40:41], v[24:25]
	v_add_f64 v[24:25], v[42:43], v[26:27]
	v_add_f64 v[44:45], v[38:39], -v[24:25]
	v_add_f64 v[42:43], v[24:25], -v[42:43]
	;; [unrolled: 1-line block ×5, first 2 shown]
	v_add_f64 v[24:25], v[26:27], v[24:25]
	v_add_f64 v[24:25], v[44:45], v[24:25]
	v_mul_f64 v[24:25], v[36:37], v[24:25]
	v_add_f64 v[26:27], v[40:41], v[24:25]
	v_add_f64 v[36:37], v[26:27], -v[40:41]
	v_add_f64 v[24:25], v[24:25], -v[36:37]
	v_mul_f64 v[36:37], v[26:27], v[26:27]
	v_pk_mov_b32 v[38:39], v[8:9], v[8:9] op_sel:[0,1]
	v_fmac_f64_e32 v[38:39], s[26:27], v[36:37]
	v_pk_mov_b32 v[40:41], v[10:11], v[10:11] op_sel:[0,1]
	v_fmac_f64_e32 v[40:41], v[36:37], v[38:39]
	v_pk_mov_b32 v[38:39], v[12:13], v[12:13] op_sel:[0,1]
	v_fmac_f64_e32 v[38:39], v[36:37], v[40:41]
	v_pk_mov_b32 v[40:41], v[14:15], v[14:15] op_sel:[0,1]
	v_fmac_f64_e32 v[40:41], v[36:37], v[38:39]
	v_pk_mov_b32 v[38:39], v[16:17], v[16:17] op_sel:[0,1]
	v_fmac_f64_e32 v[38:39], v[36:37], v[40:41]
	v_pk_mov_b32 v[40:41], v[18:19], v[18:19] op_sel:[0,1]
	v_fmac_f64_e32 v[40:41], v[36:37], v[38:39]
	v_ldexp_f64 v[38:39], v[26:27], 1
	v_mul_f64 v[26:27], v[26:27], v[36:37]
	v_mul_f64 v[26:27], v[26:27], v[40:41]
	v_add_f64 v[36:37], v[38:39], v[26:27]
	v_add_f64 v[38:39], v[36:37], -v[38:39]
	v_ldexp_f64 v[24:25], v[24:25], 1
	v_add_f64 v[26:27], v[26:27], -v[38:39]
	v_add_f64 v[24:25], v[24:25], v[26:27]
	v_add_f64 v[26:27], v[36:37], v[24:25]
	v_add_f64 v[36:37], v[26:27], -v[36:37]
	v_add_f64 v[24:25], v[24:25], -v[36:37]
	v_cvt_f64_i32_e32 v[36:37], v3
	v_mul_f64 v[38:39], v[36:37], s[22:23]
	v_fma_f64 v[40:41], v[36:37], s[22:23], -v[38:39]
	v_fmac_f64_e32 v[40:41], s[24:25], v[36:37]
	v_add_f64 v[36:37], v[38:39], v[40:41]
	v_add_f64 v[38:39], v[36:37], -v[38:39]
	v_add_f64 v[38:39], v[40:41], -v[38:39]
	v_add_f64 v[40:41], v[36:37], v[26:27]
	v_add_f64 v[42:43], v[40:41], -v[36:37]
	v_add_f64 v[44:45], v[40:41], -v[42:43]
	;; [unrolled: 1-line block ×4, first 2 shown]
	v_add_f64 v[26:27], v[26:27], v[36:37]
	v_add_f64 v[36:37], v[38:39], v[24:25]
	v_add_f64 v[42:43], v[36:37], -v[38:39]
	v_add_f64 v[44:45], v[36:37], -v[42:43]
	v_add_f64 v[26:27], v[36:37], v[26:27]
	v_add_f64 v[38:39], v[38:39], -v[44:45]
	v_add_f64 v[24:25], v[24:25], -v[42:43]
	v_add_f64 v[36:37], v[40:41], v[26:27]
	v_add_f64 v[24:25], v[24:25], v[38:39]
	v_add_f64 v[38:39], v[36:37], -v[40:41]
	v_add_f64 v[26:27], v[26:27], -v[38:39]
	v_add_f64 v[24:25], v[24:25], v[26:27]
	v_add_f64 v[24:25], v[36:37], v[24:25]
	v_cmp_class_f64_e64 s[0:1], v[22:23], s38
	v_cndmask_b32_e64 v3, v24, v22, s[0:1]
	v_cndmask_b32_e64 v24, v25, v23, s[0:1]
	v_cmp_ngt_f64_e64 s[0:1], 0, v[22:23]
	v_cndmask_b32_e64 v25, v34, v24, s[0:1]
	v_cmp_nge_f64_e64 s[0:1], 0, v[22:23]
	v_cndmask_b32_e64 v24, 0, v3, s[0:1]
	v_cmp_neq_f64_e64 s[0:1], 0, v[22:23]
	v_cndmask_b32_e64 v25, v35, v25, s[0:1]
	v_mov_b32_e32 v3, s37
	v_add_co_u32_e64 v22, s[0:1], s36, v4
	v_addc_co_u32_e64 v23, s[0:1], v5, v3, s[0:1]
	global_store_dwordx2 v[22:23], v[24:25], off
	s_or_b64 exec, exec, s[2:3]
	s_and_saveexec_b64 s[0:1], vcc
	s_cbranch_execz .LBB172_3
.LBB172_19:                             ;   in Loop: Header=BB172_4 Depth=1
	s_waitcnt vmcnt(0)
	v_frexp_mant_f64_e32 v[22:23], v[20:21]
	v_cmp_gt_f64_e32 vcc, s[20:21], v[22:23]
	v_cndmask_b32_e64 v3, v33, 2.0, vcc
	v_frexp_exp_i32_f64_e32 v24, v[20:21]
	v_mul_f64 v[22:23], v[22:23], v[2:3]
	v_subbrev_co_u32_e32 v3, vcc, 0, v24, vcc
	v_add_f64 v[24:25], v[22:23], 1.0
	v_rcp_f64_e32 v[26:27], v[24:25]
	v_add_f64 v[38:39], v[24:25], -1.0
	v_add_f64 v[36:37], v[22:23], -1.0
	v_add_f64 v[22:23], v[22:23], -v[38:39]
	v_fma_f64 v[38:39], -v[24:25], v[26:27], 1.0
	v_fmac_f64_e32 v[26:27], v[38:39], v[26:27]
	v_fma_f64 v[38:39], -v[24:25], v[26:27], 1.0
	v_fmac_f64_e32 v[26:27], v[38:39], v[26:27]
	v_mul_f64 v[38:39], v[36:37], v[26:27]
	v_mul_f64 v[40:41], v[24:25], v[38:39]
	v_fma_f64 v[24:25], v[38:39], v[24:25], -v[40:41]
	v_fmac_f64_e32 v[24:25], v[38:39], v[22:23]
	v_add_f64 v[22:23], v[40:41], v[24:25]
	v_add_f64 v[42:43], v[36:37], -v[22:23]
	v_add_f64 v[40:41], v[22:23], -v[40:41]
	;; [unrolled: 1-line block ×5, first 2 shown]
	v_add_f64 v[22:23], v[24:25], v[22:23]
	v_add_f64 v[22:23], v[42:43], v[22:23]
	v_mul_f64 v[22:23], v[26:27], v[22:23]
	v_add_f64 v[24:25], v[38:39], v[22:23]
	v_add_f64 v[26:27], v[24:25], -v[38:39]
	v_add_f64 v[22:23], v[22:23], -v[26:27]
	v_mul_f64 v[26:27], v[24:25], v[24:25]
	v_pk_mov_b32 v[36:37], v[8:9], v[8:9] op_sel:[0,1]
	v_fmac_f64_e32 v[36:37], s[26:27], v[26:27]
	v_pk_mov_b32 v[38:39], v[10:11], v[10:11] op_sel:[0,1]
	v_fmac_f64_e32 v[38:39], v[26:27], v[36:37]
	;; [unrolled: 2-line block ×6, first 2 shown]
	v_ldexp_f64 v[36:37], v[24:25], 1
	v_mul_f64 v[24:25], v[24:25], v[26:27]
	v_mul_f64 v[24:25], v[24:25], v[38:39]
	v_add_f64 v[26:27], v[36:37], v[24:25]
	v_add_f64 v[36:37], v[26:27], -v[36:37]
	v_ldexp_f64 v[22:23], v[22:23], 1
	v_add_f64 v[24:25], v[24:25], -v[36:37]
	v_add_f64 v[22:23], v[22:23], v[24:25]
	v_add_f64 v[24:25], v[26:27], v[22:23]
	v_add_f64 v[26:27], v[24:25], -v[26:27]
	v_add_f64 v[22:23], v[22:23], -v[26:27]
	v_cvt_f64_i32_e32 v[26:27], v3
	v_mul_f64 v[36:37], v[26:27], s[22:23]
	v_fma_f64 v[38:39], v[26:27], s[22:23], -v[36:37]
	v_fmac_f64_e32 v[38:39], s[24:25], v[26:27]
	v_add_f64 v[26:27], v[36:37], v[38:39]
	v_add_f64 v[36:37], v[26:27], -v[36:37]
	v_add_f64 v[36:37], v[38:39], -v[36:37]
	v_add_f64 v[38:39], v[26:27], v[24:25]
	v_add_f64 v[40:41], v[38:39], -v[26:27]
	v_add_f64 v[42:43], v[38:39], -v[40:41]
	;; [unrolled: 1-line block ×4, first 2 shown]
	v_add_f64 v[24:25], v[24:25], v[26:27]
	v_add_f64 v[26:27], v[36:37], v[22:23]
	v_add_f64 v[40:41], v[26:27], -v[36:37]
	v_add_f64 v[42:43], v[26:27], -v[40:41]
	v_add_f64 v[24:25], v[26:27], v[24:25]
	v_add_f64 v[36:37], v[36:37], -v[42:43]
	v_add_f64 v[22:23], v[22:23], -v[40:41]
	v_add_f64 v[26:27], v[38:39], v[24:25]
	v_add_f64 v[22:23], v[22:23], v[36:37]
	v_add_f64 v[36:37], v[26:27], -v[38:39]
	v_add_f64 v[24:25], v[24:25], -v[36:37]
	v_add_f64 v[22:23], v[22:23], v[24:25]
	v_add_f64 v[22:23], v[26:27], v[22:23]
	v_cmp_class_f64_e64 vcc, v[20:21], s38
	v_cndmask_b32_e32 v3, v22, v20, vcc
	v_cndmask_b32_e32 v22, v23, v21, vcc
	v_cmp_ngt_f64_e32 vcc, 0, v[20:21]
	v_cndmask_b32_e32 v23, v34, v22, vcc
	v_cmp_nge_f64_e32 vcc, 0, v[20:21]
	v_cndmask_b32_e32 v22, 0, v3, vcc
	v_cmp_neq_f64_e32 vcc, 0, v[20:21]
	v_cndmask_b32_e32 v23, v35, v23, vcc
	v_mov_b32_e32 v3, s35
	v_add_co_u32_e32 v20, vcc, s34, v4
	v_addc_co_u32_e32 v21, vcc, v5, v3, vcc
	global_store_dwordx2 v[20:21], v[22:23], off
	s_branch .LBB172_3
.LBB172_20:
	s_cbranch_execz .LBB172_22
	s_branch .LBB172_25
.LBB172_21:
.LBB172_22:
	v_mov_b32_e32 v8, 0
	v_lshlrev_b32_e32 v2, 2, v0
	v_mov_b32_e32 v3, v8
	s_mov_b32 s0, 0
	v_cmp_gt_i64_e32 vcc, s[10:11], v[2:3]
	s_and_saveexec_b64 s[2:3], vcc
	s_cbranch_execz .LBB172_25
; %bb.23:
	s_load_dword s1, s[4:5], 0xd3c
	v_lshlrev_b32_e32 v1, 5, v0
	s_mov_b32 s8, 0x6b47b09a
	s_mov_b32 s4, 0x55555555
	;; [unrolled: 1-line block ×3, first 2 shown]
	s_waitcnt lgkmcnt(0)
	s_and_b32 s1, s1, 0xffff
	s_lshl_b32 s26, s1, 2
	s_add_u32 s2, s12, s14
	s_addc_u32 s3, s13, s15
	v_add_lshl_u32 v10, v0, s1, 2
	v_mov_b32_e32 v0, s3
	v_add_co_u32_e32 v1, vcc, s2, v1
	v_addc_co_u32_e32 v0, vcc, 0, v0, vcc
	v_add_co_u32_e32 v12, vcc, 16, v1
	s_mov_b32 s5, 0x3fe55555
	s_mov_b32 s6, 0xbf559e2b
	v_pk_mov_b32 v[14:15], s[8:9], s[8:9] op_sel:[0,1]
	s_mov_b32 s8, 0xd7f4df2e
	s_mov_b32 s12, 0x16291751
	;; [unrolled: 1-line block ×6, first 2 shown]
	v_mov_b32_e32 v11, v8
	v_addc_co_u32_e32 v13, vcc, 0, v0, vcc
	s_lshl_b32 s27, s1, 5
	s_mov_b64 s[2:3], 0
	v_mov_b32_e32 v16, 0x3ff00000
	s_mov_b32 s7, 0x3fc3ab76
	s_mov_b32 s9, 0x3fc7474d
	;; [unrolled: 1-line block ×9, first 2 shown]
	s_movk_i32 s28, 0x204
	v_mov_b32_e32 v17, 0x7ff80000
	v_mov_b32_e32 v18, 0xfff00000
	s_mov_b64 s[24:25], 0xffff
	v_mov_b32_e32 v19, s0
	v_mov_b32_e32 v20, s0
.LBB172_24:                             ; =>This Inner Loop Header: Depth=1
	global_load_dwordx4 v[4:7], v[12:13], off offset:-16
	global_load_dwordx4 v[0:3], v[12:13], off
	v_cmp_lt_u64_e64 s[0:1], s[24:25], v[10:11]
	s_waitcnt vmcnt(1)
	v_frexp_mant_f64_e32 v[22:23], v[4:5]
	v_frexp_exp_i32_f64_e32 v21, v[4:5]
	v_cmp_gt_f64_e32 vcc, s[4:5], v[22:23]
	v_frexp_mant_f64_e32 v[24:25], v[6:7]
	v_cndmask_b32_e64 v9, v16, 2.0, vcc
	v_subbrev_co_u32_e32 v21, vcc, 0, v21, vcc
	v_mul_f64 v[22:23], v[22:23], v[8:9]
	v_cmp_gt_f64_e32 vcc, s[4:5], v[24:25]
	v_cndmask_b32_e64 v9, v16, 2.0, vcc
	v_add_f64 v[28:29], v[22:23], 1.0
	v_cvt_f64_i32_e32 v[30:31], v21
	v_mul_f64 v[24:25], v[24:25], v[8:9]
	v_rcp_f64_e32 v[34:35], v[28:29]
	v_frexp_exp_i32_f64_e32 v26, v[6:7]
	v_add_f64 v[32:33], v[28:29], -1.0
	v_mul_f64 v[36:37], v[30:31], s[20:21]
	v_add_f64 v[40:41], v[24:25], 1.0
	v_subbrev_co_u32_e32 v52, vcc, 0, v26, vcc
	v_add_f64 v[26:27], v[22:23], -1.0
	v_add_f64 v[22:23], v[22:23], -v[32:33]
	v_fma_f64 v[32:33], v[30:31], s[20:21], -v[36:37]
	v_rcp_f64_e32 v[44:45], v[40:41]
	v_add_f64 v[42:43], v[40:41], -1.0
	v_fmac_f64_e32 v[32:33], s[22:23], v[30:31]
	v_add_f64 v[38:39], v[24:25], -1.0
	v_add_f64 v[24:25], v[24:25], -v[42:43]
	v_add_f64 v[30:31], v[36:37], v[32:33]
	v_fma_f64 v[42:43], -v[28:29], v[34:35], 1.0
	v_add_f64 v[36:37], v[30:31], -v[36:37]
	v_fmac_f64_e32 v[34:35], v[42:43], v[34:35]
	v_add_f64 v[32:33], v[32:33], -v[36:37]
	v_fma_f64 v[36:37], -v[40:41], v[44:45], 1.0
	v_fma_f64 v[42:43], -v[28:29], v[34:35], 1.0
	v_fmac_f64_e32 v[44:45], v[36:37], v[44:45]
	v_fmac_f64_e32 v[34:35], v[42:43], v[34:35]
	v_fma_f64 v[36:37], -v[40:41], v[44:45], 1.0
	v_mul_f64 v[42:43], v[26:27], v[34:35]
	v_fmac_f64_e32 v[44:45], v[36:37], v[44:45]
	v_mul_f64 v[36:37], v[28:29], v[42:43]
	v_mul_f64 v[46:47], v[38:39], v[44:45]
	v_fma_f64 v[28:29], v[42:43], v[28:29], -v[36:37]
	v_mul_f64 v[48:49], v[40:41], v[46:47]
	v_fmac_f64_e32 v[28:29], v[42:43], v[22:23]
	v_fma_f64 v[22:23], v[46:47], v[40:41], -v[48:49]
	v_add_f64 v[40:41], v[36:37], v[28:29]
	v_fmac_f64_e32 v[22:23], v[46:47], v[24:25]
	v_add_f64 v[24:25], v[40:41], -v[36:37]
	v_add_f64 v[36:37], v[26:27], -v[40:41]
	v_add_f64 v[50:51], v[48:49], v[22:23]
	v_add_f64 v[26:27], v[26:27], -v[36:37]
	v_add_f64 v[24:25], v[24:25], -v[28:29]
	;; [unrolled: 1-line block ×6, first 2 shown]
	v_add_f64 v[24:25], v[24:25], v[26:27]
	v_add_f64 v[22:23], v[28:29], -v[22:23]
	v_add_f64 v[26:27], v[38:39], -v[50:51]
	v_add_f64 v[24:25], v[36:37], v[24:25]
	v_add_f64 v[22:23], v[22:23], v[26:27]
	v_mul_f64 v[24:25], v[34:35], v[24:25]
	v_add_f64 v[22:23], v[48:49], v[22:23]
	v_add_f64 v[26:27], v[42:43], v[24:25]
	v_mul_f64 v[22:23], v[44:45], v[22:23]
	v_add_f64 v[28:29], v[26:27], -v[42:43]
	v_mul_f64 v[34:35], v[26:27], v[26:27]
	v_add_f64 v[38:39], v[46:47], v[22:23]
	v_add_f64 v[24:25], v[24:25], -v[28:29]
	v_fma_f64 v[28:29], s[6:7], v[34:35], v[14:15]
	v_add_f64 v[40:41], v[38:39], -v[46:47]
	v_mul_f64 v[42:43], v[38:39], v[38:39]
	v_fma_f64 v[28:29], v[34:35], v[28:29], s[8:9]
	v_add_f64 v[22:23], v[22:23], -v[40:41]
	v_fma_f64 v[40:41], s[6:7], v[42:43], v[14:15]
	v_fma_f64 v[28:29], v[34:35], v[28:29], s[12:13]
	;; [unrolled: 1-line block ×3, first 2 shown]
	v_ldexp_f64 v[46:47], v[22:23], 1
	v_fma_f64 v[22:23], v[34:35], v[28:29], s[14:15]
	v_fma_f64 v[28:29], v[42:43], v[40:41], s[12:13]
	;; [unrolled: 1-line block ×3, first 2 shown]
	v_ldexp_f64 v[36:37], v[26:27], 1
	v_mul_f64 v[26:27], v[26:27], v[34:35]
	v_fma_f64 v[28:29], v[42:43], v[28:29], s[14:15]
	v_fma_f64 v[22:23], v[34:35], v[22:23], s[18:19]
	;; [unrolled: 1-line block ×3, first 2 shown]
	v_mul_f64 v[22:23], v[26:27], v[22:23]
	v_fma_f64 v[26:27], v[42:43], v[28:29], s[18:19]
	v_add_f64 v[28:29], v[36:37], v[22:23]
	v_add_f64 v[34:35], v[28:29], -v[36:37]
	v_ldexp_f64 v[24:25], v[24:25], 1
	v_add_f64 v[22:23], v[22:23], -v[34:35]
	v_add_f64 v[22:23], v[24:25], v[22:23]
	v_ldexp_f64 v[44:45], v[38:39], 1
	v_mul_f64 v[38:39], v[38:39], v[42:43]
	v_add_f64 v[24:25], v[28:29], v[22:23]
	v_mul_f64 v[26:27], v[38:39], v[26:27]
	v_add_f64 v[28:29], v[24:25], -v[28:29]
	v_add_f64 v[38:39], v[30:31], v[24:25]
	v_add_f64 v[22:23], v[22:23], -v[28:29]
	v_add_f64 v[28:29], v[38:39], -v[30:31]
	;; [unrolled: 1-line block ×4, first 2 shown]
	v_add_f64 v[28:29], v[32:33], v[22:23]
	v_add_f64 v[30:31], v[30:31], -v[40:41]
	v_add_f64 v[40:41], v[28:29], -v[32:33]
	v_add_f64 v[24:25], v[24:25], v[30:31]
	v_add_f64 v[30:31], v[28:29], -v[40:41]
	v_add_f64 v[24:25], v[28:29], v[24:25]
	v_add_f64 v[22:23], v[22:23], -v[40:41]
	v_add_f64 v[30:31], v[32:33], -v[30:31]
	v_add_f64 v[28:29], v[38:39], v[24:25]
	v_add_f64 v[22:23], v[22:23], v[30:31]
	v_add_f64 v[30:31], v[28:29], -v[38:39]
	v_add_f64 v[24:25], v[24:25], -v[30:31]
	v_add_f64 v[22:23], v[22:23], v[24:25]
	v_add_f64 v[22:23], v[28:29], v[22:23]
	v_cmp_class_f64_e64 vcc, v[4:5], s28
	v_add_f64 v[36:37], v[44:45], v[26:27]
	v_cndmask_b32_e32 v9, v22, v4, vcc
	v_cndmask_b32_e32 v21, v23, v5, vcc
	v_cmp_ngt_f64_e32 vcc, 0, v[4:5]
	v_add_f64 v[34:35], v[36:37], -v[44:45]
	v_cndmask_b32_e32 v21, v17, v21, vcc
	v_cmp_nge_f64_e32 vcc, 0, v[4:5]
	v_cndmask_b32_e32 v22, 0, v9, vcc
	v_cmp_neq_f64_e32 vcc, 0, v[4:5]
	v_add_f64 v[4:5], v[26:27], -v[34:35]
	v_add_f64 v[4:5], v[46:47], v[4:5]
	v_add_f64 v[24:25], v[36:37], v[4:5]
	v_add_f64 v[26:27], v[24:25], -v[36:37]
	v_add_f64 v[4:5], v[4:5], -v[26:27]
	v_cvt_f64_i32_e32 v[26:27], v52
	v_mul_f64 v[28:29], v[26:27], s[20:21]
	v_fma_f64 v[30:31], v[26:27], s[20:21], -v[28:29]
	v_fmac_f64_e32 v[30:31], s[22:23], v[26:27]
	v_add_f64 v[26:27], v[28:29], v[30:31]
	v_add_f64 v[28:29], v[26:27], -v[28:29]
	v_add_f64 v[28:29], v[30:31], -v[28:29]
	v_add_f64 v[30:31], v[26:27], v[24:25]
	v_add_f64 v[32:33], v[30:31], -v[26:27]
	v_add_f64 v[34:35], v[30:31], -v[32:33]
	;; [unrolled: 1-line block ×4, first 2 shown]
	v_add_f64 v[24:25], v[24:25], v[26:27]
	v_add_f64 v[26:27], v[28:29], v[4:5]
	v_add_f64 v[32:33], v[26:27], -v[28:29]
	v_add_f64 v[34:35], v[26:27], -v[32:33]
	v_add_f64 v[24:25], v[26:27], v[24:25]
	v_add_f64 v[28:29], v[28:29], -v[34:35]
	v_add_f64 v[4:5], v[4:5], -v[32:33]
	v_add_f64 v[26:27], v[30:31], v[24:25]
	v_add_f64 v[4:5], v[4:5], v[28:29]
	v_add_f64 v[28:29], v[26:27], -v[30:31]
	v_add_f64 v[24:25], v[24:25], -v[28:29]
	v_add_f64 v[4:5], v[4:5], v[24:25]
	v_cndmask_b32_e32 v23, v18, v21, vcc
	v_add_f64 v[4:5], v[26:27], v[4:5]
	v_cmp_class_f64_e64 vcc, v[6:7], s28
	v_cndmask_b32_e32 v4, v4, v6, vcc
	v_cndmask_b32_e32 v5, v5, v7, vcc
	v_cmp_ngt_f64_e32 vcc, 0, v[6:7]
	v_cndmask_b32_e32 v5, v17, v5, vcc
	v_cmp_nge_f64_e32 vcc, 0, v[6:7]
	v_cndmask_b32_e32 v24, 0, v4, vcc
	v_cmp_neq_f64_e32 vcc, 0, v[6:7]
	v_cndmask_b32_e32 v25, v18, v5, vcc
	s_waitcnt vmcnt(0)
	v_frexp_mant_f64_e32 v[4:5], v[0:1]
	v_cmp_gt_f64_e32 vcc, s[4:5], v[4:5]
	v_cndmask_b32_e64 v9, v16, 2.0, vcc
	v_frexp_exp_i32_f64_e32 v6, v[0:1]
	v_mul_f64 v[4:5], v[4:5], v[8:9]
	v_subbrev_co_u32_e32 v9, vcc, 0, v6, vcc
	v_add_f64 v[6:7], v[4:5], 1.0
	v_rcp_f64_e32 v[26:27], v[6:7]
	v_add_f64 v[30:31], v[6:7], -1.0
	v_add_f64 v[28:29], v[4:5], -1.0
	v_add_f64 v[4:5], v[4:5], -v[30:31]
	v_fma_f64 v[30:31], -v[6:7], v[26:27], 1.0
	v_fmac_f64_e32 v[26:27], v[30:31], v[26:27]
	v_fma_f64 v[30:31], -v[6:7], v[26:27], 1.0
	v_fmac_f64_e32 v[26:27], v[30:31], v[26:27]
	v_mul_f64 v[30:31], v[28:29], v[26:27]
	v_mul_f64 v[32:33], v[6:7], v[30:31]
	v_fma_f64 v[6:7], v[30:31], v[6:7], -v[32:33]
	v_fmac_f64_e32 v[6:7], v[30:31], v[4:5]
	v_add_f64 v[4:5], v[32:33], v[6:7]
	v_add_f64 v[34:35], v[28:29], -v[4:5]
	v_add_f64 v[32:33], v[4:5], -v[32:33]
	;; [unrolled: 1-line block ×5, first 2 shown]
	v_add_f64 v[4:5], v[6:7], v[4:5]
	v_add_f64 v[4:5], v[34:35], v[4:5]
	v_mul_f64 v[4:5], v[26:27], v[4:5]
	v_add_f64 v[6:7], v[30:31], v[4:5]
	v_add_f64 v[26:27], v[6:7], -v[30:31]
	v_add_f64 v[4:5], v[4:5], -v[26:27]
	v_mul_f64 v[26:27], v[6:7], v[6:7]
	v_fma_f64 v[28:29], s[6:7], v[26:27], v[14:15]
	v_fma_f64 v[28:29], v[26:27], v[28:29], s[8:9]
	;; [unrolled: 1-line block ×6, first 2 shown]
	v_ldexp_f64 v[30:31], v[6:7], 1
	v_mul_f64 v[6:7], v[6:7], v[26:27]
	v_mul_f64 v[6:7], v[6:7], v[28:29]
	v_add_f64 v[26:27], v[30:31], v[6:7]
	v_add_f64 v[28:29], v[26:27], -v[30:31]
	v_ldexp_f64 v[4:5], v[4:5], 1
	v_add_f64 v[6:7], v[6:7], -v[28:29]
	v_add_f64 v[4:5], v[4:5], v[6:7]
	v_add_f64 v[6:7], v[26:27], v[4:5]
	v_add_f64 v[26:27], v[6:7], -v[26:27]
	v_add_f64 v[4:5], v[4:5], -v[26:27]
	v_cvt_f64_i32_e32 v[26:27], v9
	v_mul_f64 v[28:29], v[26:27], s[20:21]
	v_fma_f64 v[30:31], v[26:27], s[20:21], -v[28:29]
	v_fmac_f64_e32 v[30:31], s[22:23], v[26:27]
	v_add_f64 v[26:27], v[28:29], v[30:31]
	v_add_f64 v[28:29], v[26:27], -v[28:29]
	v_add_f64 v[28:29], v[30:31], -v[28:29]
	v_add_f64 v[30:31], v[26:27], v[6:7]
	v_add_f64 v[32:33], v[30:31], -v[26:27]
	v_add_f64 v[34:35], v[30:31], -v[32:33]
	v_add_f64 v[26:27], v[26:27], -v[34:35]
	v_add_f64 v[6:7], v[6:7], -v[32:33]
	v_add_f64 v[6:7], v[6:7], v[26:27]
	v_add_f64 v[26:27], v[28:29], v[4:5]
	v_add_f64 v[32:33], v[26:27], -v[28:29]
	v_add_f64 v[34:35], v[26:27], -v[32:33]
	v_add_f64 v[6:7], v[26:27], v[6:7]
	v_add_f64 v[28:29], v[28:29], -v[34:35]
	v_add_f64 v[4:5], v[4:5], -v[32:33]
	v_add_f64 v[26:27], v[30:31], v[6:7]
	v_add_f64 v[4:5], v[4:5], v[28:29]
	v_add_f64 v[28:29], v[26:27], -v[30:31]
	v_add_f64 v[6:7], v[6:7], -v[28:29]
	v_add_f64 v[4:5], v[4:5], v[6:7]
	v_add_f64 v[4:5], v[26:27], v[4:5]
	v_cmp_class_f64_e64 vcc, v[0:1], s28
	v_cndmask_b32_e32 v4, v4, v0, vcc
	v_cndmask_b32_e32 v5, v5, v1, vcc
	v_cmp_ngt_f64_e32 vcc, 0, v[0:1]
	v_cndmask_b32_e32 v5, v17, v5, vcc
	v_cmp_nge_f64_e32 vcc, 0, v[0:1]
	v_cndmask_b32_e32 v4, 0, v4, vcc
	v_cmp_neq_f64_e32 vcc, 0, v[0:1]
	v_frexp_mant_f64_e32 v[0:1], v[2:3]
	v_cndmask_b32_e32 v5, v18, v5, vcc
	v_cmp_gt_f64_e32 vcc, s[4:5], v[0:1]
	v_cndmask_b32_e64 v9, v16, 2.0, vcc
	v_frexp_exp_i32_f64_e32 v6, v[2:3]
	v_mul_f64 v[0:1], v[0:1], v[8:9]
	v_subbrev_co_u32_e32 v9, vcc, 0, v6, vcc
	v_add_f64 v[6:7], v[0:1], 1.0
	v_rcp_f64_e32 v[26:27], v[6:7]
	v_add_f64 v[30:31], v[6:7], -1.0
	v_add_f64 v[28:29], v[0:1], -1.0
	v_add_f64 v[0:1], v[0:1], -v[30:31]
	v_fma_f64 v[30:31], -v[6:7], v[26:27], 1.0
	v_fmac_f64_e32 v[26:27], v[30:31], v[26:27]
	v_fma_f64 v[30:31], -v[6:7], v[26:27], 1.0
	v_fmac_f64_e32 v[26:27], v[30:31], v[26:27]
	v_mul_f64 v[30:31], v[28:29], v[26:27]
	v_mul_f64 v[32:33], v[6:7], v[30:31]
	v_fma_f64 v[6:7], v[30:31], v[6:7], -v[32:33]
	v_fmac_f64_e32 v[6:7], v[30:31], v[0:1]
	v_add_f64 v[0:1], v[32:33], v[6:7]
	v_add_f64 v[34:35], v[28:29], -v[0:1]
	v_add_f64 v[32:33], v[0:1], -v[32:33]
	v_add_f64 v[28:29], v[28:29], -v[34:35]
	v_add_f64 v[0:1], v[28:29], -v[0:1]
	v_add_f64 v[6:7], v[32:33], -v[6:7]
	v_add_f64 v[0:1], v[6:7], v[0:1]
	v_add_f64 v[0:1], v[34:35], v[0:1]
	v_mul_f64 v[0:1], v[26:27], v[0:1]
	v_add_f64 v[6:7], v[30:31], v[0:1]
	v_add_f64 v[26:27], v[6:7], -v[30:31]
	v_add_f64 v[0:1], v[0:1], -v[26:27]
	v_mul_f64 v[26:27], v[6:7], v[6:7]
	v_fma_f64 v[28:29], s[6:7], v[26:27], v[14:15]
	v_fma_f64 v[28:29], v[26:27], v[28:29], s[8:9]
	;; [unrolled: 1-line block ×6, first 2 shown]
	v_ldexp_f64 v[30:31], v[6:7], 1
	v_mul_f64 v[6:7], v[6:7], v[26:27]
	v_mul_f64 v[6:7], v[6:7], v[28:29]
	v_add_f64 v[26:27], v[30:31], v[6:7]
	v_add_f64 v[28:29], v[26:27], -v[30:31]
	v_ldexp_f64 v[0:1], v[0:1], 1
	v_add_f64 v[6:7], v[6:7], -v[28:29]
	v_add_f64 v[0:1], v[0:1], v[6:7]
	v_add_f64 v[6:7], v[26:27], v[0:1]
	v_add_f64 v[26:27], v[6:7], -v[26:27]
	v_add_f64 v[0:1], v[0:1], -v[26:27]
	v_cvt_f64_i32_e32 v[26:27], v9
	v_mul_f64 v[28:29], v[26:27], s[20:21]
	v_fma_f64 v[30:31], v[26:27], s[20:21], -v[28:29]
	v_fmac_f64_e32 v[30:31], s[22:23], v[26:27]
	v_add_f64 v[26:27], v[28:29], v[30:31]
	v_add_f64 v[28:29], v[26:27], -v[28:29]
	v_add_f64 v[28:29], v[30:31], -v[28:29]
	v_add_f64 v[30:31], v[26:27], v[6:7]
	v_add_f64 v[32:33], v[30:31], -v[26:27]
	v_add_f64 v[34:35], v[30:31], -v[32:33]
	;; [unrolled: 1-line block ×4, first 2 shown]
	v_add_f64 v[6:7], v[6:7], v[26:27]
	v_add_f64 v[26:27], v[28:29], v[0:1]
	v_add_f64 v[32:33], v[26:27], -v[28:29]
	v_add_f64 v[34:35], v[26:27], -v[32:33]
	v_add_f64 v[6:7], v[26:27], v[6:7]
	v_add_f64 v[28:29], v[28:29], -v[34:35]
	v_add_f64 v[0:1], v[0:1], -v[32:33]
	v_add_f64 v[26:27], v[30:31], v[6:7]
	v_add_f64 v[0:1], v[0:1], v[28:29]
	v_add_f64 v[28:29], v[26:27], -v[30:31]
	v_add_f64 v[6:7], v[6:7], -v[28:29]
	v_add_f64 v[0:1], v[0:1], v[6:7]
	v_add_f64 v[0:1], v[26:27], v[0:1]
	v_cmp_class_f64_e64 vcc, v[2:3], s28
	v_cndmask_b32_e32 v0, v0, v2, vcc
	v_cndmask_b32_e32 v1, v1, v3, vcc
	v_cmp_ngt_f64_e32 vcc, 0, v[2:3]
	v_cndmask_b32_e32 v1, v17, v1, vcc
	v_cmp_nge_f64_e32 vcc, 0, v[2:3]
	v_cndmask_b32_e32 v6, 0, v0, vcc
	v_cmp_neq_f64_e32 vcc, 0, v[2:3]
	v_cndmask_b32_e32 v7, v18, v1, vcc
	v_cmp_le_i64_e32 vcc, s[10:11], v[10:11]
	s_or_b64 s[0:1], vcc, s[0:1]
	v_add_co_u32_e32 v10, vcc, s26, v10
	v_addc_co_u32_e32 v11, vcc, v11, v19, vcc
	global_store_dwordx4 v[12:13], v[22:25], off offset:-16
	global_store_dwordx4 v[12:13], v[4:7], off
	s_and_b64 s[0:1], exec, s[0:1]
	v_add_co_u32_e32 v12, vcc, s27, v12
	s_or_b64 s[2:3], s[0:1], s[2:3]
	v_addc_co_u32_e32 v13, vcc, v13, v20, vcc
	s_andn2_b64 exec, exec, s[2:3]
	s_cbranch_execnz .LBB172_24
.LBB172_25:
	s_endpgm
	.section	.rodata,"a",@progbits
	.p2align	6, 0x0
	.amdhsa_kernel _ZN2at6native12_GLOBAL__N_125multi_tensor_apply_kernelINS1_18TensorListMetadataILi1EEENS1_14UnaryOpFunctorIdLi1ELi1ELi0EEEJNS0_3LogIdEEEEEvT_T0_DpT1_
		.amdhsa_group_segment_fixed_size 0
		.amdhsa_private_segment_fixed_size 0
		.amdhsa_kernarg_size 3632
		.amdhsa_user_sgpr_count 6
		.amdhsa_user_sgpr_private_segment_buffer 1
		.amdhsa_user_sgpr_dispatch_ptr 0
		.amdhsa_user_sgpr_queue_ptr 0
		.amdhsa_user_sgpr_kernarg_segment_ptr 1
		.amdhsa_user_sgpr_dispatch_id 0
		.amdhsa_user_sgpr_flat_scratch_init 0
		.amdhsa_user_sgpr_kernarg_preload_length 0
		.amdhsa_user_sgpr_kernarg_preload_offset 0
		.amdhsa_user_sgpr_private_segment_size 0
		.amdhsa_uses_dynamic_stack 0
		.amdhsa_system_sgpr_private_segment_wavefront_offset 0
		.amdhsa_system_sgpr_workgroup_id_x 1
		.amdhsa_system_sgpr_workgroup_id_y 0
		.amdhsa_system_sgpr_workgroup_id_z 0
		.amdhsa_system_sgpr_workgroup_info 0
		.amdhsa_system_vgpr_workitem_id 0
		.amdhsa_next_free_vgpr 58
		.amdhsa_next_free_sgpr 39
		.amdhsa_accum_offset 60
		.amdhsa_reserve_vcc 1
		.amdhsa_reserve_flat_scratch 0
		.amdhsa_float_round_mode_32 0
		.amdhsa_float_round_mode_16_64 0
		.amdhsa_float_denorm_mode_32 3
		.amdhsa_float_denorm_mode_16_64 3
		.amdhsa_dx10_clamp 1
		.amdhsa_ieee_mode 1
		.amdhsa_fp16_overflow 0
		.amdhsa_tg_split 0
		.amdhsa_exception_fp_ieee_invalid_op 0
		.amdhsa_exception_fp_denorm_src 0
		.amdhsa_exception_fp_ieee_div_zero 0
		.amdhsa_exception_fp_ieee_overflow 0
		.amdhsa_exception_fp_ieee_underflow 0
		.amdhsa_exception_fp_ieee_inexact 0
		.amdhsa_exception_int_div_zero 0
	.end_amdhsa_kernel
	.section	.text._ZN2at6native12_GLOBAL__N_125multi_tensor_apply_kernelINS1_18TensorListMetadataILi1EEENS1_14UnaryOpFunctorIdLi1ELi1ELi0EEEJNS0_3LogIdEEEEEvT_T0_DpT1_,"axG",@progbits,_ZN2at6native12_GLOBAL__N_125multi_tensor_apply_kernelINS1_18TensorListMetadataILi1EEENS1_14UnaryOpFunctorIdLi1ELi1ELi0EEEJNS0_3LogIdEEEEEvT_T0_DpT1_,comdat
.Lfunc_end172:
	.size	_ZN2at6native12_GLOBAL__N_125multi_tensor_apply_kernelINS1_18TensorListMetadataILi1EEENS1_14UnaryOpFunctorIdLi1ELi1ELi0EEEJNS0_3LogIdEEEEEvT_T0_DpT1_, .Lfunc_end172-_ZN2at6native12_GLOBAL__N_125multi_tensor_apply_kernelINS1_18TensorListMetadataILi1EEENS1_14UnaryOpFunctorIdLi1ELi1ELi0EEEJNS0_3LogIdEEEEEvT_T0_DpT1_
                                        ; -- End function
	.section	.AMDGPU.csdata,"",@progbits
; Kernel info:
; codeLenInByte = 6348
; NumSgprs: 43
; NumVgprs: 58
; NumAgprs: 0
; TotalNumVgprs: 58
; ScratchSize: 0
; MemoryBound: 0
; FloatMode: 240
; IeeeMode: 1
; LDSByteSize: 0 bytes/workgroup (compile time only)
; SGPRBlocks: 5
; VGPRBlocks: 7
; NumSGPRsForWavesPerEU: 43
; NumVGPRsForWavesPerEU: 58
; AccumOffset: 60
; Occupancy: 8
; WaveLimiterHint : 0
; COMPUTE_PGM_RSRC2:SCRATCH_EN: 0
; COMPUTE_PGM_RSRC2:USER_SGPR: 6
; COMPUTE_PGM_RSRC2:TRAP_HANDLER: 0
; COMPUTE_PGM_RSRC2:TGID_X_EN: 1
; COMPUTE_PGM_RSRC2:TGID_Y_EN: 0
; COMPUTE_PGM_RSRC2:TGID_Z_EN: 0
; COMPUTE_PGM_RSRC2:TIDIG_COMP_CNT: 0
; COMPUTE_PGM_RSRC3_GFX90A:ACCUM_OFFSET: 14
; COMPUTE_PGM_RSRC3_GFX90A:TG_SPLIT: 0
	.section	.text._ZN2at6native12_GLOBAL__N_125multi_tensor_apply_kernelINS1_18TensorListMetadataILi1EEENS1_14UnaryOpFunctorIfLi1ELi1ELi0EEEJNS0_3LogIfEEEEEvT_T0_DpT1_,"axG",@progbits,_ZN2at6native12_GLOBAL__N_125multi_tensor_apply_kernelINS1_18TensorListMetadataILi1EEENS1_14UnaryOpFunctorIfLi1ELi1ELi0EEEJNS0_3LogIfEEEEEvT_T0_DpT1_,comdat
	.globl	_ZN2at6native12_GLOBAL__N_125multi_tensor_apply_kernelINS1_18TensorListMetadataILi1EEENS1_14UnaryOpFunctorIfLi1ELi1ELi0EEEJNS0_3LogIfEEEEEvT_T0_DpT1_ ; -- Begin function _ZN2at6native12_GLOBAL__N_125multi_tensor_apply_kernelINS1_18TensorListMetadataILi1EEENS1_14UnaryOpFunctorIfLi1ELi1ELi0EEEJNS0_3LogIfEEEEEvT_T0_DpT1_
	.p2align	8
	.type	_ZN2at6native12_GLOBAL__N_125multi_tensor_apply_kernelINS1_18TensorListMetadataILi1EEENS1_14UnaryOpFunctorIfLi1ELi1ELi0EEEJNS0_3LogIfEEEEEvT_T0_DpT1_,@function
_ZN2at6native12_GLOBAL__N_125multi_tensor_apply_kernelINS1_18TensorListMetadataILi1EEENS1_14UnaryOpFunctorIfLi1ELi1ELi0EEEJNS0_3LogIfEEEEEvT_T0_DpT1_: ; @_ZN2at6native12_GLOBAL__N_125multi_tensor_apply_kernelINS1_18TensorListMetadataILi1EEENS1_14UnaryOpFunctorIfLi1ELi1ELi0EEEJNS0_3LogIfEEEEEvT_T0_DpT1_
; %bb.0:
	v_mov_b32_e32 v1, s6
	global_load_ubyte v1, v1, s[4:5] offset:1760
	s_add_u32 s0, s4, s6
	s_mul_hi_u32 s1, s6, 3
	s_mul_i32 s6, s6, 3
	s_addc_u32 s2, s5, 0
	s_add_u32 s0, s0, s6
	s_addc_u32 s1, s2, s1
	s_load_dword s0, s[0:1], 0x820
	s_mov_b32 s7, 0
	s_waitcnt vmcnt(0)
	v_readfirstlane_b32 s2, v1
	s_lshl_b32 s1, s2, 3
	s_load_dwordx2 s[2:3], s[4:5], s1 offset:0x370
	s_load_dwordx2 s[12:13], s[4:5], s1 offset:0x0
	s_waitcnt lgkmcnt(0)
	s_ashr_i32 s1, s0, 31
	s_lshl_b64 s[14:15], s[0:1], 18
	s_lshl_b64 s[0:1], s[0:1], 16
	s_and_b32 s6, s12, 15
	s_sub_u32 s10, s2, s0
	s_subb_u32 s11, s3, s1
	s_and_b32 s0, s2, 3
	s_mov_b32 s1, s7
	s_or_b64 s[0:1], s[6:7], s[0:1]
	s_cmp_eq_u64 s[0:1], 0
	s_cbranch_scc1 .LBB173_21
; %bb.1:
	v_cmp_lt_i64_e64 s[0:1], s[10:11], 1
	s_and_b64 vcc, exec, s[0:1]
	s_cbranch_vccnz .LBB173_20
; %bb.2:
	s_load_dword s0, s[4:5], 0xd3c
	v_mov_b32_e32 v2, 0x10000
	v_mov_b32_e32 v3, 0
	v_cmp_lt_u64_e32 vcc, s[10:11], v[2:3]
	v_lshlrev_b32_e32 v1, 2, v0
	s_waitcnt lgkmcnt(0)
	s_and_b32 s3, s0, 0xffff
	s_and_b64 s[0:1], vcc, exec
	s_cselect_b32 s17, s11, 0
	s_cselect_b32 s16, s10, 0x10000
	s_lshl_b32 s6, s3, 1
	s_lshl_b32 s22, s3, 2
	s_add_u32 s7, s12, s14
	s_addc_u32 s8, s13, s15
	v_mov_b32_e32 v5, s8
	v_add_co_u32_e32 v4, vcc, s7, v1
	s_mul_i32 s0, s3, 3
	v_addc_co_u32_e32 v5, vcc, 0, v5, vcc
	v_add_co_u32_e32 v1, vcc, s0, v0
	v_addc_co_u32_e64 v10, s[0:1], 0, 0, vcc
	v_add_co_u32_e32 v11, vcc, s6, v0
	v_addc_co_u32_e64 v12, s[0:1], 0, 0, vcc
	v_add_co_u32_e32 v13, vcc, s3, v0
	v_lshlrev_b32_e32 v6, 2, v13
	s_mov_b32 s2, 0
	v_addc_co_u32_e64 v14, s[0:1], 0, 0, vcc
	v_mov_b32_e32 v7, s8
	v_add_co_u32_e32 v6, vcc, s7, v6
	s_lshl_b32 s23, s3, 4
	s_mul_i32 s24, s3, 12
	s_mov_b32 s25, s2
	s_lshl_b32 s26, s3, 3
	s_mov_b32 s27, s2
	v_addc_co_u32_e32 v7, vcc, 0, v7, vcc
	s_mov_b64 s[18:19], 0
	s_mov_b32 s28, 0x800000
	s_mov_b32 s29, 0x3f317217
	;; [unrolled: 1-line block ×3, first 2 shown]
	v_pk_mov_b32 v[8:9], s[10:11], s[10:11] op_sel:[0,1]
	v_mov_b32_e32 v15, s2
	v_mov_b32_e32 v16, 0x4f800000
	;; [unrolled: 1-line block ×3, first 2 shown]
	s_branch .LBB173_4
.LBB173_3:                              ;   in Loop: Header=BB173_4 Depth=1
	s_or_b64 exec, exec, s[0:1]
	s_add_u32 s18, s18, s22
	s_addc_u32 s19, s19, 0
	v_cmp_lt_i64_e32 vcc, s[18:19], v[8:9]
	v_cmp_lt_u64_e64 s[0:1], s[18:19], v[2:3]
	s_and_b64 s[0:1], vcc, s[0:1]
	v_add_co_u32_e32 v4, vcc, s23, v4
	v_addc_co_u32_e32 v5, vcc, v5, v15, vcc
	v_add_co_u32_e32 v6, vcc, s23, v6
	v_addc_co_u32_e32 v7, vcc, v7, v15, vcc
	s_and_b64 vcc, exec, s[0:1]
	s_cbranch_vccz .LBB173_20
.LBB173_4:                              ; =>This Inner Loop Header: Depth=1
	s_waitcnt vmcnt(0)
	v_mov_b32_e32 v19, s19
	v_add_co_u32_e32 v18, vcc, s18, v0
	v_addc_co_u32_e32 v19, vcc, 0, v19, vcc
	v_cmp_gt_u64_e64 s[6:7], s[16:17], v[18:19]
	v_mov_b32_e32 v20, 0
	s_and_saveexec_b64 s[0:1], s[6:7]
	s_cbranch_execz .LBB173_6
; %bb.5:                                ;   in Loop: Header=BB173_4 Depth=1
	global_load_dword v20, v[4:5], off
.LBB173_6:                              ;   in Loop: Header=BB173_4 Depth=1
	s_or_b64 exec, exec, s[0:1]
	v_mov_b32_e32 v19, s19
	v_add_co_u32_e32 v18, vcc, s18, v13
	v_addc_co_u32_e32 v19, vcc, v14, v19, vcc
	v_cmp_gt_u64_e64 s[2:3], s[16:17], v[18:19]
	v_mov_b32_e32 v19, 0
	s_and_saveexec_b64 s[0:1], s[2:3]
	s_cbranch_execz .LBB173_8
; %bb.7:                                ;   in Loop: Header=BB173_4 Depth=1
	global_load_dword v19, v[6:7], off
.LBB173_8:                              ;   in Loop: Header=BB173_4 Depth=1
	s_or_b64 exec, exec, s[0:1]
	v_mov_b32_e32 v18, s19
	v_add_co_u32_e32 v22, vcc, s18, v11
	v_addc_co_u32_e32 v23, vcc, v12, v18, vcc
	v_cmp_gt_u64_e64 s[0:1], s[16:17], v[22:23]
	v_mov_b32_e32 v18, 0
	v_mov_b32_e32 v21, 0
	s_and_saveexec_b64 s[8:9], s[0:1]
	s_cbranch_execz .LBB173_10
; %bb.9:                                ;   in Loop: Header=BB173_4 Depth=1
	v_mov_b32_e32 v21, s27
	v_add_co_u32_e32 v22, vcc, s26, v4
	v_addc_co_u32_e32 v23, vcc, v5, v21, vcc
	global_load_dword v21, v[22:23], off
.LBB173_10:                             ;   in Loop: Header=BB173_4 Depth=1
	s_or_b64 exec, exec, s[8:9]
	v_mov_b32_e32 v23, s19
	v_add_co_u32_e32 v22, vcc, s18, v1
	v_addc_co_u32_e32 v23, vcc, v10, v23, vcc
	v_cmp_gt_u64_e32 vcc, s[16:17], v[22:23]
	s_and_saveexec_b64 s[20:21], vcc
	s_cbranch_execnz .LBB173_15
; %bb.11:                               ;   in Loop: Header=BB173_4 Depth=1
	s_or_b64 exec, exec, s[20:21]
	s_and_saveexec_b64 s[20:21], s[6:7]
	s_cbranch_execnz .LBB173_16
.LBB173_12:                             ;   in Loop: Header=BB173_4 Depth=1
	s_or_b64 exec, exec, s[20:21]
	s_and_saveexec_b64 s[8:9], s[2:3]
	s_cbranch_execnz .LBB173_17
.LBB173_13:                             ;   in Loop: Header=BB173_4 Depth=1
	s_or_b64 exec, exec, s[8:9]
	s_and_saveexec_b64 s[2:3], s[0:1]
	s_cbranch_execnz .LBB173_18
.LBB173_14:                             ;   in Loop: Header=BB173_4 Depth=1
	s_or_b64 exec, exec, s[2:3]
	s_and_saveexec_b64 s[0:1], vcc
	s_cbranch_execz .LBB173_3
	s_branch .LBB173_19
.LBB173_15:                             ;   in Loop: Header=BB173_4 Depth=1
	v_mov_b32_e32 v18, s25
	v_add_co_u32_e64 v22, s[8:9], s24, v4
	v_addc_co_u32_e64 v23, s[8:9], v5, v18, s[8:9]
	global_load_dword v18, v[22:23], off
	s_or_b64 exec, exec, s[20:21]
	s_and_saveexec_b64 s[20:21], s[6:7]
	s_cbranch_execz .LBB173_12
.LBB173_16:                             ;   in Loop: Header=BB173_4 Depth=1
	s_waitcnt vmcnt(0)
	v_cmp_gt_f32_e64 s[6:7], s28, v20
	v_cndmask_b32_e64 v22, 1.0, v16, s[6:7]
	v_mul_f32_e32 v20, v20, v22
	v_log_f32_e32 v20, v20
	v_mul_f32_e32 v22, 0x3f317217, v20
	v_fma_f32 v23, v20, s29, -v22
	v_fmac_f32_e32 v23, 0x3377d1cf, v20
	v_add_f32_e32 v22, v22, v23
	v_cmp_lt_f32_e64 s[8:9], |v20|, s30
	v_cndmask_b32_e64 v20, v20, v22, s[8:9]
	v_cndmask_b32_e64 v22, 0, v17, s[6:7]
	v_sub_f32_e32 v20, v20, v22
	global_store_dword v[4:5], v20, off
	s_or_b64 exec, exec, s[20:21]
	s_and_saveexec_b64 s[8:9], s[2:3]
	s_cbranch_execz .LBB173_13
.LBB173_17:                             ;   in Loop: Header=BB173_4 Depth=1
	s_waitcnt vmcnt(0)
	v_cmp_gt_f32_e64 s[2:3], s28, v19
	v_cndmask_b32_e64 v20, 1.0, v16, s[2:3]
	v_mul_f32_e32 v19, v19, v20
	v_log_f32_e32 v19, v19
	v_mul_f32_e32 v20, 0x3f317217, v19
	v_fma_f32 v22, v19, s29, -v20
	v_fmac_f32_e32 v22, 0x3377d1cf, v19
	v_add_f32_e32 v20, v20, v22
	v_cmp_lt_f32_e64 s[6:7], |v19|, s30
	v_cndmask_b32_e64 v19, v19, v20, s[6:7]
	v_cndmask_b32_e64 v20, 0, v17, s[2:3]
	v_sub_f32_e32 v19, v19, v20
	global_store_dword v[6:7], v19, off
	s_or_b64 exec, exec, s[8:9]
	s_and_saveexec_b64 s[2:3], s[0:1]
	s_cbranch_execz .LBB173_14
.LBB173_18:                             ;   in Loop: Header=BB173_4 Depth=1
	s_waitcnt vmcnt(0)
	v_cmp_gt_f32_e64 s[0:1], s28, v21
	v_cndmask_b32_e64 v19, 1.0, v16, s[0:1]
	v_mul_f32_e32 v19, v21, v19
	v_log_f32_e32 v19, v19
	v_cndmask_b32_e64 v20, 0, v17, s[0:1]
	v_mul_f32_e32 v21, 0x3f317217, v19
	v_fma_f32 v22, v19, s29, -v21
	v_fmac_f32_e32 v22, 0x3377d1cf, v19
	v_add_f32_e32 v21, v21, v22
	v_cmp_lt_f32_e64 s[0:1], |v19|, s30
	v_cndmask_b32_e64 v19, v19, v21, s[0:1]
	v_sub_f32_e32 v19, v19, v20
	v_mov_b32_e32 v21, s27
	v_add_co_u32_e64 v20, s[0:1], s26, v4
	v_addc_co_u32_e64 v21, s[0:1], v5, v21, s[0:1]
	global_store_dword v[20:21], v19, off
	s_or_b64 exec, exec, s[2:3]
	s_and_saveexec_b64 s[0:1], vcc
	s_cbranch_execz .LBB173_3
.LBB173_19:                             ;   in Loop: Header=BB173_4 Depth=1
	s_waitcnt vmcnt(0)
	v_cmp_gt_f32_e32 vcc, s28, v18
	v_cndmask_b32_e32 v19, 1.0, v16, vcc
	v_mul_f32_e32 v18, v18, v19
	v_log_f32_e32 v18, v18
	v_cndmask_b32_e32 v19, 0, v17, vcc
	v_mul_f32_e32 v20, 0x3f317217, v18
	v_fma_f32 v21, v18, s29, -v20
	v_fmac_f32_e32 v21, 0x3377d1cf, v18
	v_add_f32_e32 v20, v20, v21
	v_cmp_lt_f32_e64 vcc, |v18|, s30
	v_cndmask_b32_e32 v18, v18, v20, vcc
	v_sub_f32_e32 v20, v18, v19
	v_mov_b32_e32 v19, s25
	v_add_co_u32_e32 v18, vcc, s24, v4
	v_addc_co_u32_e32 v19, vcc, v5, v19, vcc
	global_store_dword v[18:19], v20, off
	s_branch .LBB173_3
.LBB173_20:
	s_cbranch_execz .LBB173_22
	s_branch .LBB173_25
.LBB173_21:
.LBB173_22:
	v_mov_b32_e32 v3, 0
	v_lshlrev_b32_e32 v2, 2, v0
	s_mov_b32 s0, 0
	v_cmp_gt_i64_e32 vcc, s[10:11], v[2:3]
	s_and_saveexec_b64 s[2:3], vcc
	s_cbranch_execz .LBB173_25
; %bb.23:
	s_load_dword s1, s[4:5], 0xd3c
	v_lshlrev_b32_e32 v1, 4, v0
	s_mov_b64 s[6:7], 0
	s_mov_b32 s16, 0x7f800000
	s_mov_b64 s[8:9], 0xffff
	s_waitcnt lgkmcnt(0)
	s_and_b32 s1, s1, 0xffff
	s_add_u32 s2, s12, s14
	s_addc_u32 s3, s13, s15
	v_mov_b32_e32 v2, s3
	v_add_co_u32_e32 v1, vcc, s2, v1
	v_addc_co_u32_e32 v2, vcc, 0, v2, vcc
	v_add_co_u32_e32 v4, vcc, 8, v1
	v_addc_co_u32_e32 v5, vcc, 0, v2, vcc
	s_lshl_b32 s12, s1, 4
	v_add_lshl_u32 v2, v0, s1, 2
	s_lshl_b32 s13, s1, 2
	s_mov_b32 s14, 0x800000
	v_mov_b32_e32 v0, 0x4f800000
	s_mov_b32 s15, 0x3f317217
	v_mov_b32_e32 v1, 0x41b17218
	v_mov_b32_e32 v6, s0
	;; [unrolled: 1-line block ×3, first 2 shown]
.LBB173_24:                             ; =>This Inner Loop Header: Depth=1
	global_load_dwordx4 v[8:11], v[4:5], off offset:-8
	v_cmp_le_i64_e32 vcc, s[10:11], v[2:3]
	v_cmp_lt_u64_e64 s[0:1], s[8:9], v[2:3]
	s_or_b64 s[0:1], vcc, s[0:1]
	s_and_b64 s[0:1], exec, s[0:1]
	s_or_b64 s[6:7], s[0:1], s[6:7]
	s_waitcnt vmcnt(0)
	v_cmp_gt_f32_e32 vcc, s14, v9
	v_cndmask_b32_e32 v12, 1.0, v0, vcc
	v_cmp_gt_f32_e64 s[0:1], s14, v8
	v_cndmask_b32_e64 v13, 1.0, v0, s[0:1]
	v_cmp_gt_f32_e64 s[2:3], s14, v11
	v_mul_f32_e32 v9, v9, v12
	v_cndmask_b32_e64 v14, 1.0, v0, s[2:3]
	v_cmp_gt_f32_e64 s[4:5], s14, v10
	v_mul_f32_e32 v8, v8, v13
	v_log_f32_e32 v9, v9
	v_cndmask_b32_e64 v15, 1.0, v0, s[4:5]
	v_mul_f32_e32 v11, v11, v14
	v_log_f32_e32 v8, v8
	v_mul_f32_e32 v10, v10, v15
	v_log_f32_e32 v11, v11
	v_log_f32_e32 v10, v10
	v_mul_f32_e32 v16, 0x3f317217, v9
	v_mul_f32_e32 v17, 0x3f317217, v8
	v_fma_f32 v20, v9, s15, -v16
	v_mul_f32_e32 v18, 0x3f317217, v11
	v_fma_f32 v21, v8, s15, -v17
	v_fmac_f32_e32 v20, 0x3377d1cf, v9
	v_cndmask_b32_e32 v12, 0, v1, vcc
	v_mul_f32_e32 v19, 0x3f317217, v10
	v_fma_f32 v22, v11, s15, -v18
	v_fmac_f32_e32 v21, 0x3377d1cf, v8
	v_add_f32_e32 v16, v16, v20
	v_cmp_lt_f32_e64 vcc, |v9|, s16
	v_fma_f32 v23, v10, s15, -v19
	v_fmac_f32_e32 v22, 0x3377d1cf, v11
	v_add_f32_e32 v17, v17, v21
	v_cndmask_b32_e32 v9, v9, v16, vcc
	v_cmp_lt_f32_e64 vcc, |v8|, s16
	v_fmac_f32_e32 v23, 0x3377d1cf, v10
	v_add_f32_e32 v18, v18, v22
	v_cndmask_b32_e32 v8, v8, v17, vcc
	v_cmp_lt_f32_e64 vcc, |v11|, s16
	v_add_f32_e32 v19, v19, v23
	v_cndmask_b32_e32 v11, v11, v18, vcc
	v_cmp_lt_f32_e64 vcc, |v10|, s16
	v_cndmask_b32_e64 v13, 0, v1, s[0:1]
	v_cndmask_b32_e64 v14, 0, v1, s[2:3]
	;; [unrolled: 1-line block ×3, first 2 shown]
	v_cndmask_b32_e32 v10, v10, v19, vcc
	v_sub_f32_e32 v9, v9, v12
	v_sub_f32_e32 v8, v8, v13
	;; [unrolled: 1-line block ×4, first 2 shown]
	global_store_dwordx4 v[4:5], v[8:11], off offset:-8
	v_add_co_u32_e32 v4, vcc, s12, v4
	v_addc_co_u32_e32 v5, vcc, v5, v6, vcc
	v_add_co_u32_e32 v2, vcc, s13, v2
	v_addc_co_u32_e32 v3, vcc, v3, v7, vcc
	s_andn2_b64 exec, exec, s[6:7]
	s_cbranch_execnz .LBB173_24
.LBB173_25:
	s_endpgm
	.section	.rodata,"a",@progbits
	.p2align	6, 0x0
	.amdhsa_kernel _ZN2at6native12_GLOBAL__N_125multi_tensor_apply_kernelINS1_18TensorListMetadataILi1EEENS1_14UnaryOpFunctorIfLi1ELi1ELi0EEEJNS0_3LogIfEEEEEvT_T0_DpT1_
		.amdhsa_group_segment_fixed_size 0
		.amdhsa_private_segment_fixed_size 0
		.amdhsa_kernarg_size 3632
		.amdhsa_user_sgpr_count 6
		.amdhsa_user_sgpr_private_segment_buffer 1
		.amdhsa_user_sgpr_dispatch_ptr 0
		.amdhsa_user_sgpr_queue_ptr 0
		.amdhsa_user_sgpr_kernarg_segment_ptr 1
		.amdhsa_user_sgpr_dispatch_id 0
		.amdhsa_user_sgpr_flat_scratch_init 0
		.amdhsa_user_sgpr_kernarg_preload_length 0
		.amdhsa_user_sgpr_kernarg_preload_offset 0
		.amdhsa_user_sgpr_private_segment_size 0
		.amdhsa_uses_dynamic_stack 0
		.amdhsa_system_sgpr_private_segment_wavefront_offset 0
		.amdhsa_system_sgpr_workgroup_id_x 1
		.amdhsa_system_sgpr_workgroup_id_y 0
		.amdhsa_system_sgpr_workgroup_id_z 0
		.amdhsa_system_sgpr_workgroup_info 0
		.amdhsa_system_vgpr_workitem_id 0
		.amdhsa_next_free_vgpr 24
		.amdhsa_next_free_sgpr 31
		.amdhsa_accum_offset 24
		.amdhsa_reserve_vcc 1
		.amdhsa_reserve_flat_scratch 0
		.amdhsa_float_round_mode_32 0
		.amdhsa_float_round_mode_16_64 0
		.amdhsa_float_denorm_mode_32 3
		.amdhsa_float_denorm_mode_16_64 3
		.amdhsa_dx10_clamp 1
		.amdhsa_ieee_mode 1
		.amdhsa_fp16_overflow 0
		.amdhsa_tg_split 0
		.amdhsa_exception_fp_ieee_invalid_op 0
		.amdhsa_exception_fp_denorm_src 0
		.amdhsa_exception_fp_ieee_div_zero 0
		.amdhsa_exception_fp_ieee_overflow 0
		.amdhsa_exception_fp_ieee_underflow 0
		.amdhsa_exception_fp_ieee_inexact 0
		.amdhsa_exception_int_div_zero 0
	.end_amdhsa_kernel
	.section	.text._ZN2at6native12_GLOBAL__N_125multi_tensor_apply_kernelINS1_18TensorListMetadataILi1EEENS1_14UnaryOpFunctorIfLi1ELi1ELi0EEEJNS0_3LogIfEEEEEvT_T0_DpT1_,"axG",@progbits,_ZN2at6native12_GLOBAL__N_125multi_tensor_apply_kernelINS1_18TensorListMetadataILi1EEENS1_14UnaryOpFunctorIfLi1ELi1ELi0EEEJNS0_3LogIfEEEEEvT_T0_DpT1_,comdat
.Lfunc_end173:
	.size	_ZN2at6native12_GLOBAL__N_125multi_tensor_apply_kernelINS1_18TensorListMetadataILi1EEENS1_14UnaryOpFunctorIfLi1ELi1ELi0EEEJNS0_3LogIfEEEEEvT_T0_DpT1_, .Lfunc_end173-_ZN2at6native12_GLOBAL__N_125multi_tensor_apply_kernelINS1_18TensorListMetadataILi1EEENS1_14UnaryOpFunctorIfLi1ELi1ELi0EEEJNS0_3LogIfEEEEEvT_T0_DpT1_
                                        ; -- End function
	.section	.AMDGPU.csdata,"",@progbits
; Kernel info:
; codeLenInByte = 1632
; NumSgprs: 35
; NumVgprs: 24
; NumAgprs: 0
; TotalNumVgprs: 24
; ScratchSize: 0
; MemoryBound: 0
; FloatMode: 240
; IeeeMode: 1
; LDSByteSize: 0 bytes/workgroup (compile time only)
; SGPRBlocks: 4
; VGPRBlocks: 2
; NumSGPRsForWavesPerEU: 35
; NumVGPRsForWavesPerEU: 24
; AccumOffset: 24
; Occupancy: 8
; WaveLimiterHint : 0
; COMPUTE_PGM_RSRC2:SCRATCH_EN: 0
; COMPUTE_PGM_RSRC2:USER_SGPR: 6
; COMPUTE_PGM_RSRC2:TRAP_HANDLER: 0
; COMPUTE_PGM_RSRC2:TGID_X_EN: 1
; COMPUTE_PGM_RSRC2:TGID_Y_EN: 0
; COMPUTE_PGM_RSRC2:TGID_Z_EN: 0
; COMPUTE_PGM_RSRC2:TIDIG_COMP_CNT: 0
; COMPUTE_PGM_RSRC3_GFX90A:ACCUM_OFFSET: 5
; COMPUTE_PGM_RSRC3_GFX90A:TG_SPLIT: 0
	.section	.text._ZN2at6native12_GLOBAL__N_125multi_tensor_apply_kernelINS1_18TensorListMetadataILi1EEENS1_14UnaryOpFunctorIN3c107complexIdEELi1ELi1ELi0EEEJNS0_3LogIS8_EEEEEvT_T0_DpT1_,"axG",@progbits,_ZN2at6native12_GLOBAL__N_125multi_tensor_apply_kernelINS1_18TensorListMetadataILi1EEENS1_14UnaryOpFunctorIN3c107complexIdEELi1ELi1ELi0EEEJNS0_3LogIS8_EEEEEvT_T0_DpT1_,comdat
	.globl	_ZN2at6native12_GLOBAL__N_125multi_tensor_apply_kernelINS1_18TensorListMetadataILi1EEENS1_14UnaryOpFunctorIN3c107complexIdEELi1ELi1ELi0EEEJNS0_3LogIS8_EEEEEvT_T0_DpT1_ ; -- Begin function _ZN2at6native12_GLOBAL__N_125multi_tensor_apply_kernelINS1_18TensorListMetadataILi1EEENS1_14UnaryOpFunctorIN3c107complexIdEELi1ELi1ELi0EEEJNS0_3LogIS8_EEEEEvT_T0_DpT1_
	.p2align	8
	.type	_ZN2at6native12_GLOBAL__N_125multi_tensor_apply_kernelINS1_18TensorListMetadataILi1EEENS1_14UnaryOpFunctorIN3c107complexIdEELi1ELi1ELi0EEEJNS0_3LogIS8_EEEEEvT_T0_DpT1_,@function
_ZN2at6native12_GLOBAL__N_125multi_tensor_apply_kernelINS1_18TensorListMetadataILi1EEENS1_14UnaryOpFunctorIN3c107complexIdEELi1ELi1ELi0EEEJNS0_3LogIS8_EEEEEvT_T0_DpT1_: ; @_ZN2at6native12_GLOBAL__N_125multi_tensor_apply_kernelINS1_18TensorListMetadataILi1EEENS1_14UnaryOpFunctorIN3c107complexIdEELi1ELi1ELi0EEEJNS0_3LogIS8_EEEEEvT_T0_DpT1_
; %bb.0:
	v_mov_b32_e32 v1, s6
	global_load_ubyte v1, v1, s[4:5] offset:1760
	s_add_u32 s0, s4, s6
	s_mul_hi_u32 s1, s6, 3
	s_mul_i32 s6, s6, 3
	s_addc_u32 s2, s5, 0
	s_add_u32 s0, s0, s6
	s_addc_u32 s1, s2, s1
	s_load_dword s0, s[0:1], 0x820
	s_mov_b32 s9, 0
	s_waitcnt vmcnt(0)
	v_readfirstlane_b32 s1, v1
	s_lshl_b32 s1, s1, 3
	s_load_dwordx2 s[2:3], s[4:5], s1 offset:0x0
	s_load_dwordx2 s[6:7], s[4:5], s1 offset:0x370
	s_waitcnt lgkmcnt(0)
	s_ashr_i32 s1, s0, 31
	s_lshl_b64 s[10:11], s[0:1], 20
	s_add_u32 s33, s2, s10
	s_addc_u32 s68, s3, s11
	s_lshl_b64 s[0:1], s[0:1], 16
	s_and_b32 s8, s33, 63
	s_sub_u32 s16, s6, s0
	s_subb_u32 s17, s7, s1
	s_and_b32 s0, s6, 3
	s_mov_b32 s1, s9
	s_or_b64 s[0:1], s[8:9], s[0:1]
	s_cmp_eq_u64 s[0:1], 0
	s_cbranch_scc1 .LBB174_157
; %bb.1:
	v_cmp_lt_i64_e64 s[0:1], s[16:17], 1
	s_and_b64 vcc, exec, s[0:1]
	s_cbranch_vccnz .LBB174_156
; %bb.2:
	s_load_dword s0, s[4:5], 0xd3c
	v_mov_b32_e32 v2, 0x10000
	v_mov_b32_e32 v3, 0
	v_cmp_lt_u64_e32 vcc, s[16:17], v[2:3]
	s_mov_b32 s2, 0
	s_waitcnt lgkmcnt(0)
	s_and_b32 s69, s0, 0xffff
	s_and_b64 s[0:1], vcc, exec
	s_mov_b32 s22, 0x85ebc8a0
	s_mov_b32 s24, 0x4ad4b81f
	;; [unrolled: 1-line block ×14, first 2 shown]
	s_cselect_b32 s19, s17, 0
	s_cselect_b32 s18, s16, 0x10000
	s_lshl_b32 s70, s69, 1
	s_mul_i32 s71, s69, 3
	s_mov_b32 s72, s2
	s_lshl_b32 s73, s69, 2
	s_mov_b64 s[20:21], 0
	v_mov_b32_e32 v110, s2
	v_mov_b32_e32 v111, s2
	s_brev_b32 s74, -2
	s_mov_b32 s23, 0x7fd1ccf3
	s_mov_b32 s25, 0x358dee7a
	;; [unrolled: 1-line block ×9, first 2 shown]
	s_movk_i32 s75, 0x204
	s_mov_b32 s43, 0x3ff921fb
	s_mov_b32 s45, 0x400921fb
	;; [unrolled: 1-line block ×5, first 2 shown]
	s_brev_b32 s53, 4
	v_mov_b32_e32 v34, 0x6b47b09a
	v_mov_b32_e32 v35, 0x3fc38538
	v_mov_b32_e32 v36, 0xd7f4df2e
	v_mov_b32_e32 v37, 0x3fc7474d
	v_mov_b32_e32 v38, 0x16291751
	v_mov_b32_e32 v39, 0x3fcc71c0
	v_mov_b32_e32 v40, 0x9b27acf1
	v_mov_b32_e32 v41, 0x3fd24924
	v_mov_b32_e32 v42, 0x998ef7b6
	v_mov_b32_e32 v43, 0x3fd99999
	v_mov_b32_e32 v44, 0x55555780
	v_mov_b32_e32 v45, 0x3fe55555
	v_mov_b32_e32 v112, 0x7ff80000
	v_mov_b32_e32 v113, 0xfff00000
	v_mov_b32_e32 v46, 0xbd3237f4
	v_mov_b32_e32 v47, 0xbf23e260
	v_mov_b32_e32 v48, 0x69efb384
	v_mov_b32_e32 v49, 0x3f4b2bb0
	v_mov_b32_e32 v50, 0xaf56de9b
	v_mov_b32_e32 v51, 0xbf67952d
	v_mov_b32_e32 v52, 0xa595c56f
	v_mov_b32_e32 v53, 0x3f7d6d43
	v_mov_b32_e32 v54, 0xa57d9582
	v_mov_b32_e32 v55, 0xbf8c6ea4
	v_mov_b32_e32 v56, 0x5f08b19f
	v_mov_b32_e32 v57, 0x3f967e29
	v_mov_b32_e32 v58, 0xfc27006a
	v_mov_b32_e32 v59, 0xbf9e9ae6
	v_mov_b32_e32 v60, 0x5711927a
	v_mov_b32_e32 v61, 0x3fa2c15b
	v_mov_b32_e32 v62, 0xe82d3ff0
	v_mov_b32_e32 v63, 0xbfa59976
	v_mov_b32_e32 v64, 0x6ef28734
	v_mov_b32_e32 v65, 0x3fa82d5d
	v_mov_b32_e32 v66, 0x6a214619
	v_mov_b32_e32 v67, 0xbfaae5ce
	v_mov_b32_e32 v68, 0x8427b883
	v_mov_b32_e32 v69, 0x3fae1bb4
	v_mov_b32_e32 v70, 0x8b207f05
	v_mov_b32_e32 v71, 0xbfb110e4
	v_mov_b32_e32 v72, 0x57b87036
	v_mov_b32_e32 v73, 0x3fb3b136
	v_mov_b32_e32 v74, 0x19378e4f
	v_mov_b32_e32 v75, 0xbfb745d1
	v_mov_b32_e32 v76, 0x17e1913c
	v_mov_b32_e32 v77, 0x3fbc71c7
	v_mov_b32_e32 v78, 0x92376b7d
	v_mov_b32_e32 v79, 0xbfc24924
	v_mov_b32_e32 v80, 0x999952cc
	v_mov_b32_e32 v81, 0x3fc99999
	v_mov_b32_e32 v82, 0x55555523
	v_mov_b32_e32 v83, 0xbfd55555
	v_mov_b32_e32 v114, 0x54442d18
	v_mov_b32_e32 v115, 0x7f3321d2
	v_mov_b32_e32 v116, 0x3fe921fb
	v_mov_b32_e32 v117, 0x4002d97c
	v_mov_b32_e32 v118, 0x3ff00000
	v_mov_b32_e32 v119, 0x7ff00000
	v_mov_b32_e32 v84, 0
	s_branch .LBB174_4
.LBB174_3:                              ;   in Loop: Header=BB174_4 Depth=1
	s_or_b64 exec, exec, s[0:1]
	s_add_u32 s20, s20, s73
	s_addc_u32 s21, s21, 0
	v_pk_mov_b32 v[2:3], s[16:17], s[16:17] op_sel:[0,1]
	v_cmp_ge_i64_e32 vcc, s[20:21], v[2:3]
	v_mov_b32_e32 v2, 0xffff
	v_mov_b32_e32 v3, 0
	v_cmp_gt_u64_e64 s[0:1], s[20:21], v[2:3]
	s_or_b64 s[0:1], vcc, s[0:1]
	s_and_b64 vcc, exec, s[0:1]
	s_cbranch_vccnz .LBB174_156
.LBB174_4:                              ; =>This Loop Header: Depth=1
                                        ;     Child Loop BB174_23 Depth 2
                                        ;     Child Loop BB174_57 Depth 2
	;; [unrolled: 1-line block ×4, first 2 shown]
	v_mov_b32_e32 v1, s21
	v_add_co_u32_e32 v10, vcc, s20, v0
	v_addc_co_u32_e32 v11, vcc, 0, v1, vcc
	v_pk_mov_b32 v[4:5], 0, 0
	v_cmp_gt_u64_e64 s[0:1], s[18:19], v[10:11]
	v_lshlrev_b64 v[86:87], 4, v[10:11]
	v_pk_mov_b32 v[8:9], v[4:5], v[4:5] op_sel:[0,1]
	v_pk_mov_b32 v[6:7], v[4:5], v[4:5] op_sel:[0,1]
	s_and_saveexec_b64 s[2:3], s[0:1]
	s_cbranch_execz .LBB174_6
; %bb.5:                                ;   in Loop: Header=BB174_4 Depth=1
	v_mov_b32_e32 v1, s68
	v_add_co_u32_e32 v2, vcc, s33, v86
	v_addc_co_u32_e32 v3, vcc, v1, v87, vcc
	global_load_dwordx4 v[6:9], v[2:3], off
.LBB174_6:                              ;   in Loop: Header=BB174_4 Depth=1
	s_or_b64 exec, exec, s[2:3]
	v_add_co_u32_e32 v2, vcc, s69, v10
	v_addc_co_u32_e32 v3, vcc, v11, v110, vcc
	v_cmp_gt_u64_e64 s[2:3], s[18:19], v[2:3]
	v_lshlrev_b64 v[88:89], 4, v[2:3]
	v_pk_mov_b32 v[2:3], v[4:5], v[4:5] op_sel:[0,1]
	s_and_saveexec_b64 s[6:7], s[2:3]
	s_cbranch_execz .LBB174_8
; %bb.7:                                ;   in Loop: Header=BB174_4 Depth=1
	v_mov_b32_e32 v1, s68
	v_add_co_u32_e32 v2, vcc, s33, v88
	v_addc_co_u32_e32 v3, vcc, v1, v89, vcc
	global_load_dwordx4 v[2:5], v[2:3], off
.LBB174_8:                              ;   in Loop: Header=BB174_4 Depth=1
	s_or_b64 exec, exec, s[6:7]
	v_add_co_u32_e32 v14, vcc, s70, v10
	v_addc_co_u32_e32 v15, vcc, v11, v111, vcc
	v_pk_mov_b32 v[12:13], 0, 0
	v_cmp_gt_u64_e64 s[6:7], s[18:19], v[14:15]
	v_lshlrev_b64 v[90:91], 4, v[14:15]
	v_pk_mov_b32 v[16:17], v[12:13], v[12:13] op_sel:[0,1]
	v_pk_mov_b32 v[14:15], v[12:13], v[12:13] op_sel:[0,1]
	s_and_saveexec_b64 s[8:9], s[6:7]
	s_cbranch_execz .LBB174_10
; %bb.9:                                ;   in Loop: Header=BB174_4 Depth=1
	v_mov_b32_e32 v1, s68
	v_add_co_u32_e32 v14, vcc, s33, v90
	v_addc_co_u32_e32 v15, vcc, v1, v91, vcc
	global_load_dwordx4 v[14:17], v[14:15], off
.LBB174_10:                             ;   in Loop: Header=BB174_4 Depth=1
	s_or_b64 exec, exec, s[8:9]
	v_mov_b32_e32 v1, s72
	v_add_co_u32_e32 v10, vcc, s71, v10
	v_addc_co_u32_e32 v11, vcc, v11, v1, vcc
	v_cmp_gt_u64_e64 s[8:9], s[18:19], v[10:11]
	v_lshlrev_b64 v[92:93], 4, v[10:11]
	v_pk_mov_b32 v[10:11], v[12:13], v[12:13] op_sel:[0,1]
	s_and_saveexec_b64 s[10:11], s[8:9]
	s_cbranch_execz .LBB174_12
; %bb.11:                               ;   in Loop: Header=BB174_4 Depth=1
	v_mov_b32_e32 v1, s68
	v_add_co_u32_e32 v10, vcc, s33, v92
	v_addc_co_u32_e32 v11, vcc, v1, v93, vcc
	global_load_dwordx4 v[10:13], v[10:11], off
.LBB174_12:                             ;   in Loop: Header=BB174_4 Depth=1
	s_or_b64 exec, exec, s[10:11]
	s_waitcnt vmcnt(0)
	v_cmp_o_f64_e32 vcc, v[6:7], v[8:9]
                                        ; implicit-def: $vgpr18_vgpr19
	s_and_saveexec_b64 s[10:11], vcc
	s_xor_b64 s[54:55], exec, s[10:11]
	s_cbranch_execz .LBB174_40
; %bb.13:                               ;   in Loop: Header=BB174_4 Depth=1
	v_and_b32_e32 v21, 0x7fffffff, v7
	v_and_b32_e32 v1, 0x7fffffff, v9
	v_mov_b32_e32 v20, v8
	v_cmp_lt_f64_e64 s[10:11], |v[6:7]|, |v[8:9]|
	v_cndmask_b32_e64 v23, v1, v21, s[10:11]
	v_cndmask_b32_e64 v22, v20, v6, s[10:11]
	v_cmp_nlt_f64_e32 vcc, s[22:23], v[22:23]
                                        ; implicit-def: $vgpr18_vgpr19
	s_and_saveexec_b64 s[12:13], vcc
	s_xor_b64 s[14:15], exec, s[12:13]
	s_cbranch_execz .LBB174_37
; %bb.14:                               ;   in Loop: Header=BB174_4 Depth=1
	v_cndmask_b32_e64 v25, v21, v1, s[10:11]
	v_cndmask_b32_e64 v24, v6, v20, s[10:11]
	v_cmp_neq_f64_e32 vcc, 1.0, v[24:25]
                                        ; implicit-def: $vgpr18_vgpr19
	s_and_saveexec_b64 s[12:13], vcc
	s_xor_b64 s[56:57], exec, s[12:13]
	s_cbranch_execz .LBB174_30
; %bb.15:                               ;   in Loop: Header=BB174_4 Depth=1
	v_max_f64 v[18:19], v[22:23], v[22:23]
	v_max_f64 v[20:21], v[24:25], v[24:25]
	v_min_f64 v[26:27], v[20:21], v[18:19]
	v_max_f64 v[18:19], v[20:21], v[18:19]
	v_cmp_ngt_f64_e32 vcc, s[24:25], v[26:27]
	v_cmp_nlt_f64_e64 s[12:13], s[26:27], v[18:19]
	s_and_b64 s[12:13], s[12:13], vcc
                                        ; implicit-def: $vgpr18_vgpr19
	s_and_saveexec_b64 s[58:59], s[12:13]
	s_xor_b64 s[58:59], exec, s[58:59]
	s_cbranch_execz .LBB174_27
; %bb.16:                               ;   in Loop: Header=BB174_4 Depth=1
	v_cmp_le_f64_e32 vcc, 1.0, v[24:25]
                                        ; implicit-def: $vgpr18_vgpr19
	s_and_saveexec_b64 s[12:13], vcc
	s_xor_b64 s[12:13], exec, s[12:13]
	s_cbranch_execz .LBB174_18
; %bb.17:                               ;   in Loop: Header=BB174_4 Depth=1
	v_add_f64 v[18:19], v[24:25], -1.0
	v_add_f64 v[20:21], v[24:25], 1.0
	v_mul_f64 v[20:21], v[18:19], v[20:21]
	v_fmac_f64_e32 v[20:21], v[22:23], v[22:23]
	v_add_f64 v[18:19], v[20:21], 1.0
	v_add_f64 v[22:23], v[18:19], -1.0
	v_add_f64 v[24:25], v[22:23], -v[18:19]
	v_add_f64 v[24:25], v[24:25], 1.0
	v_add_f64 v[22:23], v[20:21], -v[22:23]
	v_add_f64 v[22:23], v[22:23], v[24:25]
	v_frexp_mant_f64_e32 v[24:25], v[18:19]
	v_frexp_exp_i32_f64_e32 v1, v[18:19]
	v_cmp_gt_f64_e32 vcc, s[28:29], v[24:25]
	v_subbrev_co_u32_e32 v1, vcc, 0, v1, vcc
	v_sub_u32_e32 v24, 0, v1
	v_ldexp_f64 v[18:19], v[18:19], v24
	v_ldexp_f64 v[22:23], v[22:23], v24
	v_add_f64 v[24:25], v[18:19], -1.0
	v_add_f64 v[30:31], v[18:19], 1.0
	v_add_f64 v[26:27], v[24:25], 1.0
	v_add_f64 v[32:33], v[30:31], -1.0
	v_add_f64 v[26:27], v[18:19], -v[26:27]
	v_add_f64 v[18:19], v[18:19], -v[32:33]
	v_add_f64 v[18:19], v[22:23], v[18:19]
	v_add_f64 v[26:27], v[22:23], v[26:27]
	;; [unrolled: 1-line block ×3, first 2 shown]
	v_rcp_f64_e32 v[32:33], v[22:23]
	v_add_f64 v[28:29], v[24:25], v[26:27]
	v_add_f64 v[24:25], v[28:29], -v[24:25]
	v_add_f64 v[24:25], v[26:27], -v[24:25]
	;; [unrolled: 1-line block ×4, first 2 shown]
	v_fma_f64 v[26:27], -v[22:23], v[32:33], 1.0
	v_fmac_f64_e32 v[32:33], v[26:27], v[32:33]
	v_fma_f64 v[26:27], -v[22:23], v[32:33], 1.0
	v_fmac_f64_e32 v[32:33], v[26:27], v[32:33]
	v_mul_f64 v[26:27], v[28:29], v[32:33]
	v_mul_f64 v[30:31], v[22:23], v[26:27]
	v_fma_f64 v[94:95], v[26:27], v[22:23], -v[30:31]
	v_fmac_f64_e32 v[94:95], v[26:27], v[18:19]
	v_add_f64 v[96:97], v[30:31], v[94:95]
	v_add_f64 v[98:99], v[28:29], -v[96:97]
	v_add_f64 v[28:29], v[28:29], -v[98:99]
	;; [unrolled: 1-line block ×4, first 2 shown]
	v_add_f64 v[24:25], v[24:25], v[28:29]
	v_add_f64 v[28:29], v[30:31], -v[94:95]
	v_add_f64 v[24:25], v[28:29], v[24:25]
	v_add_f64 v[28:29], v[98:99], v[24:25]
	v_add_f64 v[30:31], v[98:99], -v[28:29]
	v_add_f64 v[24:25], v[24:25], v[30:31]
	v_mul_f64 v[30:31], v[32:33], v[28:29]
	v_mul_f64 v[94:95], v[22:23], v[30:31]
	v_fma_f64 v[22:23], v[30:31], v[22:23], -v[94:95]
	v_fmac_f64_e32 v[22:23], v[30:31], v[18:19]
	v_add_f64 v[18:19], v[94:95], v[22:23]
	v_add_f64 v[96:97], v[28:29], -v[18:19]
	v_add_f64 v[28:29], v[28:29], -v[96:97]
	;; [unrolled: 1-line block ×4, first 2 shown]
	v_add_f64 v[18:19], v[24:25], v[18:19]
	v_add_f64 v[22:23], v[94:95], -v[22:23]
	v_add_f64 v[18:19], v[22:23], v[18:19]
	v_add_f64 v[22:23], v[26:27], v[30:31]
	;; [unrolled: 1-line block ×3, first 2 shown]
	v_add_f64 v[24:25], v[22:23], -v[26:27]
	v_mul_f64 v[18:19], v[32:33], v[18:19]
	v_add_f64 v[24:25], v[30:31], -v[24:25]
	v_add_f64 v[18:19], v[24:25], v[18:19]
	v_add_f64 v[24:25], v[22:23], v[18:19]
	v_add_f64 v[22:23], v[24:25], -v[22:23]
	v_add_f64 v[18:19], v[18:19], -v[22:23]
	v_mul_f64 v[22:23], v[24:25], v[24:25]
	v_pk_mov_b32 v[26:27], v[34:35], v[34:35] op_sel:[0,1]
	v_fmac_f64_e32 v[26:27], s[30:31], v[22:23]
	v_pk_mov_b32 v[28:29], v[36:37], v[36:37] op_sel:[0,1]
	v_fmac_f64_e32 v[28:29], v[22:23], v[26:27]
	;; [unrolled: 2-line block ×6, first 2 shown]
	v_cvt_f64_i32_e32 v[26:27], v1
	v_mul_f64 v[30:31], v[26:27], s[34:35]
	v_fma_f64 v[32:33], v[26:27], s[34:35], -v[30:31]
	v_fmac_f64_e32 v[32:33], s[36:37], v[26:27]
	v_add_f64 v[26:27], v[30:31], v[32:33]
	v_add_f64 v[30:31], v[26:27], -v[30:31]
	v_mul_f64 v[22:23], v[24:25], v[22:23]
	v_add_f64 v[30:31], v[32:33], -v[30:31]
	v_ldexp_f64 v[32:33], v[24:25], 1
	v_mul_f64 v[22:23], v[22:23], v[28:29]
	v_add_f64 v[24:25], v[32:33], v[22:23]
	v_add_f64 v[28:29], v[24:25], -v[32:33]
	v_ldexp_f64 v[18:19], v[18:19], 1
	v_add_f64 v[22:23], v[22:23], -v[28:29]
	v_add_f64 v[18:19], v[18:19], v[22:23]
	v_add_f64 v[22:23], v[24:25], v[18:19]
	v_add_f64 v[24:25], v[22:23], -v[24:25]
	v_add_f64 v[18:19], v[18:19], -v[24:25]
	v_add_f64 v[24:25], v[26:27], v[22:23]
	v_add_f64 v[28:29], v[24:25], -v[26:27]
	v_add_f64 v[32:33], v[24:25], -v[28:29]
	;; [unrolled: 1-line block ×4, first 2 shown]
	v_add_f64 v[22:23], v[22:23], v[26:27]
	v_add_f64 v[26:27], v[30:31], v[18:19]
	v_add_f64 v[28:29], v[26:27], -v[30:31]
	v_add_f64 v[22:23], v[26:27], v[22:23]
	v_add_f64 v[32:33], v[26:27], -v[28:29]
	;; [unrolled: 2-line block ×3, first 2 shown]
	v_add_f64 v[18:19], v[18:19], -v[28:29]
	v_add_f64 v[24:25], v[26:27], -v[24:25]
	v_add_f64 v[18:19], v[18:19], v[30:31]
	v_add_f64 v[22:23], v[22:23], -v[24:25]
	v_add_f64 v[18:19], v[18:19], v[22:23]
	v_max_f64 v[22:23], |v[8:9]|, |v[8:9]|
	v_max_f64 v[24:25], |v[6:7]|, |v[6:7]|
	v_add_f64 v[18:19], v[26:27], v[18:19]
	v_max_f64 v[26:27], v[24:25], v[22:23]
	v_min_f64 v[22:23], v[24:25], v[22:23]
	v_div_scale_f64 v[24:25], s[60:61], v[26:27], v[26:27], v[22:23]
	v_cmp_eq_f64_e32 vcc, s[38:39], v[20:21]
	v_rcp_f64_e32 v[28:29], v[24:25]
	v_cndmask_b32_e32 v19, v19, v21, vcc
	v_cndmask_b32_e32 v18, v18, v20, vcc
	v_mul_f64 v[18:19], v[18:19], 0.5
	v_cmp_ngt_f64_e32 vcc, -1.0, v[20:21]
	v_cndmask_b32_e32 v1, v112, v19, vcc
	v_cmp_nge_f64_e32 vcc, -1.0, v[20:21]
	v_cndmask_b32_e32 v18, 0, v18, vcc
	v_cmp_neq_f64_e32 vcc, -1.0, v[20:21]
	v_fma_f64 v[20:21], -v[24:25], v[28:29], 1.0
	v_fmac_f64_e32 v[28:29], v[28:29], v[20:21]
	v_fma_f64 v[20:21], -v[24:25], v[28:29], 1.0
	v_cndmask_b32_e32 v19, v113, v1, vcc
	v_fmac_f64_e32 v[28:29], v[28:29], v[20:21]
	v_div_scale_f64 v[20:21], vcc, v[22:23], v[26:27], v[22:23]
	v_mul_f64 v[30:31], v[20:21], v[28:29]
	v_fma_f64 v[20:21], -v[24:25], v[30:31], v[20:21]
	v_pk_mov_b32 v[24:25], v[46:47], v[46:47] op_sel:[0,1]
	s_nop 0
	v_div_fmas_f64 v[20:21], v[20:21], v[28:29], v[30:31]
	v_div_fixup_f64 v[20:21], v[20:21], v[26:27], v[22:23]
	v_mul_f64 v[22:23], v[20:21], v[20:21]
	v_fmac_f64_e32 v[24:25], s[40:41], v[22:23]
	v_pk_mov_b32 v[26:27], v[48:49], v[48:49] op_sel:[0,1]
	v_fmac_f64_e32 v[26:27], v[22:23], v[24:25]
	v_pk_mov_b32 v[24:25], v[50:51], v[50:51] op_sel:[0,1]
	;; [unrolled: 2-line block ×18, first 2 shown]
	v_fmac_f64_e32 v[24:25], v[22:23], v[26:27]
	v_cmp_gt_i32_e32 vcc, 0, v7
	v_mul_f64 v[22:23], v[22:23], v[24:25]
	v_cmp_class_f64_e64 s[62:63], v[6:7], s75
	v_cndmask_b32_e32 v6, v116, v117, vcc
	v_fmac_f64_e32 v[20:21], v[20:21], v[22:23]
	v_bfi_b32 v22, s74, v6, v9
	v_ashrrev_i32_e32 v6, 31, v7
	v_and_b32_e32 v23, 0x400921fb, v6
	v_and_b32_e32 v24, 0x54442d18, v6
	v_add_f64 v[6:7], -v[20:21], s[42:43]
	v_cndmask_b32_e64 v7, v21, v7, s[10:11]
	v_cndmask_b32_e64 v6, v20, v6, s[10:11]
	s_mov_b32 s44, s42
	v_add_f64 v[20:21], -v[6:7], s[44:45]
	v_cmp_class_f64_e64 s[60:61], v[8:9], s75
	v_cndmask_b32_e32 v1, v114, v115, vcc
	v_cndmask_b32_e32 v7, v7, v21, vcc
	;; [unrolled: 1-line block ×3, first 2 shown]
	v_cmp_eq_f64_e32 vcc, 0, v[8:9]
	v_cndmask_b32_e32 v6, v6, v24, vcc
	v_cndmask_b32_e32 v7, v7, v23, vcc
	s_and_b64 vcc, s[60:61], s[62:63]
	v_cndmask_b32_e32 v21, v7, v22, vcc
	v_cndmask_b32_e32 v20, v6, v1, vcc
                                        ; implicit-def: $vgpr22_vgpr23
                                        ; implicit-def: $vgpr24_vgpr25
.LBB174_18:                             ;   in Loop: Header=BB174_4 Depth=1
	s_andn2_saveexec_b64 s[60:61], s[12:13]
	s_cbranch_execz .LBB174_26
; %bb.19:                               ;   in Loop: Header=BB174_4 Depth=1
	v_mul_f64 v[20:21], v[22:23], v[22:23]
	v_fmac_f64_e32 v[20:21], v[24:25], v[24:25]
	v_cmp_ge_f64_e32 vcc, s[46:47], v[20:21]
                                        ; implicit-def: $vgpr18_vgpr19
	s_and_saveexec_b64 s[12:13], vcc
	s_xor_b64 s[12:13], exec, s[12:13]
	s_cbranch_execz .LBB174_21
; %bb.20:                               ;   in Loop: Header=BB174_4 Depth=1
	v_frexp_mant_f64_e32 v[18:19], v[20:21]
	v_cmp_gt_f64_e32 vcc, s[28:29], v[18:19]
	v_cndmask_b32_e64 v85, v118, 2.0, vcc
	v_mul_f64 v[18:19], v[18:19], v[84:85]
	v_add_f64 v[22:23], v[18:19], 1.0
	v_rcp_f64_e32 v[24:25], v[22:23]
	v_add_f64 v[28:29], v[22:23], -1.0
	v_add_f64 v[26:27], v[18:19], -1.0
	v_add_f64 v[18:19], v[18:19], -v[28:29]
	v_fma_f64 v[28:29], -v[22:23], v[24:25], 1.0
	v_fmac_f64_e32 v[24:25], v[28:29], v[24:25]
	v_fma_f64 v[28:29], -v[22:23], v[24:25], 1.0
	v_fmac_f64_e32 v[24:25], v[28:29], v[24:25]
	v_mul_f64 v[28:29], v[26:27], v[24:25]
	v_mul_f64 v[30:31], v[22:23], v[28:29]
	v_fma_f64 v[22:23], v[28:29], v[22:23], -v[30:31]
	v_fmac_f64_e32 v[22:23], v[28:29], v[18:19]
	v_add_f64 v[18:19], v[30:31], v[22:23]
	v_add_f64 v[32:33], v[26:27], -v[18:19]
	v_add_f64 v[30:31], v[18:19], -v[30:31]
	;; [unrolled: 1-line block ×5, first 2 shown]
	v_add_f64 v[18:19], v[22:23], v[18:19]
	v_add_f64 v[18:19], v[32:33], v[18:19]
	v_mul_f64 v[18:19], v[24:25], v[18:19]
	v_add_f64 v[22:23], v[28:29], v[18:19]
	v_add_f64 v[24:25], v[22:23], -v[28:29]
	v_add_f64 v[18:19], v[18:19], -v[24:25]
	v_mul_f64 v[24:25], v[22:23], v[22:23]
	v_pk_mov_b32 v[26:27], v[34:35], v[34:35] op_sel:[0,1]
	v_fmac_f64_e32 v[26:27], s[30:31], v[24:25]
	v_pk_mov_b32 v[28:29], v[36:37], v[36:37] op_sel:[0,1]
	v_fmac_f64_e32 v[28:29], v[24:25], v[26:27]
	;; [unrolled: 2-line block ×6, first 2 shown]
	v_ldexp_f64 v[26:27], v[22:23], 1
	v_mul_f64 v[22:23], v[22:23], v[24:25]
	v_mul_f64 v[22:23], v[22:23], v[28:29]
	v_add_f64 v[24:25], v[26:27], v[22:23]
	v_add_f64 v[26:27], v[24:25], -v[26:27]
	v_ldexp_f64 v[18:19], v[18:19], 1
	v_add_f64 v[22:23], v[22:23], -v[26:27]
	v_add_f64 v[18:19], v[18:19], v[22:23]
	v_frexp_exp_i32_f64_e32 v1, v[20:21]
	v_add_f64 v[22:23], v[24:25], v[18:19]
	v_subbrev_co_u32_e32 v1, vcc, 0, v1, vcc
	v_add_f64 v[24:25], v[22:23], -v[24:25]
	v_add_f64 v[18:19], v[18:19], -v[24:25]
	v_cvt_f64_i32_e32 v[24:25], v1
	v_mul_f64 v[26:27], v[24:25], s[34:35]
	v_fma_f64 v[28:29], v[24:25], s[34:35], -v[26:27]
	v_fmac_f64_e32 v[28:29], s[36:37], v[24:25]
	v_add_f64 v[24:25], v[26:27], v[28:29]
	v_add_f64 v[26:27], v[24:25], -v[26:27]
	v_add_f64 v[26:27], v[28:29], -v[26:27]
	v_add_f64 v[28:29], v[24:25], v[22:23]
	v_add_f64 v[30:31], v[28:29], -v[24:25]
	v_add_f64 v[32:33], v[28:29], -v[30:31]
	;; [unrolled: 1-line block ×4, first 2 shown]
	v_add_f64 v[22:23], v[22:23], v[24:25]
	v_add_f64 v[24:25], v[26:27], v[18:19]
	v_add_f64 v[30:31], v[24:25], -v[26:27]
	v_add_f64 v[32:33], v[24:25], -v[30:31]
	v_add_f64 v[22:23], v[24:25], v[22:23]
	v_add_f64 v[26:27], v[26:27], -v[32:33]
	v_add_f64 v[18:19], v[18:19], -v[30:31]
	v_add_f64 v[24:25], v[28:29], v[22:23]
	v_add_f64 v[18:19], v[18:19], v[26:27]
	v_add_f64 v[26:27], v[24:25], -v[28:29]
	v_add_f64 v[22:23], v[22:23], -v[26:27]
	v_add_f64 v[18:19], v[18:19], v[22:23]
	v_add_f64 v[18:19], v[24:25], v[18:19]
	v_max_f64 v[22:23], |v[8:9]|, |v[8:9]|
	v_max_f64 v[24:25], |v[6:7]|, |v[6:7]|
	v_max_f64 v[26:27], v[24:25], v[22:23]
	v_min_f64 v[22:23], v[24:25], v[22:23]
	v_div_scale_f64 v[24:25], s[62:63], v[26:27], v[26:27], v[22:23]
	v_rcp_f64_e32 v[28:29], v[24:25]
	v_cmp_neq_f64_e32 vcc, 0, v[20:21]
	v_mul_f64 v[18:19], v[18:19], 0.5
	v_cndmask_b32_e32 v19, v113, v19, vcc
	v_fma_f64 v[20:21], -v[24:25], v[28:29], 1.0
	v_fmac_f64_e32 v[28:29], v[28:29], v[20:21]
	v_fma_f64 v[20:21], -v[24:25], v[28:29], 1.0
	v_cndmask_b32_e32 v18, 0, v18, vcc
	v_fmac_f64_e32 v[28:29], v[28:29], v[20:21]
	v_div_scale_f64 v[20:21], vcc, v[22:23], v[26:27], v[22:23]
	v_mul_f64 v[30:31], v[20:21], v[28:29]
	v_fma_f64 v[20:21], -v[24:25], v[30:31], v[20:21]
	v_pk_mov_b32 v[24:25], v[46:47], v[46:47] op_sel:[0,1]
	s_nop 0
	v_div_fmas_f64 v[20:21], v[20:21], v[28:29], v[30:31]
	v_div_fixup_f64 v[20:21], v[20:21], v[26:27], v[22:23]
	v_mul_f64 v[22:23], v[20:21], v[20:21]
	v_fmac_f64_e32 v[24:25], s[40:41], v[22:23]
	v_pk_mov_b32 v[26:27], v[48:49], v[48:49] op_sel:[0,1]
	v_fmac_f64_e32 v[26:27], v[22:23], v[24:25]
	v_pk_mov_b32 v[24:25], v[50:51], v[50:51] op_sel:[0,1]
	;; [unrolled: 2-line block ×18, first 2 shown]
	v_fmac_f64_e32 v[24:25], v[22:23], v[26:27]
	v_cmp_gt_i32_e32 vcc, 0, v7
	v_mul_f64 v[22:23], v[22:23], v[24:25]
	v_cmp_class_f64_e64 s[64:65], v[6:7], s75
	v_cndmask_b32_e32 v6, v116, v117, vcc
	v_fmac_f64_e32 v[20:21], v[20:21], v[22:23]
	v_bfi_b32 v22, s74, v6, v9
	v_ashrrev_i32_e32 v6, 31, v7
	v_and_b32_e32 v23, 0x400921fb, v6
	v_and_b32_e32 v24, 0x54442d18, v6
	v_add_f64 v[6:7], -v[20:21], s[42:43]
	v_cndmask_b32_e64 v7, v21, v7, s[10:11]
	v_cndmask_b32_e64 v6, v20, v6, s[10:11]
	s_mov_b32 s44, s42
	v_add_f64 v[20:21], -v[6:7], s[44:45]
	v_cmp_class_f64_e64 s[62:63], v[8:9], s75
	v_cndmask_b32_e32 v1, v114, v115, vcc
	v_cndmask_b32_e32 v7, v7, v21, vcc
	;; [unrolled: 1-line block ×3, first 2 shown]
	v_cmp_eq_f64_e32 vcc, 0, v[8:9]
	v_cndmask_b32_e32 v6, v6, v24, vcc
	v_cndmask_b32_e32 v7, v7, v23, vcc
	s_and_b64 vcc, s[62:63], s[64:65]
	v_cndmask_b32_e32 v21, v7, v22, vcc
	v_cndmask_b32_e32 v20, v6, v1, vcc
                                        ; implicit-def: $vgpr24_vgpr25
                                        ; implicit-def: $vgpr22_vgpr23
.LBB174_21:                             ;   in Loop: Header=BB174_4 Depth=1
	s_andn2_saveexec_b64 s[62:63], s[12:13]
	s_cbranch_execz .LBB174_25
; %bb.22:                               ;   in Loop: Header=BB174_4 Depth=1
	v_and_b32_e32 v85, 0x7ffffff8, v25
	v_add_f64 v[18:19], v[24:25], -v[84:85]
	v_and_b32_e32 v95, -8, v19
	v_mov_b32_e32 v94, v84
	v_and_b32_e32 v25, 0x7ffffff8, v23
	v_mov_b32_e32 v24, v84
	v_add_f64 v[98:99], v[18:19], -v[94:95]
	v_add_f64 v[18:19], v[22:23], -v[24:25]
	v_and_b32_e32 v97, -8, v19
	v_mov_b32_e32 v96, v84
	v_add_f64 v[28:29], v[84:85], v[84:85]
	v_add_f64 v[102:103], v[24:25], v[24:25]
	v_add_f64 v[100:101], v[18:19], -v[96:97]
	v_mul_f64 v[20:21], v[24:25], v[24:25]
	v_mul_f64 v[26:27], v[28:29], v[94:95]
	;; [unrolled: 1-line block ×5, first 2 shown]
	v_add_f64 v[94:95], v[94:95], v[94:95]
	v_add_f64 v[96:97], v[96:97], v[96:97]
	v_mul_f64 v[18:19], v[84:85], v[84:85]
	v_mul_f64 v[30:31], v[28:29], v[98:99]
	;; [unrolled: 1-line block ×7, first 2 shown]
	s_mov_b64 s[64:65], 0
.LBB174_23:                             ;   Parent Loop BB174_4 Depth=1
                                        ; =>  This Inner Loop Header: Depth=2
	v_cmp_nlt_f64_e32 vcc, v[18:19], v[20:21]
	v_cndmask_b32_e32 v103, v19, v21, vcc
	v_cndmask_b32_e32 v102, v18, v20, vcc
	v_cmp_nlt_f64_e64 s[12:13], v[102:103], v[26:27]
	v_cndmask_b32_e64 v105, v103, v27, s[12:13]
	v_cndmask_b32_e64 v104, v102, v26, s[12:13]
	v_cndmask_b32_e32 v19, v21, v19, vcc
	v_cndmask_b32_e32 v18, v20, v18, vcc
	s_and_b64 s[66:67], vcc, s[12:13]
	v_cmp_nlt_f64_e32 vcc, v[104:105], v[24:25]
	v_cndmask_b32_e64 v21, v27, v103, s[12:13]
	v_cndmask_b32_e64 v20, v26, v102, s[12:13]
	v_cndmask_b32_e32 v103, v105, v25, vcc
	v_cndmask_b32_e32 v102, v104, v24, vcc
	v_cmp_nlt_f64_e64 s[12:13], v[102:103], v[32:33]
	v_cndmask_b32_e32 v27, v25, v105, vcc
	v_cndmask_b32_e32 v26, v24, v104, vcc
	v_cndmask_b32_e64 v105, v103, v33, s[12:13]
	v_cndmask_b32_e64 v104, v102, v32, s[12:13]
	s_and_b64 s[76:77], vcc, s[12:13]
	v_cmp_nlt_f64_e32 vcc, v[104:105], v[22:23]
	v_cndmask_b32_e64 v25, v33, v103, s[12:13]
	v_cndmask_b32_e64 v24, v32, v102, s[12:13]
	v_cndmask_b32_e32 v103, v105, v23, vcc
	v_cndmask_b32_e32 v102, v104, v22, vcc
	v_cmp_nlt_f64_e64 s[12:13], v[102:103], v[30:31]
	v_cndmask_b32_e32 v33, v23, v105, vcc
	v_cndmask_b32_e32 v32, v22, v104, vcc
	v_cndmask_b32_e64 v105, v103, v31, s[12:13]
	v_cndmask_b32_e64 v104, v102, v30, s[12:13]
	;; [unrolled: 1-line block ×4, first 2 shown]
	s_and_b64 s[12:13], vcc, s[12:13]
	v_cmp_nlt_f64_e32 vcc, v[104:105], v[28:29]
	v_cndmask_b32_e32 v103, v105, v29, vcc
	v_cndmask_b32_e32 v102, v104, v28, vcc
	v_cndmask_b32_e32 v31, v29, v105, vcc
	v_cndmask_b32_e32 v30, v28, v104, vcc
	s_and_b64 s[12:13], s[12:13], vcc
	v_cmp_nlt_f64_e32 vcc, v[102:103], v[94:95]
	v_cndmask_b32_e32 v105, v103, v95, vcc
	v_cndmask_b32_e32 v104, v102, v94, vcc
	v_cndmask_b32_e32 v29, v95, v103, vcc
	v_cndmask_b32_e32 v28, v94, v102, vcc
	s_and_b64 s[12:13], s[12:13], vcc
	;; [unrolled: 6-line block ×4, first 2 shown]
	v_cmp_nlt_f64_e32 vcc, v[104:105], v[100:101]
	s_and_b64 s[12:13], s[12:13], vcc
	s_and_b64 s[12:13], s[12:13], s[76:77]
	s_and_b64 s[12:13], s[12:13], s[66:67]
	v_cndmask_b32_e32 v103, v105, v101, vcc
	v_cndmask_b32_e32 v102, v104, v100, vcc
	s_and_b64 s[12:13], exec, s[12:13]
	v_cndmask_b32_e32 v99, v101, v105, vcc
	v_cndmask_b32_e32 v98, v100, v104, vcc
	s_or_b64 s[64:65], s[12:13], s[64:65]
	v_pk_mov_b32 v[100:101], v[102:103], v[102:103] op_sel:[0,1]
	s_andn2_b64 exec, exec, s[64:65]
	s_cbranch_execnz .LBB174_23
; %bb.24:                               ;   in Loop: Header=BB174_4 Depth=1
	s_or_b64 exec, exec, s[64:65]
	v_add_f64 v[18:19], v[18:19], -1.0
	v_add_f64 v[18:19], v[18:19], v[20:21]
	v_add_f64 v[18:19], v[18:19], v[26:27]
	;; [unrolled: 1-line block ×11, first 2 shown]
	v_add_f64 v[18:19], v[20:21], 1.0
	v_add_f64 v[22:23], v[18:19], -1.0
	v_add_f64 v[24:25], v[22:23], -v[18:19]
	v_add_f64 v[24:25], v[24:25], 1.0
	v_add_f64 v[22:23], v[20:21], -v[22:23]
	v_add_f64 v[22:23], v[22:23], v[24:25]
	v_frexp_mant_f64_e32 v[24:25], v[18:19]
	v_frexp_exp_i32_f64_e32 v1, v[18:19]
	v_cmp_gt_f64_e32 vcc, s[28:29], v[24:25]
	v_subbrev_co_u32_e32 v1, vcc, 0, v1, vcc
	v_sub_u32_e32 v24, 0, v1
	v_ldexp_f64 v[18:19], v[18:19], v24
	v_ldexp_f64 v[22:23], v[22:23], v24
	v_add_f64 v[24:25], v[18:19], -1.0
	v_add_f64 v[30:31], v[18:19], 1.0
	v_add_f64 v[26:27], v[24:25], 1.0
	v_add_f64 v[32:33], v[30:31], -1.0
	v_add_f64 v[26:27], v[18:19], -v[26:27]
	v_add_f64 v[18:19], v[18:19], -v[32:33]
	v_add_f64 v[18:19], v[22:23], v[18:19]
	v_add_f64 v[26:27], v[22:23], v[26:27]
	;; [unrolled: 1-line block ×3, first 2 shown]
	v_rcp_f64_e32 v[32:33], v[22:23]
	v_add_f64 v[28:29], v[24:25], v[26:27]
	v_add_f64 v[24:25], v[28:29], -v[24:25]
	v_add_f64 v[24:25], v[26:27], -v[24:25]
	;; [unrolled: 1-line block ×4, first 2 shown]
	v_fma_f64 v[26:27], -v[22:23], v[32:33], 1.0
	v_fmac_f64_e32 v[32:33], v[26:27], v[32:33]
	v_fma_f64 v[26:27], -v[22:23], v[32:33], 1.0
	v_fmac_f64_e32 v[32:33], v[26:27], v[32:33]
	v_mul_f64 v[26:27], v[28:29], v[32:33]
	v_mul_f64 v[30:31], v[22:23], v[26:27]
	v_fma_f64 v[94:95], v[26:27], v[22:23], -v[30:31]
	v_fmac_f64_e32 v[94:95], v[26:27], v[18:19]
	v_add_f64 v[96:97], v[30:31], v[94:95]
	v_add_f64 v[98:99], v[28:29], -v[96:97]
	v_add_f64 v[28:29], v[28:29], -v[98:99]
	;; [unrolled: 1-line block ×4, first 2 shown]
	v_add_f64 v[24:25], v[24:25], v[28:29]
	v_add_f64 v[28:29], v[30:31], -v[94:95]
	v_add_f64 v[24:25], v[28:29], v[24:25]
	v_add_f64 v[28:29], v[98:99], v[24:25]
	v_add_f64 v[30:31], v[98:99], -v[28:29]
	v_add_f64 v[24:25], v[24:25], v[30:31]
	v_mul_f64 v[30:31], v[32:33], v[28:29]
	v_mul_f64 v[94:95], v[22:23], v[30:31]
	v_fma_f64 v[22:23], v[30:31], v[22:23], -v[94:95]
	v_fmac_f64_e32 v[22:23], v[30:31], v[18:19]
	v_add_f64 v[18:19], v[94:95], v[22:23]
	v_add_f64 v[96:97], v[28:29], -v[18:19]
	v_add_f64 v[28:29], v[28:29], -v[96:97]
	;; [unrolled: 1-line block ×4, first 2 shown]
	v_add_f64 v[18:19], v[24:25], v[18:19]
	v_add_f64 v[22:23], v[94:95], -v[22:23]
	v_add_f64 v[18:19], v[22:23], v[18:19]
	v_add_f64 v[22:23], v[26:27], v[30:31]
	;; [unrolled: 1-line block ×3, first 2 shown]
	v_add_f64 v[24:25], v[22:23], -v[26:27]
	v_mul_f64 v[18:19], v[32:33], v[18:19]
	v_add_f64 v[24:25], v[30:31], -v[24:25]
	v_add_f64 v[18:19], v[24:25], v[18:19]
	v_add_f64 v[24:25], v[22:23], v[18:19]
	v_add_f64 v[22:23], v[24:25], -v[22:23]
	v_add_f64 v[18:19], v[18:19], -v[22:23]
	v_mul_f64 v[22:23], v[24:25], v[24:25]
	v_pk_mov_b32 v[26:27], v[34:35], v[34:35] op_sel:[0,1]
	v_fmac_f64_e32 v[26:27], s[30:31], v[22:23]
	v_pk_mov_b32 v[28:29], v[36:37], v[36:37] op_sel:[0,1]
	v_fmac_f64_e32 v[28:29], v[22:23], v[26:27]
	v_pk_mov_b32 v[26:27], v[38:39], v[38:39] op_sel:[0,1]
	v_fmac_f64_e32 v[26:27], v[22:23], v[28:29]
	v_pk_mov_b32 v[28:29], v[40:41], v[40:41] op_sel:[0,1]
	v_fmac_f64_e32 v[28:29], v[22:23], v[26:27]
	v_pk_mov_b32 v[26:27], v[42:43], v[42:43] op_sel:[0,1]
	v_fmac_f64_e32 v[26:27], v[22:23], v[28:29]
	v_pk_mov_b32 v[28:29], v[44:45], v[44:45] op_sel:[0,1]
	v_fmac_f64_e32 v[28:29], v[22:23], v[26:27]
	v_cvt_f64_i32_e32 v[26:27], v1
	v_mul_f64 v[30:31], v[26:27], s[34:35]
	v_fma_f64 v[32:33], v[26:27], s[34:35], -v[30:31]
	v_fmac_f64_e32 v[32:33], s[36:37], v[26:27]
	v_add_f64 v[26:27], v[30:31], v[32:33]
	v_add_f64 v[30:31], v[26:27], -v[30:31]
	v_mul_f64 v[22:23], v[24:25], v[22:23]
	v_add_f64 v[30:31], v[32:33], -v[30:31]
	v_ldexp_f64 v[32:33], v[24:25], 1
	v_mul_f64 v[22:23], v[22:23], v[28:29]
	v_add_f64 v[24:25], v[32:33], v[22:23]
	v_add_f64 v[28:29], v[24:25], -v[32:33]
	v_ldexp_f64 v[18:19], v[18:19], 1
	v_add_f64 v[22:23], v[22:23], -v[28:29]
	v_add_f64 v[18:19], v[18:19], v[22:23]
	v_add_f64 v[22:23], v[24:25], v[18:19]
	v_add_f64 v[24:25], v[22:23], -v[24:25]
	v_add_f64 v[18:19], v[18:19], -v[24:25]
	v_add_f64 v[24:25], v[26:27], v[22:23]
	v_add_f64 v[28:29], v[24:25], -v[26:27]
	v_add_f64 v[32:33], v[24:25], -v[28:29]
	;; [unrolled: 1-line block ×4, first 2 shown]
	v_add_f64 v[22:23], v[22:23], v[26:27]
	v_add_f64 v[26:27], v[30:31], v[18:19]
	v_add_f64 v[28:29], v[26:27], -v[30:31]
	v_add_f64 v[22:23], v[26:27], v[22:23]
	v_add_f64 v[32:33], v[26:27], -v[28:29]
	;; [unrolled: 2-line block ×3, first 2 shown]
	v_add_f64 v[18:19], v[18:19], -v[28:29]
	v_add_f64 v[24:25], v[26:27], -v[24:25]
	v_add_f64 v[18:19], v[18:19], v[30:31]
	v_add_f64 v[22:23], v[22:23], -v[24:25]
	v_add_f64 v[18:19], v[18:19], v[22:23]
	v_max_f64 v[22:23], |v[8:9]|, |v[8:9]|
	v_max_f64 v[24:25], |v[6:7]|, |v[6:7]|
	v_add_f64 v[18:19], v[26:27], v[18:19]
	v_max_f64 v[26:27], v[24:25], v[22:23]
	v_min_f64 v[22:23], v[24:25], v[22:23]
	v_div_scale_f64 v[24:25], s[12:13], v[26:27], v[26:27], v[22:23]
	v_cmp_eq_f64_e32 vcc, s[38:39], v[20:21]
	v_rcp_f64_e32 v[28:29], v[24:25]
	v_cndmask_b32_e32 v19, v19, v21, vcc
	v_cndmask_b32_e32 v18, v18, v20, vcc
	v_mul_f64 v[18:19], v[18:19], 0.5
	v_cmp_ngt_f64_e32 vcc, -1.0, v[20:21]
	v_cndmask_b32_e32 v1, v112, v19, vcc
	v_cmp_nge_f64_e32 vcc, -1.0, v[20:21]
	v_cndmask_b32_e32 v18, 0, v18, vcc
	v_cmp_neq_f64_e32 vcc, -1.0, v[20:21]
	v_fma_f64 v[20:21], -v[24:25], v[28:29], 1.0
	v_fmac_f64_e32 v[28:29], v[28:29], v[20:21]
	v_fma_f64 v[20:21], -v[24:25], v[28:29], 1.0
	v_cndmask_b32_e32 v19, v113, v1, vcc
	v_fmac_f64_e32 v[28:29], v[28:29], v[20:21]
	v_div_scale_f64 v[20:21], vcc, v[22:23], v[26:27], v[22:23]
	v_mul_f64 v[30:31], v[20:21], v[28:29]
	v_fma_f64 v[20:21], -v[24:25], v[30:31], v[20:21]
	v_pk_mov_b32 v[24:25], v[46:47], v[46:47] op_sel:[0,1]
	s_nop 0
	v_div_fmas_f64 v[20:21], v[20:21], v[28:29], v[30:31]
	v_div_fixup_f64 v[20:21], v[20:21], v[26:27], v[22:23]
	v_mul_f64 v[22:23], v[20:21], v[20:21]
	v_fmac_f64_e32 v[24:25], s[40:41], v[22:23]
	v_pk_mov_b32 v[26:27], v[48:49], v[48:49] op_sel:[0,1]
	v_fmac_f64_e32 v[26:27], v[22:23], v[24:25]
	v_pk_mov_b32 v[24:25], v[50:51], v[50:51] op_sel:[0,1]
	;; [unrolled: 2-line block ×18, first 2 shown]
	v_fmac_f64_e32 v[24:25], v[22:23], v[26:27]
	v_cmp_gt_i32_e32 vcc, 0, v7
	v_mul_f64 v[22:23], v[22:23], v[24:25]
	v_cmp_class_f64_e64 s[64:65], v[6:7], s75
	v_cndmask_b32_e32 v6, v116, v117, vcc
	v_fmac_f64_e32 v[20:21], v[20:21], v[22:23]
	v_bfi_b32 v22, s74, v6, v9
	v_ashrrev_i32_e32 v6, 31, v7
	v_and_b32_e32 v23, 0x400921fb, v6
	v_and_b32_e32 v24, 0x54442d18, v6
	v_add_f64 v[6:7], -v[20:21], s[42:43]
	v_cndmask_b32_e64 v7, v21, v7, s[10:11]
	v_cndmask_b32_e64 v6, v20, v6, s[10:11]
	s_mov_b32 s44, s42
	v_add_f64 v[20:21], -v[6:7], s[44:45]
	v_cmp_class_f64_e64 s[12:13], v[8:9], s75
	v_cndmask_b32_e32 v1, v114, v115, vcc
	v_cndmask_b32_e32 v7, v7, v21, vcc
	v_cndmask_b32_e32 v6, v6, v20, vcc
	v_cmp_eq_f64_e32 vcc, 0, v[8:9]
	v_cndmask_b32_e32 v6, v6, v24, vcc
	v_cndmask_b32_e32 v7, v7, v23, vcc
	s_and_b64 vcc, s[12:13], s[64:65]
	v_cndmask_b32_e32 v21, v7, v22, vcc
	v_cndmask_b32_e32 v20, v6, v1, vcc
.LBB174_25:                             ;   in Loop: Header=BB174_4 Depth=1
	s_or_b64 exec, exec, s[62:63]
.LBB174_26:                             ;   in Loop: Header=BB174_4 Depth=1
	s_or_b64 exec, exec, s[60:61]
.LBB174_27:                             ;   in Loop: Header=BB174_4 Depth=1
	s_andn2_saveexec_b64 s[58:59], s[58:59]
	s_cbranch_execz .LBB174_29
; %bb.28:                               ;   in Loop: Header=BB174_4 Depth=1
	v_max_f64 v[18:19], |v[8:9]|, |v[8:9]|
	v_max_f64 v[20:21], |v[6:7]|, |v[6:7]|
	v_max_f64 v[22:23], v[20:21], v[18:19]
	v_frexp_exp_i32_f64_e32 v1, v[22:23]
	v_sub_u32_e32 v26, 0, v1
	v_ldexp_f64 v[24:25], |v[6:7]|, v26
	v_ldexp_f64 v[26:27], |v[8:9]|, v26
	v_mul_f64 v[26:27], v[26:27], v[26:27]
	v_fmac_f64_e32 v[26:27], v[24:25], v[24:25]
	v_rsq_f64_e32 v[24:25], v[26:27]
	v_cmp_eq_f64_e32 vcc, 0, v[26:27]
	v_cmp_class_f64_e64 s[60:61], v[6:7], s75
	v_cmp_class_f64_e64 s[62:63], v[8:9], s75
	v_mul_f64 v[28:29], v[26:27], v[24:25]
	v_mul_f64 v[24:25], v[24:25], 0.5
	v_fma_f64 v[30:31], -v[24:25], v[28:29], 0.5
	v_fmac_f64_e32 v[28:29], v[28:29], v[30:31]
	v_fmac_f64_e32 v[24:25], v[24:25], v[30:31]
	v_fma_f64 v[30:31], -v[28:29], v[28:29], v[26:27]
	v_fmac_f64_e32 v[28:29], v[30:31], v[24:25]
	v_cndmask_b32_e32 v25, v29, v27, vcc
	v_cndmask_b32_e32 v24, v28, v26, vcc
	v_ldexp_f64 v[24:25], v[24:25], v1
	s_or_b64 vcc, s[62:63], s[60:61]
	v_cndmask_b32_e32 v27, v25, v119, vcc
	v_cndmask_b32_e64 v26, v24, 0, vcc
	v_frexp_mant_f64_e32 v[28:29], v[26:27]
	v_cmp_gt_f64_e64 s[12:13], s[28:29], v[28:29]
	v_cndmask_b32_e64 v85, v118, 2.0, s[12:13]
	v_mul_f64 v[28:29], v[28:29], v[84:85]
	v_add_f64 v[30:31], v[28:29], 1.0
	v_rcp_f64_e32 v[32:33], v[30:31]
	v_add_f64 v[96:97], v[30:31], -1.0
	v_add_f64 v[94:95], v[28:29], -1.0
	v_add_f64 v[28:29], v[28:29], -v[96:97]
	v_fma_f64 v[96:97], -v[30:31], v[32:33], 1.0
	v_fmac_f64_e32 v[32:33], v[96:97], v[32:33]
	v_fma_f64 v[96:97], -v[30:31], v[32:33], 1.0
	v_fmac_f64_e32 v[32:33], v[96:97], v[32:33]
	v_mul_f64 v[96:97], v[94:95], v[32:33]
	v_mul_f64 v[98:99], v[30:31], v[96:97]
	v_fma_f64 v[30:31], v[96:97], v[30:31], -v[98:99]
	v_fmac_f64_e32 v[30:31], v[96:97], v[28:29]
	v_add_f64 v[28:29], v[98:99], v[30:31]
	v_add_f64 v[100:101], v[94:95], -v[28:29]
	v_add_f64 v[98:99], v[28:29], -v[98:99]
	;; [unrolled: 1-line block ×5, first 2 shown]
	v_add_f64 v[28:29], v[30:31], v[28:29]
	v_add_f64 v[28:29], v[100:101], v[28:29]
	v_mul_f64 v[28:29], v[32:33], v[28:29]
	v_add_f64 v[30:31], v[96:97], v[28:29]
	v_add_f64 v[32:33], v[30:31], -v[96:97]
	v_add_f64 v[28:29], v[28:29], -v[32:33]
	v_mul_f64 v[32:33], v[30:31], v[30:31]
	v_pk_mov_b32 v[94:95], v[34:35], v[34:35] op_sel:[0,1]
	v_fmac_f64_e32 v[94:95], s[30:31], v[32:33]
	v_pk_mov_b32 v[96:97], v[36:37], v[36:37] op_sel:[0,1]
	v_fmac_f64_e32 v[96:97], v[32:33], v[94:95]
	;; [unrolled: 2-line block ×6, first 2 shown]
	v_ldexp_f64 v[94:95], v[30:31], 1
	v_mul_f64 v[30:31], v[30:31], v[32:33]
	v_mul_f64 v[30:31], v[30:31], v[96:97]
	v_add_f64 v[32:33], v[94:95], v[30:31]
	v_add_f64 v[94:95], v[32:33], -v[94:95]
	v_ldexp_f64 v[28:29], v[28:29], 1
	v_add_f64 v[30:31], v[30:31], -v[94:95]
	v_add_f64 v[28:29], v[28:29], v[30:31]
	v_frexp_exp_i32_f64_e32 v1, v[26:27]
	v_add_f64 v[30:31], v[32:33], v[28:29]
	v_subbrev_co_u32_e64 v1, s[12:13], 0, v1, s[12:13]
	v_add_f64 v[32:33], v[30:31], -v[32:33]
	v_add_f64 v[28:29], v[28:29], -v[32:33]
	v_cvt_f64_i32_e32 v[32:33], v1
	v_mul_f64 v[94:95], v[32:33], s[34:35]
	v_fma_f64 v[96:97], v[32:33], s[34:35], -v[94:95]
	v_fmac_f64_e32 v[96:97], s[36:37], v[32:33]
	v_add_f64 v[32:33], v[94:95], v[96:97]
	v_add_f64 v[94:95], v[32:33], -v[94:95]
	v_add_f64 v[94:95], v[96:97], -v[94:95]
	v_add_f64 v[96:97], v[32:33], v[30:31]
	v_add_f64 v[98:99], v[96:97], -v[32:33]
	v_add_f64 v[100:101], v[96:97], -v[98:99]
	v_add_f64 v[32:33], v[32:33], -v[100:101]
	v_add_f64 v[30:31], v[30:31], -v[98:99]
	v_add_f64 v[30:31], v[30:31], v[32:33]
	v_add_f64 v[32:33], v[94:95], v[28:29]
	v_add_f64 v[98:99], v[32:33], -v[94:95]
	v_add_f64 v[100:101], v[32:33], -v[98:99]
	v_add_f64 v[30:31], v[32:33], v[30:31]
	v_add_f64 v[94:95], v[94:95], -v[100:101]
	v_add_f64 v[28:29], v[28:29], -v[98:99]
	v_add_f64 v[32:33], v[96:97], v[30:31]
	v_add_f64 v[28:29], v[28:29], v[94:95]
	v_add_f64 v[94:95], v[32:33], -v[96:97]
	v_add_f64 v[30:31], v[30:31], -v[94:95]
	v_add_f64 v[28:29], v[28:29], v[30:31]
	v_add_f64 v[28:29], v[32:33], v[28:29]
	v_cmp_class_f64_e64 s[12:13], v[24:25], s75
	v_min_f64 v[20:21], v[20:21], v[18:19]
	v_cndmask_b32_e64 v1, v29, v25, s[12:13]
	v_cndmask_b32_e64 v6, v28, v24, s[12:13]
	v_div_scale_f64 v[24:25], s[12:13], v[22:23], v[22:23], v[20:21]
	v_rcp_f64_e32 v[28:29], v[24:25]
	v_cndmask_b32_e64 v6, v6, 0, vcc
	v_cndmask_b32_e32 v1, v1, v119, vcc
	v_cmp_ngt_f64_e32 vcc, 0, v[26:27]
	v_cndmask_b32_e32 v1, v112, v1, vcc
	v_cmp_nge_f64_e32 vcc, 0, v[26:27]
	v_cndmask_b32_e32 v18, 0, v6, vcc
	v_cmp_neq_f64_e32 vcc, 0, v[26:27]
	v_fma_f64 v[26:27], -v[24:25], v[28:29], 1.0
	v_fmac_f64_e32 v[28:29], v[28:29], v[26:27]
	v_fma_f64 v[26:27], -v[24:25], v[28:29], 1.0
	v_cndmask_b32_e32 v19, v113, v1, vcc
	v_fmac_f64_e32 v[28:29], v[28:29], v[26:27]
	v_div_scale_f64 v[26:27], vcc, v[20:21], v[22:23], v[20:21]
	v_mul_f64 v[30:31], v[26:27], v[28:29]
	v_fma_f64 v[24:25], -v[24:25], v[30:31], v[26:27]
	v_pk_mov_b32 v[26:27], v[48:49], v[48:49] op_sel:[0,1]
	s_nop 0
	v_div_fmas_f64 v[24:25], v[24:25], v[28:29], v[30:31]
	v_div_fixup_f64 v[20:21], v[24:25], v[22:23], v[20:21]
	v_mul_f64 v[22:23], v[20:21], v[20:21]
	v_pk_mov_b32 v[24:25], v[46:47], v[46:47] op_sel:[0,1]
	v_fmac_f64_e32 v[24:25], s[40:41], v[22:23]
	v_fmac_f64_e32 v[26:27], v[22:23], v[24:25]
	v_pk_mov_b32 v[24:25], v[50:51], v[50:51] op_sel:[0,1]
	v_fmac_f64_e32 v[24:25], v[22:23], v[26:27]
	v_pk_mov_b32 v[26:27], v[52:53], v[52:53] op_sel:[0,1]
	;; [unrolled: 2-line block ×17, first 2 shown]
	v_fmac_f64_e32 v[24:25], v[22:23], v[26:27]
	v_cmp_gt_i32_e32 vcc, 0, v7
	v_mul_f64 v[22:23], v[22:23], v[24:25]
	v_cndmask_b32_e32 v6, v116, v117, vcc
	v_fmac_f64_e32 v[20:21], v[20:21], v[22:23]
	v_bfi_b32 v22, s74, v6, v9
	v_ashrrev_i32_e32 v6, 31, v7
	v_and_b32_e32 v23, 0x400921fb, v6
	v_and_b32_e32 v24, 0x54442d18, v6
	v_add_f64 v[6:7], -v[20:21], s[42:43]
	v_cndmask_b32_e64 v7, v21, v7, s[10:11]
	v_cndmask_b32_e64 v6, v20, v6, s[10:11]
	s_mov_b32 s44, s42
	v_add_f64 v[20:21], -v[6:7], s[44:45]
	v_cndmask_b32_e32 v1, v114, v115, vcc
	v_cndmask_b32_e32 v7, v7, v21, vcc
	;; [unrolled: 1-line block ×3, first 2 shown]
	v_cmp_eq_f64_e32 vcc, 0, v[8:9]
	v_cndmask_b32_e32 v6, v6, v24, vcc
	v_cndmask_b32_e32 v7, v7, v23, vcc
	s_and_b64 vcc, s[62:63], s[60:61]
	v_cndmask_b32_e32 v21, v7, v22, vcc
	v_cndmask_b32_e32 v20, v6, v1, vcc
.LBB174_29:                             ;   in Loop: Header=BB174_4 Depth=1
	s_or_b64 exec, exec, s[58:59]
                                        ; implicit-def: $vgpr22_vgpr23
.LBB174_30:                             ;   in Loop: Header=BB174_4 Depth=1
	s_andn2_saveexec_b64 s[12:13], s[56:57]
	s_cbranch_execz .LBB174_36
; %bb.31:                               ;   in Loop: Header=BB174_4 Depth=1
	v_cmp_ngt_f64_e32 vcc, s[48:49], v[22:23]
                                        ; implicit-def: $vgpr18_vgpr19
	s_and_saveexec_b64 s[56:57], vcc
	s_xor_b64 s[56:57], exec, s[56:57]
	s_cbranch_execz .LBB174_33
; %bb.32:                               ;   in Loop: Header=BB174_4 Depth=1
	v_mul_f64 v[18:19], v[22:23], v[22:23]
	v_add_f64 v[20:21], v[18:19], 1.0
	v_add_f64 v[22:23], v[20:21], -1.0
	v_add_f64 v[24:25], v[22:23], -v[20:21]
	v_add_f64 v[24:25], v[24:25], 1.0
	v_add_f64 v[22:23], v[18:19], -v[22:23]
	v_add_f64 v[22:23], v[22:23], v[24:25]
	v_frexp_mant_f64_e32 v[24:25], v[20:21]
	v_frexp_exp_i32_f64_e32 v1, v[20:21]
	v_cmp_gt_f64_e32 vcc, s[28:29], v[24:25]
	v_subbrev_co_u32_e32 v1, vcc, 0, v1, vcc
	v_sub_u32_e32 v24, 0, v1
	v_ldexp_f64 v[20:21], v[20:21], v24
	v_ldexp_f64 v[22:23], v[22:23], v24
	v_add_f64 v[24:25], v[20:21], -1.0
	v_add_f64 v[30:31], v[20:21], 1.0
	v_add_f64 v[26:27], v[24:25], 1.0
	v_add_f64 v[32:33], v[30:31], -1.0
	v_add_f64 v[26:27], v[20:21], -v[26:27]
	v_add_f64 v[20:21], v[20:21], -v[32:33]
	v_add_f64 v[20:21], v[22:23], v[20:21]
	v_add_f64 v[26:27], v[22:23], v[26:27]
	;; [unrolled: 1-line block ×3, first 2 shown]
	v_rcp_f64_e32 v[32:33], v[22:23]
	v_add_f64 v[28:29], v[24:25], v[26:27]
	v_add_f64 v[24:25], v[24:25], -v[28:29]
	v_add_f64 v[24:25], v[26:27], v[24:25]
	v_add_f64 v[26:27], v[30:31], -v[22:23]
	v_add_f64 v[20:21], v[20:21], v[26:27]
	v_fma_f64 v[26:27], -v[22:23], v[32:33], 1.0
	v_fmac_f64_e32 v[32:33], v[26:27], v[32:33]
	v_fma_f64 v[26:27], -v[22:23], v[32:33], 1.0
	v_fmac_f64_e32 v[32:33], v[26:27], v[32:33]
	v_mul_f64 v[26:27], v[28:29], v[32:33]
	v_mul_f64 v[30:31], v[22:23], v[26:27]
	v_fma_f64 v[94:95], v[26:27], v[22:23], -v[30:31]
	v_fmac_f64_e32 v[94:95], v[26:27], v[20:21]
	v_add_f64 v[96:97], v[30:31], v[94:95]
	v_add_f64 v[98:99], v[28:29], -v[96:97]
	v_add_f64 v[28:29], v[28:29], -v[98:99]
	;; [unrolled: 1-line block ×4, first 2 shown]
	v_add_f64 v[24:25], v[24:25], v[28:29]
	v_add_f64 v[28:29], v[30:31], -v[94:95]
	v_add_f64 v[24:25], v[28:29], v[24:25]
	v_add_f64 v[28:29], v[98:99], v[24:25]
	v_add_f64 v[30:31], v[98:99], -v[28:29]
	v_add_f64 v[24:25], v[24:25], v[30:31]
	v_mul_f64 v[30:31], v[32:33], v[28:29]
	v_mul_f64 v[94:95], v[22:23], v[30:31]
	v_fma_f64 v[22:23], v[30:31], v[22:23], -v[94:95]
	v_fmac_f64_e32 v[22:23], v[30:31], v[20:21]
	v_add_f64 v[20:21], v[94:95], v[22:23]
	v_add_f64 v[96:97], v[28:29], -v[20:21]
	v_add_f64 v[28:29], v[28:29], -v[96:97]
	;; [unrolled: 1-line block ×4, first 2 shown]
	v_add_f64 v[20:21], v[24:25], v[20:21]
	v_add_f64 v[22:23], v[94:95], -v[22:23]
	v_add_f64 v[20:21], v[22:23], v[20:21]
	v_add_f64 v[22:23], v[26:27], v[30:31]
	;; [unrolled: 1-line block ×3, first 2 shown]
	v_add_f64 v[24:25], v[22:23], -v[26:27]
	v_mul_f64 v[20:21], v[32:33], v[20:21]
	v_add_f64 v[24:25], v[30:31], -v[24:25]
	v_add_f64 v[20:21], v[24:25], v[20:21]
	v_add_f64 v[24:25], v[22:23], v[20:21]
	v_add_f64 v[22:23], v[24:25], -v[22:23]
	v_add_f64 v[20:21], v[20:21], -v[22:23]
	v_mul_f64 v[22:23], v[24:25], v[24:25]
	v_pk_mov_b32 v[26:27], v[34:35], v[34:35] op_sel:[0,1]
	v_fmac_f64_e32 v[26:27], s[30:31], v[22:23]
	v_pk_mov_b32 v[28:29], v[36:37], v[36:37] op_sel:[0,1]
	v_fmac_f64_e32 v[28:29], v[22:23], v[26:27]
	;; [unrolled: 2-line block ×6, first 2 shown]
	v_cvt_f64_i32_e32 v[26:27], v1
	v_mul_f64 v[30:31], v[26:27], s[34:35]
	v_fma_f64 v[32:33], v[26:27], s[34:35], -v[30:31]
	v_fmac_f64_e32 v[32:33], s[36:37], v[26:27]
	v_add_f64 v[26:27], v[30:31], v[32:33]
	v_add_f64 v[30:31], v[26:27], -v[30:31]
	v_mul_f64 v[22:23], v[24:25], v[22:23]
	v_add_f64 v[30:31], v[32:33], -v[30:31]
	v_ldexp_f64 v[32:33], v[24:25], 1
	v_mul_f64 v[22:23], v[22:23], v[28:29]
	v_add_f64 v[24:25], v[32:33], v[22:23]
	v_add_f64 v[28:29], v[24:25], -v[32:33]
	v_ldexp_f64 v[20:21], v[20:21], 1
	v_add_f64 v[22:23], v[22:23], -v[28:29]
	v_add_f64 v[20:21], v[20:21], v[22:23]
	v_add_f64 v[22:23], v[24:25], v[20:21]
	v_add_f64 v[24:25], v[22:23], -v[24:25]
	v_add_f64 v[20:21], v[20:21], -v[24:25]
	v_add_f64 v[24:25], v[26:27], v[22:23]
	v_add_f64 v[28:29], v[24:25], -v[26:27]
	v_add_f64 v[32:33], v[24:25], -v[28:29]
	;; [unrolled: 1-line block ×4, first 2 shown]
	v_add_f64 v[22:23], v[22:23], v[26:27]
	v_add_f64 v[26:27], v[30:31], v[20:21]
	v_add_f64 v[28:29], v[26:27], -v[30:31]
	v_add_f64 v[22:23], v[26:27], v[22:23]
	v_add_f64 v[32:33], v[26:27], -v[28:29]
	v_add_f64 v[26:27], v[24:25], v[22:23]
	v_add_f64 v[30:31], v[30:31], -v[32:33]
	v_add_f64 v[20:21], v[20:21], -v[28:29]
	v_add_f64 v[24:25], v[26:27], -v[24:25]
	v_add_f64 v[20:21], v[20:21], v[30:31]
	v_add_f64 v[22:23], v[22:23], -v[24:25]
	v_add_f64 v[20:21], v[20:21], v[22:23]
	v_max_f64 v[22:23], |v[8:9]|, |v[8:9]|
	v_max_f64 v[24:25], |v[6:7]|, |v[6:7]|
	v_add_f64 v[20:21], v[26:27], v[20:21]
	v_max_f64 v[26:27], v[24:25], v[22:23]
	v_min_f64 v[22:23], v[24:25], v[22:23]
	v_div_scale_f64 v[24:25], s[58:59], v[26:27], v[26:27], v[22:23]
	v_rcp_f64_e32 v[28:29], v[24:25]
	v_cmp_eq_f64_e32 vcc, s[38:39], v[18:19]
	v_cndmask_b32_e32 v19, v21, v19, vcc
	v_cndmask_b32_e32 v18, v20, v18, vcc
	v_fma_f64 v[20:21], -v[24:25], v[28:29], 1.0
	v_fmac_f64_e32 v[28:29], v[28:29], v[20:21]
	v_fma_f64 v[20:21], -v[24:25], v[28:29], 1.0
	v_fmac_f64_e32 v[28:29], v[28:29], v[20:21]
	v_div_scale_f64 v[20:21], vcc, v[22:23], v[26:27], v[22:23]
	v_mul_f64 v[30:31], v[20:21], v[28:29]
	v_fma_f64 v[20:21], -v[24:25], v[30:31], v[20:21]
	v_pk_mov_b32 v[24:25], v[46:47], v[46:47] op_sel:[0,1]
	s_nop 0
	v_div_fmas_f64 v[20:21], v[20:21], v[28:29], v[30:31]
	v_div_fixup_f64 v[20:21], v[20:21], v[26:27], v[22:23]
	v_mul_f64 v[22:23], v[20:21], v[20:21]
	v_fmac_f64_e32 v[24:25], s[40:41], v[22:23]
	v_pk_mov_b32 v[26:27], v[48:49], v[48:49] op_sel:[0,1]
	v_fmac_f64_e32 v[26:27], v[22:23], v[24:25]
	v_pk_mov_b32 v[24:25], v[50:51], v[50:51] op_sel:[0,1]
	;; [unrolled: 2-line block ×18, first 2 shown]
	v_fmac_f64_e32 v[24:25], v[22:23], v[26:27]
	v_cmp_gt_i32_e32 vcc, 0, v7
	v_mul_f64 v[22:23], v[22:23], v[24:25]
	v_cmp_class_f64_e64 s[60:61], v[6:7], s75
	v_cndmask_b32_e32 v6, v116, v117, vcc
	v_fmac_f64_e32 v[20:21], v[20:21], v[22:23]
	v_bfi_b32 v22, s74, v6, v9
	v_ashrrev_i32_e32 v6, 31, v7
	v_and_b32_e32 v23, 0x400921fb, v6
	v_and_b32_e32 v24, 0x54442d18, v6
	v_add_f64 v[6:7], -v[20:21], s[42:43]
	v_cndmask_b32_e64 v7, v21, v7, s[10:11]
	v_cndmask_b32_e64 v6, v20, v6, s[10:11]
	s_mov_b32 s44, s42
	v_add_f64 v[20:21], -v[6:7], s[44:45]
	v_cmp_class_f64_e64 s[58:59], v[8:9], s75
	v_cndmask_b32_e32 v1, v114, v115, vcc
	v_cndmask_b32_e32 v7, v7, v21, vcc
	;; [unrolled: 1-line block ×3, first 2 shown]
	v_cmp_eq_f64_e32 vcc, 0, v[8:9]
	v_cndmask_b32_e32 v6, v6, v24, vcc
	v_cndmask_b32_e32 v7, v7, v23, vcc
	s_and_b64 vcc, s[58:59], s[60:61]
	v_mul_f64 v[18:19], v[18:19], 0.5
	v_cndmask_b32_e32 v21, v7, v22, vcc
	v_cndmask_b32_e32 v20, v6, v1, vcc
                                        ; implicit-def: $vgpr22_vgpr23
.LBB174_33:                             ;   in Loop: Header=BB174_4 Depth=1
	s_andn2_saveexec_b64 s[56:57], s[56:57]
	s_cbranch_execz .LBB174_35
; %bb.34:                               ;   in Loop: Header=BB174_4 Depth=1
	v_max_f64 v[18:19], |v[8:9]|, |v[8:9]|
	v_max_f64 v[20:21], |v[6:7]|, |v[6:7]|
	v_max_f64 v[24:25], v[20:21], v[18:19]
	v_min_f64 v[20:21], v[20:21], v[18:19]
	v_div_scale_f64 v[26:27], s[58:59], v[24:25], v[24:25], v[20:21]
	v_rcp_f64_e32 v[28:29], v[26:27]
	v_mul_f64 v[18:19], v[22:23], 0.5
	v_mul_f64 v[18:19], v[22:23], v[18:19]
	v_cmp_class_f64_e64 s[60:61], v[6:7], s75
	v_fma_f64 v[22:23], -v[26:27], v[28:29], 1.0
	v_fmac_f64_e32 v[28:29], v[28:29], v[22:23]
	v_fma_f64 v[22:23], -v[26:27], v[28:29], 1.0
	v_fmac_f64_e32 v[28:29], v[28:29], v[22:23]
	v_div_scale_f64 v[22:23], vcc, v[20:21], v[24:25], v[20:21]
	v_mul_f64 v[30:31], v[22:23], v[28:29]
	v_fma_f64 v[22:23], -v[26:27], v[30:31], v[22:23]
	v_pk_mov_b32 v[26:27], v[48:49], v[48:49] op_sel:[0,1]
	s_nop 0
	v_div_fmas_f64 v[22:23], v[22:23], v[28:29], v[30:31]
	v_div_fixup_f64 v[20:21], v[22:23], v[24:25], v[20:21]
	v_mul_f64 v[22:23], v[20:21], v[20:21]
	v_pk_mov_b32 v[24:25], v[46:47], v[46:47] op_sel:[0,1]
	v_fmac_f64_e32 v[24:25], s[40:41], v[22:23]
	v_fmac_f64_e32 v[26:27], v[22:23], v[24:25]
	v_pk_mov_b32 v[24:25], v[50:51], v[50:51] op_sel:[0,1]
	v_fmac_f64_e32 v[24:25], v[22:23], v[26:27]
	v_pk_mov_b32 v[26:27], v[52:53], v[52:53] op_sel:[0,1]
	;; [unrolled: 2-line block ×17, first 2 shown]
	v_fmac_f64_e32 v[24:25], v[22:23], v[26:27]
	v_cmp_gt_i32_e32 vcc, 0, v7
	v_mul_f64 v[22:23], v[22:23], v[24:25]
	v_cndmask_b32_e32 v6, v116, v117, vcc
	v_fmac_f64_e32 v[20:21], v[20:21], v[22:23]
	v_bfi_b32 v22, s74, v6, v9
	v_ashrrev_i32_e32 v6, 31, v7
	v_and_b32_e32 v23, 0x400921fb, v6
	v_and_b32_e32 v24, 0x54442d18, v6
	v_add_f64 v[6:7], -v[20:21], s[42:43]
	v_cndmask_b32_e64 v7, v21, v7, s[10:11]
	v_cndmask_b32_e64 v6, v20, v6, s[10:11]
	s_mov_b32 s44, s42
	v_add_f64 v[20:21], -v[6:7], s[44:45]
	v_cmp_class_f64_e64 s[58:59], v[8:9], s75
	v_cndmask_b32_e32 v1, v114, v115, vcc
	v_cndmask_b32_e32 v7, v7, v21, vcc
	;; [unrolled: 1-line block ×3, first 2 shown]
	v_cmp_eq_f64_e32 vcc, 0, v[8:9]
	v_cndmask_b32_e32 v6, v6, v24, vcc
	v_cndmask_b32_e32 v7, v7, v23, vcc
	s_and_b64 vcc, s[58:59], s[60:61]
	v_cndmask_b32_e32 v21, v7, v22, vcc
	v_cndmask_b32_e32 v20, v6, v1, vcc
.LBB174_35:                             ;   in Loop: Header=BB174_4 Depth=1
	s_or_b64 exec, exec, s[56:57]
.LBB174_36:                             ;   in Loop: Header=BB174_4 Depth=1
	s_or_b64 exec, exec, s[12:13]
.LBB174_37:                             ;   in Loop: Header=BB174_4 Depth=1
	s_andn2_saveexec_b64 s[56:57], s[14:15]
	s_cbranch_execz .LBB174_39
; %bb.38:                               ;   in Loop: Header=BB174_4 Depth=1
	v_div_scale_f64 v[18:19], s[12:13], s[50:51], s[50:51], v[6:7]
	v_rcp_f64_e32 v[20:21], v[18:19]
	v_div_scale_f64 v[22:23], vcc, v[6:7], s[50:51], v[6:7]
	s_mov_b32 s44, s42
	v_fma_f64 v[24:25], -v[18:19], v[20:21], 1.0
	v_fmac_f64_e32 v[20:21], v[20:21], v[24:25]
	v_fma_f64 v[24:25], -v[18:19], v[20:21], 1.0
	v_fmac_f64_e32 v[20:21], v[20:21], v[24:25]
	v_mul_f64 v[24:25], v[22:23], v[20:21]
	v_fma_f64 v[18:19], -v[18:19], v[24:25], v[22:23]
	v_div_scale_f64 v[22:23], s[12:13], s[50:51], s[50:51], v[8:9]
	v_rcp_f64_e32 v[26:27], v[22:23]
	v_div_fmas_f64 v[18:19], v[18:19], v[20:21], v[24:25]
	v_div_fixup_f64 v[18:19], v[18:19], s[50:51], v[6:7]
	v_cmp_class_f64_e64 s[14:15], v[18:19], s75
	v_fma_f64 v[20:21], -v[22:23], v[26:27], 1.0
	v_fmac_f64_e32 v[26:27], v[26:27], v[20:21]
	v_fma_f64 v[20:21], -v[22:23], v[26:27], 1.0
	v_fmac_f64_e32 v[26:27], v[26:27], v[20:21]
	v_div_scale_f64 v[20:21], vcc, v[8:9], s[50:51], v[8:9]
	v_mul_f64 v[24:25], v[20:21], v[26:27]
	v_fma_f64 v[20:21], -v[22:23], v[24:25], v[20:21]
	s_nop 1
	v_div_fmas_f64 v[20:21], v[20:21], v[26:27], v[24:25]
	v_div_fixup_f64 v[20:21], v[20:21], s[50:51], v[8:9]
	v_max_f64 v[22:23], |v[18:19]|, |v[20:21]|
	v_frexp_exp_i32_f64_e32 v1, v[22:23]
	v_sub_u32_e32 v24, 0, v1
	v_ldexp_f64 v[22:23], |v[18:19]|, v24
	v_ldexp_f64 v[24:25], |v[20:21]|, v24
	v_mul_f64 v[24:25], v[24:25], v[24:25]
	v_fmac_f64_e32 v[24:25], v[22:23], v[22:23]
	v_rsq_f64_e32 v[22:23], v[24:25]
	v_cmp_eq_f64_e32 vcc, 0, v[24:25]
	v_cmp_o_f64_e64 s[12:13], v[18:19], v[20:21]
	v_cmp_class_f64_e64 s[58:59], v[20:21], s75
	v_mul_f64 v[26:27], v[24:25], v[22:23]
	v_mul_f64 v[22:23], v[22:23], 0.5
	v_fma_f64 v[28:29], -v[22:23], v[26:27], 0.5
	v_fmac_f64_e32 v[26:27], v[26:27], v[28:29]
	v_fmac_f64_e32 v[22:23], v[22:23], v[28:29]
	v_fma_f64 v[28:29], -v[26:27], v[26:27], v[24:25]
	v_fmac_f64_e32 v[26:27], v[28:29], v[22:23]
	v_cndmask_b32_e32 v23, v27, v25, vcc
	v_cndmask_b32_e32 v22, v26, v24, vcc
	v_ldexp_f64 v[22:23], v[22:23], v1
	v_cndmask_b32_e64 v1, 0, v22, s[12:13]
	v_cndmask_b32_e64 v96, v112, v23, s[12:13]
	s_or_b64 vcc, s[58:59], s[14:15]
	v_cndmask_b32_e32 v21, v96, v119, vcc
	v_cndmask_b32_e64 v20, v1, 0, vcc
	v_frexp_mant_f64_e32 v[18:19], v[20:21]
	v_cmp_gt_f64_e64 s[14:15], s[28:29], v[18:19]
	v_cndmask_b32_e64 v85, v118, 2.0, s[14:15]
	v_frexp_exp_i32_f64_e32 v24, v[20:21]
	v_mul_f64 v[18:19], v[18:19], v[84:85]
	v_subbrev_co_u32_e64 v85, s[14:15], 0, v24, s[14:15]
	v_add_f64 v[24:25], v[18:19], 1.0
	v_rcp_f64_e32 v[26:27], v[24:25]
	v_add_f64 v[30:31], v[24:25], -1.0
	v_add_f64 v[28:29], v[18:19], -1.0
	v_add_f64 v[18:19], v[18:19], -v[30:31]
	v_fma_f64 v[30:31], -v[24:25], v[26:27], 1.0
	v_fmac_f64_e32 v[26:27], v[30:31], v[26:27]
	v_fma_f64 v[30:31], -v[24:25], v[26:27], 1.0
	v_fmac_f64_e32 v[26:27], v[30:31], v[26:27]
	v_mul_f64 v[30:31], v[28:29], v[26:27]
	v_mul_f64 v[32:33], v[24:25], v[30:31]
	v_fma_f64 v[24:25], v[30:31], v[24:25], -v[32:33]
	v_fmac_f64_e32 v[24:25], v[30:31], v[18:19]
	v_add_f64 v[18:19], v[32:33], v[24:25]
	v_add_f64 v[94:95], v[28:29], -v[18:19]
	v_add_f64 v[32:33], v[18:19], -v[32:33]
	;; [unrolled: 1-line block ×5, first 2 shown]
	v_add_f64 v[18:19], v[24:25], v[18:19]
	v_add_f64 v[18:19], v[94:95], v[18:19]
	v_mul_f64 v[18:19], v[26:27], v[18:19]
	v_add_f64 v[24:25], v[30:31], v[18:19]
	v_add_f64 v[26:27], v[24:25], -v[30:31]
	v_add_f64 v[18:19], v[18:19], -v[26:27]
	v_mul_f64 v[26:27], v[24:25], v[24:25]
	v_pk_mov_b32 v[28:29], v[34:35], v[34:35] op_sel:[0,1]
	v_fmac_f64_e32 v[28:29], s[30:31], v[26:27]
	v_pk_mov_b32 v[30:31], v[36:37], v[36:37] op_sel:[0,1]
	v_fmac_f64_e32 v[30:31], v[26:27], v[28:29]
	;; [unrolled: 2-line block ×6, first 2 shown]
	v_ldexp_f64 v[28:29], v[24:25], 1
	v_mul_f64 v[24:25], v[24:25], v[26:27]
	v_mul_f64 v[24:25], v[24:25], v[30:31]
	v_add_f64 v[26:27], v[28:29], v[24:25]
	v_add_f64 v[28:29], v[26:27], -v[28:29]
	v_ldexp_f64 v[18:19], v[18:19], 1
	v_add_f64 v[24:25], v[24:25], -v[28:29]
	v_add_f64 v[18:19], v[18:19], v[24:25]
	v_add_f64 v[24:25], v[26:27], v[18:19]
	v_add_f64 v[26:27], v[24:25], -v[26:27]
	v_add_f64 v[18:19], v[18:19], -v[26:27]
	v_cvt_f64_i32_e32 v[26:27], v85
	v_mul_f64 v[28:29], v[26:27], s[34:35]
	v_fma_f64 v[30:31], v[26:27], s[34:35], -v[28:29]
	v_fmac_f64_e32 v[30:31], s[36:37], v[26:27]
	v_add_f64 v[26:27], v[28:29], v[30:31]
	v_add_f64 v[28:29], v[26:27], -v[28:29]
	v_add_f64 v[28:29], v[30:31], -v[28:29]
	v_add_f64 v[30:31], v[26:27], v[24:25]
	v_add_f64 v[32:33], v[30:31], -v[26:27]
	v_add_f64 v[94:95], v[30:31], -v[32:33]
	;; [unrolled: 1-line block ×4, first 2 shown]
	v_add_f64 v[24:25], v[24:25], v[26:27]
	v_add_f64 v[26:27], v[28:29], v[18:19]
	v_add_f64 v[32:33], v[26:27], -v[28:29]
	v_add_f64 v[94:95], v[26:27], -v[32:33]
	v_add_f64 v[24:25], v[26:27], v[24:25]
	v_add_f64 v[28:29], v[28:29], -v[94:95]
	v_add_f64 v[18:19], v[18:19], -v[32:33]
	v_add_f64 v[26:27], v[30:31], v[24:25]
	v_add_f64 v[18:19], v[18:19], v[28:29]
	v_add_f64 v[28:29], v[26:27], -v[30:31]
	v_add_f64 v[24:25], v[24:25], -v[28:29]
	v_and_b32_e32 v23, 0x7fffffff, v23
	v_add_f64 v[18:19], v[18:19], v[24:25]
	v_cmp_eq_f64_e64 s[14:15], s[38:39], v[22:23]
	v_add_f64 v[18:19], v[26:27], v[18:19]
	s_and_b64 s[12:13], s[12:13], s[14:15]
	v_cndmask_b32_e64 v19, v19, v96, s[12:13]
	v_cndmask_b32_e64 v18, v18, v1, s[12:13]
	v_add_f64 v[18:19], v[18:19], 1.0
	v_cndmask_b32_e64 v1, v18, 0, vcc
	v_cndmask_b32_e32 v18, v19, v119, vcc
	v_cmp_ngt_f64_e32 vcc, 0, v[20:21]
	v_cndmask_b32_e32 v30, v112, v18, vcc
	v_max_f64 v[18:19], |v[8:9]|, |v[8:9]|
	v_max_f64 v[22:23], |v[6:7]|, |v[6:7]|
	v_max_f64 v[24:25], v[22:23], v[18:19]
	v_min_f64 v[22:23], v[22:23], v[18:19]
	v_div_scale_f64 v[26:27], s[12:13], v[24:25], v[24:25], v[22:23]
	v_rcp_f64_e32 v[28:29], v[26:27]
	v_cmp_nge_f64_e32 vcc, 0, v[20:21]
	v_cndmask_b32_e32 v18, 0, v1, vcc
	v_cmp_neq_f64_e32 vcc, 0, v[20:21]
	v_fma_f64 v[20:21], -v[26:27], v[28:29], 1.0
	v_fmac_f64_e32 v[28:29], v[28:29], v[20:21]
	v_fma_f64 v[20:21], -v[26:27], v[28:29], 1.0
	v_cndmask_b32_e32 v19, v113, v30, vcc
	v_fmac_f64_e32 v[28:29], v[28:29], v[20:21]
	v_div_scale_f64 v[20:21], vcc, v[22:23], v[24:25], v[22:23]
	v_mul_f64 v[30:31], v[20:21], v[28:29]
	v_fma_f64 v[20:21], -v[26:27], v[30:31], v[20:21]
	v_pk_mov_b32 v[26:27], v[48:49], v[48:49] op_sel:[0,1]
	s_nop 0
	v_div_fmas_f64 v[20:21], v[20:21], v[28:29], v[30:31]
	v_div_fixup_f64 v[20:21], v[20:21], v[24:25], v[22:23]
	v_mul_f64 v[22:23], v[20:21], v[20:21]
	v_pk_mov_b32 v[24:25], v[46:47], v[46:47] op_sel:[0,1]
	v_fmac_f64_e32 v[24:25], s[40:41], v[22:23]
	v_fmac_f64_e32 v[26:27], v[22:23], v[24:25]
	v_pk_mov_b32 v[24:25], v[50:51], v[50:51] op_sel:[0,1]
	v_fmac_f64_e32 v[24:25], v[22:23], v[26:27]
	v_pk_mov_b32 v[26:27], v[52:53], v[52:53] op_sel:[0,1]
	;; [unrolled: 2-line block ×17, first 2 shown]
	v_fmac_f64_e32 v[24:25], v[22:23], v[26:27]
	v_cmp_gt_i32_e32 vcc, 0, v7
	v_mul_f64 v[22:23], v[22:23], v[24:25]
	v_cmp_class_f64_e64 s[14:15], v[6:7], s75
	v_cndmask_b32_e32 v6, v116, v117, vcc
	v_fmac_f64_e32 v[20:21], v[20:21], v[22:23]
	v_bfi_b32 v22, s74, v6, v9
	v_ashrrev_i32_e32 v6, 31, v7
	v_and_b32_e32 v23, 0x400921fb, v6
	v_and_b32_e32 v24, 0x54442d18, v6
	v_add_f64 v[6:7], -v[20:21], s[42:43]
	v_cndmask_b32_e64 v7, v21, v7, s[10:11]
	v_cndmask_b32_e64 v6, v20, v6, s[10:11]
	v_add_f64 v[20:21], -v[6:7], s[44:45]
	v_cmp_class_f64_e64 s[12:13], v[8:9], s75
	v_cndmask_b32_e32 v1, v114, v115, vcc
	v_cndmask_b32_e32 v7, v7, v21, vcc
	;; [unrolled: 1-line block ×3, first 2 shown]
	v_cmp_eq_f64_e32 vcc, 0, v[8:9]
	v_cndmask_b32_e32 v6, v6, v24, vcc
	v_cndmask_b32_e32 v7, v7, v23, vcc
	s_and_b64 vcc, s[12:13], s[14:15]
	v_cndmask_b32_e32 v21, v7, v22, vcc
	v_cndmask_b32_e32 v20, v6, v1, vcc
.LBB174_39:                             ;   in Loop: Header=BB174_4 Depth=1
	s_or_b64 exec, exec, s[56:57]
.LBB174_40:                             ;   in Loop: Header=BB174_4 Depth=1
	s_andn2_saveexec_b64 s[10:11], s[54:55]
	s_cbranch_execz .LBB174_46
; %bb.41:                               ;   in Loop: Header=BB174_4 Depth=1
	v_cmp_nlt_f64_e64 s[12:13], |v[6:7]|, s[52:53]
	v_cmp_nlt_f64_e64 s[14:15], |v[8:9]|, s[52:53]
	s_or_b64 s[12:13], s[14:15], s[12:13]
                                        ; implicit-def: $vgpr20_vgpr21
	s_and_saveexec_b64 s[14:15], s[12:13]
	s_xor_b64 s[12:13], exec, s[14:15]
; %bb.42:                               ;   in Loop: Header=BB174_4 Depth=1
	v_mul_f64 v[20:21], v[6:7], v[6:7]
	v_fmac_f64_e32 v[20:21], v[8:9], v[8:9]
; %bb.43:                               ;   in Loop: Header=BB174_4 Depth=1
	s_andn2_saveexec_b64 s[12:13], s[12:13]
; %bb.44:                               ;   in Loop: Header=BB174_4 Depth=1
	v_mul_f64 v[6:7], v[6:7], 4.0
	v_mul_f64 v[18:19], v[8:9], 4.0
	v_mul_f64 v[6:7], v[6:7], v[6:7]
	v_fmac_f64_e32 v[6:7], v[18:19], v[18:19]
	v_ldexp_f64 v[20:21], v[6:7], -4
; %bb.45:                               ;   in Loop: Header=BB174_4 Depth=1
	s_or_b64 exec, exec, s[12:13]
	v_frexp_mant_f64_e32 v[6:7], v[20:21]
	v_cmp_gt_f64_e32 vcc, s[28:29], v[6:7]
	v_cndmask_b32_e64 v85, v118, 2.0, vcc
	v_mul_f64 v[6:7], v[6:7], v[84:85]
	v_add_f64 v[18:19], v[6:7], 1.0
	v_rcp_f64_e32 v[22:23], v[18:19]
	v_add_f64 v[26:27], v[18:19], -1.0
	v_add_f64 v[24:25], v[6:7], -1.0
	v_add_f64 v[6:7], v[6:7], -v[26:27]
	v_fma_f64 v[26:27], -v[18:19], v[22:23], 1.0
	v_fmac_f64_e32 v[22:23], v[26:27], v[22:23]
	v_fma_f64 v[26:27], -v[18:19], v[22:23], 1.0
	v_fmac_f64_e32 v[22:23], v[26:27], v[22:23]
	v_mul_f64 v[26:27], v[24:25], v[22:23]
	v_mul_f64 v[28:29], v[18:19], v[26:27]
	v_fma_f64 v[18:19], v[26:27], v[18:19], -v[28:29]
	v_fmac_f64_e32 v[18:19], v[26:27], v[6:7]
	v_add_f64 v[6:7], v[28:29], v[18:19]
	v_add_f64 v[30:31], v[24:25], -v[6:7]
	v_add_f64 v[28:29], v[6:7], -v[28:29]
	;; [unrolled: 1-line block ×5, first 2 shown]
	v_add_f64 v[6:7], v[18:19], v[6:7]
	v_add_f64 v[6:7], v[30:31], v[6:7]
	v_mul_f64 v[6:7], v[22:23], v[6:7]
	v_add_f64 v[18:19], v[26:27], v[6:7]
	v_add_f64 v[22:23], v[18:19], -v[26:27]
	v_add_f64 v[6:7], v[6:7], -v[22:23]
	v_mul_f64 v[22:23], v[18:19], v[18:19]
	v_pk_mov_b32 v[24:25], v[34:35], v[34:35] op_sel:[0,1]
	v_fmac_f64_e32 v[24:25], s[30:31], v[22:23]
	v_pk_mov_b32 v[26:27], v[36:37], v[36:37] op_sel:[0,1]
	v_fmac_f64_e32 v[26:27], v[22:23], v[24:25]
	;; [unrolled: 2-line block ×6, first 2 shown]
	v_ldexp_f64 v[24:25], v[18:19], 1
	v_mul_f64 v[18:19], v[18:19], v[22:23]
	v_mul_f64 v[18:19], v[18:19], v[26:27]
	v_add_f64 v[22:23], v[24:25], v[18:19]
	v_add_f64 v[24:25], v[22:23], -v[24:25]
	v_ldexp_f64 v[6:7], v[6:7], 1
	v_add_f64 v[18:19], v[18:19], -v[24:25]
	v_add_f64 v[6:7], v[6:7], v[18:19]
	v_frexp_exp_i32_f64_e32 v1, v[20:21]
	v_add_f64 v[18:19], v[22:23], v[6:7]
	v_subbrev_co_u32_e32 v1, vcc, 0, v1, vcc
	v_add_f64 v[22:23], v[18:19], -v[22:23]
	v_add_f64 v[6:7], v[6:7], -v[22:23]
	v_cvt_f64_i32_e32 v[22:23], v1
	v_mul_f64 v[24:25], v[22:23], s[34:35]
	v_fma_f64 v[26:27], v[22:23], s[34:35], -v[24:25]
	v_fmac_f64_e32 v[26:27], s[36:37], v[22:23]
	v_add_f64 v[22:23], v[24:25], v[26:27]
	v_add_f64 v[24:25], v[22:23], -v[24:25]
	v_add_f64 v[24:25], v[26:27], -v[24:25]
	v_add_f64 v[26:27], v[22:23], v[18:19]
	v_add_f64 v[28:29], v[26:27], -v[22:23]
	v_add_f64 v[30:31], v[26:27], -v[28:29]
	;; [unrolled: 1-line block ×4, first 2 shown]
	v_add_f64 v[18:19], v[18:19], v[22:23]
	v_add_f64 v[22:23], v[24:25], v[6:7]
	v_add_f64 v[28:29], v[22:23], -v[24:25]
	v_add_f64 v[30:31], v[22:23], -v[28:29]
	v_add_f64 v[18:19], v[22:23], v[18:19]
	v_add_f64 v[24:25], v[24:25], -v[30:31]
	v_add_f64 v[6:7], v[6:7], -v[28:29]
	v_add_f64 v[22:23], v[26:27], v[18:19]
	v_add_f64 v[6:7], v[6:7], v[24:25]
	v_add_f64 v[24:25], v[22:23], -v[26:27]
	v_add_f64 v[18:19], v[18:19], -v[24:25]
	v_add_f64 v[6:7], v[6:7], v[18:19]
	v_add_f64 v[6:7], v[22:23], v[6:7]
	v_cmp_class_f64_e64 vcc, v[20:21], s75
	v_cndmask_b32_e32 v1, v6, v20, vcc
	v_cndmask_b32_e32 v6, v7, v21, vcc
	v_cmp_ngt_f64_e32 vcc, 0, v[20:21]
	v_cndmask_b32_e32 v6, v112, v6, vcc
	v_cmp_nge_f64_e32 vcc, 0, v[20:21]
	v_cndmask_b32_e32 v18, 0, v1, vcc
	v_cmp_neq_f64_e32 vcc, 0, v[20:21]
	v_mov_b32_e32 v20, 0
	v_cndmask_b32_e32 v19, v113, v6, vcc
	v_mov_b32_e32 v21, 0x7ff80000
.LBB174_46:                             ;   in Loop: Header=BB174_4 Depth=1
	s_or_b64 exec, exec, s[10:11]
	v_cmp_o_f64_e32 vcc, v[2:3], v[4:5]
                                        ; implicit-def: $vgpr22_vgpr23
	s_and_saveexec_b64 s[10:11], vcc
	s_xor_b64 s[54:55], exec, s[10:11]
	s_cbranch_execz .LBB174_74
; %bb.47:                               ;   in Loop: Header=BB174_4 Depth=1
	v_and_b32_e32 v24, 0x7fffffff, v3
	v_and_b32_e32 v1, 0x7fffffff, v5
	v_mov_b32_e32 v8, v4
	v_cmp_lt_f64_e64 s[10:11], |v[2:3]|, |v[4:5]|
	v_cndmask_b32_e64 v7, v1, v24, s[10:11]
	v_cndmask_b32_e64 v6, v8, v2, s[10:11]
	v_cmp_nlt_f64_e32 vcc, s[22:23], v[6:7]
                                        ; implicit-def: $vgpr22_vgpr23
	s_and_saveexec_b64 s[12:13], vcc
	s_xor_b64 s[14:15], exec, s[12:13]
	s_cbranch_execz .LBB174_71
; %bb.48:                               ;   in Loop: Header=BB174_4 Depth=1
	v_cndmask_b32_e64 v27, v24, v1, s[10:11]
	v_cndmask_b32_e64 v26, v2, v8, s[10:11]
	v_cmp_neq_f64_e32 vcc, 1.0, v[26:27]
                                        ; implicit-def: $vgpr22_vgpr23
	s_and_saveexec_b64 s[12:13], vcc
	s_xor_b64 s[56:57], exec, s[12:13]
	s_cbranch_execz .LBB174_64
; %bb.49:                               ;   in Loop: Header=BB174_4 Depth=1
	v_max_f64 v[22:23], v[6:7], v[6:7]
	v_max_f64 v[24:25], v[26:27], v[26:27]
	v_min_f64 v[28:29], v[24:25], v[22:23]
	v_max_f64 v[22:23], v[24:25], v[22:23]
	v_cmp_ngt_f64_e32 vcc, s[24:25], v[28:29]
	v_cmp_nlt_f64_e64 s[12:13], s[26:27], v[22:23]
	s_and_b64 s[12:13], s[12:13], vcc
                                        ; implicit-def: $vgpr22_vgpr23
	s_and_saveexec_b64 s[58:59], s[12:13]
	s_xor_b64 s[58:59], exec, s[58:59]
	s_cbranch_execz .LBB174_61
; %bb.50:                               ;   in Loop: Header=BB174_4 Depth=1
	v_cmp_le_f64_e32 vcc, 1.0, v[26:27]
                                        ; implicit-def: $vgpr22_vgpr23
	s_and_saveexec_b64 s[12:13], vcc
	s_xor_b64 s[12:13], exec, s[12:13]
	s_cbranch_execz .LBB174_52
; %bb.51:                               ;   in Loop: Header=BB174_4 Depth=1
	v_add_f64 v[22:23], v[26:27], -1.0
	v_add_f64 v[24:25], v[26:27], 1.0
	v_mul_f64 v[24:25], v[22:23], v[24:25]
	v_fmac_f64_e32 v[24:25], v[6:7], v[6:7]
	v_add_f64 v[6:7], v[24:25], 1.0
	v_add_f64 v[22:23], v[6:7], -1.0
	v_add_f64 v[26:27], v[22:23], -v[6:7]
	v_add_f64 v[26:27], v[26:27], 1.0
	v_add_f64 v[22:23], v[24:25], -v[22:23]
	v_add_f64 v[22:23], v[22:23], v[26:27]
	v_frexp_mant_f64_e32 v[26:27], v[6:7]
	v_frexp_exp_i32_f64_e32 v1, v[6:7]
	v_cmp_gt_f64_e32 vcc, s[28:29], v[26:27]
	v_subbrev_co_u32_e32 v1, vcc, 0, v1, vcc
	v_sub_u32_e32 v8, 0, v1
	v_ldexp_f64 v[6:7], v[6:7], v8
	v_add_f64 v[26:27], v[6:7], -1.0
	v_add_f64 v[32:33], v[6:7], 1.0
	v_add_f64 v[28:29], v[26:27], 1.0
	v_add_f64 v[94:95], v[32:33], -1.0
	v_ldexp_f64 v[22:23], v[22:23], v8
	v_add_f64 v[28:29], v[6:7], -v[28:29]
	v_add_f64 v[6:7], v[6:7], -v[94:95]
	v_add_f64 v[6:7], v[22:23], v[6:7]
	v_add_f64 v[28:29], v[22:23], v[28:29]
	;; [unrolled: 1-line block ×3, first 2 shown]
	v_rcp_f64_e32 v[94:95], v[22:23]
	v_add_f64 v[30:31], v[26:27], v[28:29]
	v_add_f64 v[26:27], v[30:31], -v[26:27]
	v_add_f64 v[26:27], v[28:29], -v[26:27]
	;; [unrolled: 1-line block ×4, first 2 shown]
	v_fma_f64 v[28:29], -v[22:23], v[94:95], 1.0
	v_fmac_f64_e32 v[94:95], v[28:29], v[94:95]
	v_fma_f64 v[28:29], -v[22:23], v[94:95], 1.0
	v_fmac_f64_e32 v[94:95], v[28:29], v[94:95]
	v_mul_f64 v[28:29], v[30:31], v[94:95]
	v_mul_f64 v[32:33], v[22:23], v[28:29]
	v_fma_f64 v[96:97], v[28:29], v[22:23], -v[32:33]
	v_fmac_f64_e32 v[96:97], v[28:29], v[6:7]
	v_add_f64 v[98:99], v[32:33], v[96:97]
	v_add_f64 v[100:101], v[30:31], -v[98:99]
	v_add_f64 v[30:31], v[30:31], -v[100:101]
	;; [unrolled: 1-line block ×4, first 2 shown]
	v_add_f64 v[26:27], v[26:27], v[30:31]
	v_add_f64 v[30:31], v[32:33], -v[96:97]
	v_add_f64 v[26:27], v[30:31], v[26:27]
	v_add_f64 v[30:31], v[100:101], v[26:27]
	v_add_f64 v[32:33], v[100:101], -v[30:31]
	v_add_f64 v[26:27], v[26:27], v[32:33]
	v_mul_f64 v[32:33], v[94:95], v[30:31]
	v_mul_f64 v[96:97], v[22:23], v[32:33]
	v_fma_f64 v[22:23], v[32:33], v[22:23], -v[96:97]
	v_fmac_f64_e32 v[22:23], v[32:33], v[6:7]
	v_add_f64 v[6:7], v[96:97], v[22:23]
	v_add_f64 v[98:99], v[30:31], -v[6:7]
	v_add_f64 v[30:31], v[30:31], -v[98:99]
	;; [unrolled: 1-line block ×4, first 2 shown]
	v_add_f64 v[6:7], v[26:27], v[6:7]
	v_add_f64 v[22:23], v[96:97], -v[22:23]
	v_add_f64 v[6:7], v[22:23], v[6:7]
	v_add_f64 v[22:23], v[28:29], v[32:33]
	;; [unrolled: 1-line block ×3, first 2 shown]
	v_add_f64 v[26:27], v[22:23], -v[28:29]
	v_mul_f64 v[6:7], v[94:95], v[6:7]
	v_add_f64 v[26:27], v[32:33], -v[26:27]
	v_add_f64 v[6:7], v[26:27], v[6:7]
	v_add_f64 v[26:27], v[22:23], v[6:7]
	v_add_f64 v[22:23], v[26:27], -v[22:23]
	v_add_f64 v[6:7], v[6:7], -v[22:23]
	v_mul_f64 v[22:23], v[26:27], v[26:27]
	v_pk_mov_b32 v[28:29], v[34:35], v[34:35] op_sel:[0,1]
	v_fmac_f64_e32 v[28:29], s[30:31], v[22:23]
	v_pk_mov_b32 v[30:31], v[36:37], v[36:37] op_sel:[0,1]
	v_fmac_f64_e32 v[30:31], v[22:23], v[28:29]
	;; [unrolled: 2-line block ×6, first 2 shown]
	v_cvt_f64_i32_e32 v[28:29], v1
	v_mul_f64 v[32:33], v[28:29], s[34:35]
	v_fma_f64 v[94:95], v[28:29], s[34:35], -v[32:33]
	v_fmac_f64_e32 v[94:95], s[36:37], v[28:29]
	v_add_f64 v[28:29], v[32:33], v[94:95]
	v_add_f64 v[32:33], v[28:29], -v[32:33]
	v_mul_f64 v[22:23], v[26:27], v[22:23]
	v_add_f64 v[32:33], v[94:95], -v[32:33]
	v_ldexp_f64 v[94:95], v[26:27], 1
	v_mul_f64 v[22:23], v[22:23], v[30:31]
	v_add_f64 v[26:27], v[94:95], v[22:23]
	v_add_f64 v[30:31], v[26:27], -v[94:95]
	v_ldexp_f64 v[6:7], v[6:7], 1
	v_add_f64 v[22:23], v[22:23], -v[30:31]
	v_add_f64 v[6:7], v[6:7], v[22:23]
	v_add_f64 v[22:23], v[26:27], v[6:7]
	v_add_f64 v[26:27], v[22:23], -v[26:27]
	v_add_f64 v[6:7], v[6:7], -v[26:27]
	v_add_f64 v[26:27], v[28:29], v[22:23]
	v_add_f64 v[30:31], v[26:27], -v[28:29]
	v_add_f64 v[94:95], v[26:27], -v[30:31]
	;; [unrolled: 1-line block ×4, first 2 shown]
	v_add_f64 v[22:23], v[22:23], v[28:29]
	v_add_f64 v[28:29], v[32:33], v[6:7]
	v_add_f64 v[30:31], v[28:29], -v[32:33]
	v_add_f64 v[22:23], v[28:29], v[22:23]
	v_add_f64 v[94:95], v[28:29], -v[30:31]
	;; [unrolled: 2-line block ×3, first 2 shown]
	v_add_f64 v[6:7], v[6:7], -v[30:31]
	v_add_f64 v[26:27], v[28:29], -v[26:27]
	v_add_f64 v[6:7], v[6:7], v[32:33]
	v_add_f64 v[22:23], v[22:23], -v[26:27]
	v_add_f64 v[6:7], v[6:7], v[22:23]
	v_max_f64 v[22:23], |v[4:5]|, |v[4:5]|
	v_max_f64 v[26:27], |v[2:3]|, |v[2:3]|
	v_add_f64 v[6:7], v[28:29], v[6:7]
	v_max_f64 v[28:29], v[26:27], v[22:23]
	v_min_f64 v[26:27], v[26:27], v[22:23]
	v_div_scale_f64 v[30:31], s[60:61], v[28:29], v[28:29], v[26:27]
	v_cmp_eq_f64_e32 vcc, s[38:39], v[24:25]
	v_rcp_f64_e32 v[32:33], v[30:31]
	v_cndmask_b32_e32 v7, v7, v25, vcc
	v_cndmask_b32_e32 v6, v6, v24, vcc
	v_mul_f64 v[6:7], v[6:7], 0.5
	v_cmp_ngt_f64_e32 vcc, -1.0, v[24:25]
	v_cndmask_b32_e32 v1, v112, v7, vcc
	v_cmp_nge_f64_e32 vcc, -1.0, v[24:25]
	v_cndmask_b32_e32 v22, 0, v6, vcc
	v_fma_f64 v[6:7], -v[30:31], v[32:33], 1.0
	v_fmac_f64_e32 v[32:33], v[32:33], v[6:7]
	v_cmp_neq_f64_e32 vcc, -1.0, v[24:25]
	v_fma_f64 v[6:7], -v[30:31], v[32:33], 1.0
	v_cndmask_b32_e32 v23, v113, v1, vcc
	v_fmac_f64_e32 v[32:33], v[32:33], v[6:7]
	v_div_scale_f64 v[6:7], vcc, v[26:27], v[28:29], v[26:27]
	v_mul_f64 v[24:25], v[6:7], v[32:33]
	v_fma_f64 v[6:7], -v[30:31], v[24:25], v[6:7]
	v_cmp_class_f64_e64 s[62:63], v[2:3], s75
	s_nop 0
	v_div_fmas_f64 v[6:7], v[6:7], v[32:33], v[24:25]
	v_div_fixup_f64 v[6:7], v[6:7], v[28:29], v[26:27]
	v_mul_f64 v[24:25], v[6:7], v[6:7]
	v_pk_mov_b32 v[26:27], v[46:47], v[46:47] op_sel:[0,1]
	v_fmac_f64_e32 v[26:27], s[40:41], v[24:25]
	v_pk_mov_b32 v[28:29], v[48:49], v[48:49] op_sel:[0,1]
	v_fmac_f64_e32 v[28:29], v[24:25], v[26:27]
	;; [unrolled: 2-line block ×19, first 2 shown]
	v_cmp_gt_i32_e32 vcc, 0, v3
	v_mul_f64 v[24:25], v[24:25], v[26:27]
	v_cndmask_b32_e32 v2, v116, v117, vcc
	v_fmac_f64_e32 v[6:7], v[6:7], v[24:25]
	v_bfi_b32 v8, s74, v2, v5
	v_ashrrev_i32_e32 v2, 31, v3
	v_and_b32_e32 v24, 0x400921fb, v2
	v_and_b32_e32 v25, 0x54442d18, v2
	v_add_f64 v[2:3], -v[6:7], s[42:43]
	v_cndmask_b32_e64 v3, v7, v3, s[10:11]
	v_cndmask_b32_e64 v2, v6, v2, s[10:11]
	s_mov_b32 s44, s42
	v_add_f64 v[6:7], -v[2:3], s[44:45]
	v_cmp_class_f64_e64 s[60:61], v[4:5], s75
	v_cndmask_b32_e32 v1, v114, v115, vcc
	v_cndmask_b32_e32 v3, v3, v7, vcc
	;; [unrolled: 1-line block ×3, first 2 shown]
	v_cmp_eq_f64_e32 vcc, 0, v[4:5]
	v_cndmask_b32_e32 v2, v2, v25, vcc
	v_cndmask_b32_e32 v3, v3, v24, vcc
	s_and_b64 vcc, s[60:61], s[62:63]
	v_cndmask_b32_e32 v25, v3, v8, vcc
	v_cndmask_b32_e32 v24, v2, v1, vcc
                                        ; implicit-def: $vgpr6_vgpr7
                                        ; implicit-def: $vgpr26_vgpr27
.LBB174_52:                             ;   in Loop: Header=BB174_4 Depth=1
	s_andn2_saveexec_b64 s[60:61], s[12:13]
	s_cbranch_execz .LBB174_60
; %bb.53:                               ;   in Loop: Header=BB174_4 Depth=1
	v_mul_f64 v[24:25], v[6:7], v[6:7]
	v_fmac_f64_e32 v[24:25], v[26:27], v[26:27]
	v_cmp_ge_f64_e32 vcc, s[46:47], v[24:25]
                                        ; implicit-def: $vgpr22_vgpr23
	s_and_saveexec_b64 s[12:13], vcc
	s_xor_b64 s[12:13], exec, s[12:13]
	s_cbranch_execz .LBB174_55
; %bb.54:                               ;   in Loop: Header=BB174_4 Depth=1
	v_frexp_mant_f64_e32 v[6:7], v[24:25]
	v_cmp_gt_f64_e32 vcc, s[28:29], v[6:7]
	v_cndmask_b32_e64 v85, v118, 2.0, vcc
	v_mul_f64 v[6:7], v[6:7], v[84:85]
	v_add_f64 v[22:23], v[6:7], 1.0
	v_rcp_f64_e32 v[26:27], v[22:23]
	v_add_f64 v[30:31], v[22:23], -1.0
	v_add_f64 v[28:29], v[6:7], -1.0
	v_add_f64 v[6:7], v[6:7], -v[30:31]
	v_fma_f64 v[30:31], -v[22:23], v[26:27], 1.0
	v_fmac_f64_e32 v[26:27], v[30:31], v[26:27]
	v_fma_f64 v[30:31], -v[22:23], v[26:27], 1.0
	v_fmac_f64_e32 v[26:27], v[30:31], v[26:27]
	v_mul_f64 v[30:31], v[28:29], v[26:27]
	v_mul_f64 v[32:33], v[22:23], v[30:31]
	v_fma_f64 v[22:23], v[30:31], v[22:23], -v[32:33]
	v_fmac_f64_e32 v[22:23], v[30:31], v[6:7]
	v_add_f64 v[6:7], v[32:33], v[22:23]
	v_add_f64 v[94:95], v[28:29], -v[6:7]
	v_add_f64 v[32:33], v[6:7], -v[32:33]
	;; [unrolled: 1-line block ×5, first 2 shown]
	v_add_f64 v[6:7], v[22:23], v[6:7]
	v_add_f64 v[6:7], v[94:95], v[6:7]
	v_mul_f64 v[6:7], v[26:27], v[6:7]
	v_add_f64 v[22:23], v[30:31], v[6:7]
	v_add_f64 v[26:27], v[22:23], -v[30:31]
	v_add_f64 v[6:7], v[6:7], -v[26:27]
	v_mul_f64 v[26:27], v[22:23], v[22:23]
	v_pk_mov_b32 v[28:29], v[34:35], v[34:35] op_sel:[0,1]
	v_fmac_f64_e32 v[28:29], s[30:31], v[26:27]
	v_pk_mov_b32 v[30:31], v[36:37], v[36:37] op_sel:[0,1]
	v_fmac_f64_e32 v[30:31], v[26:27], v[28:29]
	;; [unrolled: 2-line block ×6, first 2 shown]
	v_ldexp_f64 v[28:29], v[22:23], 1
	v_mul_f64 v[22:23], v[22:23], v[26:27]
	v_mul_f64 v[22:23], v[22:23], v[30:31]
	v_add_f64 v[26:27], v[28:29], v[22:23]
	v_add_f64 v[28:29], v[26:27], -v[28:29]
	v_ldexp_f64 v[6:7], v[6:7], 1
	v_add_f64 v[22:23], v[22:23], -v[28:29]
	v_add_f64 v[6:7], v[6:7], v[22:23]
	v_frexp_exp_i32_f64_e32 v1, v[24:25]
	v_add_f64 v[22:23], v[26:27], v[6:7]
	v_subbrev_co_u32_e32 v1, vcc, 0, v1, vcc
	v_add_f64 v[26:27], v[22:23], -v[26:27]
	v_add_f64 v[6:7], v[6:7], -v[26:27]
	v_cvt_f64_i32_e32 v[26:27], v1
	v_mul_f64 v[28:29], v[26:27], s[34:35]
	v_fma_f64 v[30:31], v[26:27], s[34:35], -v[28:29]
	v_fmac_f64_e32 v[30:31], s[36:37], v[26:27]
	v_add_f64 v[26:27], v[28:29], v[30:31]
	v_add_f64 v[28:29], v[26:27], -v[28:29]
	v_add_f64 v[28:29], v[30:31], -v[28:29]
	v_add_f64 v[30:31], v[26:27], v[22:23]
	v_add_f64 v[32:33], v[30:31], -v[26:27]
	v_add_f64 v[94:95], v[30:31], -v[32:33]
	;; [unrolled: 1-line block ×4, first 2 shown]
	v_add_f64 v[22:23], v[22:23], v[26:27]
	v_add_f64 v[26:27], v[28:29], v[6:7]
	v_add_f64 v[32:33], v[26:27], -v[28:29]
	v_add_f64 v[94:95], v[26:27], -v[32:33]
	v_add_f64 v[22:23], v[26:27], v[22:23]
	v_add_f64 v[28:29], v[28:29], -v[94:95]
	v_add_f64 v[6:7], v[6:7], -v[32:33]
	v_add_f64 v[26:27], v[30:31], v[22:23]
	v_add_f64 v[6:7], v[6:7], v[28:29]
	v_add_f64 v[28:29], v[26:27], -v[30:31]
	v_add_f64 v[22:23], v[22:23], -v[28:29]
	v_add_f64 v[6:7], v[6:7], v[22:23]
	v_add_f64 v[6:7], v[26:27], v[6:7]
	v_max_f64 v[22:23], |v[4:5]|, |v[4:5]|
	v_max_f64 v[26:27], |v[2:3]|, |v[2:3]|
	v_max_f64 v[28:29], v[26:27], v[22:23]
	v_min_f64 v[26:27], v[26:27], v[22:23]
	v_div_scale_f64 v[30:31], s[62:63], v[28:29], v[28:29], v[26:27]
	v_rcp_f64_e32 v[32:33], v[30:31]
	v_mul_f64 v[6:7], v[6:7], 0.5
	v_cmp_neq_f64_e32 vcc, 0, v[24:25]
	v_cndmask_b32_e32 v23, v113, v7, vcc
	v_cndmask_b32_e32 v22, 0, v6, vcc
	v_fma_f64 v[6:7], -v[30:31], v[32:33], 1.0
	v_fmac_f64_e32 v[32:33], v[32:33], v[6:7]
	v_fma_f64 v[6:7], -v[30:31], v[32:33], 1.0
	v_fmac_f64_e32 v[32:33], v[32:33], v[6:7]
	v_div_scale_f64 v[6:7], vcc, v[26:27], v[28:29], v[26:27]
	v_mul_f64 v[24:25], v[6:7], v[32:33]
	v_fma_f64 v[6:7], -v[30:31], v[24:25], v[6:7]
	v_cmp_class_f64_e64 s[64:65], v[2:3], s75
	s_nop 0
	v_div_fmas_f64 v[6:7], v[6:7], v[32:33], v[24:25]
	v_div_fixup_f64 v[6:7], v[6:7], v[28:29], v[26:27]
	v_mul_f64 v[24:25], v[6:7], v[6:7]
	v_pk_mov_b32 v[26:27], v[46:47], v[46:47] op_sel:[0,1]
	v_fmac_f64_e32 v[26:27], s[40:41], v[24:25]
	v_pk_mov_b32 v[28:29], v[48:49], v[48:49] op_sel:[0,1]
	v_fmac_f64_e32 v[28:29], v[24:25], v[26:27]
	;; [unrolled: 2-line block ×19, first 2 shown]
	v_cmp_gt_i32_e32 vcc, 0, v3
	v_mul_f64 v[24:25], v[24:25], v[26:27]
	v_cndmask_b32_e32 v2, v116, v117, vcc
	v_fmac_f64_e32 v[6:7], v[6:7], v[24:25]
	v_bfi_b32 v8, s74, v2, v5
	v_ashrrev_i32_e32 v2, 31, v3
	v_and_b32_e32 v24, 0x400921fb, v2
	v_and_b32_e32 v25, 0x54442d18, v2
	v_add_f64 v[2:3], -v[6:7], s[42:43]
	v_cndmask_b32_e64 v3, v7, v3, s[10:11]
	v_cndmask_b32_e64 v2, v6, v2, s[10:11]
	s_mov_b32 s44, s42
	v_add_f64 v[6:7], -v[2:3], s[44:45]
	v_cmp_class_f64_e64 s[62:63], v[4:5], s75
	v_cndmask_b32_e32 v1, v114, v115, vcc
	v_cndmask_b32_e32 v3, v3, v7, vcc
	;; [unrolled: 1-line block ×3, first 2 shown]
	v_cmp_eq_f64_e32 vcc, 0, v[4:5]
	v_cndmask_b32_e32 v2, v2, v25, vcc
	v_cndmask_b32_e32 v3, v3, v24, vcc
	s_and_b64 vcc, s[62:63], s[64:65]
	v_cndmask_b32_e32 v25, v3, v8, vcc
	v_cndmask_b32_e32 v24, v2, v1, vcc
                                        ; implicit-def: $vgpr26_vgpr27
                                        ; implicit-def: $vgpr6_vgpr7
.LBB174_55:                             ;   in Loop: Header=BB174_4 Depth=1
	s_andn2_saveexec_b64 s[62:63], s[12:13]
	s_cbranch_execz .LBB174_59
; %bb.56:                               ;   in Loop: Header=BB174_4 Depth=1
	v_and_b32_e32 v85, 0x7ffffff8, v27
	v_and_b32_e32 v25, 0x7ffffff8, v7
	v_mov_b32_e32 v24, v84
	v_add_f64 v[22:23], v[26:27], -v[84:85]
	v_add_f64 v[6:7], v[6:7], -v[24:25]
	v_and_b32_e32 v97, -8, v23
	v_mov_b32_e32 v96, v84
	v_and_b32_e32 v99, -8, v7
	v_mov_b32_e32 v98, v84
	v_add_f64 v[30:31], v[84:85], v[84:85]
	v_add_f64 v[104:105], v[24:25], v[24:25]
	v_add_f64 v[100:101], v[22:23], -v[96:97]
	v_add_f64 v[102:103], v[6:7], -v[98:99]
	v_mul_f64 v[22:23], v[24:25], v[24:25]
	v_mul_f64 v[28:29], v[30:31], v[96:97]
	;; [unrolled: 1-line block ×5, first 2 shown]
	v_add_f64 v[96:97], v[96:97], v[96:97]
	v_add_f64 v[98:99], v[98:99], v[98:99]
	v_mul_f64 v[6:7], v[84:85], v[84:85]
	v_mul_f64 v[32:33], v[30:31], v[100:101]
	;; [unrolled: 1-line block ×7, first 2 shown]
	s_mov_b64 s[64:65], 0
.LBB174_57:                             ;   Parent Loop BB174_4 Depth=1
                                        ; =>  This Inner Loop Header: Depth=2
	v_cmp_nlt_f64_e32 vcc, v[6:7], v[22:23]
	v_cndmask_b32_e32 v105, v7, v23, vcc
	v_cndmask_b32_e32 v104, v6, v22, vcc
	v_cmp_nlt_f64_e64 s[12:13], v[104:105], v[28:29]
	v_cndmask_b32_e64 v107, v105, v29, s[12:13]
	v_cndmask_b32_e64 v106, v104, v28, s[12:13]
	v_cndmask_b32_e32 v7, v23, v7, vcc
	v_cndmask_b32_e32 v6, v22, v6, vcc
	s_and_b64 s[66:67], vcc, s[12:13]
	v_cmp_nlt_f64_e32 vcc, v[106:107], v[26:27]
	v_cndmask_b32_e64 v23, v29, v105, s[12:13]
	v_cndmask_b32_e64 v22, v28, v104, s[12:13]
	v_cndmask_b32_e32 v105, v107, v27, vcc
	v_cndmask_b32_e32 v104, v106, v26, vcc
	v_cmp_nlt_f64_e64 s[12:13], v[104:105], v[94:95]
	v_cndmask_b32_e32 v29, v27, v107, vcc
	v_cndmask_b32_e32 v28, v26, v106, vcc
	v_cndmask_b32_e64 v107, v105, v95, s[12:13]
	v_cndmask_b32_e64 v106, v104, v94, s[12:13]
	s_and_b64 s[76:77], vcc, s[12:13]
	v_cmp_nlt_f64_e32 vcc, v[106:107], v[24:25]
	v_cndmask_b32_e64 v27, v95, v105, s[12:13]
	v_cndmask_b32_e64 v26, v94, v104, s[12:13]
	v_cndmask_b32_e32 v105, v107, v25, vcc
	v_cndmask_b32_e32 v104, v106, v24, vcc
	v_cmp_nlt_f64_e64 s[12:13], v[104:105], v[32:33]
	v_cndmask_b32_e32 v95, v25, v107, vcc
	v_cndmask_b32_e32 v94, v24, v106, vcc
	v_cndmask_b32_e64 v107, v105, v33, s[12:13]
	v_cndmask_b32_e64 v106, v104, v32, s[12:13]
	v_cndmask_b32_e64 v25, v33, v105, s[12:13]
	v_cndmask_b32_e64 v24, v32, v104, s[12:13]
	s_and_b64 s[12:13], vcc, s[12:13]
	v_cmp_nlt_f64_e32 vcc, v[106:107], v[30:31]
	v_cndmask_b32_e32 v105, v107, v31, vcc
	v_cndmask_b32_e32 v104, v106, v30, vcc
	v_cndmask_b32_e32 v33, v31, v107, vcc
	v_cndmask_b32_e32 v32, v30, v106, vcc
	s_and_b64 s[12:13], s[12:13], vcc
	v_cmp_nlt_f64_e32 vcc, v[104:105], v[96:97]
	v_cndmask_b32_e32 v107, v105, v97, vcc
	v_cndmask_b32_e32 v106, v104, v96, vcc
	v_cndmask_b32_e32 v31, v97, v105, vcc
	v_cndmask_b32_e32 v30, v96, v104, vcc
	s_and_b64 s[12:13], s[12:13], vcc
	;; [unrolled: 6-line block ×4, first 2 shown]
	v_cmp_nlt_f64_e32 vcc, v[106:107], v[102:103]
	s_and_b64 s[12:13], s[12:13], vcc
	s_and_b64 s[12:13], s[12:13], s[76:77]
	s_and_b64 s[12:13], s[12:13], s[66:67]
	v_cndmask_b32_e32 v105, v107, v103, vcc
	v_cndmask_b32_e32 v104, v106, v102, vcc
	s_and_b64 s[12:13], exec, s[12:13]
	v_cndmask_b32_e32 v101, v103, v107, vcc
	v_cndmask_b32_e32 v100, v102, v106, vcc
	s_or_b64 s[64:65], s[12:13], s[64:65]
	v_pk_mov_b32 v[102:103], v[104:105], v[104:105] op_sel:[0,1]
	s_andn2_b64 exec, exec, s[64:65]
	s_cbranch_execnz .LBB174_57
; %bb.58:                               ;   in Loop: Header=BB174_4 Depth=1
	s_or_b64 exec, exec, s[64:65]
	v_add_f64 v[6:7], v[6:7], -1.0
	v_add_f64 v[6:7], v[6:7], v[22:23]
	v_add_f64 v[6:7], v[6:7], v[28:29]
	;; [unrolled: 1-line block ×11, first 2 shown]
	v_add_f64 v[22:23], v[6:7], 1.0
	v_add_f64 v[24:25], v[22:23], -1.0
	v_add_f64 v[26:27], v[24:25], -v[22:23]
	v_add_f64 v[26:27], v[26:27], 1.0
	v_add_f64 v[24:25], v[6:7], -v[24:25]
	v_add_f64 v[24:25], v[24:25], v[26:27]
	v_frexp_mant_f64_e32 v[26:27], v[22:23]
	v_frexp_exp_i32_f64_e32 v1, v[22:23]
	v_cmp_gt_f64_e32 vcc, s[28:29], v[26:27]
	v_subbrev_co_u32_e32 v1, vcc, 0, v1, vcc
	v_sub_u32_e32 v8, 0, v1
	v_ldexp_f64 v[22:23], v[22:23], v8
	v_add_f64 v[26:27], v[22:23], -1.0
	v_add_f64 v[32:33], v[22:23], 1.0
	v_add_f64 v[28:29], v[26:27], 1.0
	v_add_f64 v[94:95], v[32:33], -1.0
	v_ldexp_f64 v[24:25], v[24:25], v8
	v_add_f64 v[28:29], v[22:23], -v[28:29]
	v_add_f64 v[22:23], v[22:23], -v[94:95]
	v_add_f64 v[22:23], v[24:25], v[22:23]
	v_add_f64 v[28:29], v[24:25], v[28:29]
	;; [unrolled: 1-line block ×3, first 2 shown]
	v_rcp_f64_e32 v[94:95], v[24:25]
	v_add_f64 v[30:31], v[26:27], v[28:29]
	v_add_f64 v[26:27], v[30:31], -v[26:27]
	v_add_f64 v[26:27], v[28:29], -v[26:27]
	;; [unrolled: 1-line block ×4, first 2 shown]
	v_fma_f64 v[28:29], -v[24:25], v[94:95], 1.0
	v_fmac_f64_e32 v[94:95], v[28:29], v[94:95]
	v_fma_f64 v[28:29], -v[24:25], v[94:95], 1.0
	v_fmac_f64_e32 v[94:95], v[28:29], v[94:95]
	v_mul_f64 v[28:29], v[30:31], v[94:95]
	v_mul_f64 v[32:33], v[24:25], v[28:29]
	v_fma_f64 v[96:97], v[28:29], v[24:25], -v[32:33]
	v_fmac_f64_e32 v[96:97], v[28:29], v[22:23]
	v_add_f64 v[98:99], v[32:33], v[96:97]
	v_add_f64 v[100:101], v[30:31], -v[98:99]
	v_add_f64 v[30:31], v[30:31], -v[100:101]
	;; [unrolled: 1-line block ×4, first 2 shown]
	v_add_f64 v[26:27], v[26:27], v[30:31]
	v_add_f64 v[30:31], v[32:33], -v[96:97]
	v_add_f64 v[26:27], v[30:31], v[26:27]
	v_add_f64 v[30:31], v[100:101], v[26:27]
	v_add_f64 v[32:33], v[100:101], -v[30:31]
	v_add_f64 v[26:27], v[26:27], v[32:33]
	v_mul_f64 v[32:33], v[94:95], v[30:31]
	v_mul_f64 v[96:97], v[24:25], v[32:33]
	v_fma_f64 v[24:25], v[32:33], v[24:25], -v[96:97]
	v_fmac_f64_e32 v[24:25], v[32:33], v[22:23]
	v_add_f64 v[22:23], v[96:97], v[24:25]
	v_add_f64 v[98:99], v[30:31], -v[22:23]
	v_add_f64 v[30:31], v[30:31], -v[98:99]
	;; [unrolled: 1-line block ×4, first 2 shown]
	v_add_f64 v[22:23], v[26:27], v[22:23]
	v_add_f64 v[24:25], v[96:97], -v[24:25]
	v_add_f64 v[22:23], v[24:25], v[22:23]
	v_add_f64 v[24:25], v[28:29], v[32:33]
	;; [unrolled: 1-line block ×3, first 2 shown]
	v_add_f64 v[26:27], v[24:25], -v[28:29]
	v_mul_f64 v[22:23], v[94:95], v[22:23]
	v_add_f64 v[26:27], v[32:33], -v[26:27]
	v_add_f64 v[22:23], v[26:27], v[22:23]
	v_add_f64 v[26:27], v[24:25], v[22:23]
	v_add_f64 v[24:25], v[26:27], -v[24:25]
	v_add_f64 v[22:23], v[22:23], -v[24:25]
	v_mul_f64 v[24:25], v[26:27], v[26:27]
	v_pk_mov_b32 v[28:29], v[34:35], v[34:35] op_sel:[0,1]
	v_fmac_f64_e32 v[28:29], s[30:31], v[24:25]
	v_pk_mov_b32 v[30:31], v[36:37], v[36:37] op_sel:[0,1]
	v_fmac_f64_e32 v[30:31], v[24:25], v[28:29]
	;; [unrolled: 2-line block ×6, first 2 shown]
	v_cvt_f64_i32_e32 v[28:29], v1
	v_mul_f64 v[32:33], v[28:29], s[34:35]
	v_fma_f64 v[94:95], v[28:29], s[34:35], -v[32:33]
	v_fmac_f64_e32 v[94:95], s[36:37], v[28:29]
	v_add_f64 v[28:29], v[32:33], v[94:95]
	v_add_f64 v[32:33], v[28:29], -v[32:33]
	v_mul_f64 v[24:25], v[26:27], v[24:25]
	v_add_f64 v[32:33], v[94:95], -v[32:33]
	v_ldexp_f64 v[94:95], v[26:27], 1
	v_mul_f64 v[24:25], v[24:25], v[30:31]
	v_add_f64 v[26:27], v[94:95], v[24:25]
	v_add_f64 v[30:31], v[26:27], -v[94:95]
	v_ldexp_f64 v[22:23], v[22:23], 1
	v_add_f64 v[24:25], v[24:25], -v[30:31]
	v_add_f64 v[22:23], v[22:23], v[24:25]
	v_add_f64 v[24:25], v[26:27], v[22:23]
	v_add_f64 v[26:27], v[24:25], -v[26:27]
	v_add_f64 v[22:23], v[22:23], -v[26:27]
	v_add_f64 v[26:27], v[28:29], v[24:25]
	v_add_f64 v[30:31], v[26:27], -v[28:29]
	v_add_f64 v[94:95], v[26:27], -v[30:31]
	;; [unrolled: 1-line block ×4, first 2 shown]
	v_add_f64 v[24:25], v[24:25], v[28:29]
	v_add_f64 v[28:29], v[32:33], v[22:23]
	v_add_f64 v[30:31], v[28:29], -v[32:33]
	v_add_f64 v[24:25], v[28:29], v[24:25]
	v_add_f64 v[94:95], v[28:29], -v[30:31]
	;; [unrolled: 2-line block ×3, first 2 shown]
	v_add_f64 v[22:23], v[22:23], -v[30:31]
	v_add_f64 v[26:27], v[28:29], -v[26:27]
	v_add_f64 v[22:23], v[22:23], v[32:33]
	v_add_f64 v[24:25], v[24:25], -v[26:27]
	v_add_f64 v[22:23], v[22:23], v[24:25]
	v_max_f64 v[24:25], |v[4:5]|, |v[4:5]|
	v_max_f64 v[26:27], |v[2:3]|, |v[2:3]|
	v_add_f64 v[22:23], v[28:29], v[22:23]
	v_max_f64 v[28:29], v[26:27], v[24:25]
	v_min_f64 v[24:25], v[26:27], v[24:25]
	v_div_scale_f64 v[26:27], s[12:13], v[28:29], v[28:29], v[24:25]
	v_cmp_eq_f64_e32 vcc, s[38:39], v[6:7]
	v_rcp_f64_e32 v[30:31], v[26:27]
	v_cndmask_b32_e32 v23, v23, v7, vcc
	v_cndmask_b32_e32 v22, v22, v6, vcc
	v_mul_f64 v[22:23], v[22:23], 0.5
	v_cmp_ngt_f64_e32 vcc, -1.0, v[6:7]
	v_cndmask_b32_e32 v1, v112, v23, vcc
	v_cmp_nge_f64_e32 vcc, -1.0, v[6:7]
	v_cndmask_b32_e32 v22, 0, v22, vcc
	v_cmp_neq_f64_e32 vcc, -1.0, v[6:7]
	v_fma_f64 v[6:7], -v[26:27], v[30:31], 1.0
	v_fmac_f64_e32 v[30:31], v[30:31], v[6:7]
	v_fma_f64 v[6:7], -v[26:27], v[30:31], 1.0
	v_cndmask_b32_e32 v23, v113, v1, vcc
	v_fmac_f64_e32 v[30:31], v[30:31], v[6:7]
	v_div_scale_f64 v[6:7], vcc, v[24:25], v[28:29], v[24:25]
	v_mul_f64 v[32:33], v[6:7], v[30:31]
	v_fma_f64 v[6:7], -v[26:27], v[32:33], v[6:7]
	v_pk_mov_b32 v[26:27], v[46:47], v[46:47] op_sel:[0,1]
	s_nop 0
	v_div_fmas_f64 v[6:7], v[6:7], v[30:31], v[32:33]
	v_div_fixup_f64 v[6:7], v[6:7], v[28:29], v[24:25]
	v_mul_f64 v[24:25], v[6:7], v[6:7]
	v_fmac_f64_e32 v[26:27], s[40:41], v[24:25]
	v_pk_mov_b32 v[28:29], v[48:49], v[48:49] op_sel:[0,1]
	v_fmac_f64_e32 v[28:29], v[24:25], v[26:27]
	v_pk_mov_b32 v[26:27], v[50:51], v[50:51] op_sel:[0,1]
	;; [unrolled: 2-line block ×18, first 2 shown]
	v_fmac_f64_e32 v[26:27], v[24:25], v[28:29]
	v_cmp_gt_i32_e32 vcc, 0, v3
	v_mul_f64 v[24:25], v[24:25], v[26:27]
	v_cmp_class_f64_e64 s[64:65], v[2:3], s75
	v_cndmask_b32_e32 v2, v116, v117, vcc
	v_fmac_f64_e32 v[6:7], v[6:7], v[24:25]
	v_bfi_b32 v8, s74, v2, v5
	v_ashrrev_i32_e32 v2, 31, v3
	v_and_b32_e32 v24, 0x400921fb, v2
	v_and_b32_e32 v25, 0x54442d18, v2
	v_add_f64 v[2:3], -v[6:7], s[42:43]
	v_cndmask_b32_e64 v3, v7, v3, s[10:11]
	v_cndmask_b32_e64 v2, v6, v2, s[10:11]
	s_mov_b32 s44, s42
	v_add_f64 v[6:7], -v[2:3], s[44:45]
	v_cmp_class_f64_e64 s[12:13], v[4:5], s75
	v_cndmask_b32_e32 v1, v114, v115, vcc
	v_cndmask_b32_e32 v3, v3, v7, vcc
	;; [unrolled: 1-line block ×3, first 2 shown]
	v_cmp_eq_f64_e32 vcc, 0, v[4:5]
	v_cndmask_b32_e32 v2, v2, v25, vcc
	v_cndmask_b32_e32 v3, v3, v24, vcc
	s_and_b64 vcc, s[12:13], s[64:65]
	v_cndmask_b32_e32 v25, v3, v8, vcc
	v_cndmask_b32_e32 v24, v2, v1, vcc
.LBB174_59:                             ;   in Loop: Header=BB174_4 Depth=1
	s_or_b64 exec, exec, s[62:63]
.LBB174_60:                             ;   in Loop: Header=BB174_4 Depth=1
	s_or_b64 exec, exec, s[60:61]
.LBB174_61:                             ;   in Loop: Header=BB174_4 Depth=1
	s_andn2_saveexec_b64 s[58:59], s[58:59]
	s_cbranch_execz .LBB174_63
; %bb.62:                               ;   in Loop: Header=BB174_4 Depth=1
	v_max_f64 v[6:7], |v[4:5]|, |v[4:5]|
	v_max_f64 v[22:23], |v[2:3]|, |v[2:3]|
	v_max_f64 v[24:25], v[22:23], v[6:7]
	v_frexp_exp_i32_f64_e32 v1, v[24:25]
	v_sub_u32_e32 v8, 0, v1
	v_ldexp_f64 v[28:29], |v[4:5]|, v8
	v_ldexp_f64 v[26:27], |v[2:3]|, v8
	v_mul_f64 v[28:29], v[28:29], v[28:29]
	v_fmac_f64_e32 v[28:29], v[26:27], v[26:27]
	v_rsq_f64_e32 v[26:27], v[28:29]
	v_cmp_eq_f64_e32 vcc, 0, v[28:29]
	v_cmp_class_f64_e64 s[60:61], v[2:3], s75
	v_cmp_class_f64_e64 s[62:63], v[4:5], s75
	v_mul_f64 v[30:31], v[28:29], v[26:27]
	v_mul_f64 v[26:27], v[26:27], 0.5
	v_fma_f64 v[32:33], -v[26:27], v[30:31], 0.5
	v_fmac_f64_e32 v[30:31], v[30:31], v[32:33]
	v_fmac_f64_e32 v[26:27], v[26:27], v[32:33]
	v_fma_f64 v[32:33], -v[30:31], v[30:31], v[28:29]
	v_fmac_f64_e32 v[30:31], v[32:33], v[26:27]
	v_cndmask_b32_e32 v27, v31, v29, vcc
	v_cndmask_b32_e32 v26, v30, v28, vcc
	v_ldexp_f64 v[26:27], v[26:27], v1
	s_or_b64 vcc, s[62:63], s[60:61]
	v_cndmask_b32_e32 v29, v27, v119, vcc
	v_cndmask_b32_e64 v28, v26, 0, vcc
	v_frexp_mant_f64_e32 v[30:31], v[28:29]
	v_cmp_gt_f64_e64 s[12:13], s[28:29], v[30:31]
	v_cndmask_b32_e64 v85, v118, 2.0, s[12:13]
	v_mul_f64 v[30:31], v[30:31], v[84:85]
	v_add_f64 v[32:33], v[30:31], 1.0
	v_rcp_f64_e32 v[94:95], v[32:33]
	v_add_f64 v[98:99], v[32:33], -1.0
	v_add_f64 v[96:97], v[30:31], -1.0
	v_add_f64 v[30:31], v[30:31], -v[98:99]
	v_fma_f64 v[98:99], -v[32:33], v[94:95], 1.0
	v_fmac_f64_e32 v[94:95], v[98:99], v[94:95]
	v_fma_f64 v[98:99], -v[32:33], v[94:95], 1.0
	v_fmac_f64_e32 v[94:95], v[98:99], v[94:95]
	v_mul_f64 v[98:99], v[96:97], v[94:95]
	v_mul_f64 v[100:101], v[32:33], v[98:99]
	v_fma_f64 v[32:33], v[98:99], v[32:33], -v[100:101]
	v_fmac_f64_e32 v[32:33], v[98:99], v[30:31]
	v_add_f64 v[30:31], v[100:101], v[32:33]
	v_add_f64 v[102:103], v[96:97], -v[30:31]
	v_add_f64 v[100:101], v[30:31], -v[100:101]
	;; [unrolled: 1-line block ×5, first 2 shown]
	v_add_f64 v[30:31], v[32:33], v[30:31]
	v_add_f64 v[30:31], v[102:103], v[30:31]
	v_mul_f64 v[30:31], v[94:95], v[30:31]
	v_add_f64 v[32:33], v[98:99], v[30:31]
	v_add_f64 v[94:95], v[32:33], -v[98:99]
	v_add_f64 v[30:31], v[30:31], -v[94:95]
	v_mul_f64 v[94:95], v[32:33], v[32:33]
	v_pk_mov_b32 v[96:97], v[34:35], v[34:35] op_sel:[0,1]
	v_fmac_f64_e32 v[96:97], s[30:31], v[94:95]
	v_pk_mov_b32 v[98:99], v[36:37], v[36:37] op_sel:[0,1]
	v_fmac_f64_e32 v[98:99], v[94:95], v[96:97]
	;; [unrolled: 2-line block ×6, first 2 shown]
	v_ldexp_f64 v[96:97], v[32:33], 1
	v_mul_f64 v[32:33], v[32:33], v[94:95]
	v_mul_f64 v[32:33], v[32:33], v[98:99]
	v_add_f64 v[94:95], v[96:97], v[32:33]
	v_add_f64 v[96:97], v[94:95], -v[96:97]
	v_ldexp_f64 v[30:31], v[30:31], 1
	v_add_f64 v[32:33], v[32:33], -v[96:97]
	v_add_f64 v[30:31], v[30:31], v[32:33]
	v_frexp_exp_i32_f64_e32 v1, v[28:29]
	v_add_f64 v[32:33], v[94:95], v[30:31]
	v_subbrev_co_u32_e64 v1, s[12:13], 0, v1, s[12:13]
	v_add_f64 v[94:95], v[32:33], -v[94:95]
	v_add_f64 v[30:31], v[30:31], -v[94:95]
	v_cvt_f64_i32_e32 v[94:95], v1
	v_mul_f64 v[96:97], v[94:95], s[34:35]
	v_fma_f64 v[98:99], v[94:95], s[34:35], -v[96:97]
	v_fmac_f64_e32 v[98:99], s[36:37], v[94:95]
	v_add_f64 v[94:95], v[96:97], v[98:99]
	v_add_f64 v[96:97], v[94:95], -v[96:97]
	v_add_f64 v[96:97], v[98:99], -v[96:97]
	v_add_f64 v[98:99], v[94:95], v[32:33]
	v_add_f64 v[100:101], v[98:99], -v[94:95]
	v_add_f64 v[102:103], v[98:99], -v[100:101]
	;; [unrolled: 1-line block ×4, first 2 shown]
	v_add_f64 v[32:33], v[32:33], v[94:95]
	v_add_f64 v[94:95], v[96:97], v[30:31]
	v_add_f64 v[100:101], v[94:95], -v[96:97]
	v_add_f64 v[102:103], v[94:95], -v[100:101]
	v_add_f64 v[32:33], v[94:95], v[32:33]
	v_add_f64 v[96:97], v[96:97], -v[102:103]
	v_add_f64 v[30:31], v[30:31], -v[100:101]
	v_add_f64 v[94:95], v[98:99], v[32:33]
	v_add_f64 v[30:31], v[30:31], v[96:97]
	v_add_f64 v[96:97], v[94:95], -v[98:99]
	v_add_f64 v[32:33], v[32:33], -v[96:97]
	v_add_f64 v[30:31], v[30:31], v[32:33]
	v_add_f64 v[30:31], v[94:95], v[30:31]
	v_cmp_class_f64_e64 s[12:13], v[26:27], s75
	v_min_f64 v[6:7], v[22:23], v[6:7]
	v_cndmask_b32_e64 v1, v31, v27, s[12:13]
	v_cndmask_b32_e64 v2, v30, v26, s[12:13]
	v_div_scale_f64 v[26:27], s[12:13], v[24:25], v[24:25], v[6:7]
	v_rcp_f64_e32 v[30:31], v[26:27]
	v_cndmask_b32_e64 v2, v2, 0, vcc
	v_cndmask_b32_e32 v1, v1, v119, vcc
	v_cmp_ngt_f64_e32 vcc, 0, v[28:29]
	v_cndmask_b32_e32 v1, v112, v1, vcc
	v_cmp_nge_f64_e32 vcc, 0, v[28:29]
	v_cndmask_b32_e32 v22, 0, v2, vcc
	v_cmp_neq_f64_e32 vcc, 0, v[28:29]
	v_fma_f64 v[28:29], -v[26:27], v[30:31], 1.0
	v_fmac_f64_e32 v[30:31], v[30:31], v[28:29]
	v_fma_f64 v[28:29], -v[26:27], v[30:31], 1.0
	v_cndmask_b32_e32 v23, v113, v1, vcc
	v_fmac_f64_e32 v[30:31], v[30:31], v[28:29]
	v_div_scale_f64 v[28:29], vcc, v[6:7], v[24:25], v[6:7]
	v_mul_f64 v[32:33], v[28:29], v[30:31]
	v_fma_f64 v[26:27], -v[26:27], v[32:33], v[28:29]
	v_pk_mov_b32 v[28:29], v[48:49], v[48:49] op_sel:[0,1]
	s_nop 0
	v_div_fmas_f64 v[26:27], v[26:27], v[30:31], v[32:33]
	v_div_fixup_f64 v[6:7], v[26:27], v[24:25], v[6:7]
	v_mul_f64 v[24:25], v[6:7], v[6:7]
	v_pk_mov_b32 v[26:27], v[46:47], v[46:47] op_sel:[0,1]
	v_fmac_f64_e32 v[26:27], s[40:41], v[24:25]
	v_fmac_f64_e32 v[28:29], v[24:25], v[26:27]
	v_pk_mov_b32 v[26:27], v[50:51], v[50:51] op_sel:[0,1]
	v_fmac_f64_e32 v[26:27], v[24:25], v[28:29]
	v_pk_mov_b32 v[28:29], v[52:53], v[52:53] op_sel:[0,1]
	;; [unrolled: 2-line block ×17, first 2 shown]
	v_fmac_f64_e32 v[26:27], v[24:25], v[28:29]
	v_cmp_gt_i32_e32 vcc, 0, v3
	v_mul_f64 v[24:25], v[24:25], v[26:27]
	v_cndmask_b32_e32 v2, v116, v117, vcc
	v_fmac_f64_e32 v[6:7], v[6:7], v[24:25]
	v_bfi_b32 v8, s74, v2, v5
	v_ashrrev_i32_e32 v2, 31, v3
	v_and_b32_e32 v24, 0x400921fb, v2
	v_and_b32_e32 v25, 0x54442d18, v2
	v_add_f64 v[2:3], -v[6:7], s[42:43]
	v_cndmask_b32_e64 v3, v7, v3, s[10:11]
	v_cndmask_b32_e64 v2, v6, v2, s[10:11]
	s_mov_b32 s44, s42
	v_add_f64 v[6:7], -v[2:3], s[44:45]
	v_cndmask_b32_e32 v1, v114, v115, vcc
	v_cndmask_b32_e32 v3, v3, v7, vcc
	v_cndmask_b32_e32 v2, v2, v6, vcc
	v_cmp_eq_f64_e32 vcc, 0, v[4:5]
	v_cndmask_b32_e32 v2, v2, v25, vcc
	v_cndmask_b32_e32 v3, v3, v24, vcc
	s_and_b64 vcc, s[62:63], s[60:61]
	v_cndmask_b32_e32 v25, v3, v8, vcc
	v_cndmask_b32_e32 v24, v2, v1, vcc
.LBB174_63:                             ;   in Loop: Header=BB174_4 Depth=1
	s_or_b64 exec, exec, s[58:59]
                                        ; implicit-def: $vgpr6_vgpr7
.LBB174_64:                             ;   in Loop: Header=BB174_4 Depth=1
	s_andn2_saveexec_b64 s[12:13], s[56:57]
	s_cbranch_execz .LBB174_70
; %bb.65:                               ;   in Loop: Header=BB174_4 Depth=1
	v_cmp_ngt_f64_e32 vcc, s[48:49], v[6:7]
                                        ; implicit-def: $vgpr22_vgpr23
	s_and_saveexec_b64 s[56:57], vcc
	s_xor_b64 s[56:57], exec, s[56:57]
	s_cbranch_execz .LBB174_67
; %bb.66:                               ;   in Loop: Header=BB174_4 Depth=1
	v_mul_f64 v[6:7], v[6:7], v[6:7]
	v_add_f64 v[22:23], v[6:7], 1.0
	v_add_f64 v[24:25], v[22:23], -1.0
	v_add_f64 v[26:27], v[24:25], -v[22:23]
	v_add_f64 v[26:27], v[26:27], 1.0
	v_add_f64 v[24:25], v[6:7], -v[24:25]
	v_add_f64 v[24:25], v[24:25], v[26:27]
	v_frexp_mant_f64_e32 v[26:27], v[22:23]
	v_frexp_exp_i32_f64_e32 v1, v[22:23]
	v_cmp_gt_f64_e32 vcc, s[28:29], v[26:27]
	v_subbrev_co_u32_e32 v1, vcc, 0, v1, vcc
	v_sub_u32_e32 v8, 0, v1
	v_ldexp_f64 v[22:23], v[22:23], v8
	v_add_f64 v[26:27], v[22:23], -1.0
	v_add_f64 v[32:33], v[22:23], 1.0
	v_add_f64 v[28:29], v[26:27], 1.0
	v_add_f64 v[94:95], v[32:33], -1.0
	v_ldexp_f64 v[24:25], v[24:25], v8
	v_add_f64 v[28:29], v[22:23], -v[28:29]
	v_add_f64 v[22:23], v[22:23], -v[94:95]
	v_add_f64 v[22:23], v[24:25], v[22:23]
	v_add_f64 v[28:29], v[24:25], v[28:29]
	;; [unrolled: 1-line block ×3, first 2 shown]
	v_rcp_f64_e32 v[94:95], v[24:25]
	v_add_f64 v[30:31], v[26:27], v[28:29]
	v_add_f64 v[26:27], v[26:27], -v[30:31]
	v_add_f64 v[26:27], v[28:29], v[26:27]
	v_add_f64 v[28:29], v[32:33], -v[24:25]
	v_add_f64 v[22:23], v[22:23], v[28:29]
	v_fma_f64 v[28:29], -v[24:25], v[94:95], 1.0
	v_fmac_f64_e32 v[94:95], v[28:29], v[94:95]
	v_fma_f64 v[28:29], -v[24:25], v[94:95], 1.0
	v_fmac_f64_e32 v[94:95], v[28:29], v[94:95]
	v_mul_f64 v[28:29], v[30:31], v[94:95]
	v_mul_f64 v[32:33], v[24:25], v[28:29]
	v_fma_f64 v[96:97], v[28:29], v[24:25], -v[32:33]
	v_fmac_f64_e32 v[96:97], v[28:29], v[22:23]
	v_add_f64 v[98:99], v[32:33], v[96:97]
	v_add_f64 v[100:101], v[30:31], -v[98:99]
	v_add_f64 v[30:31], v[30:31], -v[100:101]
	;; [unrolled: 1-line block ×4, first 2 shown]
	v_add_f64 v[26:27], v[26:27], v[30:31]
	v_add_f64 v[30:31], v[32:33], -v[96:97]
	v_add_f64 v[26:27], v[30:31], v[26:27]
	v_add_f64 v[30:31], v[100:101], v[26:27]
	v_add_f64 v[32:33], v[100:101], -v[30:31]
	v_add_f64 v[26:27], v[26:27], v[32:33]
	v_mul_f64 v[32:33], v[94:95], v[30:31]
	v_mul_f64 v[96:97], v[24:25], v[32:33]
	v_fma_f64 v[24:25], v[32:33], v[24:25], -v[96:97]
	v_fmac_f64_e32 v[24:25], v[32:33], v[22:23]
	v_add_f64 v[22:23], v[96:97], v[24:25]
	v_add_f64 v[98:99], v[30:31], -v[22:23]
	v_add_f64 v[30:31], v[30:31], -v[98:99]
	;; [unrolled: 1-line block ×4, first 2 shown]
	v_add_f64 v[22:23], v[26:27], v[22:23]
	v_add_f64 v[24:25], v[96:97], -v[24:25]
	v_add_f64 v[22:23], v[24:25], v[22:23]
	v_add_f64 v[24:25], v[28:29], v[32:33]
	;; [unrolled: 1-line block ×3, first 2 shown]
	v_add_f64 v[26:27], v[24:25], -v[28:29]
	v_mul_f64 v[22:23], v[94:95], v[22:23]
	v_add_f64 v[26:27], v[32:33], -v[26:27]
	v_add_f64 v[22:23], v[26:27], v[22:23]
	v_add_f64 v[26:27], v[24:25], v[22:23]
	v_add_f64 v[24:25], v[26:27], -v[24:25]
	v_add_f64 v[22:23], v[22:23], -v[24:25]
	v_mul_f64 v[24:25], v[26:27], v[26:27]
	v_pk_mov_b32 v[28:29], v[34:35], v[34:35] op_sel:[0,1]
	v_fmac_f64_e32 v[28:29], s[30:31], v[24:25]
	v_pk_mov_b32 v[30:31], v[36:37], v[36:37] op_sel:[0,1]
	v_fmac_f64_e32 v[30:31], v[24:25], v[28:29]
	;; [unrolled: 2-line block ×6, first 2 shown]
	v_cvt_f64_i32_e32 v[28:29], v1
	v_mul_f64 v[32:33], v[28:29], s[34:35]
	v_fma_f64 v[94:95], v[28:29], s[34:35], -v[32:33]
	v_fmac_f64_e32 v[94:95], s[36:37], v[28:29]
	v_add_f64 v[28:29], v[32:33], v[94:95]
	v_add_f64 v[32:33], v[28:29], -v[32:33]
	v_mul_f64 v[24:25], v[26:27], v[24:25]
	v_add_f64 v[32:33], v[94:95], -v[32:33]
	v_ldexp_f64 v[94:95], v[26:27], 1
	v_mul_f64 v[24:25], v[24:25], v[30:31]
	v_add_f64 v[26:27], v[94:95], v[24:25]
	v_add_f64 v[30:31], v[26:27], -v[94:95]
	v_ldexp_f64 v[22:23], v[22:23], 1
	v_add_f64 v[24:25], v[24:25], -v[30:31]
	v_add_f64 v[22:23], v[22:23], v[24:25]
	v_add_f64 v[24:25], v[26:27], v[22:23]
	v_add_f64 v[26:27], v[24:25], -v[26:27]
	v_add_f64 v[22:23], v[22:23], -v[26:27]
	v_add_f64 v[26:27], v[28:29], v[24:25]
	v_add_f64 v[30:31], v[26:27], -v[28:29]
	v_add_f64 v[94:95], v[26:27], -v[30:31]
	;; [unrolled: 1-line block ×4, first 2 shown]
	v_add_f64 v[24:25], v[24:25], v[28:29]
	v_add_f64 v[28:29], v[32:33], v[22:23]
	v_add_f64 v[30:31], v[28:29], -v[32:33]
	v_add_f64 v[24:25], v[28:29], v[24:25]
	v_add_f64 v[94:95], v[28:29], -v[30:31]
	v_add_f64 v[28:29], v[26:27], v[24:25]
	v_add_f64 v[32:33], v[32:33], -v[94:95]
	v_add_f64 v[22:23], v[22:23], -v[30:31]
	v_add_f64 v[26:27], v[28:29], -v[26:27]
	v_add_f64 v[22:23], v[22:23], v[32:33]
	v_add_f64 v[24:25], v[24:25], -v[26:27]
	v_add_f64 v[22:23], v[22:23], v[24:25]
	v_max_f64 v[24:25], |v[4:5]|, |v[4:5]|
	v_max_f64 v[26:27], |v[2:3]|, |v[2:3]|
	v_add_f64 v[22:23], v[28:29], v[22:23]
	v_max_f64 v[28:29], v[26:27], v[24:25]
	v_min_f64 v[24:25], v[26:27], v[24:25]
	v_div_scale_f64 v[26:27], s[58:59], v[28:29], v[28:29], v[24:25]
	v_rcp_f64_e32 v[30:31], v[26:27]
	v_cmp_eq_f64_e32 vcc, s[38:39], v[6:7]
	v_cndmask_b32_e32 v7, v23, v7, vcc
	v_cndmask_b32_e32 v6, v22, v6, vcc
	v_mul_f64 v[22:23], v[6:7], 0.5
	v_fma_f64 v[6:7], -v[26:27], v[30:31], 1.0
	v_fmac_f64_e32 v[30:31], v[30:31], v[6:7]
	v_fma_f64 v[6:7], -v[26:27], v[30:31], 1.0
	v_fmac_f64_e32 v[30:31], v[30:31], v[6:7]
	v_div_scale_f64 v[6:7], vcc, v[24:25], v[28:29], v[24:25]
	v_mul_f64 v[32:33], v[6:7], v[30:31]
	v_fma_f64 v[6:7], -v[26:27], v[32:33], v[6:7]
	v_pk_mov_b32 v[26:27], v[46:47], v[46:47] op_sel:[0,1]
	s_nop 0
	v_div_fmas_f64 v[6:7], v[6:7], v[30:31], v[32:33]
	v_div_fixup_f64 v[6:7], v[6:7], v[28:29], v[24:25]
	v_mul_f64 v[24:25], v[6:7], v[6:7]
	v_fmac_f64_e32 v[26:27], s[40:41], v[24:25]
	v_pk_mov_b32 v[28:29], v[48:49], v[48:49] op_sel:[0,1]
	v_fmac_f64_e32 v[28:29], v[24:25], v[26:27]
	v_pk_mov_b32 v[26:27], v[50:51], v[50:51] op_sel:[0,1]
	;; [unrolled: 2-line block ×18, first 2 shown]
	v_fmac_f64_e32 v[26:27], v[24:25], v[28:29]
	v_cmp_gt_i32_e32 vcc, 0, v3
	v_mul_f64 v[24:25], v[24:25], v[26:27]
	v_cmp_class_f64_e64 s[60:61], v[2:3], s75
	v_cndmask_b32_e32 v2, v116, v117, vcc
	v_fmac_f64_e32 v[6:7], v[6:7], v[24:25]
	v_bfi_b32 v8, s74, v2, v5
	v_ashrrev_i32_e32 v2, 31, v3
	v_and_b32_e32 v24, 0x400921fb, v2
	v_and_b32_e32 v25, 0x54442d18, v2
	v_add_f64 v[2:3], -v[6:7], s[42:43]
	v_cndmask_b32_e64 v3, v7, v3, s[10:11]
	v_cndmask_b32_e64 v2, v6, v2, s[10:11]
	s_mov_b32 s44, s42
	v_add_f64 v[6:7], -v[2:3], s[44:45]
	v_cmp_class_f64_e64 s[58:59], v[4:5], s75
	v_cndmask_b32_e32 v1, v114, v115, vcc
	v_cndmask_b32_e32 v3, v3, v7, vcc
	v_cndmask_b32_e32 v2, v2, v6, vcc
	v_cmp_eq_f64_e32 vcc, 0, v[4:5]
	v_cndmask_b32_e32 v2, v2, v25, vcc
	v_cndmask_b32_e32 v3, v3, v24, vcc
	s_and_b64 vcc, s[58:59], s[60:61]
	v_cndmask_b32_e32 v25, v3, v8, vcc
	v_cndmask_b32_e32 v24, v2, v1, vcc
                                        ; implicit-def: $vgpr6_vgpr7
.LBB174_67:                             ;   in Loop: Header=BB174_4 Depth=1
	s_andn2_saveexec_b64 s[56:57], s[56:57]
	s_cbranch_execz .LBB174_69
; %bb.68:                               ;   in Loop: Header=BB174_4 Depth=1
	v_max_f64 v[22:23], |v[4:5]|, |v[4:5]|
	v_max_f64 v[24:25], |v[2:3]|, |v[2:3]|
	v_max_f64 v[26:27], v[24:25], v[22:23]
	v_min_f64 v[24:25], v[24:25], v[22:23]
	v_div_scale_f64 v[28:29], s[58:59], v[26:27], v[26:27], v[24:25]
	v_rcp_f64_e32 v[30:31], v[28:29]
	v_mul_f64 v[22:23], v[6:7], 0.5
	v_mul_f64 v[22:23], v[6:7], v[22:23]
	v_cmp_class_f64_e64 s[60:61], v[2:3], s75
	v_fma_f64 v[6:7], -v[28:29], v[30:31], 1.0
	v_fmac_f64_e32 v[30:31], v[30:31], v[6:7]
	v_fma_f64 v[6:7], -v[28:29], v[30:31], 1.0
	v_fmac_f64_e32 v[30:31], v[30:31], v[6:7]
	v_div_scale_f64 v[6:7], vcc, v[24:25], v[26:27], v[24:25]
	v_mul_f64 v[32:33], v[6:7], v[30:31]
	v_fma_f64 v[6:7], -v[28:29], v[32:33], v[6:7]
	v_pk_mov_b32 v[28:29], v[48:49], v[48:49] op_sel:[0,1]
	s_nop 0
	v_div_fmas_f64 v[6:7], v[6:7], v[30:31], v[32:33]
	v_div_fixup_f64 v[6:7], v[6:7], v[26:27], v[24:25]
	v_mul_f64 v[24:25], v[6:7], v[6:7]
	v_pk_mov_b32 v[26:27], v[46:47], v[46:47] op_sel:[0,1]
	v_fmac_f64_e32 v[26:27], s[40:41], v[24:25]
	v_fmac_f64_e32 v[28:29], v[24:25], v[26:27]
	v_pk_mov_b32 v[26:27], v[50:51], v[50:51] op_sel:[0,1]
	v_fmac_f64_e32 v[26:27], v[24:25], v[28:29]
	v_pk_mov_b32 v[28:29], v[52:53], v[52:53] op_sel:[0,1]
	;; [unrolled: 2-line block ×17, first 2 shown]
	v_fmac_f64_e32 v[26:27], v[24:25], v[28:29]
	v_cmp_gt_i32_e32 vcc, 0, v3
	v_mul_f64 v[24:25], v[24:25], v[26:27]
	v_cndmask_b32_e32 v2, v116, v117, vcc
	v_fmac_f64_e32 v[6:7], v[6:7], v[24:25]
	v_bfi_b32 v8, s74, v2, v5
	v_ashrrev_i32_e32 v2, 31, v3
	v_and_b32_e32 v24, 0x400921fb, v2
	v_and_b32_e32 v25, 0x54442d18, v2
	v_add_f64 v[2:3], -v[6:7], s[42:43]
	v_cndmask_b32_e64 v3, v7, v3, s[10:11]
	v_cndmask_b32_e64 v2, v6, v2, s[10:11]
	s_mov_b32 s44, s42
	v_add_f64 v[6:7], -v[2:3], s[44:45]
	v_cmp_class_f64_e64 s[58:59], v[4:5], s75
	v_cndmask_b32_e32 v1, v114, v115, vcc
	v_cndmask_b32_e32 v3, v3, v7, vcc
	;; [unrolled: 1-line block ×3, first 2 shown]
	v_cmp_eq_f64_e32 vcc, 0, v[4:5]
	v_cndmask_b32_e32 v2, v2, v25, vcc
	v_cndmask_b32_e32 v3, v3, v24, vcc
	s_and_b64 vcc, s[58:59], s[60:61]
	v_cndmask_b32_e32 v25, v3, v8, vcc
	v_cndmask_b32_e32 v24, v2, v1, vcc
.LBB174_69:                             ;   in Loop: Header=BB174_4 Depth=1
	s_or_b64 exec, exec, s[56:57]
.LBB174_70:                             ;   in Loop: Header=BB174_4 Depth=1
	s_or_b64 exec, exec, s[12:13]
.LBB174_71:                             ;   in Loop: Header=BB174_4 Depth=1
	s_andn2_saveexec_b64 s[56:57], s[14:15]
	s_cbranch_execz .LBB174_73
; %bb.72:                               ;   in Loop: Header=BB174_4 Depth=1
	v_div_scale_f64 v[6:7], s[12:13], s[50:51], s[50:51], v[2:3]
	v_rcp_f64_e32 v[22:23], v[6:7]
	v_div_scale_f64 v[24:25], vcc, v[2:3], s[50:51], v[2:3]
	s_mov_b32 s44, s42
	v_fma_f64 v[26:27], -v[6:7], v[22:23], 1.0
	v_fmac_f64_e32 v[22:23], v[22:23], v[26:27]
	v_fma_f64 v[26:27], -v[6:7], v[22:23], 1.0
	v_fmac_f64_e32 v[22:23], v[22:23], v[26:27]
	v_mul_f64 v[26:27], v[24:25], v[22:23]
	v_fma_f64 v[6:7], -v[6:7], v[26:27], v[24:25]
	v_div_scale_f64 v[24:25], s[12:13], s[50:51], s[50:51], v[4:5]
	v_rcp_f64_e32 v[28:29], v[24:25]
	v_div_fmas_f64 v[6:7], v[6:7], v[22:23], v[26:27]
	v_div_fixup_f64 v[6:7], v[6:7], s[50:51], v[2:3]
	v_cmp_class_f64_e64 s[14:15], v[6:7], s75
	v_fma_f64 v[22:23], -v[24:25], v[28:29], 1.0
	v_fmac_f64_e32 v[28:29], v[28:29], v[22:23]
	v_fma_f64 v[22:23], -v[24:25], v[28:29], 1.0
	v_fmac_f64_e32 v[28:29], v[28:29], v[22:23]
	v_div_scale_f64 v[22:23], vcc, v[4:5], s[50:51], v[4:5]
	v_mul_f64 v[26:27], v[22:23], v[28:29]
	v_fma_f64 v[22:23], -v[24:25], v[26:27], v[22:23]
	s_nop 1
	v_div_fmas_f64 v[22:23], v[22:23], v[28:29], v[26:27]
	v_div_fixup_f64 v[22:23], v[22:23], s[50:51], v[4:5]
	v_max_f64 v[24:25], |v[6:7]|, |v[22:23]|
	v_frexp_exp_i32_f64_e32 v1, v[24:25]
	v_sub_u32_e32 v8, 0, v1
	v_ldexp_f64 v[26:27], |v[22:23]|, v8
	v_ldexp_f64 v[24:25], |v[6:7]|, v8
	v_mul_f64 v[26:27], v[26:27], v[26:27]
	v_fmac_f64_e32 v[26:27], v[24:25], v[24:25]
	v_rsq_f64_e32 v[24:25], v[26:27]
	v_cmp_eq_f64_e32 vcc, 0, v[26:27]
	v_cmp_o_f64_e64 s[12:13], v[6:7], v[22:23]
	v_cmp_class_f64_e64 s[58:59], v[22:23], s75
	v_mul_f64 v[28:29], v[26:27], v[24:25]
	v_mul_f64 v[24:25], v[24:25], 0.5
	v_fma_f64 v[30:31], -v[24:25], v[28:29], 0.5
	v_fmac_f64_e32 v[28:29], v[28:29], v[30:31]
	v_fmac_f64_e32 v[24:25], v[24:25], v[30:31]
	v_fma_f64 v[30:31], -v[28:29], v[28:29], v[26:27]
	v_fmac_f64_e32 v[28:29], v[30:31], v[24:25]
	v_cndmask_b32_e32 v25, v29, v27, vcc
	v_cndmask_b32_e32 v24, v28, v26, vcc
	v_ldexp_f64 v[24:25], v[24:25], v1
	v_cndmask_b32_e64 v1, 0, v24, s[12:13]
	v_cndmask_b32_e64 v8, v112, v25, s[12:13]
	s_or_b64 vcc, s[58:59], s[14:15]
	v_cndmask_b32_e32 v7, v8, v119, vcc
	v_cndmask_b32_e64 v6, v1, 0, vcc
	v_frexp_mant_f64_e32 v[22:23], v[6:7]
	v_cmp_gt_f64_e64 s[14:15], s[28:29], v[22:23]
	v_cndmask_b32_e64 v85, v118, 2.0, s[14:15]
	v_frexp_exp_i32_f64_e32 v26, v[6:7]
	v_mul_f64 v[22:23], v[22:23], v[84:85]
	v_subbrev_co_u32_e64 v85, s[14:15], 0, v26, s[14:15]
	v_add_f64 v[26:27], v[22:23], 1.0
	v_rcp_f64_e32 v[28:29], v[26:27]
	v_add_f64 v[32:33], v[26:27], -1.0
	v_add_f64 v[30:31], v[22:23], -1.0
	v_add_f64 v[22:23], v[22:23], -v[32:33]
	v_fma_f64 v[32:33], -v[26:27], v[28:29], 1.0
	v_fmac_f64_e32 v[28:29], v[32:33], v[28:29]
	v_fma_f64 v[32:33], -v[26:27], v[28:29], 1.0
	v_fmac_f64_e32 v[28:29], v[32:33], v[28:29]
	v_mul_f64 v[32:33], v[30:31], v[28:29]
	v_mul_f64 v[94:95], v[26:27], v[32:33]
	v_fma_f64 v[26:27], v[32:33], v[26:27], -v[94:95]
	v_fmac_f64_e32 v[26:27], v[32:33], v[22:23]
	v_add_f64 v[22:23], v[94:95], v[26:27]
	v_add_f64 v[96:97], v[30:31], -v[22:23]
	v_add_f64 v[94:95], v[22:23], -v[94:95]
	;; [unrolled: 1-line block ×5, first 2 shown]
	v_add_f64 v[22:23], v[26:27], v[22:23]
	v_add_f64 v[22:23], v[96:97], v[22:23]
	v_mul_f64 v[22:23], v[28:29], v[22:23]
	v_add_f64 v[26:27], v[32:33], v[22:23]
	v_add_f64 v[28:29], v[26:27], -v[32:33]
	v_add_f64 v[22:23], v[22:23], -v[28:29]
	v_mul_f64 v[28:29], v[26:27], v[26:27]
	v_pk_mov_b32 v[30:31], v[34:35], v[34:35] op_sel:[0,1]
	v_fmac_f64_e32 v[30:31], s[30:31], v[28:29]
	v_pk_mov_b32 v[32:33], v[36:37], v[36:37] op_sel:[0,1]
	v_fmac_f64_e32 v[32:33], v[28:29], v[30:31]
	;; [unrolled: 2-line block ×6, first 2 shown]
	v_ldexp_f64 v[30:31], v[26:27], 1
	v_mul_f64 v[26:27], v[26:27], v[28:29]
	v_mul_f64 v[26:27], v[26:27], v[32:33]
	v_add_f64 v[28:29], v[30:31], v[26:27]
	v_add_f64 v[30:31], v[28:29], -v[30:31]
	v_ldexp_f64 v[22:23], v[22:23], 1
	v_add_f64 v[26:27], v[26:27], -v[30:31]
	v_add_f64 v[22:23], v[22:23], v[26:27]
	v_add_f64 v[26:27], v[28:29], v[22:23]
	v_add_f64 v[28:29], v[26:27], -v[28:29]
	v_add_f64 v[22:23], v[22:23], -v[28:29]
	v_cvt_f64_i32_e32 v[28:29], v85
	v_mul_f64 v[30:31], v[28:29], s[34:35]
	v_fma_f64 v[32:33], v[28:29], s[34:35], -v[30:31]
	v_fmac_f64_e32 v[32:33], s[36:37], v[28:29]
	v_add_f64 v[28:29], v[30:31], v[32:33]
	v_add_f64 v[30:31], v[28:29], -v[30:31]
	v_add_f64 v[30:31], v[32:33], -v[30:31]
	v_add_f64 v[32:33], v[28:29], v[26:27]
	v_add_f64 v[94:95], v[32:33], -v[28:29]
	v_add_f64 v[96:97], v[32:33], -v[94:95]
	;; [unrolled: 1-line block ×4, first 2 shown]
	v_add_f64 v[26:27], v[26:27], v[28:29]
	v_add_f64 v[28:29], v[30:31], v[22:23]
	v_add_f64 v[94:95], v[28:29], -v[30:31]
	v_add_f64 v[96:97], v[28:29], -v[94:95]
	v_add_f64 v[26:27], v[28:29], v[26:27]
	v_add_f64 v[30:31], v[30:31], -v[96:97]
	v_add_f64 v[22:23], v[22:23], -v[94:95]
	v_add_f64 v[28:29], v[32:33], v[26:27]
	v_add_f64 v[22:23], v[22:23], v[30:31]
	v_add_f64 v[30:31], v[28:29], -v[32:33]
	v_add_f64 v[26:27], v[26:27], -v[30:31]
	v_and_b32_e32 v25, 0x7fffffff, v25
	v_add_f64 v[22:23], v[22:23], v[26:27]
	v_cmp_eq_f64_e64 s[14:15], s[38:39], v[24:25]
	v_add_f64 v[22:23], v[28:29], v[22:23]
	s_and_b64 s[12:13], s[12:13], s[14:15]
	v_cndmask_b32_e64 v23, v23, v8, s[12:13]
	v_cndmask_b32_e64 v22, v22, v1, s[12:13]
	v_add_f64 v[22:23], v[22:23], 1.0
	v_cndmask_b32_e64 v1, v22, 0, vcc
	v_cndmask_b32_e32 v8, v23, v119, vcc
	v_max_f64 v[22:23], |v[4:5]|, |v[4:5]|
	v_max_f64 v[24:25], |v[2:3]|, |v[2:3]|
	v_max_f64 v[26:27], v[24:25], v[22:23]
	v_min_f64 v[24:25], v[24:25], v[22:23]
	v_div_scale_f64 v[28:29], s[12:13], v[26:27], v[26:27], v[24:25]
	v_rcp_f64_e32 v[30:31], v[28:29]
	v_cmp_ngt_f64_e32 vcc, 0, v[6:7]
	v_cndmask_b32_e32 v8, v112, v8, vcc
	v_cmp_nge_f64_e32 vcc, 0, v[6:7]
	v_cndmask_b32_e32 v22, 0, v1, vcc
	v_cmp_neq_f64_e32 vcc, 0, v[6:7]
	v_fma_f64 v[6:7], -v[28:29], v[30:31], 1.0
	v_fmac_f64_e32 v[30:31], v[30:31], v[6:7]
	v_fma_f64 v[6:7], -v[28:29], v[30:31], 1.0
	v_cndmask_b32_e32 v23, v113, v8, vcc
	v_fmac_f64_e32 v[30:31], v[30:31], v[6:7]
	v_div_scale_f64 v[6:7], vcc, v[24:25], v[26:27], v[24:25]
	v_mul_f64 v[32:33], v[6:7], v[30:31]
	v_fma_f64 v[6:7], -v[28:29], v[32:33], v[6:7]
	v_pk_mov_b32 v[28:29], v[48:49], v[48:49] op_sel:[0,1]
	s_nop 0
	v_div_fmas_f64 v[6:7], v[6:7], v[30:31], v[32:33]
	v_div_fixup_f64 v[6:7], v[6:7], v[26:27], v[24:25]
	v_mul_f64 v[24:25], v[6:7], v[6:7]
	v_pk_mov_b32 v[26:27], v[46:47], v[46:47] op_sel:[0,1]
	v_fmac_f64_e32 v[26:27], s[40:41], v[24:25]
	v_fmac_f64_e32 v[28:29], v[24:25], v[26:27]
	v_pk_mov_b32 v[26:27], v[50:51], v[50:51] op_sel:[0,1]
	v_fmac_f64_e32 v[26:27], v[24:25], v[28:29]
	v_pk_mov_b32 v[28:29], v[52:53], v[52:53] op_sel:[0,1]
	;; [unrolled: 2-line block ×17, first 2 shown]
	v_fmac_f64_e32 v[26:27], v[24:25], v[28:29]
	v_cmp_gt_i32_e32 vcc, 0, v3
	v_mul_f64 v[24:25], v[24:25], v[26:27]
	v_cmp_class_f64_e64 s[14:15], v[2:3], s75
	v_cndmask_b32_e32 v2, v116, v117, vcc
	v_fmac_f64_e32 v[6:7], v[6:7], v[24:25]
	v_bfi_b32 v8, s74, v2, v5
	v_ashrrev_i32_e32 v2, 31, v3
	v_and_b32_e32 v24, 0x400921fb, v2
	v_and_b32_e32 v25, 0x54442d18, v2
	v_add_f64 v[2:3], -v[6:7], s[42:43]
	v_cndmask_b32_e64 v3, v7, v3, s[10:11]
	v_cndmask_b32_e64 v2, v6, v2, s[10:11]
	v_add_f64 v[6:7], -v[2:3], s[44:45]
	v_cmp_class_f64_e64 s[12:13], v[4:5], s75
	v_cndmask_b32_e32 v1, v114, v115, vcc
	v_cndmask_b32_e32 v3, v3, v7, vcc
	;; [unrolled: 1-line block ×3, first 2 shown]
	v_cmp_eq_f64_e32 vcc, 0, v[4:5]
	v_cndmask_b32_e32 v2, v2, v25, vcc
	v_cndmask_b32_e32 v3, v3, v24, vcc
	s_and_b64 vcc, s[12:13], s[14:15]
	v_cndmask_b32_e32 v25, v3, v8, vcc
	v_cndmask_b32_e32 v24, v2, v1, vcc
.LBB174_73:                             ;   in Loop: Header=BB174_4 Depth=1
	s_or_b64 exec, exec, s[56:57]
.LBB174_74:                             ;   in Loop: Header=BB174_4 Depth=1
	s_andn2_saveexec_b64 s[10:11], s[54:55]
	s_cbranch_execz .LBB174_80
; %bb.75:                               ;   in Loop: Header=BB174_4 Depth=1
	v_cmp_nlt_f64_e64 s[12:13], |v[2:3]|, s[52:53]
	v_cmp_nlt_f64_e64 s[14:15], |v[4:5]|, s[52:53]
	s_or_b64 s[12:13], s[14:15], s[12:13]
                                        ; implicit-def: $vgpr6_vgpr7
	s_and_saveexec_b64 s[14:15], s[12:13]
	s_xor_b64 s[12:13], exec, s[14:15]
; %bb.76:                               ;   in Loop: Header=BB174_4 Depth=1
	v_mul_f64 v[6:7], v[2:3], v[2:3]
	v_fmac_f64_e32 v[6:7], v[4:5], v[4:5]
; %bb.77:                               ;   in Loop: Header=BB174_4 Depth=1
	s_andn2_saveexec_b64 s[12:13], s[12:13]
; %bb.78:                               ;   in Loop: Header=BB174_4 Depth=1
	v_mul_f64 v[2:3], v[2:3], 4.0
	v_mul_f64 v[6:7], v[4:5], 4.0
	v_mul_f64 v[2:3], v[2:3], v[2:3]
	v_fmac_f64_e32 v[2:3], v[6:7], v[6:7]
	v_ldexp_f64 v[6:7], v[2:3], -4
; %bb.79:                               ;   in Loop: Header=BB174_4 Depth=1
	s_or_b64 exec, exec, s[12:13]
	v_frexp_mant_f64_e32 v[2:3], v[6:7]
	v_cmp_gt_f64_e32 vcc, s[28:29], v[2:3]
	v_cndmask_b32_e64 v85, v118, 2.0, vcc
	v_mul_f64 v[2:3], v[2:3], v[84:85]
	v_add_f64 v[22:23], v[2:3], 1.0
	v_rcp_f64_e32 v[24:25], v[22:23]
	v_add_f64 v[28:29], v[22:23], -1.0
	v_add_f64 v[26:27], v[2:3], -1.0
	v_add_f64 v[2:3], v[2:3], -v[28:29]
	v_fma_f64 v[28:29], -v[22:23], v[24:25], 1.0
	v_fmac_f64_e32 v[24:25], v[28:29], v[24:25]
	v_fma_f64 v[28:29], -v[22:23], v[24:25], 1.0
	v_fmac_f64_e32 v[24:25], v[28:29], v[24:25]
	v_mul_f64 v[28:29], v[26:27], v[24:25]
	v_mul_f64 v[30:31], v[22:23], v[28:29]
	v_fma_f64 v[22:23], v[28:29], v[22:23], -v[30:31]
	v_fmac_f64_e32 v[22:23], v[28:29], v[2:3]
	v_add_f64 v[2:3], v[30:31], v[22:23]
	v_add_f64 v[32:33], v[26:27], -v[2:3]
	v_add_f64 v[30:31], v[2:3], -v[30:31]
	;; [unrolled: 1-line block ×5, first 2 shown]
	v_add_f64 v[2:3], v[22:23], v[2:3]
	v_add_f64 v[2:3], v[32:33], v[2:3]
	v_mul_f64 v[2:3], v[24:25], v[2:3]
	v_add_f64 v[22:23], v[28:29], v[2:3]
	v_add_f64 v[24:25], v[22:23], -v[28:29]
	v_add_f64 v[2:3], v[2:3], -v[24:25]
	v_mul_f64 v[24:25], v[22:23], v[22:23]
	v_pk_mov_b32 v[26:27], v[34:35], v[34:35] op_sel:[0,1]
	v_fmac_f64_e32 v[26:27], s[30:31], v[24:25]
	v_pk_mov_b32 v[28:29], v[36:37], v[36:37] op_sel:[0,1]
	v_fmac_f64_e32 v[28:29], v[24:25], v[26:27]
	;; [unrolled: 2-line block ×6, first 2 shown]
	v_ldexp_f64 v[26:27], v[22:23], 1
	v_mul_f64 v[22:23], v[22:23], v[24:25]
	v_mul_f64 v[22:23], v[22:23], v[28:29]
	v_add_f64 v[24:25], v[26:27], v[22:23]
	v_add_f64 v[26:27], v[24:25], -v[26:27]
	v_ldexp_f64 v[2:3], v[2:3], 1
	v_add_f64 v[22:23], v[22:23], -v[26:27]
	v_add_f64 v[2:3], v[2:3], v[22:23]
	v_frexp_exp_i32_f64_e32 v1, v[6:7]
	v_add_f64 v[22:23], v[24:25], v[2:3]
	v_subbrev_co_u32_e32 v1, vcc, 0, v1, vcc
	v_add_f64 v[24:25], v[22:23], -v[24:25]
	v_add_f64 v[2:3], v[2:3], -v[24:25]
	v_cvt_f64_i32_e32 v[24:25], v1
	v_mul_f64 v[26:27], v[24:25], s[34:35]
	v_fma_f64 v[28:29], v[24:25], s[34:35], -v[26:27]
	v_fmac_f64_e32 v[28:29], s[36:37], v[24:25]
	v_add_f64 v[24:25], v[26:27], v[28:29]
	v_add_f64 v[26:27], v[24:25], -v[26:27]
	v_add_f64 v[26:27], v[28:29], -v[26:27]
	v_add_f64 v[28:29], v[24:25], v[22:23]
	v_add_f64 v[30:31], v[28:29], -v[24:25]
	v_add_f64 v[32:33], v[28:29], -v[30:31]
	v_add_f64 v[24:25], v[24:25], -v[32:33]
	v_add_f64 v[22:23], v[22:23], -v[30:31]
	v_add_f64 v[22:23], v[22:23], v[24:25]
	v_add_f64 v[24:25], v[26:27], v[2:3]
	v_add_f64 v[30:31], v[24:25], -v[26:27]
	v_add_f64 v[32:33], v[24:25], -v[30:31]
	v_add_f64 v[22:23], v[24:25], v[22:23]
	v_add_f64 v[26:27], v[26:27], -v[32:33]
	v_add_f64 v[2:3], v[2:3], -v[30:31]
	v_add_f64 v[24:25], v[28:29], v[22:23]
	v_add_f64 v[2:3], v[2:3], v[26:27]
	v_add_f64 v[26:27], v[24:25], -v[28:29]
	v_add_f64 v[22:23], v[22:23], -v[26:27]
	v_add_f64 v[2:3], v[2:3], v[22:23]
	v_add_f64 v[2:3], v[24:25], v[2:3]
	v_cmp_class_f64_e64 vcc, v[6:7], s75
	v_cndmask_b32_e32 v1, v2, v6, vcc
	v_cndmask_b32_e32 v2, v3, v7, vcc
	v_cmp_ngt_f64_e32 vcc, 0, v[6:7]
	v_cndmask_b32_e32 v2, v112, v2, vcc
	v_cmp_nge_f64_e32 vcc, 0, v[6:7]
	v_cndmask_b32_e32 v22, 0, v1, vcc
	v_cmp_neq_f64_e32 vcc, 0, v[6:7]
	v_mov_b32_e32 v24, 0
	v_cndmask_b32_e32 v23, v113, v2, vcc
	v_mov_b32_e32 v25, 0x7ff80000
.LBB174_80:                             ;   in Loop: Header=BB174_4 Depth=1
	s_or_b64 exec, exec, s[10:11]
	v_cmp_o_f64_e32 vcc, v[14:15], v[16:17]
                                        ; implicit-def: $vgpr26_vgpr27
	s_and_saveexec_b64 s[10:11], vcc
	s_xor_b64 s[54:55], exec, s[10:11]
	s_cbranch_execz .LBB174_108
; %bb.81:                               ;   in Loop: Header=BB174_4 Depth=1
	v_and_b32_e32 v6, 0x7fffffff, v15
	v_and_b32_e32 v1, 0x7fffffff, v17
	v_mov_b32_e32 v4, v16
	v_cmp_lt_f64_e64 s[10:11], |v[14:15]|, |v[16:17]|
	v_cndmask_b32_e64 v3, v1, v6, s[10:11]
	v_cndmask_b32_e64 v2, v4, v14, s[10:11]
	v_cmp_nlt_f64_e32 vcc, s[22:23], v[2:3]
                                        ; implicit-def: $vgpr26_vgpr27
	s_and_saveexec_b64 s[12:13], vcc
	s_xor_b64 s[14:15], exec, s[12:13]
	s_cbranch_execz .LBB174_105
; %bb.82:                               ;   in Loop: Header=BB174_4 Depth=1
	v_cndmask_b32_e64 v31, v6, v1, s[10:11]
	v_cndmask_b32_e64 v30, v14, v4, s[10:11]
	v_cmp_neq_f64_e32 vcc, 1.0, v[30:31]
                                        ; implicit-def: $vgpr26_vgpr27
	s_and_saveexec_b64 s[12:13], vcc
	s_xor_b64 s[56:57], exec, s[12:13]
	s_cbranch_execz .LBB174_98
; %bb.83:                               ;   in Loop: Header=BB174_4 Depth=1
	v_max_f64 v[6:7], v[2:3], v[2:3]
	v_max_f64 v[26:27], v[30:31], v[30:31]
	v_min_f64 v[28:29], v[26:27], v[6:7]
	v_max_f64 v[6:7], v[26:27], v[6:7]
	v_cmp_ngt_f64_e32 vcc, s[24:25], v[28:29]
	v_cmp_nlt_f64_e64 s[12:13], s[26:27], v[6:7]
	s_and_b64 s[12:13], s[12:13], vcc
                                        ; implicit-def: $vgpr26_vgpr27
	s_and_saveexec_b64 s[58:59], s[12:13]
	s_xor_b64 s[58:59], exec, s[58:59]
	s_cbranch_execz .LBB174_95
; %bb.84:                               ;   in Loop: Header=BB174_4 Depth=1
	v_cmp_le_f64_e32 vcc, 1.0, v[30:31]
                                        ; implicit-def: $vgpr26_vgpr27
	s_and_saveexec_b64 s[12:13], vcc
	s_xor_b64 s[12:13], exec, s[12:13]
	s_cbranch_execz .LBB174_86
; %bb.85:                               ;   in Loop: Header=BB174_4 Depth=1
	v_add_f64 v[6:7], v[30:31], -1.0
	v_add_f64 v[26:27], v[30:31], 1.0
	v_mul_f64 v[6:7], v[6:7], v[26:27]
	v_fmac_f64_e32 v[6:7], v[2:3], v[2:3]
	v_add_f64 v[2:3], v[6:7], 1.0
	v_add_f64 v[26:27], v[2:3], -1.0
	v_add_f64 v[28:29], v[26:27], -v[2:3]
	v_add_f64 v[28:29], v[28:29], 1.0
	v_add_f64 v[26:27], v[6:7], -v[26:27]
	v_add_f64 v[26:27], v[26:27], v[28:29]
	v_frexp_mant_f64_e32 v[28:29], v[2:3]
	v_frexp_exp_i32_f64_e32 v1, v[2:3]
	v_cmp_gt_f64_e32 vcc, s[28:29], v[28:29]
	v_subbrev_co_u32_e32 v1, vcc, 0, v1, vcc
	v_sub_u32_e32 v4, 0, v1
	v_ldexp_f64 v[2:3], v[2:3], v4
	v_add_f64 v[28:29], v[2:3], -1.0
	v_add_f64 v[94:95], v[2:3], 1.0
	v_add_f64 v[30:31], v[28:29], 1.0
	v_add_f64 v[96:97], v[94:95], -1.0
	v_ldexp_f64 v[26:27], v[26:27], v4
	v_add_f64 v[30:31], v[2:3], -v[30:31]
	v_add_f64 v[2:3], v[2:3], -v[96:97]
	v_add_f64 v[2:3], v[26:27], v[2:3]
	v_add_f64 v[30:31], v[26:27], v[30:31]
	;; [unrolled: 1-line block ×3, first 2 shown]
	v_rcp_f64_e32 v[96:97], v[26:27]
	v_add_f64 v[32:33], v[28:29], v[30:31]
	v_add_f64 v[28:29], v[32:33], -v[28:29]
	v_add_f64 v[28:29], v[30:31], -v[28:29]
	;; [unrolled: 1-line block ×4, first 2 shown]
	v_fma_f64 v[30:31], -v[26:27], v[96:97], 1.0
	v_fmac_f64_e32 v[96:97], v[30:31], v[96:97]
	v_fma_f64 v[30:31], -v[26:27], v[96:97], 1.0
	v_fmac_f64_e32 v[96:97], v[30:31], v[96:97]
	v_mul_f64 v[30:31], v[32:33], v[96:97]
	v_mul_f64 v[94:95], v[26:27], v[30:31]
	v_fma_f64 v[98:99], v[30:31], v[26:27], -v[94:95]
	v_fmac_f64_e32 v[98:99], v[30:31], v[2:3]
	v_add_f64 v[100:101], v[94:95], v[98:99]
	v_add_f64 v[102:103], v[32:33], -v[100:101]
	v_add_f64 v[32:33], v[32:33], -v[102:103]
	;; [unrolled: 1-line block ×4, first 2 shown]
	v_add_f64 v[28:29], v[28:29], v[32:33]
	v_add_f64 v[32:33], v[94:95], -v[98:99]
	v_add_f64 v[28:29], v[32:33], v[28:29]
	v_add_f64 v[32:33], v[102:103], v[28:29]
	v_add_f64 v[94:95], v[102:103], -v[32:33]
	v_add_f64 v[28:29], v[28:29], v[94:95]
	v_mul_f64 v[94:95], v[96:97], v[32:33]
	v_mul_f64 v[98:99], v[26:27], v[94:95]
	v_fma_f64 v[26:27], v[94:95], v[26:27], -v[98:99]
	v_fmac_f64_e32 v[26:27], v[94:95], v[2:3]
	v_add_f64 v[2:3], v[98:99], v[26:27]
	v_add_f64 v[100:101], v[32:33], -v[2:3]
	v_add_f64 v[32:33], v[32:33], -v[100:101]
	;; [unrolled: 1-line block ×4, first 2 shown]
	v_add_f64 v[2:3], v[28:29], v[2:3]
	v_add_f64 v[26:27], v[98:99], -v[26:27]
	v_add_f64 v[2:3], v[26:27], v[2:3]
	v_add_f64 v[26:27], v[30:31], v[94:95]
	v_add_f64 v[2:3], v[100:101], v[2:3]
	v_add_f64 v[28:29], v[26:27], -v[30:31]
	v_mul_f64 v[2:3], v[96:97], v[2:3]
	v_add_f64 v[28:29], v[94:95], -v[28:29]
	v_add_f64 v[2:3], v[28:29], v[2:3]
	v_add_f64 v[28:29], v[26:27], v[2:3]
	v_add_f64 v[26:27], v[28:29], -v[26:27]
	v_add_f64 v[2:3], v[2:3], -v[26:27]
	v_mul_f64 v[26:27], v[28:29], v[28:29]
	v_pk_mov_b32 v[30:31], v[34:35], v[34:35] op_sel:[0,1]
	v_fmac_f64_e32 v[30:31], s[30:31], v[26:27]
	v_pk_mov_b32 v[32:33], v[36:37], v[36:37] op_sel:[0,1]
	v_fmac_f64_e32 v[32:33], v[26:27], v[30:31]
	;; [unrolled: 2-line block ×6, first 2 shown]
	v_cvt_f64_i32_e32 v[30:31], v1
	v_mul_f64 v[94:95], v[30:31], s[34:35]
	v_fma_f64 v[96:97], v[30:31], s[34:35], -v[94:95]
	v_fmac_f64_e32 v[96:97], s[36:37], v[30:31]
	v_add_f64 v[30:31], v[94:95], v[96:97]
	v_add_f64 v[94:95], v[30:31], -v[94:95]
	v_mul_f64 v[26:27], v[28:29], v[26:27]
	v_add_f64 v[94:95], v[96:97], -v[94:95]
	v_ldexp_f64 v[96:97], v[28:29], 1
	v_mul_f64 v[26:27], v[26:27], v[32:33]
	v_add_f64 v[28:29], v[96:97], v[26:27]
	v_add_f64 v[32:33], v[28:29], -v[96:97]
	v_ldexp_f64 v[2:3], v[2:3], 1
	v_add_f64 v[26:27], v[26:27], -v[32:33]
	v_add_f64 v[2:3], v[2:3], v[26:27]
	v_add_f64 v[26:27], v[28:29], v[2:3]
	v_add_f64 v[28:29], v[26:27], -v[28:29]
	v_add_f64 v[2:3], v[2:3], -v[28:29]
	v_add_f64 v[28:29], v[30:31], v[26:27]
	v_add_f64 v[32:33], v[28:29], -v[30:31]
	v_add_f64 v[96:97], v[28:29], -v[32:33]
	;; [unrolled: 1-line block ×4, first 2 shown]
	v_add_f64 v[26:27], v[26:27], v[30:31]
	v_add_f64 v[30:31], v[94:95], v[2:3]
	v_add_f64 v[32:33], v[30:31], -v[94:95]
	v_add_f64 v[26:27], v[30:31], v[26:27]
	v_add_f64 v[96:97], v[30:31], -v[32:33]
	;; [unrolled: 2-line block ×3, first 2 shown]
	v_add_f64 v[2:3], v[2:3], -v[32:33]
	v_add_f64 v[28:29], v[30:31], -v[28:29]
	v_add_f64 v[2:3], v[2:3], v[94:95]
	v_add_f64 v[26:27], v[26:27], -v[28:29]
	v_add_f64 v[2:3], v[2:3], v[26:27]
	v_max_f64 v[26:27], |v[16:17]|, |v[16:17]|
	v_max_f64 v[28:29], |v[14:15]|, |v[14:15]|
	v_add_f64 v[2:3], v[30:31], v[2:3]
	v_max_f64 v[30:31], v[28:29], v[26:27]
	v_min_f64 v[28:29], v[28:29], v[26:27]
	v_div_scale_f64 v[32:33], s[60:61], v[30:31], v[30:31], v[28:29]
	v_cmp_eq_f64_e32 vcc, s[38:39], v[6:7]
	v_rcp_f64_e32 v[94:95], v[32:33]
	v_cndmask_b32_e32 v3, v3, v7, vcc
	v_cndmask_b32_e32 v2, v2, v6, vcc
	v_mul_f64 v[2:3], v[2:3], 0.5
	v_cmp_ngt_f64_e32 vcc, -1.0, v[6:7]
	v_cndmask_b32_e32 v1, v112, v3, vcc
	v_cmp_nge_f64_e32 vcc, -1.0, v[6:7]
	v_cndmask_b32_e32 v26, 0, v2, vcc
	v_fma_f64 v[2:3], -v[32:33], v[94:95], 1.0
	v_fmac_f64_e32 v[94:95], v[94:95], v[2:3]
	v_cmp_neq_f64_e32 vcc, -1.0, v[6:7]
	v_fma_f64 v[2:3], -v[32:33], v[94:95], 1.0
	v_cndmask_b32_e32 v27, v113, v1, vcc
	v_fmac_f64_e32 v[94:95], v[94:95], v[2:3]
	v_div_scale_f64 v[2:3], vcc, v[28:29], v[30:31], v[28:29]
	v_mul_f64 v[6:7], v[2:3], v[94:95]
	v_fma_f64 v[2:3], -v[32:33], v[6:7], v[2:3]
	v_cmp_class_f64_e64 s[62:63], v[14:15], s75
	s_nop 0
	v_div_fmas_f64 v[2:3], v[2:3], v[94:95], v[6:7]
	v_div_fixup_f64 v[2:3], v[2:3], v[30:31], v[28:29]
	v_mul_f64 v[6:7], v[2:3], v[2:3]
	v_pk_mov_b32 v[28:29], v[46:47], v[46:47] op_sel:[0,1]
	v_fmac_f64_e32 v[28:29], s[40:41], v[6:7]
	v_pk_mov_b32 v[30:31], v[48:49], v[48:49] op_sel:[0,1]
	v_fmac_f64_e32 v[30:31], v[6:7], v[28:29]
	;; [unrolled: 2-line block ×19, first 2 shown]
	v_mul_f64 v[6:7], v[6:7], v[28:29]
	v_fmac_f64_e32 v[2:3], v[2:3], v[6:7]
	v_ashrrev_i32_e32 v6, 31, v15
	v_and_b32_e32 v8, 0x400921fb, v6
	v_and_b32_e32 v14, 0x54442d18, v6
	v_add_f64 v[6:7], -v[2:3], s[42:43]
	v_cndmask_b32_e64 v3, v3, v7, s[10:11]
	v_cndmask_b32_e64 v2, v2, v6, s[10:11]
	s_mov_b32 s44, s42
	v_cmp_gt_i32_e32 vcc, 0, v15
	v_add_f64 v[6:7], -v[2:3], s[44:45]
	v_cmp_class_f64_e64 s[60:61], v[16:17], s75
	v_cndmask_b32_e32 v1, v114, v115, vcc
	v_cndmask_b32_e32 v4, v116, v117, vcc
	;; [unrolled: 1-line block ×4, first 2 shown]
	v_cmp_eq_f64_e32 vcc, 0, v[16:17]
	v_bfi_b32 v4, s74, v4, v17
	v_cndmask_b32_e32 v2, v2, v14, vcc
	v_cndmask_b32_e32 v3, v3, v8, vcc
	s_and_b64 vcc, s[60:61], s[62:63]
	v_cndmask_b32_e32 v29, v3, v4, vcc
	v_cndmask_b32_e32 v28, v2, v1, vcc
                                        ; implicit-def: $vgpr2_vgpr3
                                        ; implicit-def: $vgpr30_vgpr31
.LBB174_86:                             ;   in Loop: Header=BB174_4 Depth=1
	s_andn2_saveexec_b64 s[60:61], s[12:13]
	s_cbranch_execz .LBB174_94
; %bb.87:                               ;   in Loop: Header=BB174_4 Depth=1
	v_mul_f64 v[6:7], v[2:3], v[2:3]
	v_fmac_f64_e32 v[6:7], v[30:31], v[30:31]
	v_cmp_ge_f64_e32 vcc, s[46:47], v[6:7]
                                        ; implicit-def: $vgpr26_vgpr27
	s_and_saveexec_b64 s[12:13], vcc
	s_xor_b64 s[12:13], exec, s[12:13]
	s_cbranch_execz .LBB174_89
; %bb.88:                               ;   in Loop: Header=BB174_4 Depth=1
	v_frexp_mant_f64_e32 v[2:3], v[6:7]
	v_cmp_gt_f64_e32 vcc, s[28:29], v[2:3]
	v_cndmask_b32_e64 v85, v118, 2.0, vcc
	v_mul_f64 v[2:3], v[2:3], v[84:85]
	v_add_f64 v[26:27], v[2:3], 1.0
	v_rcp_f64_e32 v[28:29], v[26:27]
	v_add_f64 v[32:33], v[26:27], -1.0
	v_add_f64 v[30:31], v[2:3], -1.0
	v_add_f64 v[2:3], v[2:3], -v[32:33]
	v_fma_f64 v[32:33], -v[26:27], v[28:29], 1.0
	v_fmac_f64_e32 v[28:29], v[32:33], v[28:29]
	v_fma_f64 v[32:33], -v[26:27], v[28:29], 1.0
	v_fmac_f64_e32 v[28:29], v[32:33], v[28:29]
	v_mul_f64 v[32:33], v[30:31], v[28:29]
	v_mul_f64 v[94:95], v[26:27], v[32:33]
	v_fma_f64 v[26:27], v[32:33], v[26:27], -v[94:95]
	v_fmac_f64_e32 v[26:27], v[32:33], v[2:3]
	v_add_f64 v[2:3], v[94:95], v[26:27]
	v_add_f64 v[96:97], v[30:31], -v[2:3]
	v_add_f64 v[94:95], v[2:3], -v[94:95]
	;; [unrolled: 1-line block ×5, first 2 shown]
	v_add_f64 v[2:3], v[26:27], v[2:3]
	v_add_f64 v[2:3], v[96:97], v[2:3]
	v_mul_f64 v[2:3], v[28:29], v[2:3]
	v_add_f64 v[26:27], v[32:33], v[2:3]
	v_add_f64 v[28:29], v[26:27], -v[32:33]
	v_add_f64 v[2:3], v[2:3], -v[28:29]
	v_mul_f64 v[28:29], v[26:27], v[26:27]
	v_pk_mov_b32 v[30:31], v[34:35], v[34:35] op_sel:[0,1]
	v_fmac_f64_e32 v[30:31], s[30:31], v[28:29]
	v_pk_mov_b32 v[32:33], v[36:37], v[36:37] op_sel:[0,1]
	v_fmac_f64_e32 v[32:33], v[28:29], v[30:31]
	;; [unrolled: 2-line block ×6, first 2 shown]
	v_ldexp_f64 v[30:31], v[26:27], 1
	v_mul_f64 v[26:27], v[26:27], v[28:29]
	v_mul_f64 v[26:27], v[26:27], v[32:33]
	v_add_f64 v[28:29], v[30:31], v[26:27]
	v_add_f64 v[30:31], v[28:29], -v[30:31]
	v_ldexp_f64 v[2:3], v[2:3], 1
	v_add_f64 v[26:27], v[26:27], -v[30:31]
	v_add_f64 v[2:3], v[2:3], v[26:27]
	v_frexp_exp_i32_f64_e32 v1, v[6:7]
	v_add_f64 v[26:27], v[28:29], v[2:3]
	v_subbrev_co_u32_e32 v1, vcc, 0, v1, vcc
	v_add_f64 v[28:29], v[26:27], -v[28:29]
	v_add_f64 v[2:3], v[2:3], -v[28:29]
	v_cvt_f64_i32_e32 v[28:29], v1
	v_mul_f64 v[30:31], v[28:29], s[34:35]
	v_fma_f64 v[32:33], v[28:29], s[34:35], -v[30:31]
	v_fmac_f64_e32 v[32:33], s[36:37], v[28:29]
	v_add_f64 v[28:29], v[30:31], v[32:33]
	v_add_f64 v[30:31], v[28:29], -v[30:31]
	v_add_f64 v[30:31], v[32:33], -v[30:31]
	v_add_f64 v[32:33], v[28:29], v[26:27]
	v_add_f64 v[94:95], v[32:33], -v[28:29]
	v_add_f64 v[96:97], v[32:33], -v[94:95]
	;; [unrolled: 1-line block ×4, first 2 shown]
	v_add_f64 v[26:27], v[26:27], v[28:29]
	v_add_f64 v[28:29], v[30:31], v[2:3]
	v_add_f64 v[94:95], v[28:29], -v[30:31]
	v_add_f64 v[96:97], v[28:29], -v[94:95]
	v_add_f64 v[26:27], v[28:29], v[26:27]
	v_add_f64 v[30:31], v[30:31], -v[96:97]
	v_add_f64 v[2:3], v[2:3], -v[94:95]
	v_add_f64 v[28:29], v[32:33], v[26:27]
	v_add_f64 v[2:3], v[2:3], v[30:31]
	v_add_f64 v[30:31], v[28:29], -v[32:33]
	v_add_f64 v[26:27], v[26:27], -v[30:31]
	v_add_f64 v[2:3], v[2:3], v[26:27]
	v_add_f64 v[2:3], v[28:29], v[2:3]
	v_max_f64 v[26:27], |v[16:17]|, |v[16:17]|
	v_max_f64 v[28:29], |v[14:15]|, |v[14:15]|
	v_max_f64 v[30:31], v[28:29], v[26:27]
	v_min_f64 v[28:29], v[28:29], v[26:27]
	v_div_scale_f64 v[32:33], s[62:63], v[30:31], v[30:31], v[28:29]
	v_rcp_f64_e32 v[94:95], v[32:33]
	v_mul_f64 v[2:3], v[2:3], 0.5
	v_cmp_neq_f64_e32 vcc, 0, v[6:7]
	v_cndmask_b32_e32 v27, v113, v3, vcc
	v_cndmask_b32_e32 v26, 0, v2, vcc
	v_fma_f64 v[2:3], -v[32:33], v[94:95], 1.0
	v_fmac_f64_e32 v[94:95], v[94:95], v[2:3]
	v_fma_f64 v[2:3], -v[32:33], v[94:95], 1.0
	v_fmac_f64_e32 v[94:95], v[94:95], v[2:3]
	v_div_scale_f64 v[2:3], vcc, v[28:29], v[30:31], v[28:29]
	v_mul_f64 v[6:7], v[2:3], v[94:95]
	v_fma_f64 v[2:3], -v[32:33], v[6:7], v[2:3]
	v_cmp_class_f64_e64 s[64:65], v[14:15], s75
	s_nop 0
	v_div_fmas_f64 v[2:3], v[2:3], v[94:95], v[6:7]
	v_div_fixup_f64 v[2:3], v[2:3], v[30:31], v[28:29]
	v_mul_f64 v[6:7], v[2:3], v[2:3]
	v_pk_mov_b32 v[28:29], v[46:47], v[46:47] op_sel:[0,1]
	v_fmac_f64_e32 v[28:29], s[40:41], v[6:7]
	v_pk_mov_b32 v[30:31], v[48:49], v[48:49] op_sel:[0,1]
	v_fmac_f64_e32 v[30:31], v[6:7], v[28:29]
	v_pk_mov_b32 v[28:29], v[50:51], v[50:51] op_sel:[0,1]
	v_fmac_f64_e32 v[28:29], v[6:7], v[30:31]
	v_pk_mov_b32 v[30:31], v[52:53], v[52:53] op_sel:[0,1]
	v_fmac_f64_e32 v[30:31], v[6:7], v[28:29]
	v_pk_mov_b32 v[28:29], v[54:55], v[54:55] op_sel:[0,1]
	v_fmac_f64_e32 v[28:29], v[6:7], v[30:31]
	v_pk_mov_b32 v[30:31], v[56:57], v[56:57] op_sel:[0,1]
	v_fmac_f64_e32 v[30:31], v[6:7], v[28:29]
	v_pk_mov_b32 v[28:29], v[58:59], v[58:59] op_sel:[0,1]
	v_fmac_f64_e32 v[28:29], v[6:7], v[30:31]
	v_pk_mov_b32 v[30:31], v[60:61], v[60:61] op_sel:[0,1]
	v_fmac_f64_e32 v[30:31], v[6:7], v[28:29]
	v_pk_mov_b32 v[28:29], v[62:63], v[62:63] op_sel:[0,1]
	v_fmac_f64_e32 v[28:29], v[6:7], v[30:31]
	v_pk_mov_b32 v[30:31], v[64:65], v[64:65] op_sel:[0,1]
	v_fmac_f64_e32 v[30:31], v[6:7], v[28:29]
	v_pk_mov_b32 v[28:29], v[66:67], v[66:67] op_sel:[0,1]
	v_fmac_f64_e32 v[28:29], v[6:7], v[30:31]
	v_pk_mov_b32 v[30:31], v[68:69], v[68:69] op_sel:[0,1]
	v_fmac_f64_e32 v[30:31], v[6:7], v[28:29]
	v_pk_mov_b32 v[28:29], v[70:71], v[70:71] op_sel:[0,1]
	v_fmac_f64_e32 v[28:29], v[6:7], v[30:31]
	v_pk_mov_b32 v[30:31], v[72:73], v[72:73] op_sel:[0,1]
	v_fmac_f64_e32 v[30:31], v[6:7], v[28:29]
	v_pk_mov_b32 v[28:29], v[74:75], v[74:75] op_sel:[0,1]
	v_fmac_f64_e32 v[28:29], v[6:7], v[30:31]
	v_pk_mov_b32 v[30:31], v[76:77], v[76:77] op_sel:[0,1]
	v_fmac_f64_e32 v[30:31], v[6:7], v[28:29]
	v_pk_mov_b32 v[28:29], v[78:79], v[78:79] op_sel:[0,1]
	v_fmac_f64_e32 v[28:29], v[6:7], v[30:31]
	v_pk_mov_b32 v[30:31], v[80:81], v[80:81] op_sel:[0,1]
	v_fmac_f64_e32 v[30:31], v[6:7], v[28:29]
	v_pk_mov_b32 v[28:29], v[82:83], v[82:83] op_sel:[0,1]
	v_fmac_f64_e32 v[28:29], v[6:7], v[30:31]
	v_mul_f64 v[6:7], v[6:7], v[28:29]
	v_fmac_f64_e32 v[2:3], v[2:3], v[6:7]
	v_ashrrev_i32_e32 v6, 31, v15
	v_and_b32_e32 v8, 0x400921fb, v6
	v_and_b32_e32 v14, 0x54442d18, v6
	v_add_f64 v[6:7], -v[2:3], s[42:43]
	v_cndmask_b32_e64 v3, v3, v7, s[10:11]
	v_cndmask_b32_e64 v2, v2, v6, s[10:11]
	s_mov_b32 s44, s42
	v_cmp_gt_i32_e32 vcc, 0, v15
	v_add_f64 v[6:7], -v[2:3], s[44:45]
	v_cmp_class_f64_e64 s[62:63], v[16:17], s75
	v_cndmask_b32_e32 v1, v114, v115, vcc
	v_cndmask_b32_e32 v4, v116, v117, vcc
	;; [unrolled: 1-line block ×4, first 2 shown]
	v_cmp_eq_f64_e32 vcc, 0, v[16:17]
	v_bfi_b32 v4, s74, v4, v17
	v_cndmask_b32_e32 v2, v2, v14, vcc
	v_cndmask_b32_e32 v3, v3, v8, vcc
	s_and_b64 vcc, s[62:63], s[64:65]
	v_cndmask_b32_e32 v29, v3, v4, vcc
	v_cndmask_b32_e32 v28, v2, v1, vcc
                                        ; implicit-def: $vgpr30_vgpr31
                                        ; implicit-def: $vgpr2_vgpr3
.LBB174_89:                             ;   in Loop: Header=BB174_4 Depth=1
	s_andn2_saveexec_b64 s[62:63], s[12:13]
	s_cbranch_execz .LBB174_93
; %bb.90:                               ;   in Loop: Header=BB174_4 Depth=1
	v_and_b32_e32 v85, 0x7ffffff8, v31
	v_and_b32_e32 v27, 0x7ffffff8, v3
	v_mov_b32_e32 v26, v84
	v_add_f64 v[6:7], v[30:31], -v[84:85]
	v_add_f64 v[2:3], v[2:3], -v[26:27]
	v_and_b32_e32 v99, -8, v7
	v_mov_b32_e32 v98, v84
	v_and_b32_e32 v101, -8, v3
	v_mov_b32_e32 v100, v84
	v_add_f64 v[32:33], v[84:85], v[84:85]
	v_add_f64 v[106:107], v[26:27], v[26:27]
	v_add_f64 v[102:103], v[6:7], -v[98:99]
	v_add_f64 v[104:105], v[2:3], -v[100:101]
	v_mul_f64 v[6:7], v[26:27], v[26:27]
	v_mul_f64 v[30:31], v[32:33], v[98:99]
	;; [unrolled: 1-line block ×5, first 2 shown]
	v_add_f64 v[98:99], v[98:99], v[98:99]
	v_add_f64 v[100:101], v[100:101], v[100:101]
	v_mul_f64 v[2:3], v[84:85], v[84:85]
	v_mul_f64 v[94:95], v[32:33], v[102:103]
	;; [unrolled: 1-line block ×7, first 2 shown]
	s_mov_b64 s[64:65], 0
.LBB174_91:                             ;   Parent Loop BB174_4 Depth=1
                                        ; =>  This Inner Loop Header: Depth=2
	v_cmp_nlt_f64_e32 vcc, v[2:3], v[6:7]
	v_cndmask_b32_e32 v107, v3, v7, vcc
	v_cndmask_b32_e32 v106, v2, v6, vcc
	v_cmp_nlt_f64_e64 s[12:13], v[106:107], v[30:31]
	v_cndmask_b32_e64 v109, v107, v31, s[12:13]
	v_cndmask_b32_e64 v108, v106, v30, s[12:13]
	v_cndmask_b32_e32 v3, v7, v3, vcc
	v_cndmask_b32_e32 v2, v6, v2, vcc
	s_and_b64 s[66:67], vcc, s[12:13]
	v_cmp_nlt_f64_e32 vcc, v[108:109], v[28:29]
	v_cndmask_b32_e64 v7, v31, v107, s[12:13]
	v_cndmask_b32_e64 v6, v30, v106, s[12:13]
	v_cndmask_b32_e32 v107, v109, v29, vcc
	v_cndmask_b32_e32 v106, v108, v28, vcc
	v_cmp_nlt_f64_e64 s[12:13], v[106:107], v[96:97]
	v_cndmask_b32_e32 v31, v29, v109, vcc
	v_cndmask_b32_e32 v30, v28, v108, vcc
	v_cndmask_b32_e64 v109, v107, v97, s[12:13]
	v_cndmask_b32_e64 v108, v106, v96, s[12:13]
	s_and_b64 s[76:77], vcc, s[12:13]
	v_cmp_nlt_f64_e32 vcc, v[108:109], v[26:27]
	v_cndmask_b32_e64 v29, v97, v107, s[12:13]
	v_cndmask_b32_e64 v28, v96, v106, s[12:13]
	v_cndmask_b32_e32 v107, v109, v27, vcc
	v_cndmask_b32_e32 v106, v108, v26, vcc
	v_cmp_nlt_f64_e64 s[12:13], v[106:107], v[94:95]
	v_cndmask_b32_e32 v97, v27, v109, vcc
	v_cndmask_b32_e32 v96, v26, v108, vcc
	v_cndmask_b32_e64 v109, v107, v95, s[12:13]
	v_cndmask_b32_e64 v108, v106, v94, s[12:13]
	;; [unrolled: 1-line block ×4, first 2 shown]
	s_and_b64 s[12:13], vcc, s[12:13]
	v_cmp_nlt_f64_e32 vcc, v[108:109], v[32:33]
	v_cndmask_b32_e32 v107, v109, v33, vcc
	v_cndmask_b32_e32 v106, v108, v32, vcc
	v_cndmask_b32_e32 v95, v33, v109, vcc
	v_cndmask_b32_e32 v94, v32, v108, vcc
	s_and_b64 s[12:13], s[12:13], vcc
	v_cmp_nlt_f64_e32 vcc, v[106:107], v[98:99]
	v_cndmask_b32_e32 v109, v107, v99, vcc
	v_cndmask_b32_e32 v108, v106, v98, vcc
	v_cndmask_b32_e32 v33, v99, v107, vcc
	v_cndmask_b32_e32 v32, v98, v106, vcc
	s_and_b64 s[12:13], s[12:13], vcc
	;; [unrolled: 6-line block ×4, first 2 shown]
	v_cmp_nlt_f64_e32 vcc, v[108:109], v[104:105]
	s_and_b64 s[12:13], s[12:13], vcc
	s_and_b64 s[12:13], s[12:13], s[76:77]
	s_and_b64 s[12:13], s[12:13], s[66:67]
	v_cndmask_b32_e32 v107, v109, v105, vcc
	v_cndmask_b32_e32 v106, v108, v104, vcc
	s_and_b64 s[12:13], exec, s[12:13]
	v_cndmask_b32_e32 v103, v105, v109, vcc
	v_cndmask_b32_e32 v102, v104, v108, vcc
	s_or_b64 s[64:65], s[12:13], s[64:65]
	v_pk_mov_b32 v[104:105], v[106:107], v[106:107] op_sel:[0,1]
	s_andn2_b64 exec, exec, s[64:65]
	s_cbranch_execnz .LBB174_91
; %bb.92:                               ;   in Loop: Header=BB174_4 Depth=1
	s_or_b64 exec, exec, s[64:65]
	v_add_f64 v[2:3], v[2:3], -1.0
	v_add_f64 v[2:3], v[2:3], v[6:7]
	v_add_f64 v[2:3], v[2:3], v[30:31]
	;; [unrolled: 1-line block ×11, first 2 shown]
	v_add_f64 v[6:7], v[2:3], 1.0
	v_add_f64 v[26:27], v[6:7], -1.0
	v_add_f64 v[28:29], v[26:27], -v[6:7]
	v_add_f64 v[28:29], v[28:29], 1.0
	v_add_f64 v[26:27], v[2:3], -v[26:27]
	v_add_f64 v[26:27], v[26:27], v[28:29]
	v_frexp_mant_f64_e32 v[28:29], v[6:7]
	v_frexp_exp_i32_f64_e32 v1, v[6:7]
	v_cmp_gt_f64_e32 vcc, s[28:29], v[28:29]
	v_subbrev_co_u32_e32 v1, vcc, 0, v1, vcc
	v_sub_u32_e32 v4, 0, v1
	v_ldexp_f64 v[6:7], v[6:7], v4
	v_add_f64 v[28:29], v[6:7], -1.0
	v_add_f64 v[94:95], v[6:7], 1.0
	v_add_f64 v[30:31], v[28:29], 1.0
	v_add_f64 v[96:97], v[94:95], -1.0
	v_ldexp_f64 v[26:27], v[26:27], v4
	v_add_f64 v[30:31], v[6:7], -v[30:31]
	v_add_f64 v[6:7], v[6:7], -v[96:97]
	v_add_f64 v[6:7], v[26:27], v[6:7]
	v_add_f64 v[30:31], v[26:27], v[30:31]
	v_add_f64 v[26:27], v[94:95], v[6:7]
	v_rcp_f64_e32 v[96:97], v[26:27]
	v_add_f64 v[32:33], v[28:29], v[30:31]
	v_add_f64 v[28:29], v[32:33], -v[28:29]
	v_add_f64 v[28:29], v[30:31], -v[28:29]
	;; [unrolled: 1-line block ×4, first 2 shown]
	v_fma_f64 v[30:31], -v[26:27], v[96:97], 1.0
	v_fmac_f64_e32 v[96:97], v[30:31], v[96:97]
	v_fma_f64 v[30:31], -v[26:27], v[96:97], 1.0
	v_fmac_f64_e32 v[96:97], v[30:31], v[96:97]
	v_mul_f64 v[30:31], v[32:33], v[96:97]
	v_mul_f64 v[94:95], v[26:27], v[30:31]
	v_fma_f64 v[98:99], v[30:31], v[26:27], -v[94:95]
	v_fmac_f64_e32 v[98:99], v[30:31], v[6:7]
	v_add_f64 v[100:101], v[94:95], v[98:99]
	v_add_f64 v[102:103], v[32:33], -v[100:101]
	v_add_f64 v[32:33], v[32:33], -v[102:103]
	;; [unrolled: 1-line block ×4, first 2 shown]
	v_add_f64 v[28:29], v[28:29], v[32:33]
	v_add_f64 v[32:33], v[94:95], -v[98:99]
	v_add_f64 v[28:29], v[32:33], v[28:29]
	v_add_f64 v[32:33], v[102:103], v[28:29]
	v_add_f64 v[94:95], v[102:103], -v[32:33]
	v_add_f64 v[28:29], v[28:29], v[94:95]
	v_mul_f64 v[94:95], v[96:97], v[32:33]
	v_mul_f64 v[98:99], v[26:27], v[94:95]
	v_fma_f64 v[26:27], v[94:95], v[26:27], -v[98:99]
	v_fmac_f64_e32 v[26:27], v[94:95], v[6:7]
	v_add_f64 v[6:7], v[98:99], v[26:27]
	v_add_f64 v[100:101], v[32:33], -v[6:7]
	v_add_f64 v[32:33], v[32:33], -v[100:101]
	v_add_f64 v[98:99], v[6:7], -v[98:99]
	v_add_f64 v[6:7], v[32:33], -v[6:7]
	v_add_f64 v[6:7], v[28:29], v[6:7]
	v_add_f64 v[26:27], v[98:99], -v[26:27]
	v_add_f64 v[6:7], v[26:27], v[6:7]
	v_add_f64 v[26:27], v[30:31], v[94:95]
	v_add_f64 v[6:7], v[100:101], v[6:7]
	v_add_f64 v[28:29], v[26:27], -v[30:31]
	v_mul_f64 v[6:7], v[96:97], v[6:7]
	v_add_f64 v[28:29], v[94:95], -v[28:29]
	v_add_f64 v[6:7], v[28:29], v[6:7]
	v_add_f64 v[28:29], v[26:27], v[6:7]
	v_add_f64 v[26:27], v[28:29], -v[26:27]
	v_add_f64 v[6:7], v[6:7], -v[26:27]
	v_mul_f64 v[26:27], v[28:29], v[28:29]
	v_pk_mov_b32 v[30:31], v[34:35], v[34:35] op_sel:[0,1]
	v_fmac_f64_e32 v[30:31], s[30:31], v[26:27]
	v_pk_mov_b32 v[32:33], v[36:37], v[36:37] op_sel:[0,1]
	v_fmac_f64_e32 v[32:33], v[26:27], v[30:31]
	;; [unrolled: 2-line block ×6, first 2 shown]
	v_cvt_f64_i32_e32 v[30:31], v1
	v_mul_f64 v[94:95], v[30:31], s[34:35]
	v_fma_f64 v[96:97], v[30:31], s[34:35], -v[94:95]
	v_fmac_f64_e32 v[96:97], s[36:37], v[30:31]
	v_add_f64 v[30:31], v[94:95], v[96:97]
	v_add_f64 v[94:95], v[30:31], -v[94:95]
	v_mul_f64 v[26:27], v[28:29], v[26:27]
	v_add_f64 v[94:95], v[96:97], -v[94:95]
	v_ldexp_f64 v[96:97], v[28:29], 1
	v_mul_f64 v[26:27], v[26:27], v[32:33]
	v_add_f64 v[28:29], v[96:97], v[26:27]
	v_add_f64 v[32:33], v[28:29], -v[96:97]
	v_ldexp_f64 v[6:7], v[6:7], 1
	v_add_f64 v[26:27], v[26:27], -v[32:33]
	v_add_f64 v[6:7], v[6:7], v[26:27]
	v_add_f64 v[26:27], v[28:29], v[6:7]
	v_add_f64 v[28:29], v[26:27], -v[28:29]
	v_add_f64 v[6:7], v[6:7], -v[28:29]
	v_add_f64 v[28:29], v[30:31], v[26:27]
	v_add_f64 v[32:33], v[28:29], -v[30:31]
	v_add_f64 v[96:97], v[28:29], -v[32:33]
	;; [unrolled: 1-line block ×4, first 2 shown]
	v_add_f64 v[26:27], v[26:27], v[30:31]
	v_add_f64 v[30:31], v[94:95], v[6:7]
	v_add_f64 v[32:33], v[30:31], -v[94:95]
	v_add_f64 v[26:27], v[30:31], v[26:27]
	v_add_f64 v[96:97], v[30:31], -v[32:33]
	;; [unrolled: 2-line block ×3, first 2 shown]
	v_add_f64 v[6:7], v[6:7], -v[32:33]
	v_add_f64 v[28:29], v[30:31], -v[28:29]
	v_add_f64 v[6:7], v[6:7], v[94:95]
	v_add_f64 v[26:27], v[26:27], -v[28:29]
	v_add_f64 v[6:7], v[6:7], v[26:27]
	v_max_f64 v[26:27], |v[16:17]|, |v[16:17]|
	v_max_f64 v[28:29], |v[14:15]|, |v[14:15]|
	v_add_f64 v[6:7], v[30:31], v[6:7]
	v_max_f64 v[30:31], v[28:29], v[26:27]
	v_min_f64 v[28:29], v[28:29], v[26:27]
	v_div_scale_f64 v[32:33], s[12:13], v[30:31], v[30:31], v[28:29]
	v_cmp_eq_f64_e32 vcc, s[38:39], v[2:3]
	v_rcp_f64_e32 v[94:95], v[32:33]
	v_cndmask_b32_e32 v7, v7, v3, vcc
	v_cndmask_b32_e32 v6, v6, v2, vcc
	v_mul_f64 v[6:7], v[6:7], 0.5
	v_cmp_ngt_f64_e32 vcc, -1.0, v[2:3]
	v_cndmask_b32_e32 v1, v112, v7, vcc
	v_cmp_nge_f64_e32 vcc, -1.0, v[2:3]
	v_cndmask_b32_e32 v26, 0, v6, vcc
	v_cmp_neq_f64_e32 vcc, -1.0, v[2:3]
	v_fma_f64 v[2:3], -v[32:33], v[94:95], 1.0
	v_fmac_f64_e32 v[94:95], v[94:95], v[2:3]
	v_fma_f64 v[2:3], -v[32:33], v[94:95], 1.0
	v_cndmask_b32_e32 v27, v113, v1, vcc
	v_fmac_f64_e32 v[94:95], v[94:95], v[2:3]
	v_div_scale_f64 v[2:3], vcc, v[28:29], v[30:31], v[28:29]
	v_mul_f64 v[6:7], v[2:3], v[94:95]
	v_fma_f64 v[2:3], -v[32:33], v[6:7], v[2:3]
	v_cmp_class_f64_e64 s[64:65], v[14:15], s75
	s_nop 0
	v_div_fmas_f64 v[2:3], v[2:3], v[94:95], v[6:7]
	v_div_fixup_f64 v[2:3], v[2:3], v[30:31], v[28:29]
	v_mul_f64 v[6:7], v[2:3], v[2:3]
	v_pk_mov_b32 v[28:29], v[46:47], v[46:47] op_sel:[0,1]
	v_fmac_f64_e32 v[28:29], s[40:41], v[6:7]
	v_pk_mov_b32 v[30:31], v[48:49], v[48:49] op_sel:[0,1]
	v_fmac_f64_e32 v[30:31], v[6:7], v[28:29]
	;; [unrolled: 2-line block ×19, first 2 shown]
	v_mul_f64 v[6:7], v[6:7], v[28:29]
	v_fmac_f64_e32 v[2:3], v[2:3], v[6:7]
	v_ashrrev_i32_e32 v6, 31, v15
	v_and_b32_e32 v8, 0x400921fb, v6
	v_and_b32_e32 v14, 0x54442d18, v6
	v_add_f64 v[6:7], -v[2:3], s[42:43]
	v_cndmask_b32_e64 v3, v3, v7, s[10:11]
	v_cndmask_b32_e64 v2, v2, v6, s[10:11]
	s_mov_b32 s44, s42
	v_cmp_gt_i32_e32 vcc, 0, v15
	v_add_f64 v[6:7], -v[2:3], s[44:45]
	v_cmp_class_f64_e64 s[12:13], v[16:17], s75
	v_cndmask_b32_e32 v1, v114, v115, vcc
	v_cndmask_b32_e32 v4, v116, v117, vcc
	;; [unrolled: 1-line block ×4, first 2 shown]
	v_cmp_eq_f64_e32 vcc, 0, v[16:17]
	v_bfi_b32 v4, s74, v4, v17
	v_cndmask_b32_e32 v2, v2, v14, vcc
	v_cndmask_b32_e32 v3, v3, v8, vcc
	s_and_b64 vcc, s[12:13], s[64:65]
	v_cndmask_b32_e32 v29, v3, v4, vcc
	v_cndmask_b32_e32 v28, v2, v1, vcc
.LBB174_93:                             ;   in Loop: Header=BB174_4 Depth=1
	s_or_b64 exec, exec, s[62:63]
.LBB174_94:                             ;   in Loop: Header=BB174_4 Depth=1
	s_or_b64 exec, exec, s[60:61]
.LBB174_95:                             ;   in Loop: Header=BB174_4 Depth=1
	s_andn2_saveexec_b64 s[58:59], s[58:59]
	s_cbranch_execz .LBB174_97
; %bb.96:                               ;   in Loop: Header=BB174_4 Depth=1
	v_max_f64 v[2:3], |v[16:17]|, |v[16:17]|
	v_max_f64 v[6:7], |v[14:15]|, |v[14:15]|
	v_max_f64 v[28:29], v[6:7], v[2:3]
	v_frexp_exp_i32_f64_e32 v1, v[28:29]
	v_sub_u32_e32 v4, 0, v1
	v_ldexp_f64 v[30:31], |v[16:17]|, v4
	v_ldexp_f64 v[26:27], |v[14:15]|, v4
	v_mul_f64 v[30:31], v[30:31], v[30:31]
	v_fmac_f64_e32 v[30:31], v[26:27], v[26:27]
	v_rsq_f64_e32 v[26:27], v[30:31]
	v_cmp_eq_f64_e32 vcc, 0, v[30:31]
	v_cmp_class_f64_e64 s[60:61], v[14:15], s75
	v_cmp_class_f64_e64 s[62:63], v[16:17], s75
	v_mul_f64 v[32:33], v[30:31], v[26:27]
	v_mul_f64 v[26:27], v[26:27], 0.5
	v_fma_f64 v[94:95], -v[26:27], v[32:33], 0.5
	v_fmac_f64_e32 v[32:33], v[32:33], v[94:95]
	v_fmac_f64_e32 v[26:27], v[26:27], v[94:95]
	v_fma_f64 v[94:95], -v[32:33], v[32:33], v[30:31]
	v_fmac_f64_e32 v[32:33], v[94:95], v[26:27]
	v_cndmask_b32_e32 v27, v33, v31, vcc
	v_cndmask_b32_e32 v26, v32, v30, vcc
	v_ldexp_f64 v[26:27], v[26:27], v1
	s_or_b64 vcc, s[62:63], s[60:61]
	v_cndmask_b32_e32 v31, v27, v119, vcc
	v_cndmask_b32_e64 v30, v26, 0, vcc
	v_frexp_mant_f64_e32 v[32:33], v[30:31]
	v_cmp_gt_f64_e64 s[12:13], s[28:29], v[32:33]
	v_cndmask_b32_e64 v85, v118, 2.0, s[12:13]
	v_mul_f64 v[32:33], v[32:33], v[84:85]
	v_add_f64 v[94:95], v[32:33], 1.0
	v_rcp_f64_e32 v[96:97], v[94:95]
	v_add_f64 v[100:101], v[94:95], -1.0
	v_add_f64 v[98:99], v[32:33], -1.0
	v_add_f64 v[32:33], v[32:33], -v[100:101]
	v_fma_f64 v[100:101], -v[94:95], v[96:97], 1.0
	v_fmac_f64_e32 v[96:97], v[100:101], v[96:97]
	v_fma_f64 v[100:101], -v[94:95], v[96:97], 1.0
	v_fmac_f64_e32 v[96:97], v[100:101], v[96:97]
	v_mul_f64 v[100:101], v[98:99], v[96:97]
	v_mul_f64 v[102:103], v[94:95], v[100:101]
	v_fma_f64 v[94:95], v[100:101], v[94:95], -v[102:103]
	v_fmac_f64_e32 v[94:95], v[100:101], v[32:33]
	v_add_f64 v[32:33], v[102:103], v[94:95]
	v_add_f64 v[104:105], v[98:99], -v[32:33]
	v_add_f64 v[102:103], v[32:33], -v[102:103]
	;; [unrolled: 1-line block ×5, first 2 shown]
	v_add_f64 v[32:33], v[94:95], v[32:33]
	v_add_f64 v[32:33], v[104:105], v[32:33]
	v_mul_f64 v[32:33], v[96:97], v[32:33]
	v_add_f64 v[94:95], v[100:101], v[32:33]
	v_add_f64 v[96:97], v[94:95], -v[100:101]
	v_add_f64 v[32:33], v[32:33], -v[96:97]
	v_mul_f64 v[96:97], v[94:95], v[94:95]
	v_pk_mov_b32 v[98:99], v[34:35], v[34:35] op_sel:[0,1]
	v_fmac_f64_e32 v[98:99], s[30:31], v[96:97]
	v_pk_mov_b32 v[100:101], v[36:37], v[36:37] op_sel:[0,1]
	v_fmac_f64_e32 v[100:101], v[96:97], v[98:99]
	v_pk_mov_b32 v[98:99], v[38:39], v[38:39] op_sel:[0,1]
	v_fmac_f64_e32 v[98:99], v[96:97], v[100:101]
	v_pk_mov_b32 v[100:101], v[40:41], v[40:41] op_sel:[0,1]
	v_fmac_f64_e32 v[100:101], v[96:97], v[98:99]
	v_pk_mov_b32 v[98:99], v[42:43], v[42:43] op_sel:[0,1]
	v_fmac_f64_e32 v[98:99], v[96:97], v[100:101]
	v_pk_mov_b32 v[100:101], v[44:45], v[44:45] op_sel:[0,1]
	v_fmac_f64_e32 v[100:101], v[96:97], v[98:99]
	v_ldexp_f64 v[98:99], v[94:95], 1
	v_mul_f64 v[94:95], v[94:95], v[96:97]
	v_mul_f64 v[94:95], v[94:95], v[100:101]
	v_add_f64 v[96:97], v[98:99], v[94:95]
	v_add_f64 v[98:99], v[96:97], -v[98:99]
	v_ldexp_f64 v[32:33], v[32:33], 1
	v_add_f64 v[94:95], v[94:95], -v[98:99]
	v_add_f64 v[32:33], v[32:33], v[94:95]
	v_frexp_exp_i32_f64_e32 v1, v[30:31]
	v_add_f64 v[94:95], v[96:97], v[32:33]
	v_subbrev_co_u32_e64 v1, s[12:13], 0, v1, s[12:13]
	v_add_f64 v[96:97], v[94:95], -v[96:97]
	v_add_f64 v[32:33], v[32:33], -v[96:97]
	v_cvt_f64_i32_e32 v[96:97], v1
	v_mul_f64 v[98:99], v[96:97], s[34:35]
	v_fma_f64 v[100:101], v[96:97], s[34:35], -v[98:99]
	v_fmac_f64_e32 v[100:101], s[36:37], v[96:97]
	v_add_f64 v[96:97], v[98:99], v[100:101]
	v_add_f64 v[98:99], v[96:97], -v[98:99]
	v_add_f64 v[98:99], v[100:101], -v[98:99]
	v_add_f64 v[100:101], v[96:97], v[94:95]
	v_add_f64 v[102:103], v[100:101], -v[96:97]
	v_add_f64 v[104:105], v[100:101], -v[102:103]
	;; [unrolled: 1-line block ×4, first 2 shown]
	v_add_f64 v[94:95], v[94:95], v[96:97]
	v_add_f64 v[96:97], v[98:99], v[32:33]
	v_add_f64 v[102:103], v[96:97], -v[98:99]
	v_add_f64 v[104:105], v[96:97], -v[102:103]
	v_add_f64 v[94:95], v[96:97], v[94:95]
	v_add_f64 v[98:99], v[98:99], -v[104:105]
	v_add_f64 v[32:33], v[32:33], -v[102:103]
	v_add_f64 v[96:97], v[100:101], v[94:95]
	v_add_f64 v[32:33], v[32:33], v[98:99]
	v_add_f64 v[98:99], v[96:97], -v[100:101]
	v_add_f64 v[94:95], v[94:95], -v[98:99]
	v_add_f64 v[32:33], v[32:33], v[94:95]
	v_add_f64 v[32:33], v[96:97], v[32:33]
	v_cmp_class_f64_e64 s[12:13], v[26:27], s75
	v_min_f64 v[2:3], v[6:7], v[2:3]
	v_cndmask_b32_e64 v1, v33, v27, s[12:13]
	v_cndmask_b32_e64 v4, v32, v26, s[12:13]
	v_div_scale_f64 v[6:7], s[12:13], v[28:29], v[28:29], v[2:3]
	v_rcp_f64_e32 v[32:33], v[6:7]
	v_cndmask_b32_e64 v4, v4, 0, vcc
	v_cndmask_b32_e32 v1, v1, v119, vcc
	v_cmp_ngt_f64_e32 vcc, 0, v[30:31]
	v_cndmask_b32_e32 v1, v112, v1, vcc
	v_cmp_nge_f64_e32 vcc, 0, v[30:31]
	v_cndmask_b32_e32 v26, 0, v4, vcc
	v_cmp_neq_f64_e32 vcc, 0, v[30:31]
	v_fma_f64 v[30:31], -v[6:7], v[32:33], 1.0
	v_fmac_f64_e32 v[32:33], v[32:33], v[30:31]
	v_fma_f64 v[30:31], -v[6:7], v[32:33], 1.0
	v_cndmask_b32_e32 v27, v113, v1, vcc
	v_fmac_f64_e32 v[32:33], v[32:33], v[30:31]
	v_div_scale_f64 v[30:31], vcc, v[2:3], v[28:29], v[2:3]
	v_mul_f64 v[94:95], v[30:31], v[32:33]
	v_fma_f64 v[6:7], -v[6:7], v[94:95], v[30:31]
	v_pk_mov_b32 v[30:31], v[48:49], v[48:49] op_sel:[0,1]
	s_nop 0
	v_div_fmas_f64 v[6:7], v[6:7], v[32:33], v[94:95]
	v_div_fixup_f64 v[2:3], v[6:7], v[28:29], v[2:3]
	v_mul_f64 v[6:7], v[2:3], v[2:3]
	v_pk_mov_b32 v[28:29], v[46:47], v[46:47] op_sel:[0,1]
	v_fmac_f64_e32 v[28:29], s[40:41], v[6:7]
	v_fmac_f64_e32 v[30:31], v[6:7], v[28:29]
	v_pk_mov_b32 v[28:29], v[50:51], v[50:51] op_sel:[0,1]
	v_fmac_f64_e32 v[28:29], v[6:7], v[30:31]
	v_pk_mov_b32 v[30:31], v[52:53], v[52:53] op_sel:[0,1]
	;; [unrolled: 2-line block ×17, first 2 shown]
	v_fmac_f64_e32 v[28:29], v[6:7], v[30:31]
	v_mul_f64 v[6:7], v[6:7], v[28:29]
	v_fmac_f64_e32 v[2:3], v[2:3], v[6:7]
	v_ashrrev_i32_e32 v6, 31, v15
	v_and_b32_e32 v8, 0x400921fb, v6
	v_and_b32_e32 v14, 0x54442d18, v6
	v_add_f64 v[6:7], -v[2:3], s[42:43]
	v_cndmask_b32_e64 v3, v3, v7, s[10:11]
	v_cndmask_b32_e64 v2, v2, v6, s[10:11]
	s_mov_b32 s44, s42
	v_cmp_gt_i32_e32 vcc, 0, v15
	v_add_f64 v[6:7], -v[2:3], s[44:45]
	v_cndmask_b32_e32 v1, v114, v115, vcc
	v_cndmask_b32_e32 v4, v116, v117, vcc
	;; [unrolled: 1-line block ×4, first 2 shown]
	v_cmp_eq_f64_e32 vcc, 0, v[16:17]
	v_bfi_b32 v4, s74, v4, v17
	v_cndmask_b32_e32 v2, v2, v14, vcc
	v_cndmask_b32_e32 v3, v3, v8, vcc
	s_and_b64 vcc, s[62:63], s[60:61]
	v_cndmask_b32_e32 v29, v3, v4, vcc
	v_cndmask_b32_e32 v28, v2, v1, vcc
.LBB174_97:                             ;   in Loop: Header=BB174_4 Depth=1
	s_or_b64 exec, exec, s[58:59]
                                        ; implicit-def: $vgpr2_vgpr3
.LBB174_98:                             ;   in Loop: Header=BB174_4 Depth=1
	s_andn2_saveexec_b64 s[12:13], s[56:57]
	s_cbranch_execz .LBB174_104
; %bb.99:                               ;   in Loop: Header=BB174_4 Depth=1
	v_cmp_ngt_f64_e32 vcc, s[48:49], v[2:3]
                                        ; implicit-def: $vgpr26_vgpr27
	s_and_saveexec_b64 s[56:57], vcc
	s_xor_b64 s[56:57], exec, s[56:57]
	s_cbranch_execz .LBB174_101
; %bb.100:                              ;   in Loop: Header=BB174_4 Depth=1
	v_mul_f64 v[2:3], v[2:3], v[2:3]
	v_add_f64 v[6:7], v[2:3], 1.0
	v_add_f64 v[26:27], v[6:7], -1.0
	v_add_f64 v[28:29], v[26:27], -v[6:7]
	v_add_f64 v[28:29], v[28:29], 1.0
	v_add_f64 v[26:27], v[2:3], -v[26:27]
	v_add_f64 v[26:27], v[26:27], v[28:29]
	v_frexp_mant_f64_e32 v[28:29], v[6:7]
	v_frexp_exp_i32_f64_e32 v1, v[6:7]
	v_cmp_gt_f64_e32 vcc, s[28:29], v[28:29]
	v_subbrev_co_u32_e32 v1, vcc, 0, v1, vcc
	v_sub_u32_e32 v4, 0, v1
	v_ldexp_f64 v[6:7], v[6:7], v4
	v_add_f64 v[28:29], v[6:7], -1.0
	v_add_f64 v[94:95], v[6:7], 1.0
	v_add_f64 v[30:31], v[28:29], 1.0
	v_add_f64 v[96:97], v[94:95], -1.0
	v_ldexp_f64 v[26:27], v[26:27], v4
	v_add_f64 v[30:31], v[6:7], -v[30:31]
	v_add_f64 v[6:7], v[6:7], -v[96:97]
	v_add_f64 v[6:7], v[26:27], v[6:7]
	v_add_f64 v[30:31], v[26:27], v[30:31]
	v_add_f64 v[26:27], v[94:95], v[6:7]
	v_rcp_f64_e32 v[96:97], v[26:27]
	v_add_f64 v[32:33], v[28:29], v[30:31]
	v_add_f64 v[28:29], v[28:29], -v[32:33]
	v_add_f64 v[28:29], v[30:31], v[28:29]
	v_add_f64 v[30:31], v[94:95], -v[26:27]
	v_add_f64 v[6:7], v[6:7], v[30:31]
	v_fma_f64 v[30:31], -v[26:27], v[96:97], 1.0
	v_fmac_f64_e32 v[96:97], v[30:31], v[96:97]
	v_fma_f64 v[30:31], -v[26:27], v[96:97], 1.0
	v_fmac_f64_e32 v[96:97], v[30:31], v[96:97]
	v_mul_f64 v[30:31], v[32:33], v[96:97]
	v_mul_f64 v[94:95], v[26:27], v[30:31]
	v_fma_f64 v[98:99], v[30:31], v[26:27], -v[94:95]
	v_fmac_f64_e32 v[98:99], v[30:31], v[6:7]
	v_add_f64 v[100:101], v[94:95], v[98:99]
	v_add_f64 v[102:103], v[32:33], -v[100:101]
	v_add_f64 v[32:33], v[32:33], -v[102:103]
	;; [unrolled: 1-line block ×4, first 2 shown]
	v_add_f64 v[28:29], v[28:29], v[32:33]
	v_add_f64 v[32:33], v[94:95], -v[98:99]
	v_add_f64 v[28:29], v[32:33], v[28:29]
	v_add_f64 v[32:33], v[102:103], v[28:29]
	v_add_f64 v[94:95], v[102:103], -v[32:33]
	v_add_f64 v[28:29], v[28:29], v[94:95]
	v_mul_f64 v[94:95], v[96:97], v[32:33]
	v_mul_f64 v[98:99], v[26:27], v[94:95]
	v_fma_f64 v[26:27], v[94:95], v[26:27], -v[98:99]
	v_fmac_f64_e32 v[26:27], v[94:95], v[6:7]
	v_add_f64 v[6:7], v[98:99], v[26:27]
	v_add_f64 v[100:101], v[32:33], -v[6:7]
	v_add_f64 v[32:33], v[32:33], -v[100:101]
	;; [unrolled: 1-line block ×4, first 2 shown]
	v_add_f64 v[6:7], v[28:29], v[6:7]
	v_add_f64 v[26:27], v[98:99], -v[26:27]
	v_add_f64 v[6:7], v[26:27], v[6:7]
	v_add_f64 v[26:27], v[30:31], v[94:95]
	;; [unrolled: 1-line block ×3, first 2 shown]
	v_add_f64 v[28:29], v[26:27], -v[30:31]
	v_mul_f64 v[6:7], v[96:97], v[6:7]
	v_add_f64 v[28:29], v[94:95], -v[28:29]
	v_add_f64 v[6:7], v[28:29], v[6:7]
	v_add_f64 v[28:29], v[26:27], v[6:7]
	v_add_f64 v[26:27], v[28:29], -v[26:27]
	v_add_f64 v[6:7], v[6:7], -v[26:27]
	v_mul_f64 v[26:27], v[28:29], v[28:29]
	v_pk_mov_b32 v[30:31], v[34:35], v[34:35] op_sel:[0,1]
	v_fmac_f64_e32 v[30:31], s[30:31], v[26:27]
	v_pk_mov_b32 v[32:33], v[36:37], v[36:37] op_sel:[0,1]
	v_fmac_f64_e32 v[32:33], v[26:27], v[30:31]
	;; [unrolled: 2-line block ×6, first 2 shown]
	v_cvt_f64_i32_e32 v[30:31], v1
	v_mul_f64 v[94:95], v[30:31], s[34:35]
	v_fma_f64 v[96:97], v[30:31], s[34:35], -v[94:95]
	v_fmac_f64_e32 v[96:97], s[36:37], v[30:31]
	v_add_f64 v[30:31], v[94:95], v[96:97]
	v_add_f64 v[94:95], v[30:31], -v[94:95]
	v_mul_f64 v[26:27], v[28:29], v[26:27]
	v_add_f64 v[94:95], v[96:97], -v[94:95]
	v_ldexp_f64 v[96:97], v[28:29], 1
	v_mul_f64 v[26:27], v[26:27], v[32:33]
	v_add_f64 v[28:29], v[96:97], v[26:27]
	v_add_f64 v[32:33], v[28:29], -v[96:97]
	v_ldexp_f64 v[6:7], v[6:7], 1
	v_add_f64 v[26:27], v[26:27], -v[32:33]
	v_add_f64 v[6:7], v[6:7], v[26:27]
	v_add_f64 v[26:27], v[28:29], v[6:7]
	v_add_f64 v[28:29], v[26:27], -v[28:29]
	v_add_f64 v[6:7], v[6:7], -v[28:29]
	v_add_f64 v[28:29], v[30:31], v[26:27]
	v_add_f64 v[32:33], v[28:29], -v[30:31]
	v_add_f64 v[96:97], v[28:29], -v[32:33]
	;; [unrolled: 1-line block ×4, first 2 shown]
	v_add_f64 v[26:27], v[26:27], v[30:31]
	v_add_f64 v[30:31], v[94:95], v[6:7]
	v_add_f64 v[32:33], v[30:31], -v[94:95]
	v_add_f64 v[26:27], v[30:31], v[26:27]
	v_add_f64 v[96:97], v[30:31], -v[32:33]
	;; [unrolled: 2-line block ×3, first 2 shown]
	v_add_f64 v[6:7], v[6:7], -v[32:33]
	v_add_f64 v[28:29], v[30:31], -v[28:29]
	v_add_f64 v[6:7], v[6:7], v[94:95]
	v_add_f64 v[26:27], v[26:27], -v[28:29]
	v_add_f64 v[6:7], v[6:7], v[26:27]
	v_max_f64 v[26:27], |v[16:17]|, |v[16:17]|
	v_max_f64 v[28:29], |v[14:15]|, |v[14:15]|
	v_add_f64 v[6:7], v[30:31], v[6:7]
	v_max_f64 v[30:31], v[28:29], v[26:27]
	v_min_f64 v[28:29], v[28:29], v[26:27]
	v_div_scale_f64 v[32:33], s[58:59], v[30:31], v[30:31], v[28:29]
	v_rcp_f64_e32 v[94:95], v[32:33]
	v_cmp_eq_f64_e32 vcc, s[38:39], v[2:3]
	v_cndmask_b32_e32 v3, v7, v3, vcc
	v_cndmask_b32_e32 v2, v6, v2, vcc
	v_mul_f64 v[26:27], v[2:3], 0.5
	v_fma_f64 v[2:3], -v[32:33], v[94:95], 1.0
	v_fmac_f64_e32 v[94:95], v[94:95], v[2:3]
	v_fma_f64 v[2:3], -v[32:33], v[94:95], 1.0
	v_fmac_f64_e32 v[94:95], v[94:95], v[2:3]
	v_div_scale_f64 v[2:3], vcc, v[28:29], v[30:31], v[28:29]
	v_mul_f64 v[6:7], v[2:3], v[94:95]
	v_fma_f64 v[2:3], -v[32:33], v[6:7], v[2:3]
	v_cmp_class_f64_e64 s[60:61], v[14:15], s75
	s_nop 0
	v_div_fmas_f64 v[2:3], v[2:3], v[94:95], v[6:7]
	v_div_fixup_f64 v[2:3], v[2:3], v[30:31], v[28:29]
	v_mul_f64 v[6:7], v[2:3], v[2:3]
	v_pk_mov_b32 v[28:29], v[46:47], v[46:47] op_sel:[0,1]
	v_fmac_f64_e32 v[28:29], s[40:41], v[6:7]
	v_pk_mov_b32 v[30:31], v[48:49], v[48:49] op_sel:[0,1]
	v_fmac_f64_e32 v[30:31], v[6:7], v[28:29]
	v_pk_mov_b32 v[28:29], v[50:51], v[50:51] op_sel:[0,1]
	v_fmac_f64_e32 v[28:29], v[6:7], v[30:31]
	v_pk_mov_b32 v[30:31], v[52:53], v[52:53] op_sel:[0,1]
	v_fmac_f64_e32 v[30:31], v[6:7], v[28:29]
	v_pk_mov_b32 v[28:29], v[54:55], v[54:55] op_sel:[0,1]
	v_fmac_f64_e32 v[28:29], v[6:7], v[30:31]
	v_pk_mov_b32 v[30:31], v[56:57], v[56:57] op_sel:[0,1]
	v_fmac_f64_e32 v[30:31], v[6:7], v[28:29]
	v_pk_mov_b32 v[28:29], v[58:59], v[58:59] op_sel:[0,1]
	v_fmac_f64_e32 v[28:29], v[6:7], v[30:31]
	v_pk_mov_b32 v[30:31], v[60:61], v[60:61] op_sel:[0,1]
	v_fmac_f64_e32 v[30:31], v[6:7], v[28:29]
	v_pk_mov_b32 v[28:29], v[62:63], v[62:63] op_sel:[0,1]
	v_fmac_f64_e32 v[28:29], v[6:7], v[30:31]
	v_pk_mov_b32 v[30:31], v[64:65], v[64:65] op_sel:[0,1]
	v_fmac_f64_e32 v[30:31], v[6:7], v[28:29]
	v_pk_mov_b32 v[28:29], v[66:67], v[66:67] op_sel:[0,1]
	v_fmac_f64_e32 v[28:29], v[6:7], v[30:31]
	v_pk_mov_b32 v[30:31], v[68:69], v[68:69] op_sel:[0,1]
	v_fmac_f64_e32 v[30:31], v[6:7], v[28:29]
	v_pk_mov_b32 v[28:29], v[70:71], v[70:71] op_sel:[0,1]
	v_fmac_f64_e32 v[28:29], v[6:7], v[30:31]
	v_pk_mov_b32 v[30:31], v[72:73], v[72:73] op_sel:[0,1]
	v_fmac_f64_e32 v[30:31], v[6:7], v[28:29]
	v_pk_mov_b32 v[28:29], v[74:75], v[74:75] op_sel:[0,1]
	v_fmac_f64_e32 v[28:29], v[6:7], v[30:31]
	v_pk_mov_b32 v[30:31], v[76:77], v[76:77] op_sel:[0,1]
	v_fmac_f64_e32 v[30:31], v[6:7], v[28:29]
	v_pk_mov_b32 v[28:29], v[78:79], v[78:79] op_sel:[0,1]
	v_fmac_f64_e32 v[28:29], v[6:7], v[30:31]
	v_pk_mov_b32 v[30:31], v[80:81], v[80:81] op_sel:[0,1]
	v_fmac_f64_e32 v[30:31], v[6:7], v[28:29]
	v_pk_mov_b32 v[28:29], v[82:83], v[82:83] op_sel:[0,1]
	v_fmac_f64_e32 v[28:29], v[6:7], v[30:31]
	v_mul_f64 v[6:7], v[6:7], v[28:29]
	v_fmac_f64_e32 v[2:3], v[2:3], v[6:7]
	v_ashrrev_i32_e32 v6, 31, v15
	v_and_b32_e32 v8, 0x400921fb, v6
	v_and_b32_e32 v14, 0x54442d18, v6
	v_add_f64 v[6:7], -v[2:3], s[42:43]
	v_cndmask_b32_e64 v3, v3, v7, s[10:11]
	v_cndmask_b32_e64 v2, v2, v6, s[10:11]
	s_mov_b32 s44, s42
	v_cmp_gt_i32_e32 vcc, 0, v15
	v_add_f64 v[6:7], -v[2:3], s[44:45]
	v_cmp_class_f64_e64 s[58:59], v[16:17], s75
	v_cndmask_b32_e32 v1, v114, v115, vcc
	v_cndmask_b32_e32 v4, v116, v117, vcc
	;; [unrolled: 1-line block ×4, first 2 shown]
	v_cmp_eq_f64_e32 vcc, 0, v[16:17]
	v_bfi_b32 v4, s74, v4, v17
	v_cndmask_b32_e32 v2, v2, v14, vcc
	v_cndmask_b32_e32 v3, v3, v8, vcc
	s_and_b64 vcc, s[58:59], s[60:61]
	v_cndmask_b32_e32 v29, v3, v4, vcc
	v_cndmask_b32_e32 v28, v2, v1, vcc
                                        ; implicit-def: $vgpr2_vgpr3
.LBB174_101:                            ;   in Loop: Header=BB174_4 Depth=1
	s_andn2_saveexec_b64 s[56:57], s[56:57]
	s_cbranch_execz .LBB174_103
; %bb.102:                              ;   in Loop: Header=BB174_4 Depth=1
	v_max_f64 v[6:7], |v[16:17]|, |v[16:17]|
	v_max_f64 v[26:27], |v[14:15]|, |v[14:15]|
	v_max_f64 v[28:29], v[26:27], v[6:7]
	v_min_f64 v[6:7], v[26:27], v[6:7]
	v_div_scale_f64 v[30:31], s[58:59], v[28:29], v[28:29], v[6:7]
	v_rcp_f64_e32 v[32:33], v[30:31]
	v_mul_f64 v[26:27], v[2:3], 0.5
	v_mul_f64 v[26:27], v[2:3], v[26:27]
	v_cmp_class_f64_e64 s[60:61], v[14:15], s75
	v_fma_f64 v[2:3], -v[30:31], v[32:33], 1.0
	v_fmac_f64_e32 v[32:33], v[32:33], v[2:3]
	v_fma_f64 v[2:3], -v[30:31], v[32:33], 1.0
	v_fmac_f64_e32 v[32:33], v[32:33], v[2:3]
	v_div_scale_f64 v[2:3], vcc, v[6:7], v[28:29], v[6:7]
	v_mul_f64 v[94:95], v[2:3], v[32:33]
	v_fma_f64 v[2:3], -v[30:31], v[94:95], v[2:3]
	v_pk_mov_b32 v[30:31], v[48:49], v[48:49] op_sel:[0,1]
	s_nop 0
	v_div_fmas_f64 v[2:3], v[2:3], v[32:33], v[94:95]
	v_div_fixup_f64 v[2:3], v[2:3], v[28:29], v[6:7]
	v_mul_f64 v[6:7], v[2:3], v[2:3]
	v_pk_mov_b32 v[28:29], v[46:47], v[46:47] op_sel:[0,1]
	v_fmac_f64_e32 v[28:29], s[40:41], v[6:7]
	v_fmac_f64_e32 v[30:31], v[6:7], v[28:29]
	v_pk_mov_b32 v[28:29], v[50:51], v[50:51] op_sel:[0,1]
	v_fmac_f64_e32 v[28:29], v[6:7], v[30:31]
	v_pk_mov_b32 v[30:31], v[52:53], v[52:53] op_sel:[0,1]
	;; [unrolled: 2-line block ×17, first 2 shown]
	v_fmac_f64_e32 v[28:29], v[6:7], v[30:31]
	v_mul_f64 v[6:7], v[6:7], v[28:29]
	v_fmac_f64_e32 v[2:3], v[2:3], v[6:7]
	v_ashrrev_i32_e32 v6, 31, v15
	v_and_b32_e32 v8, 0x400921fb, v6
	v_and_b32_e32 v14, 0x54442d18, v6
	v_add_f64 v[6:7], -v[2:3], s[42:43]
	v_cndmask_b32_e64 v3, v3, v7, s[10:11]
	v_cndmask_b32_e64 v2, v2, v6, s[10:11]
	s_mov_b32 s44, s42
	v_cmp_gt_i32_e32 vcc, 0, v15
	v_add_f64 v[6:7], -v[2:3], s[44:45]
	v_cmp_class_f64_e64 s[58:59], v[16:17], s75
	v_cndmask_b32_e32 v1, v114, v115, vcc
	v_cndmask_b32_e32 v4, v116, v117, vcc
	;; [unrolled: 1-line block ×4, first 2 shown]
	v_cmp_eq_f64_e32 vcc, 0, v[16:17]
	v_bfi_b32 v4, s74, v4, v17
	v_cndmask_b32_e32 v2, v2, v14, vcc
	v_cndmask_b32_e32 v3, v3, v8, vcc
	s_and_b64 vcc, s[58:59], s[60:61]
	v_cndmask_b32_e32 v29, v3, v4, vcc
	v_cndmask_b32_e32 v28, v2, v1, vcc
.LBB174_103:                            ;   in Loop: Header=BB174_4 Depth=1
	s_or_b64 exec, exec, s[56:57]
.LBB174_104:                            ;   in Loop: Header=BB174_4 Depth=1
	s_or_b64 exec, exec, s[12:13]
.LBB174_105:                            ;   in Loop: Header=BB174_4 Depth=1
	s_andn2_saveexec_b64 s[56:57], s[14:15]
	s_cbranch_execz .LBB174_107
; %bb.106:                              ;   in Loop: Header=BB174_4 Depth=1
	v_div_scale_f64 v[2:3], s[12:13], s[50:51], s[50:51], v[14:15]
	v_rcp_f64_e32 v[6:7], v[2:3]
	v_div_scale_f64 v[26:27], vcc, v[14:15], s[50:51], v[14:15]
	s_mov_b32 s44, s42
	v_fma_f64 v[28:29], -v[2:3], v[6:7], 1.0
	v_fmac_f64_e32 v[6:7], v[6:7], v[28:29]
	v_fma_f64 v[28:29], -v[2:3], v[6:7], 1.0
	v_fmac_f64_e32 v[6:7], v[6:7], v[28:29]
	v_mul_f64 v[28:29], v[26:27], v[6:7]
	v_fma_f64 v[2:3], -v[2:3], v[28:29], v[26:27]
	v_div_scale_f64 v[26:27], s[12:13], s[50:51], s[50:51], v[16:17]
	v_rcp_f64_e32 v[30:31], v[26:27]
	v_div_fmas_f64 v[2:3], v[2:3], v[6:7], v[28:29]
	v_div_fixup_f64 v[2:3], v[2:3], s[50:51], v[14:15]
	v_cmp_class_f64_e64 s[14:15], v[2:3], s75
	v_fma_f64 v[6:7], -v[26:27], v[30:31], 1.0
	v_fmac_f64_e32 v[30:31], v[30:31], v[6:7]
	v_fma_f64 v[6:7], -v[26:27], v[30:31], 1.0
	v_fmac_f64_e32 v[30:31], v[30:31], v[6:7]
	v_div_scale_f64 v[6:7], vcc, v[16:17], s[50:51], v[16:17]
	v_mul_f64 v[28:29], v[6:7], v[30:31]
	v_fma_f64 v[6:7], -v[26:27], v[28:29], v[6:7]
	s_nop 1
	v_div_fmas_f64 v[6:7], v[6:7], v[30:31], v[28:29]
	v_div_fixup_f64 v[6:7], v[6:7], s[50:51], v[16:17]
	v_max_f64 v[26:27], |v[2:3]|, |v[6:7]|
	v_frexp_exp_i32_f64_e32 v1, v[26:27]
	v_sub_u32_e32 v4, 0, v1
	v_ldexp_f64 v[28:29], |v[6:7]|, v4
	v_ldexp_f64 v[26:27], |v[2:3]|, v4
	v_mul_f64 v[28:29], v[28:29], v[28:29]
	v_fmac_f64_e32 v[28:29], v[26:27], v[26:27]
	v_rsq_f64_e32 v[26:27], v[28:29]
	v_cmp_eq_f64_e32 vcc, 0, v[28:29]
	v_cmp_o_f64_e64 s[12:13], v[2:3], v[6:7]
	v_cmp_class_f64_e64 s[58:59], v[6:7], s75
	v_mul_f64 v[30:31], v[28:29], v[26:27]
	v_mul_f64 v[26:27], v[26:27], 0.5
	v_fma_f64 v[32:33], -v[26:27], v[30:31], 0.5
	v_fmac_f64_e32 v[30:31], v[30:31], v[32:33]
	v_fmac_f64_e32 v[26:27], v[26:27], v[32:33]
	v_fma_f64 v[32:33], -v[30:31], v[30:31], v[28:29]
	v_fmac_f64_e32 v[30:31], v[32:33], v[26:27]
	v_cndmask_b32_e32 v27, v31, v29, vcc
	v_cndmask_b32_e32 v26, v30, v28, vcc
	v_ldexp_f64 v[26:27], v[26:27], v1
	v_cndmask_b32_e64 v1, 0, v26, s[12:13]
	v_cndmask_b32_e64 v4, v112, v27, s[12:13]
	s_or_b64 vcc, s[58:59], s[14:15]
	v_cndmask_b32_e32 v3, v4, v119, vcc
	v_cndmask_b32_e64 v2, v1, 0, vcc
	v_frexp_mant_f64_e32 v[6:7], v[2:3]
	v_cmp_gt_f64_e64 s[14:15], s[28:29], v[6:7]
	v_cndmask_b32_e64 v85, v118, 2.0, s[14:15]
	v_mul_f64 v[6:7], v[6:7], v[84:85]
	v_add_f64 v[28:29], v[6:7], 1.0
	v_rcp_f64_e32 v[30:31], v[28:29]
	v_add_f64 v[94:95], v[28:29], -1.0
	v_add_f64 v[32:33], v[6:7], -1.0
	v_add_f64 v[6:7], v[6:7], -v[94:95]
	v_fma_f64 v[94:95], -v[28:29], v[30:31], 1.0
	v_fmac_f64_e32 v[30:31], v[94:95], v[30:31]
	v_fma_f64 v[94:95], -v[28:29], v[30:31], 1.0
	v_fmac_f64_e32 v[30:31], v[94:95], v[30:31]
	v_mul_f64 v[94:95], v[32:33], v[30:31]
	v_mul_f64 v[96:97], v[28:29], v[94:95]
	v_fma_f64 v[28:29], v[94:95], v[28:29], -v[96:97]
	v_fmac_f64_e32 v[28:29], v[94:95], v[6:7]
	v_add_f64 v[6:7], v[96:97], v[28:29]
	v_add_f64 v[98:99], v[32:33], -v[6:7]
	v_add_f64 v[96:97], v[6:7], -v[96:97]
	;; [unrolled: 1-line block ×5, first 2 shown]
	v_add_f64 v[6:7], v[28:29], v[6:7]
	v_add_f64 v[6:7], v[98:99], v[6:7]
	v_mul_f64 v[6:7], v[30:31], v[6:7]
	v_add_f64 v[28:29], v[94:95], v[6:7]
	v_add_f64 v[30:31], v[28:29], -v[94:95]
	v_add_f64 v[6:7], v[6:7], -v[30:31]
	v_mul_f64 v[30:31], v[28:29], v[28:29]
	v_pk_mov_b32 v[32:33], v[34:35], v[34:35] op_sel:[0,1]
	v_fmac_f64_e32 v[32:33], s[30:31], v[30:31]
	v_pk_mov_b32 v[94:95], v[36:37], v[36:37] op_sel:[0,1]
	v_fmac_f64_e32 v[94:95], v[30:31], v[32:33]
	;; [unrolled: 2-line block ×6, first 2 shown]
	v_ldexp_f64 v[32:33], v[28:29], 1
	v_mul_f64 v[28:29], v[28:29], v[30:31]
	v_mul_f64 v[28:29], v[28:29], v[94:95]
	v_add_f64 v[30:31], v[32:33], v[28:29]
	v_add_f64 v[32:33], v[30:31], -v[32:33]
	v_ldexp_f64 v[6:7], v[6:7], 1
	v_add_f64 v[28:29], v[28:29], -v[32:33]
	v_add_f64 v[6:7], v[6:7], v[28:29]
	v_frexp_exp_i32_f64_e32 v8, v[2:3]
	v_add_f64 v[28:29], v[30:31], v[6:7]
	v_subbrev_co_u32_e64 v8, s[14:15], 0, v8, s[14:15]
	v_add_f64 v[30:31], v[28:29], -v[30:31]
	v_add_f64 v[6:7], v[6:7], -v[30:31]
	v_cvt_f64_i32_e32 v[30:31], v8
	v_mul_f64 v[32:33], v[30:31], s[34:35]
	v_fma_f64 v[94:95], v[30:31], s[34:35], -v[32:33]
	v_fmac_f64_e32 v[94:95], s[36:37], v[30:31]
	v_add_f64 v[30:31], v[32:33], v[94:95]
	v_add_f64 v[32:33], v[30:31], -v[32:33]
	v_add_f64 v[32:33], v[94:95], -v[32:33]
	v_add_f64 v[94:95], v[30:31], v[28:29]
	v_add_f64 v[96:97], v[94:95], -v[30:31]
	v_add_f64 v[98:99], v[94:95], -v[96:97]
	;; [unrolled: 1-line block ×4, first 2 shown]
	v_add_f64 v[28:29], v[28:29], v[30:31]
	v_add_f64 v[30:31], v[32:33], v[6:7]
	v_add_f64 v[96:97], v[30:31], -v[32:33]
	v_add_f64 v[98:99], v[30:31], -v[96:97]
	v_add_f64 v[28:29], v[30:31], v[28:29]
	v_add_f64 v[32:33], v[32:33], -v[98:99]
	v_add_f64 v[6:7], v[6:7], -v[96:97]
	v_add_f64 v[30:31], v[94:95], v[28:29]
	v_add_f64 v[6:7], v[6:7], v[32:33]
	v_add_f64 v[32:33], v[30:31], -v[94:95]
	v_add_f64 v[28:29], v[28:29], -v[32:33]
	v_and_b32_e32 v27, 0x7fffffff, v27
	v_add_f64 v[6:7], v[6:7], v[28:29]
	v_cmp_eq_f64_e64 s[14:15], s[38:39], v[26:27]
	v_add_f64 v[6:7], v[30:31], v[6:7]
	s_and_b64 s[12:13], s[12:13], s[14:15]
	v_cndmask_b32_e64 v7, v7, v4, s[12:13]
	v_cndmask_b32_e64 v6, v6, v1, s[12:13]
	v_add_f64 v[6:7], v[6:7], 1.0
	v_cndmask_b32_e64 v1, v6, 0, vcc
	v_cndmask_b32_e32 v4, v7, v119, vcc
	v_max_f64 v[6:7], |v[16:17]|, |v[16:17]|
	v_max_f64 v[26:27], |v[14:15]|, |v[14:15]|
	v_max_f64 v[28:29], v[26:27], v[6:7]
	v_min_f64 v[6:7], v[26:27], v[6:7]
	v_div_scale_f64 v[30:31], s[12:13], v[28:29], v[28:29], v[6:7]
	v_rcp_f64_e32 v[32:33], v[30:31]
	v_cmp_ngt_f64_e32 vcc, 0, v[2:3]
	v_cndmask_b32_e32 v4, v112, v4, vcc
	v_cmp_nge_f64_e32 vcc, 0, v[2:3]
	v_cndmask_b32_e32 v26, 0, v1, vcc
	v_cmp_neq_f64_e32 vcc, 0, v[2:3]
	v_fma_f64 v[2:3], -v[30:31], v[32:33], 1.0
	v_fmac_f64_e32 v[32:33], v[32:33], v[2:3]
	v_fma_f64 v[2:3], -v[30:31], v[32:33], 1.0
	v_cndmask_b32_e32 v27, v113, v4, vcc
	v_fmac_f64_e32 v[32:33], v[32:33], v[2:3]
	v_div_scale_f64 v[2:3], vcc, v[6:7], v[28:29], v[6:7]
	v_mul_f64 v[94:95], v[2:3], v[32:33]
	v_fma_f64 v[2:3], -v[30:31], v[94:95], v[2:3]
	v_pk_mov_b32 v[30:31], v[48:49], v[48:49] op_sel:[0,1]
	s_nop 0
	v_div_fmas_f64 v[2:3], v[2:3], v[32:33], v[94:95]
	v_div_fixup_f64 v[2:3], v[2:3], v[28:29], v[6:7]
	v_mul_f64 v[6:7], v[2:3], v[2:3]
	v_pk_mov_b32 v[28:29], v[46:47], v[46:47] op_sel:[0,1]
	v_fmac_f64_e32 v[28:29], s[40:41], v[6:7]
	v_fmac_f64_e32 v[30:31], v[6:7], v[28:29]
	v_pk_mov_b32 v[28:29], v[50:51], v[50:51] op_sel:[0,1]
	v_fmac_f64_e32 v[28:29], v[6:7], v[30:31]
	v_pk_mov_b32 v[30:31], v[52:53], v[52:53] op_sel:[0,1]
	;; [unrolled: 2-line block ×17, first 2 shown]
	v_fmac_f64_e32 v[28:29], v[6:7], v[30:31]
	v_mul_f64 v[6:7], v[6:7], v[28:29]
	v_fmac_f64_e32 v[2:3], v[2:3], v[6:7]
	v_ashrrev_i32_e32 v6, 31, v15
	v_cmp_class_f64_e64 s[14:15], v[14:15], s75
	v_and_b32_e32 v8, 0x400921fb, v6
	v_and_b32_e32 v14, 0x54442d18, v6
	v_add_f64 v[6:7], -v[2:3], s[42:43]
	v_cndmask_b32_e64 v3, v3, v7, s[10:11]
	v_cndmask_b32_e64 v2, v2, v6, s[10:11]
	v_cmp_gt_i32_e32 vcc, 0, v15
	v_add_f64 v[6:7], -v[2:3], s[44:45]
	v_cmp_class_f64_e64 s[12:13], v[16:17], s75
	v_cndmask_b32_e32 v1, v114, v115, vcc
	v_cndmask_b32_e32 v4, v116, v117, vcc
	v_cndmask_b32_e32 v3, v3, v7, vcc
	v_cndmask_b32_e32 v2, v2, v6, vcc
	v_cmp_eq_f64_e32 vcc, 0, v[16:17]
	v_bfi_b32 v4, s74, v4, v17
	v_cndmask_b32_e32 v2, v2, v14, vcc
	v_cndmask_b32_e32 v3, v3, v8, vcc
	s_and_b64 vcc, s[12:13], s[14:15]
	v_cndmask_b32_e32 v29, v3, v4, vcc
	v_cndmask_b32_e32 v28, v2, v1, vcc
.LBB174_107:                            ;   in Loop: Header=BB174_4 Depth=1
	s_or_b64 exec, exec, s[56:57]
.LBB174_108:                            ;   in Loop: Header=BB174_4 Depth=1
	s_andn2_saveexec_b64 s[10:11], s[54:55]
	s_cbranch_execz .LBB174_114
; %bb.109:                              ;   in Loop: Header=BB174_4 Depth=1
	v_cmp_nlt_f64_e64 s[12:13], |v[14:15]|, s[52:53]
	v_cmp_nlt_f64_e64 s[14:15], |v[16:17]|, s[52:53]
	s_or_b64 s[12:13], s[14:15], s[12:13]
                                        ; implicit-def: $vgpr2_vgpr3
	s_and_saveexec_b64 s[14:15], s[12:13]
	s_xor_b64 s[12:13], exec, s[14:15]
; %bb.110:                              ;   in Loop: Header=BB174_4 Depth=1
	v_mul_f64 v[2:3], v[14:15], v[14:15]
	v_fmac_f64_e32 v[2:3], v[16:17], v[16:17]
; %bb.111:                              ;   in Loop: Header=BB174_4 Depth=1
	s_andn2_saveexec_b64 s[12:13], s[12:13]
; %bb.112:                              ;   in Loop: Header=BB174_4 Depth=1
	v_mul_f64 v[2:3], v[14:15], 4.0
	v_mul_f64 v[6:7], v[16:17], 4.0
	v_mul_f64 v[2:3], v[2:3], v[2:3]
	v_fmac_f64_e32 v[2:3], v[6:7], v[6:7]
	v_ldexp_f64 v[2:3], v[2:3], -4
; %bb.113:                              ;   in Loop: Header=BB174_4 Depth=1
	s_or_b64 exec, exec, s[12:13]
	v_frexp_mant_f64_e32 v[6:7], v[2:3]
	v_cmp_gt_f64_e32 vcc, s[28:29], v[6:7]
	v_cndmask_b32_e64 v85, v118, 2.0, vcc
	v_mul_f64 v[6:7], v[6:7], v[84:85]
	v_add_f64 v[14:15], v[6:7], 1.0
	v_rcp_f64_e32 v[26:27], v[14:15]
	v_add_f64 v[30:31], v[14:15], -1.0
	v_add_f64 v[28:29], v[6:7], -1.0
	v_add_f64 v[6:7], v[6:7], -v[30:31]
	v_fma_f64 v[30:31], -v[14:15], v[26:27], 1.0
	v_fmac_f64_e32 v[26:27], v[30:31], v[26:27]
	v_fma_f64 v[30:31], -v[14:15], v[26:27], 1.0
	v_fmac_f64_e32 v[26:27], v[30:31], v[26:27]
	v_mul_f64 v[30:31], v[28:29], v[26:27]
	v_mul_f64 v[32:33], v[14:15], v[30:31]
	v_fma_f64 v[14:15], v[30:31], v[14:15], -v[32:33]
	v_fmac_f64_e32 v[14:15], v[30:31], v[6:7]
	v_add_f64 v[6:7], v[32:33], v[14:15]
	v_add_f64 v[94:95], v[28:29], -v[6:7]
	v_add_f64 v[32:33], v[6:7], -v[32:33]
	;; [unrolled: 1-line block ×5, first 2 shown]
	v_add_f64 v[6:7], v[14:15], v[6:7]
	v_add_f64 v[6:7], v[94:95], v[6:7]
	v_mul_f64 v[6:7], v[26:27], v[6:7]
	v_add_f64 v[14:15], v[30:31], v[6:7]
	v_add_f64 v[26:27], v[14:15], -v[30:31]
	v_add_f64 v[6:7], v[6:7], -v[26:27]
	v_mul_f64 v[26:27], v[14:15], v[14:15]
	v_pk_mov_b32 v[28:29], v[34:35], v[34:35] op_sel:[0,1]
	v_fmac_f64_e32 v[28:29], s[30:31], v[26:27]
	v_pk_mov_b32 v[30:31], v[36:37], v[36:37] op_sel:[0,1]
	v_fmac_f64_e32 v[30:31], v[26:27], v[28:29]
	;; [unrolled: 2-line block ×6, first 2 shown]
	v_ldexp_f64 v[28:29], v[14:15], 1
	v_mul_f64 v[14:15], v[14:15], v[26:27]
	v_mul_f64 v[14:15], v[14:15], v[30:31]
	v_add_f64 v[26:27], v[28:29], v[14:15]
	v_add_f64 v[28:29], v[26:27], -v[28:29]
	v_ldexp_f64 v[6:7], v[6:7], 1
	v_add_f64 v[14:15], v[14:15], -v[28:29]
	v_add_f64 v[6:7], v[6:7], v[14:15]
	v_frexp_exp_i32_f64_e32 v1, v[2:3]
	v_add_f64 v[14:15], v[26:27], v[6:7]
	v_subbrev_co_u32_e32 v1, vcc, 0, v1, vcc
	v_add_f64 v[26:27], v[14:15], -v[26:27]
	v_add_f64 v[6:7], v[6:7], -v[26:27]
	v_cvt_f64_i32_e32 v[26:27], v1
	v_mul_f64 v[28:29], v[26:27], s[34:35]
	v_fma_f64 v[30:31], v[26:27], s[34:35], -v[28:29]
	v_fmac_f64_e32 v[30:31], s[36:37], v[26:27]
	v_add_f64 v[26:27], v[28:29], v[30:31]
	v_add_f64 v[28:29], v[26:27], -v[28:29]
	v_add_f64 v[28:29], v[30:31], -v[28:29]
	v_add_f64 v[30:31], v[26:27], v[14:15]
	v_add_f64 v[32:33], v[30:31], -v[26:27]
	v_add_f64 v[94:95], v[30:31], -v[32:33]
	;; [unrolled: 1-line block ×4, first 2 shown]
	v_add_f64 v[14:15], v[14:15], v[26:27]
	v_add_f64 v[26:27], v[28:29], v[6:7]
	v_add_f64 v[32:33], v[26:27], -v[28:29]
	v_add_f64 v[94:95], v[26:27], -v[32:33]
	v_add_f64 v[14:15], v[26:27], v[14:15]
	v_add_f64 v[28:29], v[28:29], -v[94:95]
	v_add_f64 v[6:7], v[6:7], -v[32:33]
	v_add_f64 v[26:27], v[30:31], v[14:15]
	v_add_f64 v[6:7], v[6:7], v[28:29]
	v_add_f64 v[28:29], v[26:27], -v[30:31]
	v_add_f64 v[14:15], v[14:15], -v[28:29]
	v_add_f64 v[6:7], v[6:7], v[14:15]
	v_add_f64 v[6:7], v[26:27], v[6:7]
	v_cmp_class_f64_e64 vcc, v[2:3], s75
	v_cndmask_b32_e32 v1, v6, v2, vcc
	v_cndmask_b32_e32 v4, v7, v3, vcc
	v_cmp_ngt_f64_e32 vcc, 0, v[2:3]
	v_cndmask_b32_e32 v4, v112, v4, vcc
	v_cmp_nge_f64_e32 vcc, 0, v[2:3]
	v_cndmask_b32_e32 v26, 0, v1, vcc
	v_cmp_neq_f64_e32 vcc, 0, v[2:3]
	v_mov_b32_e32 v28, 0
	v_cndmask_b32_e32 v27, v113, v4, vcc
	v_mov_b32_e32 v29, 0x7ff80000
.LBB174_114:                            ;   in Loop: Header=BB174_4 Depth=1
	s_or_b64 exec, exec, s[10:11]
	v_cmp_o_f64_e32 vcc, v[10:11], v[12:13]
                                        ; implicit-def: $vgpr30_vgpr31
	s_and_saveexec_b64 s[10:11], vcc
	s_xor_b64 s[54:55], exec, s[10:11]
	s_cbranch_execnz .LBB174_120
; %bb.115:                              ;   in Loop: Header=BB174_4 Depth=1
	s_andn2_saveexec_b64 s[10:11], s[54:55]
	s_cbranch_execnz .LBB174_147
.LBB174_116:                            ;   in Loop: Header=BB174_4 Depth=1
	s_or_b64 exec, exec, s[10:11]
	s_and_saveexec_b64 s[10:11], s[0:1]
	s_xor_b64 s[0:1], exec, s[10:11]
	s_cbranch_execnz .LBB174_152
.LBB174_117:                            ;   in Loop: Header=BB174_4 Depth=1
	s_or_b64 exec, exec, s[0:1]
	s_and_saveexec_b64 s[0:1], s[2:3]
	s_cbranch_execnz .LBB174_153
.LBB174_118:                            ;   in Loop: Header=BB174_4 Depth=1
	s_or_b64 exec, exec, s[0:1]
	s_and_saveexec_b64 s[0:1], s[6:7]
	s_cbranch_execnz .LBB174_154
.LBB174_119:                            ;   in Loop: Header=BB174_4 Depth=1
	s_or_b64 exec, exec, s[0:1]
	s_and_saveexec_b64 s[0:1], s[8:9]
	s_cbranch_execz .LBB174_3
	s_branch .LBB174_155
.LBB174_120:                            ;   in Loop: Header=BB174_4 Depth=1
	v_and_b32_e32 v6, 0x7fffffff, v11
	v_and_b32_e32 v1, 0x7fffffff, v13
	v_mov_b32_e32 v4, v12
	v_cmp_lt_f64_e64 s[10:11], |v[10:11]|, |v[12:13]|
	v_cndmask_b32_e64 v3, v1, v6, s[10:11]
	v_cndmask_b32_e64 v2, v4, v10, s[10:11]
	v_cmp_nlt_f64_e32 vcc, s[22:23], v[2:3]
                                        ; implicit-def: $vgpr30_vgpr31
	s_and_saveexec_b64 s[12:13], vcc
	s_xor_b64 s[14:15], exec, s[12:13]
	s_cbranch_execz .LBB174_144
; %bb.121:                              ;   in Loop: Header=BB174_4 Depth=1
	v_cndmask_b32_e64 v15, v6, v1, s[10:11]
	v_cndmask_b32_e64 v14, v10, v4, s[10:11]
	v_cmp_neq_f64_e32 vcc, 1.0, v[14:15]
                                        ; implicit-def: $vgpr30_vgpr31
	s_and_saveexec_b64 s[12:13], vcc
	s_xor_b64 s[56:57], exec, s[12:13]
	s_cbranch_execz .LBB174_137
; %bb.122:                              ;   in Loop: Header=BB174_4 Depth=1
	v_max_f64 v[6:7], v[2:3], v[2:3]
	v_max_f64 v[30:31], v[14:15], v[14:15]
	v_min_f64 v[32:33], v[30:31], v[6:7]
	v_max_f64 v[6:7], v[30:31], v[6:7]
	v_cmp_ngt_f64_e32 vcc, s[24:25], v[32:33]
	v_cmp_nlt_f64_e64 s[12:13], s[26:27], v[6:7]
	s_and_b64 s[12:13], s[12:13], vcc
                                        ; implicit-def: $vgpr30_vgpr31
	s_and_saveexec_b64 s[58:59], s[12:13]
	s_xor_b64 s[58:59], exec, s[58:59]
	s_cbranch_execz .LBB174_134
; %bb.123:                              ;   in Loop: Header=BB174_4 Depth=1
	v_cmp_le_f64_e32 vcc, 1.0, v[14:15]
                                        ; implicit-def: $vgpr30_vgpr31
	s_and_saveexec_b64 s[12:13], vcc
	s_xor_b64 s[12:13], exec, s[12:13]
	s_cbranch_execz .LBB174_125
; %bb.124:                              ;   in Loop: Header=BB174_4 Depth=1
	v_add_f64 v[6:7], v[14:15], -1.0
	v_add_f64 v[14:15], v[14:15], 1.0
	v_mul_f64 v[6:7], v[6:7], v[14:15]
	v_fmac_f64_e32 v[6:7], v[2:3], v[2:3]
	v_add_f64 v[2:3], v[6:7], 1.0
	v_add_f64 v[14:15], v[2:3], -1.0
	v_add_f64 v[30:31], v[14:15], -v[2:3]
	v_add_f64 v[30:31], v[30:31], 1.0
	v_add_f64 v[14:15], v[6:7], -v[14:15]
	v_add_f64 v[14:15], v[14:15], v[30:31]
	v_frexp_mant_f64_e32 v[30:31], v[2:3]
	v_frexp_exp_i32_f64_e32 v1, v[2:3]
	v_cmp_gt_f64_e32 vcc, s[28:29], v[30:31]
	v_subbrev_co_u32_e32 v1, vcc, 0, v1, vcc
	v_sub_u32_e32 v4, 0, v1
	v_ldexp_f64 v[2:3], v[2:3], v4
	v_add_f64 v[30:31], v[2:3], -1.0
	v_add_f64 v[96:97], v[2:3], 1.0
	v_add_f64 v[32:33], v[30:31], 1.0
	v_add_f64 v[98:99], v[96:97], -1.0
	v_ldexp_f64 v[14:15], v[14:15], v4
	v_add_f64 v[32:33], v[2:3], -v[32:33]
	v_add_f64 v[2:3], v[2:3], -v[98:99]
	v_add_f64 v[2:3], v[14:15], v[2:3]
	v_add_f64 v[32:33], v[14:15], v[32:33]
	;; [unrolled: 1-line block ×3, first 2 shown]
	v_rcp_f64_e32 v[98:99], v[14:15]
	v_add_f64 v[94:95], v[30:31], v[32:33]
	v_add_f64 v[30:31], v[94:95], -v[30:31]
	v_add_f64 v[30:31], v[32:33], -v[30:31]
	;; [unrolled: 1-line block ×4, first 2 shown]
	v_fma_f64 v[32:33], -v[14:15], v[98:99], 1.0
	v_fmac_f64_e32 v[98:99], v[32:33], v[98:99]
	v_fma_f64 v[32:33], -v[14:15], v[98:99], 1.0
	v_fmac_f64_e32 v[98:99], v[32:33], v[98:99]
	v_mul_f64 v[32:33], v[94:95], v[98:99]
	v_mul_f64 v[96:97], v[14:15], v[32:33]
	v_fma_f64 v[100:101], v[32:33], v[14:15], -v[96:97]
	v_fmac_f64_e32 v[100:101], v[32:33], v[2:3]
	v_add_f64 v[102:103], v[96:97], v[100:101]
	v_add_f64 v[104:105], v[94:95], -v[102:103]
	v_add_f64 v[94:95], v[94:95], -v[104:105]
	;; [unrolled: 1-line block ×4, first 2 shown]
	v_add_f64 v[30:31], v[30:31], v[94:95]
	v_add_f64 v[94:95], v[96:97], -v[100:101]
	v_add_f64 v[30:31], v[94:95], v[30:31]
	v_add_f64 v[94:95], v[104:105], v[30:31]
	v_add_f64 v[96:97], v[104:105], -v[94:95]
	v_add_f64 v[30:31], v[30:31], v[96:97]
	v_mul_f64 v[96:97], v[98:99], v[94:95]
	v_mul_f64 v[100:101], v[14:15], v[96:97]
	v_fma_f64 v[14:15], v[96:97], v[14:15], -v[100:101]
	v_fmac_f64_e32 v[14:15], v[96:97], v[2:3]
	v_add_f64 v[2:3], v[100:101], v[14:15]
	v_add_f64 v[102:103], v[94:95], -v[2:3]
	v_add_f64 v[94:95], v[94:95], -v[102:103]
	;; [unrolled: 1-line block ×4, first 2 shown]
	v_add_f64 v[2:3], v[30:31], v[2:3]
	v_add_f64 v[14:15], v[100:101], -v[14:15]
	v_add_f64 v[2:3], v[14:15], v[2:3]
	v_add_f64 v[14:15], v[32:33], v[96:97]
	;; [unrolled: 1-line block ×3, first 2 shown]
	v_add_f64 v[30:31], v[14:15], -v[32:33]
	v_mul_f64 v[2:3], v[98:99], v[2:3]
	v_add_f64 v[30:31], v[96:97], -v[30:31]
	v_add_f64 v[2:3], v[30:31], v[2:3]
	v_add_f64 v[30:31], v[14:15], v[2:3]
	v_add_f64 v[14:15], v[30:31], -v[14:15]
	v_add_f64 v[2:3], v[2:3], -v[14:15]
	v_mul_f64 v[14:15], v[30:31], v[30:31]
	v_pk_mov_b32 v[32:33], v[34:35], v[34:35] op_sel:[0,1]
	v_fmac_f64_e32 v[32:33], s[30:31], v[14:15]
	v_pk_mov_b32 v[94:95], v[36:37], v[36:37] op_sel:[0,1]
	v_fmac_f64_e32 v[94:95], v[14:15], v[32:33]
	;; [unrolled: 2-line block ×6, first 2 shown]
	v_cvt_f64_i32_e32 v[32:33], v1
	v_mul_f64 v[96:97], v[32:33], s[34:35]
	v_fma_f64 v[98:99], v[32:33], s[34:35], -v[96:97]
	v_fmac_f64_e32 v[98:99], s[36:37], v[32:33]
	v_add_f64 v[32:33], v[96:97], v[98:99]
	v_add_f64 v[96:97], v[32:33], -v[96:97]
	v_mul_f64 v[14:15], v[30:31], v[14:15]
	v_add_f64 v[96:97], v[98:99], -v[96:97]
	v_ldexp_f64 v[98:99], v[30:31], 1
	v_mul_f64 v[14:15], v[14:15], v[94:95]
	v_add_f64 v[30:31], v[98:99], v[14:15]
	v_add_f64 v[94:95], v[30:31], -v[98:99]
	v_ldexp_f64 v[2:3], v[2:3], 1
	v_add_f64 v[14:15], v[14:15], -v[94:95]
	v_add_f64 v[2:3], v[2:3], v[14:15]
	v_add_f64 v[14:15], v[30:31], v[2:3]
	v_add_f64 v[30:31], v[14:15], -v[30:31]
	v_add_f64 v[2:3], v[2:3], -v[30:31]
	v_add_f64 v[30:31], v[32:33], v[14:15]
	v_add_f64 v[94:95], v[30:31], -v[32:33]
	v_add_f64 v[98:99], v[30:31], -v[94:95]
	;; [unrolled: 1-line block ×4, first 2 shown]
	v_add_f64 v[14:15], v[14:15], v[32:33]
	v_add_f64 v[32:33], v[96:97], v[2:3]
	v_add_f64 v[94:95], v[32:33], -v[96:97]
	v_add_f64 v[14:15], v[32:33], v[14:15]
	v_add_f64 v[98:99], v[32:33], -v[94:95]
	;; [unrolled: 2-line block ×3, first 2 shown]
	v_add_f64 v[2:3], v[2:3], -v[94:95]
	v_add_f64 v[30:31], v[32:33], -v[30:31]
	v_add_f64 v[2:3], v[2:3], v[96:97]
	v_add_f64 v[14:15], v[14:15], -v[30:31]
	v_add_f64 v[2:3], v[2:3], v[14:15]
	v_max_f64 v[14:15], |v[12:13]|, |v[12:13]|
	v_max_f64 v[30:31], |v[10:11]|, |v[10:11]|
	v_add_f64 v[2:3], v[32:33], v[2:3]
	v_max_f64 v[32:33], v[30:31], v[14:15]
	v_min_f64 v[14:15], v[30:31], v[14:15]
	v_div_scale_f64 v[94:95], s[60:61], v[32:33], v[32:33], v[14:15]
	v_cmp_eq_f64_e32 vcc, s[38:39], v[6:7]
	v_rcp_f64_e32 v[96:97], v[94:95]
	v_cndmask_b32_e32 v3, v3, v7, vcc
	v_cndmask_b32_e32 v2, v2, v6, vcc
	v_mul_f64 v[2:3], v[2:3], 0.5
	v_cmp_ngt_f64_e32 vcc, -1.0, v[6:7]
	v_cndmask_b32_e32 v1, v112, v3, vcc
	v_cmp_nge_f64_e32 vcc, -1.0, v[6:7]
	v_cndmask_b32_e32 v30, 0, v2, vcc
	v_fma_f64 v[2:3], -v[94:95], v[96:97], 1.0
	v_fmac_f64_e32 v[96:97], v[96:97], v[2:3]
	v_cmp_neq_f64_e32 vcc, -1.0, v[6:7]
	v_fma_f64 v[2:3], -v[94:95], v[96:97], 1.0
	v_cndmask_b32_e32 v31, v113, v1, vcc
	v_fmac_f64_e32 v[96:97], v[96:97], v[2:3]
	v_div_scale_f64 v[2:3], vcc, v[14:15], v[32:33], v[14:15]
	v_mul_f64 v[6:7], v[2:3], v[96:97]
	v_fma_f64 v[2:3], -v[94:95], v[6:7], v[2:3]
	v_cmp_class_f64_e64 s[62:63], v[10:11], s75
	s_nop 0
	v_div_fmas_f64 v[2:3], v[2:3], v[96:97], v[6:7]
	v_div_fixup_f64 v[2:3], v[2:3], v[32:33], v[14:15]
	v_mul_f64 v[6:7], v[2:3], v[2:3]
	v_pk_mov_b32 v[14:15], v[46:47], v[46:47] op_sel:[0,1]
	v_fmac_f64_e32 v[14:15], s[40:41], v[6:7]
	v_pk_mov_b32 v[32:33], v[48:49], v[48:49] op_sel:[0,1]
	v_fmac_f64_e32 v[32:33], v[6:7], v[14:15]
	;; [unrolled: 2-line block ×19, first 2 shown]
	v_mul_f64 v[6:7], v[6:7], v[14:15]
	v_fmac_f64_e32 v[2:3], v[2:3], v[6:7]
	v_ashrrev_i32_e32 v6, 31, v11
	v_and_b32_e32 v8, 0x400921fb, v6
	v_and_b32_e32 v10, 0x54442d18, v6
	v_add_f64 v[6:7], -v[2:3], s[42:43]
	v_cndmask_b32_e64 v3, v3, v7, s[10:11]
	v_cndmask_b32_e64 v2, v2, v6, s[10:11]
	s_mov_b32 s44, s42
	v_cmp_gt_i32_e32 vcc, 0, v11
	v_add_f64 v[6:7], -v[2:3], s[44:45]
	v_cmp_class_f64_e64 s[60:61], v[12:13], s75
	v_cndmask_b32_e32 v1, v114, v115, vcc
	v_cndmask_b32_e32 v4, v116, v117, vcc
	;; [unrolled: 1-line block ×4, first 2 shown]
	v_cmp_eq_f64_e32 vcc, 0, v[12:13]
	v_bfi_b32 v4, s74, v4, v13
	v_cndmask_b32_e32 v2, v2, v10, vcc
	v_cndmask_b32_e32 v3, v3, v8, vcc
	s_and_b64 vcc, s[60:61], s[62:63]
	v_cndmask_b32_e32 v33, v3, v4, vcc
	v_cndmask_b32_e32 v32, v2, v1, vcc
                                        ; implicit-def: $vgpr2_vgpr3
                                        ; implicit-def: $vgpr14_vgpr15
.LBB174_125:                            ;   in Loop: Header=BB174_4 Depth=1
	s_andn2_saveexec_b64 s[60:61], s[12:13]
	s_cbranch_execz .LBB174_133
; %bb.126:                              ;   in Loop: Header=BB174_4 Depth=1
	v_mul_f64 v[6:7], v[2:3], v[2:3]
	v_fmac_f64_e32 v[6:7], v[14:15], v[14:15]
	v_cmp_ge_f64_e32 vcc, s[46:47], v[6:7]
                                        ; implicit-def: $vgpr30_vgpr31
	s_and_saveexec_b64 s[12:13], vcc
	s_xor_b64 s[12:13], exec, s[12:13]
	s_cbranch_execz .LBB174_128
; %bb.127:                              ;   in Loop: Header=BB174_4 Depth=1
	v_frexp_mant_f64_e32 v[2:3], v[6:7]
	v_cmp_gt_f64_e32 vcc, s[28:29], v[2:3]
	v_cndmask_b32_e64 v85, v118, 2.0, vcc
	v_mul_f64 v[2:3], v[2:3], v[84:85]
	v_add_f64 v[14:15], v[2:3], 1.0
	v_rcp_f64_e32 v[30:31], v[14:15]
	v_add_f64 v[94:95], v[14:15], -1.0
	v_add_f64 v[32:33], v[2:3], -1.0
	v_add_f64 v[2:3], v[2:3], -v[94:95]
	v_fma_f64 v[94:95], -v[14:15], v[30:31], 1.0
	v_fmac_f64_e32 v[30:31], v[94:95], v[30:31]
	v_fma_f64 v[94:95], -v[14:15], v[30:31], 1.0
	v_fmac_f64_e32 v[30:31], v[94:95], v[30:31]
	v_mul_f64 v[94:95], v[32:33], v[30:31]
	v_mul_f64 v[96:97], v[14:15], v[94:95]
	v_fma_f64 v[14:15], v[94:95], v[14:15], -v[96:97]
	v_fmac_f64_e32 v[14:15], v[94:95], v[2:3]
	v_add_f64 v[2:3], v[96:97], v[14:15]
	v_add_f64 v[98:99], v[32:33], -v[2:3]
	v_add_f64 v[96:97], v[2:3], -v[96:97]
	;; [unrolled: 1-line block ×5, first 2 shown]
	v_add_f64 v[2:3], v[14:15], v[2:3]
	v_add_f64 v[2:3], v[98:99], v[2:3]
	v_mul_f64 v[2:3], v[30:31], v[2:3]
	v_add_f64 v[14:15], v[94:95], v[2:3]
	v_add_f64 v[30:31], v[14:15], -v[94:95]
	v_add_f64 v[2:3], v[2:3], -v[30:31]
	v_mul_f64 v[30:31], v[14:15], v[14:15]
	v_pk_mov_b32 v[32:33], v[34:35], v[34:35] op_sel:[0,1]
	v_fmac_f64_e32 v[32:33], s[30:31], v[30:31]
	v_pk_mov_b32 v[94:95], v[36:37], v[36:37] op_sel:[0,1]
	v_fmac_f64_e32 v[94:95], v[30:31], v[32:33]
	;; [unrolled: 2-line block ×6, first 2 shown]
	v_ldexp_f64 v[32:33], v[14:15], 1
	v_mul_f64 v[14:15], v[14:15], v[30:31]
	v_mul_f64 v[14:15], v[14:15], v[94:95]
	v_add_f64 v[30:31], v[32:33], v[14:15]
	v_add_f64 v[32:33], v[30:31], -v[32:33]
	v_ldexp_f64 v[2:3], v[2:3], 1
	v_add_f64 v[14:15], v[14:15], -v[32:33]
	v_add_f64 v[2:3], v[2:3], v[14:15]
	v_frexp_exp_i32_f64_e32 v1, v[6:7]
	v_add_f64 v[14:15], v[30:31], v[2:3]
	v_subbrev_co_u32_e32 v1, vcc, 0, v1, vcc
	v_add_f64 v[30:31], v[14:15], -v[30:31]
	v_add_f64 v[2:3], v[2:3], -v[30:31]
	v_cvt_f64_i32_e32 v[30:31], v1
	v_mul_f64 v[32:33], v[30:31], s[34:35]
	v_fma_f64 v[94:95], v[30:31], s[34:35], -v[32:33]
	v_fmac_f64_e32 v[94:95], s[36:37], v[30:31]
	v_add_f64 v[30:31], v[32:33], v[94:95]
	v_add_f64 v[32:33], v[30:31], -v[32:33]
	v_add_f64 v[32:33], v[94:95], -v[32:33]
	v_add_f64 v[94:95], v[30:31], v[14:15]
	v_add_f64 v[96:97], v[94:95], -v[30:31]
	v_add_f64 v[98:99], v[94:95], -v[96:97]
	;; [unrolled: 1-line block ×4, first 2 shown]
	v_add_f64 v[14:15], v[14:15], v[30:31]
	v_add_f64 v[30:31], v[32:33], v[2:3]
	v_add_f64 v[96:97], v[30:31], -v[32:33]
	v_add_f64 v[98:99], v[30:31], -v[96:97]
	v_add_f64 v[14:15], v[30:31], v[14:15]
	v_add_f64 v[32:33], v[32:33], -v[98:99]
	v_add_f64 v[2:3], v[2:3], -v[96:97]
	v_add_f64 v[30:31], v[94:95], v[14:15]
	v_add_f64 v[2:3], v[2:3], v[32:33]
	v_add_f64 v[32:33], v[30:31], -v[94:95]
	v_add_f64 v[14:15], v[14:15], -v[32:33]
	v_add_f64 v[2:3], v[2:3], v[14:15]
	v_add_f64 v[2:3], v[30:31], v[2:3]
	v_max_f64 v[14:15], |v[12:13]|, |v[12:13]|
	v_max_f64 v[30:31], |v[10:11]|, |v[10:11]|
	v_max_f64 v[32:33], v[30:31], v[14:15]
	v_min_f64 v[14:15], v[30:31], v[14:15]
	v_div_scale_f64 v[94:95], s[62:63], v[32:33], v[32:33], v[14:15]
	v_rcp_f64_e32 v[96:97], v[94:95]
	v_mul_f64 v[2:3], v[2:3], 0.5
	v_cmp_neq_f64_e32 vcc, 0, v[6:7]
	v_cndmask_b32_e32 v31, v113, v3, vcc
	v_cndmask_b32_e32 v30, 0, v2, vcc
	v_fma_f64 v[2:3], -v[94:95], v[96:97], 1.0
	v_fmac_f64_e32 v[96:97], v[96:97], v[2:3]
	v_fma_f64 v[2:3], -v[94:95], v[96:97], 1.0
	v_fmac_f64_e32 v[96:97], v[96:97], v[2:3]
	v_div_scale_f64 v[2:3], vcc, v[14:15], v[32:33], v[14:15]
	v_mul_f64 v[6:7], v[2:3], v[96:97]
	v_fma_f64 v[2:3], -v[94:95], v[6:7], v[2:3]
	v_cmp_class_f64_e64 s[64:65], v[10:11], s75
	s_nop 0
	v_div_fmas_f64 v[2:3], v[2:3], v[96:97], v[6:7]
	v_div_fixup_f64 v[2:3], v[2:3], v[32:33], v[14:15]
	v_mul_f64 v[6:7], v[2:3], v[2:3]
	v_pk_mov_b32 v[14:15], v[46:47], v[46:47] op_sel:[0,1]
	v_fmac_f64_e32 v[14:15], s[40:41], v[6:7]
	v_pk_mov_b32 v[32:33], v[48:49], v[48:49] op_sel:[0,1]
	v_fmac_f64_e32 v[32:33], v[6:7], v[14:15]
	;; [unrolled: 2-line block ×19, first 2 shown]
	v_mul_f64 v[6:7], v[6:7], v[14:15]
	v_fmac_f64_e32 v[2:3], v[2:3], v[6:7]
	v_ashrrev_i32_e32 v6, 31, v11
	v_and_b32_e32 v8, 0x400921fb, v6
	v_and_b32_e32 v10, 0x54442d18, v6
	v_add_f64 v[6:7], -v[2:3], s[42:43]
	v_cndmask_b32_e64 v3, v3, v7, s[10:11]
	v_cndmask_b32_e64 v2, v2, v6, s[10:11]
	s_mov_b32 s44, s42
	v_cmp_gt_i32_e32 vcc, 0, v11
	v_add_f64 v[6:7], -v[2:3], s[44:45]
	v_cmp_class_f64_e64 s[62:63], v[12:13], s75
	v_cndmask_b32_e32 v1, v114, v115, vcc
	v_cndmask_b32_e32 v4, v116, v117, vcc
	;; [unrolled: 1-line block ×4, first 2 shown]
	v_cmp_eq_f64_e32 vcc, 0, v[12:13]
	v_bfi_b32 v4, s74, v4, v13
	v_cndmask_b32_e32 v2, v2, v10, vcc
	v_cndmask_b32_e32 v3, v3, v8, vcc
	s_and_b64 vcc, s[62:63], s[64:65]
	v_cndmask_b32_e32 v33, v3, v4, vcc
	v_cndmask_b32_e32 v32, v2, v1, vcc
                                        ; implicit-def: $vgpr14_vgpr15
                                        ; implicit-def: $vgpr2_vgpr3
.LBB174_128:                            ;   in Loop: Header=BB174_4 Depth=1
	s_andn2_saveexec_b64 s[62:63], s[12:13]
	s_cbranch_execz .LBB174_132
; %bb.129:                              ;   in Loop: Header=BB174_4 Depth=1
	v_and_b32_e32 v85, 0x7ffffff8, v15
	v_add_f64 v[6:7], v[14:15], -v[84:85]
	v_and_b32_e32 v15, 0x7ffffff8, v3
	v_mov_b32_e32 v14, v84
	v_add_f64 v[2:3], v[2:3], -v[14:15]
	v_and_b32_e32 v101, -8, v7
	v_mov_b32_e32 v100, v84
	v_and_b32_e32 v103, -8, v3
	v_mov_b32_e32 v102, v84
	v_add_f64 v[94:95], v[84:85], v[84:85]
	v_add_f64 v[108:109], v[14:15], v[14:15]
	v_add_f64 v[104:105], v[6:7], -v[100:101]
	v_add_f64 v[106:107], v[2:3], -v[102:103]
	v_mul_f64 v[6:7], v[14:15], v[14:15]
	v_mul_f64 v[32:33], v[94:95], v[100:101]
	;; [unrolled: 1-line block ×5, first 2 shown]
	v_add_f64 v[100:101], v[100:101], v[100:101]
	v_add_f64 v[102:103], v[102:103], v[102:103]
	v_mul_f64 v[2:3], v[84:85], v[84:85]
	v_mul_f64 v[96:97], v[94:95], v[104:105]
	v_mul_f64 v[94:95], v[108:109], v[106:107]
	v_mul_f64 v[100:101], v[100:101], v[104:105]
	v_mul_f64 v[102:103], v[102:103], v[106:107]
	v_mul_f64 v[104:105], v[104:105], v[104:105]
	v_mul_f64 v[106:107], v[106:107], v[106:107]
	s_mov_b64 s[64:65], 0
.LBB174_130:                            ;   Parent Loop BB174_4 Depth=1
                                        ; =>  This Inner Loop Header: Depth=2
	v_cmp_nlt_f64_e32 vcc, v[2:3], v[6:7]
	v_cndmask_b32_e32 v109, v3, v7, vcc
	v_cndmask_b32_e32 v108, v2, v6, vcc
	v_cmp_nlt_f64_e64 s[12:13], v[108:109], v[32:33]
	v_cndmask_b32_e64 v121, v109, v33, s[12:13]
	v_cndmask_b32_e64 v120, v108, v32, s[12:13]
	v_cndmask_b32_e32 v3, v7, v3, vcc
	v_cndmask_b32_e32 v2, v6, v2, vcc
	s_and_b64 s[66:67], vcc, s[12:13]
	v_cmp_nlt_f64_e32 vcc, v[120:121], v[30:31]
	v_cndmask_b32_e64 v7, v33, v109, s[12:13]
	v_cndmask_b32_e64 v6, v32, v108, s[12:13]
	v_cndmask_b32_e32 v109, v121, v31, vcc
	v_cndmask_b32_e32 v108, v120, v30, vcc
	v_cmp_nlt_f64_e64 s[12:13], v[108:109], v[98:99]
	v_cndmask_b32_e32 v33, v31, v121, vcc
	v_cndmask_b32_e32 v32, v30, v120, vcc
	v_cndmask_b32_e64 v121, v109, v99, s[12:13]
	v_cndmask_b32_e64 v120, v108, v98, s[12:13]
	s_and_b64 s[76:77], vcc, s[12:13]
	v_cmp_nlt_f64_e32 vcc, v[120:121], v[14:15]
	v_cndmask_b32_e64 v31, v99, v109, s[12:13]
	v_cndmask_b32_e64 v30, v98, v108, s[12:13]
	v_cndmask_b32_e32 v109, v121, v15, vcc
	v_cndmask_b32_e32 v108, v120, v14, vcc
	v_cmp_nlt_f64_e64 s[12:13], v[108:109], v[96:97]
	v_cndmask_b32_e32 v99, v15, v121, vcc
	v_cndmask_b32_e32 v98, v14, v120, vcc
	v_cndmask_b32_e64 v121, v109, v97, s[12:13]
	v_cndmask_b32_e64 v120, v108, v96, s[12:13]
	;; [unrolled: 1-line block ×4, first 2 shown]
	s_and_b64 s[12:13], vcc, s[12:13]
	v_cmp_nlt_f64_e32 vcc, v[120:121], v[94:95]
	v_cndmask_b32_e32 v109, v121, v95, vcc
	v_cndmask_b32_e32 v108, v120, v94, vcc
	v_cndmask_b32_e32 v97, v95, v121, vcc
	v_cndmask_b32_e32 v96, v94, v120, vcc
	s_and_b64 s[12:13], s[12:13], vcc
	v_cmp_nlt_f64_e32 vcc, v[108:109], v[100:101]
	v_cndmask_b32_e32 v121, v109, v101, vcc
	v_cndmask_b32_e32 v120, v108, v100, vcc
	v_cndmask_b32_e32 v95, v101, v109, vcc
	v_cndmask_b32_e32 v94, v100, v108, vcc
	s_and_b64 s[12:13], s[12:13], vcc
	;; [unrolled: 6-line block ×4, first 2 shown]
	v_cmp_nlt_f64_e32 vcc, v[120:121], v[106:107]
	s_and_b64 s[12:13], s[12:13], vcc
	s_and_b64 s[12:13], s[12:13], s[76:77]
	s_and_b64 s[12:13], s[12:13], s[66:67]
	v_cndmask_b32_e32 v109, v121, v107, vcc
	v_cndmask_b32_e32 v108, v120, v106, vcc
	s_and_b64 s[12:13], exec, s[12:13]
	v_cndmask_b32_e32 v105, v107, v121, vcc
	v_cndmask_b32_e32 v104, v106, v120, vcc
	s_or_b64 s[64:65], s[12:13], s[64:65]
	v_pk_mov_b32 v[106:107], v[108:109], v[108:109] op_sel:[0,1]
	s_andn2_b64 exec, exec, s[64:65]
	s_cbranch_execnz .LBB174_130
; %bb.131:                              ;   in Loop: Header=BB174_4 Depth=1
	s_or_b64 exec, exec, s[64:65]
	v_add_f64 v[2:3], v[2:3], -1.0
	v_add_f64 v[2:3], v[2:3], v[6:7]
	v_add_f64 v[2:3], v[2:3], v[32:33]
	v_add_f64 v[2:3], v[2:3], v[30:31]
	v_add_f64 v[2:3], v[2:3], v[98:99]
	v_add_f64 v[2:3], v[2:3], v[14:15]
	v_add_f64 v[2:3], v[2:3], v[96:97]
	v_add_f64 v[2:3], v[2:3], v[94:95]
	v_add_f64 v[2:3], v[2:3], v[100:101]
	v_add_f64 v[2:3], v[2:3], v[102:103]
	v_add_f64 v[2:3], v[2:3], v[104:105]
	v_add_f64 v[2:3], v[108:109], v[2:3]
	v_add_f64 v[6:7], v[2:3], 1.0
	v_add_f64 v[14:15], v[6:7], -1.0
	v_add_f64 v[30:31], v[14:15], -v[6:7]
	v_add_f64 v[30:31], v[30:31], 1.0
	v_add_f64 v[14:15], v[2:3], -v[14:15]
	v_add_f64 v[14:15], v[14:15], v[30:31]
	v_frexp_mant_f64_e32 v[30:31], v[6:7]
	v_frexp_exp_i32_f64_e32 v1, v[6:7]
	v_cmp_gt_f64_e32 vcc, s[28:29], v[30:31]
	v_subbrev_co_u32_e32 v1, vcc, 0, v1, vcc
	v_sub_u32_e32 v4, 0, v1
	v_ldexp_f64 v[6:7], v[6:7], v4
	v_add_f64 v[30:31], v[6:7], -1.0
	v_add_f64 v[96:97], v[6:7], 1.0
	v_add_f64 v[32:33], v[30:31], 1.0
	v_add_f64 v[98:99], v[96:97], -1.0
	v_ldexp_f64 v[14:15], v[14:15], v4
	v_add_f64 v[32:33], v[6:7], -v[32:33]
	v_add_f64 v[6:7], v[6:7], -v[98:99]
	v_add_f64 v[6:7], v[14:15], v[6:7]
	v_add_f64 v[32:33], v[14:15], v[32:33]
	;; [unrolled: 1-line block ×3, first 2 shown]
	v_rcp_f64_e32 v[98:99], v[14:15]
	v_add_f64 v[94:95], v[30:31], v[32:33]
	v_add_f64 v[30:31], v[94:95], -v[30:31]
	v_add_f64 v[30:31], v[32:33], -v[30:31]
	;; [unrolled: 1-line block ×4, first 2 shown]
	v_fma_f64 v[32:33], -v[14:15], v[98:99], 1.0
	v_fmac_f64_e32 v[98:99], v[32:33], v[98:99]
	v_fma_f64 v[32:33], -v[14:15], v[98:99], 1.0
	v_fmac_f64_e32 v[98:99], v[32:33], v[98:99]
	v_mul_f64 v[32:33], v[94:95], v[98:99]
	v_mul_f64 v[96:97], v[14:15], v[32:33]
	v_fma_f64 v[100:101], v[32:33], v[14:15], -v[96:97]
	v_fmac_f64_e32 v[100:101], v[32:33], v[6:7]
	v_add_f64 v[102:103], v[96:97], v[100:101]
	v_add_f64 v[104:105], v[94:95], -v[102:103]
	v_add_f64 v[94:95], v[94:95], -v[104:105]
	;; [unrolled: 1-line block ×4, first 2 shown]
	v_add_f64 v[30:31], v[30:31], v[94:95]
	v_add_f64 v[94:95], v[96:97], -v[100:101]
	v_add_f64 v[30:31], v[94:95], v[30:31]
	v_add_f64 v[94:95], v[104:105], v[30:31]
	v_add_f64 v[96:97], v[104:105], -v[94:95]
	v_add_f64 v[30:31], v[30:31], v[96:97]
	v_mul_f64 v[96:97], v[98:99], v[94:95]
	v_mul_f64 v[100:101], v[14:15], v[96:97]
	v_fma_f64 v[14:15], v[96:97], v[14:15], -v[100:101]
	v_fmac_f64_e32 v[14:15], v[96:97], v[6:7]
	v_add_f64 v[6:7], v[100:101], v[14:15]
	v_add_f64 v[102:103], v[94:95], -v[6:7]
	v_add_f64 v[94:95], v[94:95], -v[102:103]
	;; [unrolled: 1-line block ×4, first 2 shown]
	v_add_f64 v[6:7], v[30:31], v[6:7]
	v_add_f64 v[14:15], v[100:101], -v[14:15]
	v_add_f64 v[6:7], v[14:15], v[6:7]
	v_add_f64 v[14:15], v[32:33], v[96:97]
	;; [unrolled: 1-line block ×3, first 2 shown]
	v_add_f64 v[30:31], v[14:15], -v[32:33]
	v_mul_f64 v[6:7], v[98:99], v[6:7]
	v_add_f64 v[30:31], v[96:97], -v[30:31]
	v_add_f64 v[6:7], v[30:31], v[6:7]
	v_add_f64 v[30:31], v[14:15], v[6:7]
	v_add_f64 v[14:15], v[30:31], -v[14:15]
	v_add_f64 v[6:7], v[6:7], -v[14:15]
	v_mul_f64 v[14:15], v[30:31], v[30:31]
	v_pk_mov_b32 v[32:33], v[34:35], v[34:35] op_sel:[0,1]
	v_fmac_f64_e32 v[32:33], s[30:31], v[14:15]
	v_pk_mov_b32 v[94:95], v[36:37], v[36:37] op_sel:[0,1]
	v_fmac_f64_e32 v[94:95], v[14:15], v[32:33]
	;; [unrolled: 2-line block ×6, first 2 shown]
	v_cvt_f64_i32_e32 v[32:33], v1
	v_mul_f64 v[96:97], v[32:33], s[34:35]
	v_fma_f64 v[98:99], v[32:33], s[34:35], -v[96:97]
	v_fmac_f64_e32 v[98:99], s[36:37], v[32:33]
	v_add_f64 v[32:33], v[96:97], v[98:99]
	v_add_f64 v[96:97], v[32:33], -v[96:97]
	v_mul_f64 v[14:15], v[30:31], v[14:15]
	v_add_f64 v[96:97], v[98:99], -v[96:97]
	v_ldexp_f64 v[98:99], v[30:31], 1
	v_mul_f64 v[14:15], v[14:15], v[94:95]
	v_add_f64 v[30:31], v[98:99], v[14:15]
	v_add_f64 v[94:95], v[30:31], -v[98:99]
	v_ldexp_f64 v[6:7], v[6:7], 1
	v_add_f64 v[14:15], v[14:15], -v[94:95]
	v_add_f64 v[6:7], v[6:7], v[14:15]
	v_add_f64 v[14:15], v[30:31], v[6:7]
	v_add_f64 v[30:31], v[14:15], -v[30:31]
	v_add_f64 v[6:7], v[6:7], -v[30:31]
	v_add_f64 v[30:31], v[32:33], v[14:15]
	v_add_f64 v[94:95], v[30:31], -v[32:33]
	v_add_f64 v[98:99], v[30:31], -v[94:95]
	;; [unrolled: 1-line block ×4, first 2 shown]
	v_add_f64 v[14:15], v[14:15], v[32:33]
	v_add_f64 v[32:33], v[96:97], v[6:7]
	v_add_f64 v[94:95], v[32:33], -v[96:97]
	v_add_f64 v[14:15], v[32:33], v[14:15]
	v_add_f64 v[98:99], v[32:33], -v[94:95]
	v_add_f64 v[32:33], v[30:31], v[14:15]
	v_add_f64 v[96:97], v[96:97], -v[98:99]
	v_add_f64 v[6:7], v[6:7], -v[94:95]
	v_add_f64 v[30:31], v[32:33], -v[30:31]
	v_add_f64 v[6:7], v[6:7], v[96:97]
	v_add_f64 v[14:15], v[14:15], -v[30:31]
	v_add_f64 v[6:7], v[6:7], v[14:15]
	v_max_f64 v[14:15], |v[12:13]|, |v[12:13]|
	v_max_f64 v[30:31], |v[10:11]|, |v[10:11]|
	v_add_f64 v[6:7], v[32:33], v[6:7]
	v_max_f64 v[32:33], v[30:31], v[14:15]
	v_min_f64 v[14:15], v[30:31], v[14:15]
	v_div_scale_f64 v[94:95], s[12:13], v[32:33], v[32:33], v[14:15]
	v_cmp_eq_f64_e32 vcc, s[38:39], v[2:3]
	v_rcp_f64_e32 v[96:97], v[94:95]
	v_cndmask_b32_e32 v7, v7, v3, vcc
	v_cndmask_b32_e32 v6, v6, v2, vcc
	v_mul_f64 v[6:7], v[6:7], 0.5
	v_cmp_ngt_f64_e32 vcc, -1.0, v[2:3]
	v_cndmask_b32_e32 v1, v112, v7, vcc
	v_cmp_nge_f64_e32 vcc, -1.0, v[2:3]
	v_cndmask_b32_e32 v30, 0, v6, vcc
	v_cmp_neq_f64_e32 vcc, -1.0, v[2:3]
	v_fma_f64 v[2:3], -v[94:95], v[96:97], 1.0
	v_fmac_f64_e32 v[96:97], v[96:97], v[2:3]
	v_fma_f64 v[2:3], -v[94:95], v[96:97], 1.0
	v_cndmask_b32_e32 v31, v113, v1, vcc
	v_fmac_f64_e32 v[96:97], v[96:97], v[2:3]
	v_div_scale_f64 v[2:3], vcc, v[14:15], v[32:33], v[14:15]
	v_mul_f64 v[6:7], v[2:3], v[96:97]
	v_fma_f64 v[2:3], -v[94:95], v[6:7], v[2:3]
	v_cmp_class_f64_e64 s[64:65], v[10:11], s75
	s_nop 0
	v_div_fmas_f64 v[2:3], v[2:3], v[96:97], v[6:7]
	v_div_fixup_f64 v[2:3], v[2:3], v[32:33], v[14:15]
	v_mul_f64 v[6:7], v[2:3], v[2:3]
	v_pk_mov_b32 v[14:15], v[46:47], v[46:47] op_sel:[0,1]
	v_fmac_f64_e32 v[14:15], s[40:41], v[6:7]
	v_pk_mov_b32 v[32:33], v[48:49], v[48:49] op_sel:[0,1]
	v_fmac_f64_e32 v[32:33], v[6:7], v[14:15]
	;; [unrolled: 2-line block ×19, first 2 shown]
	v_mul_f64 v[6:7], v[6:7], v[14:15]
	v_fmac_f64_e32 v[2:3], v[2:3], v[6:7]
	v_ashrrev_i32_e32 v6, 31, v11
	v_and_b32_e32 v8, 0x400921fb, v6
	v_and_b32_e32 v10, 0x54442d18, v6
	v_add_f64 v[6:7], -v[2:3], s[42:43]
	v_cndmask_b32_e64 v3, v3, v7, s[10:11]
	v_cndmask_b32_e64 v2, v2, v6, s[10:11]
	s_mov_b32 s44, s42
	v_cmp_gt_i32_e32 vcc, 0, v11
	v_add_f64 v[6:7], -v[2:3], s[44:45]
	v_cmp_class_f64_e64 s[12:13], v[12:13], s75
	v_cndmask_b32_e32 v1, v114, v115, vcc
	v_cndmask_b32_e32 v4, v116, v117, vcc
	;; [unrolled: 1-line block ×4, first 2 shown]
	v_cmp_eq_f64_e32 vcc, 0, v[12:13]
	v_bfi_b32 v4, s74, v4, v13
	v_cndmask_b32_e32 v2, v2, v10, vcc
	v_cndmask_b32_e32 v3, v3, v8, vcc
	s_and_b64 vcc, s[12:13], s[64:65]
	v_cndmask_b32_e32 v33, v3, v4, vcc
	v_cndmask_b32_e32 v32, v2, v1, vcc
.LBB174_132:                            ;   in Loop: Header=BB174_4 Depth=1
	s_or_b64 exec, exec, s[62:63]
.LBB174_133:                            ;   in Loop: Header=BB174_4 Depth=1
	s_or_b64 exec, exec, s[60:61]
.LBB174_134:                            ;   in Loop: Header=BB174_4 Depth=1
	s_andn2_saveexec_b64 s[58:59], s[58:59]
	s_cbranch_execz .LBB174_136
; %bb.135:                              ;   in Loop: Header=BB174_4 Depth=1
	v_max_f64 v[2:3], |v[12:13]|, |v[12:13]|
	v_max_f64 v[6:7], |v[10:11]|, |v[10:11]|
	v_max_f64 v[14:15], v[6:7], v[2:3]
	v_frexp_exp_i32_f64_e32 v1, v[14:15]
	v_sub_u32_e32 v4, 0, v1
	v_ldexp_f64 v[32:33], |v[12:13]|, v4
	v_ldexp_f64 v[30:31], |v[10:11]|, v4
	v_mul_f64 v[32:33], v[32:33], v[32:33]
	v_fmac_f64_e32 v[32:33], v[30:31], v[30:31]
	v_rsq_f64_e32 v[30:31], v[32:33]
	v_cmp_eq_f64_e32 vcc, 0, v[32:33]
	v_cmp_class_f64_e64 s[60:61], v[10:11], s75
	v_cmp_class_f64_e64 s[62:63], v[12:13], s75
	v_mul_f64 v[94:95], v[32:33], v[30:31]
	v_mul_f64 v[30:31], v[30:31], 0.5
	v_fma_f64 v[96:97], -v[30:31], v[94:95], 0.5
	v_fmac_f64_e32 v[94:95], v[94:95], v[96:97]
	v_fmac_f64_e32 v[30:31], v[30:31], v[96:97]
	v_fma_f64 v[96:97], -v[94:95], v[94:95], v[32:33]
	v_fmac_f64_e32 v[94:95], v[96:97], v[30:31]
	v_cndmask_b32_e32 v31, v95, v33, vcc
	v_cndmask_b32_e32 v30, v94, v32, vcc
	v_ldexp_f64 v[30:31], v[30:31], v1
	s_or_b64 vcc, s[62:63], s[60:61]
	v_cndmask_b32_e32 v33, v31, v119, vcc
	v_cndmask_b32_e64 v32, v30, 0, vcc
	v_frexp_mant_f64_e32 v[94:95], v[32:33]
	v_cmp_gt_f64_e64 s[12:13], s[28:29], v[94:95]
	v_cndmask_b32_e64 v85, v118, 2.0, s[12:13]
	v_mul_f64 v[94:95], v[94:95], v[84:85]
	v_add_f64 v[96:97], v[94:95], 1.0
	v_rcp_f64_e32 v[98:99], v[96:97]
	v_add_f64 v[102:103], v[96:97], -1.0
	v_add_f64 v[100:101], v[94:95], -1.0
	v_add_f64 v[94:95], v[94:95], -v[102:103]
	v_fma_f64 v[102:103], -v[96:97], v[98:99], 1.0
	v_fmac_f64_e32 v[98:99], v[102:103], v[98:99]
	v_fma_f64 v[102:103], -v[96:97], v[98:99], 1.0
	v_fmac_f64_e32 v[98:99], v[102:103], v[98:99]
	v_mul_f64 v[102:103], v[100:101], v[98:99]
	v_mul_f64 v[104:105], v[96:97], v[102:103]
	v_fma_f64 v[96:97], v[102:103], v[96:97], -v[104:105]
	v_fmac_f64_e32 v[96:97], v[102:103], v[94:95]
	v_add_f64 v[94:95], v[104:105], v[96:97]
	v_add_f64 v[106:107], v[100:101], -v[94:95]
	v_add_f64 v[104:105], v[94:95], -v[104:105]
	v_add_f64 v[100:101], v[100:101], -v[106:107]
	v_add_f64 v[94:95], v[100:101], -v[94:95]
	v_add_f64 v[96:97], v[104:105], -v[96:97]
	v_add_f64 v[94:95], v[96:97], v[94:95]
	v_add_f64 v[94:95], v[106:107], v[94:95]
	v_mul_f64 v[94:95], v[98:99], v[94:95]
	v_add_f64 v[96:97], v[102:103], v[94:95]
	v_add_f64 v[98:99], v[96:97], -v[102:103]
	v_add_f64 v[94:95], v[94:95], -v[98:99]
	v_mul_f64 v[98:99], v[96:97], v[96:97]
	v_pk_mov_b32 v[100:101], v[34:35], v[34:35] op_sel:[0,1]
	v_fmac_f64_e32 v[100:101], s[30:31], v[98:99]
	v_pk_mov_b32 v[102:103], v[36:37], v[36:37] op_sel:[0,1]
	v_fmac_f64_e32 v[102:103], v[98:99], v[100:101]
	;; [unrolled: 2-line block ×6, first 2 shown]
	v_ldexp_f64 v[100:101], v[96:97], 1
	v_mul_f64 v[96:97], v[96:97], v[98:99]
	v_mul_f64 v[96:97], v[96:97], v[102:103]
	v_add_f64 v[98:99], v[100:101], v[96:97]
	v_add_f64 v[100:101], v[98:99], -v[100:101]
	v_ldexp_f64 v[94:95], v[94:95], 1
	v_add_f64 v[96:97], v[96:97], -v[100:101]
	v_add_f64 v[94:95], v[94:95], v[96:97]
	v_frexp_exp_i32_f64_e32 v1, v[32:33]
	v_add_f64 v[96:97], v[98:99], v[94:95]
	v_subbrev_co_u32_e64 v1, s[12:13], 0, v1, s[12:13]
	v_add_f64 v[98:99], v[96:97], -v[98:99]
	v_add_f64 v[94:95], v[94:95], -v[98:99]
	v_cvt_f64_i32_e32 v[98:99], v1
	v_mul_f64 v[100:101], v[98:99], s[34:35]
	v_fma_f64 v[102:103], v[98:99], s[34:35], -v[100:101]
	v_fmac_f64_e32 v[102:103], s[36:37], v[98:99]
	v_add_f64 v[98:99], v[100:101], v[102:103]
	v_add_f64 v[100:101], v[98:99], -v[100:101]
	v_add_f64 v[100:101], v[102:103], -v[100:101]
	v_add_f64 v[102:103], v[98:99], v[96:97]
	v_add_f64 v[104:105], v[102:103], -v[98:99]
	v_add_f64 v[106:107], v[102:103], -v[104:105]
	;; [unrolled: 1-line block ×4, first 2 shown]
	v_add_f64 v[96:97], v[96:97], v[98:99]
	v_add_f64 v[98:99], v[100:101], v[94:95]
	v_add_f64 v[104:105], v[98:99], -v[100:101]
	v_add_f64 v[106:107], v[98:99], -v[104:105]
	v_add_f64 v[96:97], v[98:99], v[96:97]
	v_add_f64 v[100:101], v[100:101], -v[106:107]
	v_add_f64 v[94:95], v[94:95], -v[104:105]
	v_add_f64 v[98:99], v[102:103], v[96:97]
	v_add_f64 v[94:95], v[94:95], v[100:101]
	v_add_f64 v[100:101], v[98:99], -v[102:103]
	v_add_f64 v[96:97], v[96:97], -v[100:101]
	v_add_f64 v[94:95], v[94:95], v[96:97]
	v_add_f64 v[94:95], v[98:99], v[94:95]
	v_cmp_class_f64_e64 s[12:13], v[30:31], s75
	v_min_f64 v[2:3], v[6:7], v[2:3]
	v_cndmask_b32_e64 v1, v95, v31, s[12:13]
	v_cndmask_b32_e64 v4, v94, v30, s[12:13]
	v_div_scale_f64 v[6:7], s[12:13], v[14:15], v[14:15], v[2:3]
	v_rcp_f64_e32 v[94:95], v[6:7]
	v_cndmask_b32_e64 v4, v4, 0, vcc
	v_cndmask_b32_e32 v1, v1, v119, vcc
	v_cmp_ngt_f64_e32 vcc, 0, v[32:33]
	v_cndmask_b32_e32 v1, v112, v1, vcc
	v_cmp_nge_f64_e32 vcc, 0, v[32:33]
	v_cndmask_b32_e32 v30, 0, v4, vcc
	v_cmp_neq_f64_e32 vcc, 0, v[32:33]
	v_fma_f64 v[32:33], -v[6:7], v[94:95], 1.0
	v_fmac_f64_e32 v[94:95], v[94:95], v[32:33]
	v_fma_f64 v[32:33], -v[6:7], v[94:95], 1.0
	v_cndmask_b32_e32 v31, v113, v1, vcc
	v_fmac_f64_e32 v[94:95], v[94:95], v[32:33]
	v_div_scale_f64 v[32:33], vcc, v[2:3], v[14:15], v[2:3]
	v_mul_f64 v[96:97], v[32:33], v[94:95]
	v_fma_f64 v[6:7], -v[6:7], v[96:97], v[32:33]
	v_pk_mov_b32 v[32:33], v[48:49], v[48:49] op_sel:[0,1]
	s_nop 0
	v_div_fmas_f64 v[6:7], v[6:7], v[94:95], v[96:97]
	v_div_fixup_f64 v[2:3], v[6:7], v[14:15], v[2:3]
	v_mul_f64 v[6:7], v[2:3], v[2:3]
	v_pk_mov_b32 v[14:15], v[46:47], v[46:47] op_sel:[0,1]
	v_fmac_f64_e32 v[14:15], s[40:41], v[6:7]
	v_fmac_f64_e32 v[32:33], v[6:7], v[14:15]
	v_pk_mov_b32 v[14:15], v[50:51], v[50:51] op_sel:[0,1]
	v_fmac_f64_e32 v[14:15], v[6:7], v[32:33]
	v_pk_mov_b32 v[32:33], v[52:53], v[52:53] op_sel:[0,1]
	;; [unrolled: 2-line block ×17, first 2 shown]
	v_fmac_f64_e32 v[14:15], v[6:7], v[32:33]
	v_mul_f64 v[6:7], v[6:7], v[14:15]
	v_fmac_f64_e32 v[2:3], v[2:3], v[6:7]
	v_ashrrev_i32_e32 v6, 31, v11
	v_and_b32_e32 v8, 0x400921fb, v6
	v_and_b32_e32 v10, 0x54442d18, v6
	v_add_f64 v[6:7], -v[2:3], s[42:43]
	v_cndmask_b32_e64 v3, v3, v7, s[10:11]
	v_cndmask_b32_e64 v2, v2, v6, s[10:11]
	s_mov_b32 s44, s42
	v_cmp_gt_i32_e32 vcc, 0, v11
	v_add_f64 v[6:7], -v[2:3], s[44:45]
	v_cndmask_b32_e32 v1, v114, v115, vcc
	v_cndmask_b32_e32 v4, v116, v117, vcc
	;; [unrolled: 1-line block ×4, first 2 shown]
	v_cmp_eq_f64_e32 vcc, 0, v[12:13]
	v_bfi_b32 v4, s74, v4, v13
	v_cndmask_b32_e32 v2, v2, v10, vcc
	v_cndmask_b32_e32 v3, v3, v8, vcc
	s_and_b64 vcc, s[62:63], s[60:61]
	v_cndmask_b32_e32 v33, v3, v4, vcc
	v_cndmask_b32_e32 v32, v2, v1, vcc
.LBB174_136:                            ;   in Loop: Header=BB174_4 Depth=1
	s_or_b64 exec, exec, s[58:59]
                                        ; implicit-def: $vgpr2_vgpr3
.LBB174_137:                            ;   in Loop: Header=BB174_4 Depth=1
	s_andn2_saveexec_b64 s[12:13], s[56:57]
	s_cbranch_execz .LBB174_143
; %bb.138:                              ;   in Loop: Header=BB174_4 Depth=1
	v_cmp_ngt_f64_e32 vcc, s[48:49], v[2:3]
                                        ; implicit-def: $vgpr30_vgpr31
	s_and_saveexec_b64 s[56:57], vcc
	s_xor_b64 s[56:57], exec, s[56:57]
	s_cbranch_execz .LBB174_140
; %bb.139:                              ;   in Loop: Header=BB174_4 Depth=1
	v_mul_f64 v[2:3], v[2:3], v[2:3]
	v_add_f64 v[6:7], v[2:3], 1.0
	v_add_f64 v[14:15], v[6:7], -1.0
	v_add_f64 v[30:31], v[14:15], -v[6:7]
	v_add_f64 v[30:31], v[30:31], 1.0
	v_add_f64 v[14:15], v[2:3], -v[14:15]
	v_add_f64 v[14:15], v[14:15], v[30:31]
	v_frexp_mant_f64_e32 v[30:31], v[6:7]
	v_frexp_exp_i32_f64_e32 v1, v[6:7]
	v_cmp_gt_f64_e32 vcc, s[28:29], v[30:31]
	v_subbrev_co_u32_e32 v1, vcc, 0, v1, vcc
	v_sub_u32_e32 v4, 0, v1
	v_ldexp_f64 v[6:7], v[6:7], v4
	v_add_f64 v[30:31], v[6:7], -1.0
	v_add_f64 v[96:97], v[6:7], 1.0
	v_add_f64 v[32:33], v[30:31], 1.0
	v_add_f64 v[98:99], v[96:97], -1.0
	v_ldexp_f64 v[14:15], v[14:15], v4
	v_add_f64 v[32:33], v[6:7], -v[32:33]
	v_add_f64 v[6:7], v[6:7], -v[98:99]
	v_add_f64 v[6:7], v[14:15], v[6:7]
	v_add_f64 v[32:33], v[14:15], v[32:33]
	;; [unrolled: 1-line block ×3, first 2 shown]
	v_rcp_f64_e32 v[98:99], v[14:15]
	v_add_f64 v[94:95], v[30:31], v[32:33]
	v_add_f64 v[30:31], v[30:31], -v[94:95]
	v_add_f64 v[30:31], v[32:33], v[30:31]
	v_add_f64 v[32:33], v[96:97], -v[14:15]
	v_add_f64 v[6:7], v[6:7], v[32:33]
	v_fma_f64 v[32:33], -v[14:15], v[98:99], 1.0
	v_fmac_f64_e32 v[98:99], v[32:33], v[98:99]
	v_fma_f64 v[32:33], -v[14:15], v[98:99], 1.0
	v_fmac_f64_e32 v[98:99], v[32:33], v[98:99]
	v_mul_f64 v[32:33], v[94:95], v[98:99]
	v_mul_f64 v[96:97], v[14:15], v[32:33]
	v_fma_f64 v[100:101], v[32:33], v[14:15], -v[96:97]
	v_fmac_f64_e32 v[100:101], v[32:33], v[6:7]
	v_add_f64 v[102:103], v[96:97], v[100:101]
	v_add_f64 v[104:105], v[94:95], -v[102:103]
	v_add_f64 v[94:95], v[94:95], -v[104:105]
	;; [unrolled: 1-line block ×4, first 2 shown]
	v_add_f64 v[30:31], v[30:31], v[94:95]
	v_add_f64 v[94:95], v[96:97], -v[100:101]
	v_add_f64 v[30:31], v[94:95], v[30:31]
	v_add_f64 v[94:95], v[104:105], v[30:31]
	v_add_f64 v[96:97], v[104:105], -v[94:95]
	v_add_f64 v[30:31], v[30:31], v[96:97]
	v_mul_f64 v[96:97], v[98:99], v[94:95]
	v_mul_f64 v[100:101], v[14:15], v[96:97]
	v_fma_f64 v[14:15], v[96:97], v[14:15], -v[100:101]
	v_fmac_f64_e32 v[14:15], v[96:97], v[6:7]
	v_add_f64 v[6:7], v[100:101], v[14:15]
	v_add_f64 v[102:103], v[94:95], -v[6:7]
	v_add_f64 v[94:95], v[94:95], -v[102:103]
	;; [unrolled: 1-line block ×4, first 2 shown]
	v_add_f64 v[6:7], v[30:31], v[6:7]
	v_add_f64 v[14:15], v[100:101], -v[14:15]
	v_add_f64 v[6:7], v[14:15], v[6:7]
	v_add_f64 v[14:15], v[32:33], v[96:97]
	v_add_f64 v[6:7], v[102:103], v[6:7]
	v_add_f64 v[30:31], v[14:15], -v[32:33]
	v_mul_f64 v[6:7], v[98:99], v[6:7]
	v_add_f64 v[30:31], v[96:97], -v[30:31]
	v_add_f64 v[6:7], v[30:31], v[6:7]
	v_add_f64 v[30:31], v[14:15], v[6:7]
	v_add_f64 v[14:15], v[30:31], -v[14:15]
	v_add_f64 v[6:7], v[6:7], -v[14:15]
	v_mul_f64 v[14:15], v[30:31], v[30:31]
	v_pk_mov_b32 v[32:33], v[34:35], v[34:35] op_sel:[0,1]
	v_fmac_f64_e32 v[32:33], s[30:31], v[14:15]
	v_pk_mov_b32 v[94:95], v[36:37], v[36:37] op_sel:[0,1]
	v_fmac_f64_e32 v[94:95], v[14:15], v[32:33]
	;; [unrolled: 2-line block ×6, first 2 shown]
	v_cvt_f64_i32_e32 v[32:33], v1
	v_mul_f64 v[96:97], v[32:33], s[34:35]
	v_fma_f64 v[98:99], v[32:33], s[34:35], -v[96:97]
	v_fmac_f64_e32 v[98:99], s[36:37], v[32:33]
	v_add_f64 v[32:33], v[96:97], v[98:99]
	v_add_f64 v[96:97], v[32:33], -v[96:97]
	v_mul_f64 v[14:15], v[30:31], v[14:15]
	v_add_f64 v[96:97], v[98:99], -v[96:97]
	v_ldexp_f64 v[98:99], v[30:31], 1
	v_mul_f64 v[14:15], v[14:15], v[94:95]
	v_add_f64 v[30:31], v[98:99], v[14:15]
	v_add_f64 v[94:95], v[30:31], -v[98:99]
	v_ldexp_f64 v[6:7], v[6:7], 1
	v_add_f64 v[14:15], v[14:15], -v[94:95]
	v_add_f64 v[6:7], v[6:7], v[14:15]
	v_add_f64 v[14:15], v[30:31], v[6:7]
	v_add_f64 v[30:31], v[14:15], -v[30:31]
	v_add_f64 v[6:7], v[6:7], -v[30:31]
	v_add_f64 v[30:31], v[32:33], v[14:15]
	v_add_f64 v[94:95], v[30:31], -v[32:33]
	v_add_f64 v[98:99], v[30:31], -v[94:95]
	;; [unrolled: 1-line block ×4, first 2 shown]
	v_add_f64 v[14:15], v[14:15], v[32:33]
	v_add_f64 v[32:33], v[96:97], v[6:7]
	v_add_f64 v[94:95], v[32:33], -v[96:97]
	v_add_f64 v[14:15], v[32:33], v[14:15]
	v_add_f64 v[98:99], v[32:33], -v[94:95]
	;; [unrolled: 2-line block ×3, first 2 shown]
	v_add_f64 v[6:7], v[6:7], -v[94:95]
	v_add_f64 v[30:31], v[32:33], -v[30:31]
	v_add_f64 v[6:7], v[6:7], v[96:97]
	v_add_f64 v[14:15], v[14:15], -v[30:31]
	v_add_f64 v[6:7], v[6:7], v[14:15]
	v_max_f64 v[14:15], |v[12:13]|, |v[12:13]|
	v_max_f64 v[30:31], |v[10:11]|, |v[10:11]|
	v_add_f64 v[6:7], v[32:33], v[6:7]
	v_max_f64 v[32:33], v[30:31], v[14:15]
	v_min_f64 v[14:15], v[30:31], v[14:15]
	v_div_scale_f64 v[94:95], s[58:59], v[32:33], v[32:33], v[14:15]
	v_rcp_f64_e32 v[96:97], v[94:95]
	v_cmp_eq_f64_e32 vcc, s[38:39], v[2:3]
	v_cndmask_b32_e32 v3, v7, v3, vcc
	v_cndmask_b32_e32 v2, v6, v2, vcc
	v_mul_f64 v[30:31], v[2:3], 0.5
	v_fma_f64 v[2:3], -v[94:95], v[96:97], 1.0
	v_fmac_f64_e32 v[96:97], v[96:97], v[2:3]
	v_fma_f64 v[2:3], -v[94:95], v[96:97], 1.0
	v_fmac_f64_e32 v[96:97], v[96:97], v[2:3]
	v_div_scale_f64 v[2:3], vcc, v[14:15], v[32:33], v[14:15]
	v_mul_f64 v[6:7], v[2:3], v[96:97]
	v_fma_f64 v[2:3], -v[94:95], v[6:7], v[2:3]
	v_cmp_class_f64_e64 s[60:61], v[10:11], s75
	s_nop 0
	v_div_fmas_f64 v[2:3], v[2:3], v[96:97], v[6:7]
	v_div_fixup_f64 v[2:3], v[2:3], v[32:33], v[14:15]
	v_mul_f64 v[6:7], v[2:3], v[2:3]
	v_pk_mov_b32 v[14:15], v[46:47], v[46:47] op_sel:[0,1]
	v_fmac_f64_e32 v[14:15], s[40:41], v[6:7]
	v_pk_mov_b32 v[32:33], v[48:49], v[48:49] op_sel:[0,1]
	v_fmac_f64_e32 v[32:33], v[6:7], v[14:15]
	;; [unrolled: 2-line block ×19, first 2 shown]
	v_mul_f64 v[6:7], v[6:7], v[14:15]
	v_fmac_f64_e32 v[2:3], v[2:3], v[6:7]
	v_ashrrev_i32_e32 v6, 31, v11
	v_and_b32_e32 v8, 0x400921fb, v6
	v_and_b32_e32 v10, 0x54442d18, v6
	v_add_f64 v[6:7], -v[2:3], s[42:43]
	v_cndmask_b32_e64 v3, v3, v7, s[10:11]
	v_cndmask_b32_e64 v2, v2, v6, s[10:11]
	s_mov_b32 s44, s42
	v_cmp_gt_i32_e32 vcc, 0, v11
	v_add_f64 v[6:7], -v[2:3], s[44:45]
	v_cmp_class_f64_e64 s[58:59], v[12:13], s75
	v_cndmask_b32_e32 v1, v114, v115, vcc
	v_cndmask_b32_e32 v4, v116, v117, vcc
	;; [unrolled: 1-line block ×4, first 2 shown]
	v_cmp_eq_f64_e32 vcc, 0, v[12:13]
	v_bfi_b32 v4, s74, v4, v13
	v_cndmask_b32_e32 v2, v2, v10, vcc
	v_cndmask_b32_e32 v3, v3, v8, vcc
	s_and_b64 vcc, s[58:59], s[60:61]
	v_cndmask_b32_e32 v33, v3, v4, vcc
	v_cndmask_b32_e32 v32, v2, v1, vcc
                                        ; implicit-def: $vgpr2_vgpr3
.LBB174_140:                            ;   in Loop: Header=BB174_4 Depth=1
	s_andn2_saveexec_b64 s[56:57], s[56:57]
	s_cbranch_execz .LBB174_142
; %bb.141:                              ;   in Loop: Header=BB174_4 Depth=1
	v_max_f64 v[6:7], |v[12:13]|, |v[12:13]|
	v_max_f64 v[14:15], |v[10:11]|, |v[10:11]|
	v_max_f64 v[32:33], v[14:15], v[6:7]
	v_min_f64 v[6:7], v[14:15], v[6:7]
	v_div_scale_f64 v[14:15], s[58:59], v[32:33], v[32:33], v[6:7]
	v_rcp_f64_e32 v[94:95], v[14:15]
	v_mul_f64 v[30:31], v[2:3], 0.5
	v_mul_f64 v[30:31], v[2:3], v[30:31]
	v_cmp_class_f64_e64 s[60:61], v[10:11], s75
	v_fma_f64 v[2:3], -v[14:15], v[94:95], 1.0
	v_fmac_f64_e32 v[94:95], v[94:95], v[2:3]
	v_fma_f64 v[2:3], -v[14:15], v[94:95], 1.0
	v_fmac_f64_e32 v[94:95], v[94:95], v[2:3]
	v_div_scale_f64 v[2:3], vcc, v[6:7], v[32:33], v[6:7]
	v_mul_f64 v[96:97], v[2:3], v[94:95]
	v_fma_f64 v[2:3], -v[14:15], v[96:97], v[2:3]
	v_pk_mov_b32 v[14:15], v[46:47], v[46:47] op_sel:[0,1]
	s_nop 0
	v_div_fmas_f64 v[2:3], v[2:3], v[94:95], v[96:97]
	v_div_fixup_f64 v[2:3], v[2:3], v[32:33], v[6:7]
	v_mul_f64 v[6:7], v[2:3], v[2:3]
	v_fmac_f64_e32 v[14:15], s[40:41], v[6:7]
	v_pk_mov_b32 v[32:33], v[48:49], v[48:49] op_sel:[0,1]
	v_fmac_f64_e32 v[32:33], v[6:7], v[14:15]
	v_pk_mov_b32 v[14:15], v[50:51], v[50:51] op_sel:[0,1]
	;; [unrolled: 2-line block ×18, first 2 shown]
	v_fmac_f64_e32 v[14:15], v[6:7], v[32:33]
	v_mul_f64 v[6:7], v[6:7], v[14:15]
	v_fmac_f64_e32 v[2:3], v[2:3], v[6:7]
	v_ashrrev_i32_e32 v6, 31, v11
	v_and_b32_e32 v8, 0x400921fb, v6
	v_and_b32_e32 v10, 0x54442d18, v6
	v_add_f64 v[6:7], -v[2:3], s[42:43]
	v_cndmask_b32_e64 v3, v3, v7, s[10:11]
	v_cndmask_b32_e64 v2, v2, v6, s[10:11]
	s_mov_b32 s44, s42
	v_cmp_gt_i32_e32 vcc, 0, v11
	v_add_f64 v[6:7], -v[2:3], s[44:45]
	v_cmp_class_f64_e64 s[58:59], v[12:13], s75
	v_cndmask_b32_e32 v1, v114, v115, vcc
	v_cndmask_b32_e32 v4, v116, v117, vcc
	;; [unrolled: 1-line block ×4, first 2 shown]
	v_cmp_eq_f64_e32 vcc, 0, v[12:13]
	v_bfi_b32 v4, s74, v4, v13
	v_cndmask_b32_e32 v2, v2, v10, vcc
	v_cndmask_b32_e32 v3, v3, v8, vcc
	s_and_b64 vcc, s[58:59], s[60:61]
	v_cndmask_b32_e32 v33, v3, v4, vcc
	v_cndmask_b32_e32 v32, v2, v1, vcc
.LBB174_142:                            ;   in Loop: Header=BB174_4 Depth=1
	s_or_b64 exec, exec, s[56:57]
.LBB174_143:                            ;   in Loop: Header=BB174_4 Depth=1
	s_or_b64 exec, exec, s[12:13]
.LBB174_144:                            ;   in Loop: Header=BB174_4 Depth=1
	s_andn2_saveexec_b64 s[56:57], s[14:15]
	s_cbranch_execz .LBB174_146
; %bb.145:                              ;   in Loop: Header=BB174_4 Depth=1
	v_div_scale_f64 v[2:3], s[12:13], s[50:51], s[50:51], v[10:11]
	v_rcp_f64_e32 v[6:7], v[2:3]
	v_div_scale_f64 v[14:15], vcc, v[10:11], s[50:51], v[10:11]
	s_mov_b32 s44, s42
	v_fma_f64 v[30:31], -v[2:3], v[6:7], 1.0
	v_fmac_f64_e32 v[6:7], v[6:7], v[30:31]
	v_fma_f64 v[30:31], -v[2:3], v[6:7], 1.0
	v_fmac_f64_e32 v[6:7], v[6:7], v[30:31]
	v_mul_f64 v[30:31], v[14:15], v[6:7]
	v_fma_f64 v[2:3], -v[2:3], v[30:31], v[14:15]
	v_div_scale_f64 v[14:15], s[12:13], s[50:51], s[50:51], v[12:13]
	v_rcp_f64_e32 v[32:33], v[14:15]
	v_div_fmas_f64 v[2:3], v[2:3], v[6:7], v[30:31]
	v_div_fixup_f64 v[2:3], v[2:3], s[50:51], v[10:11]
	v_cmp_class_f64_e64 s[14:15], v[2:3], s75
	v_fma_f64 v[6:7], -v[14:15], v[32:33], 1.0
	v_fmac_f64_e32 v[32:33], v[32:33], v[6:7]
	v_fma_f64 v[6:7], -v[14:15], v[32:33], 1.0
	v_fmac_f64_e32 v[32:33], v[32:33], v[6:7]
	v_div_scale_f64 v[6:7], vcc, v[12:13], s[50:51], v[12:13]
	v_mul_f64 v[30:31], v[6:7], v[32:33]
	v_fma_f64 v[6:7], -v[14:15], v[30:31], v[6:7]
	s_nop 1
	v_div_fmas_f64 v[6:7], v[6:7], v[32:33], v[30:31]
	v_div_fixup_f64 v[6:7], v[6:7], s[50:51], v[12:13]
	v_max_f64 v[14:15], |v[2:3]|, |v[6:7]|
	v_frexp_exp_i32_f64_e32 v1, v[14:15]
	v_sub_u32_e32 v4, 0, v1
	v_ldexp_f64 v[30:31], |v[6:7]|, v4
	v_ldexp_f64 v[14:15], |v[2:3]|, v4
	v_mul_f64 v[30:31], v[30:31], v[30:31]
	v_fmac_f64_e32 v[30:31], v[14:15], v[14:15]
	v_rsq_f64_e32 v[14:15], v[30:31]
	v_cmp_eq_f64_e32 vcc, 0, v[30:31]
	v_cmp_o_f64_e64 s[12:13], v[2:3], v[6:7]
	v_cmp_class_f64_e64 s[58:59], v[6:7], s75
	v_mul_f64 v[32:33], v[30:31], v[14:15]
	v_mul_f64 v[14:15], v[14:15], 0.5
	v_fma_f64 v[94:95], -v[14:15], v[32:33], 0.5
	v_fmac_f64_e32 v[32:33], v[32:33], v[94:95]
	v_fmac_f64_e32 v[14:15], v[14:15], v[94:95]
	v_fma_f64 v[94:95], -v[32:33], v[32:33], v[30:31]
	v_fmac_f64_e32 v[32:33], v[94:95], v[14:15]
	v_cndmask_b32_e32 v15, v33, v31, vcc
	v_cndmask_b32_e32 v14, v32, v30, vcc
	v_ldexp_f64 v[14:15], v[14:15], v1
	v_cndmask_b32_e64 v1, 0, v14, s[12:13]
	v_cndmask_b32_e64 v4, v112, v15, s[12:13]
	s_or_b64 vcc, s[58:59], s[14:15]
	v_cndmask_b32_e32 v3, v4, v119, vcc
	v_cndmask_b32_e64 v2, v1, 0, vcc
	v_frexp_mant_f64_e32 v[6:7], v[2:3]
	v_cmp_gt_f64_e64 s[14:15], s[28:29], v[6:7]
	v_cndmask_b32_e64 v85, v118, 2.0, s[14:15]
	v_mul_f64 v[6:7], v[6:7], v[84:85]
	v_add_f64 v[30:31], v[6:7], 1.0
	v_rcp_f64_e32 v[32:33], v[30:31]
	v_add_f64 v[96:97], v[30:31], -1.0
	v_add_f64 v[94:95], v[6:7], -1.0
	v_add_f64 v[6:7], v[6:7], -v[96:97]
	v_fma_f64 v[96:97], -v[30:31], v[32:33], 1.0
	v_fmac_f64_e32 v[32:33], v[96:97], v[32:33]
	v_fma_f64 v[96:97], -v[30:31], v[32:33], 1.0
	v_fmac_f64_e32 v[32:33], v[96:97], v[32:33]
	v_mul_f64 v[96:97], v[94:95], v[32:33]
	v_mul_f64 v[98:99], v[30:31], v[96:97]
	v_fma_f64 v[30:31], v[96:97], v[30:31], -v[98:99]
	v_fmac_f64_e32 v[30:31], v[96:97], v[6:7]
	v_add_f64 v[6:7], v[98:99], v[30:31]
	v_add_f64 v[100:101], v[94:95], -v[6:7]
	v_add_f64 v[98:99], v[6:7], -v[98:99]
	;; [unrolled: 1-line block ×5, first 2 shown]
	v_add_f64 v[6:7], v[30:31], v[6:7]
	v_add_f64 v[6:7], v[100:101], v[6:7]
	v_mul_f64 v[6:7], v[32:33], v[6:7]
	v_add_f64 v[30:31], v[96:97], v[6:7]
	v_add_f64 v[32:33], v[30:31], -v[96:97]
	v_add_f64 v[6:7], v[6:7], -v[32:33]
	v_mul_f64 v[32:33], v[30:31], v[30:31]
	v_pk_mov_b32 v[94:95], v[34:35], v[34:35] op_sel:[0,1]
	v_fmac_f64_e32 v[94:95], s[30:31], v[32:33]
	v_pk_mov_b32 v[96:97], v[36:37], v[36:37] op_sel:[0,1]
	v_fmac_f64_e32 v[96:97], v[32:33], v[94:95]
	;; [unrolled: 2-line block ×6, first 2 shown]
	v_ldexp_f64 v[94:95], v[30:31], 1
	v_mul_f64 v[30:31], v[30:31], v[32:33]
	v_mul_f64 v[30:31], v[30:31], v[96:97]
	v_add_f64 v[32:33], v[94:95], v[30:31]
	v_add_f64 v[94:95], v[32:33], -v[94:95]
	v_ldexp_f64 v[6:7], v[6:7], 1
	v_add_f64 v[30:31], v[30:31], -v[94:95]
	v_add_f64 v[6:7], v[6:7], v[30:31]
	v_frexp_exp_i32_f64_e32 v8, v[2:3]
	v_add_f64 v[30:31], v[32:33], v[6:7]
	v_subbrev_co_u32_e64 v8, s[14:15], 0, v8, s[14:15]
	v_add_f64 v[32:33], v[30:31], -v[32:33]
	v_add_f64 v[6:7], v[6:7], -v[32:33]
	v_cvt_f64_i32_e32 v[32:33], v8
	v_mul_f64 v[94:95], v[32:33], s[34:35]
	v_fma_f64 v[96:97], v[32:33], s[34:35], -v[94:95]
	v_fmac_f64_e32 v[96:97], s[36:37], v[32:33]
	v_add_f64 v[32:33], v[94:95], v[96:97]
	v_add_f64 v[94:95], v[32:33], -v[94:95]
	v_add_f64 v[94:95], v[96:97], -v[94:95]
	v_add_f64 v[96:97], v[32:33], v[30:31]
	v_add_f64 v[98:99], v[96:97], -v[32:33]
	v_add_f64 v[100:101], v[96:97], -v[98:99]
	;; [unrolled: 1-line block ×4, first 2 shown]
	v_add_f64 v[30:31], v[30:31], v[32:33]
	v_add_f64 v[32:33], v[94:95], v[6:7]
	v_add_f64 v[98:99], v[32:33], -v[94:95]
	v_add_f64 v[100:101], v[32:33], -v[98:99]
	v_add_f64 v[30:31], v[32:33], v[30:31]
	v_add_f64 v[94:95], v[94:95], -v[100:101]
	v_add_f64 v[6:7], v[6:7], -v[98:99]
	v_add_f64 v[32:33], v[96:97], v[30:31]
	v_add_f64 v[6:7], v[6:7], v[94:95]
	v_add_f64 v[94:95], v[32:33], -v[96:97]
	v_add_f64 v[30:31], v[30:31], -v[94:95]
	v_and_b32_e32 v15, 0x7fffffff, v15
	v_add_f64 v[6:7], v[6:7], v[30:31]
	v_cmp_eq_f64_e64 s[14:15], s[38:39], v[14:15]
	v_add_f64 v[6:7], v[32:33], v[6:7]
	s_and_b64 s[12:13], s[12:13], s[14:15]
	v_cndmask_b32_e64 v7, v7, v4, s[12:13]
	v_cndmask_b32_e64 v6, v6, v1, s[12:13]
	v_add_f64 v[6:7], v[6:7], 1.0
	v_cndmask_b32_e64 v1, v6, 0, vcc
	v_cndmask_b32_e32 v4, v7, v119, vcc
	v_max_f64 v[6:7], |v[12:13]|, |v[12:13]|
	v_max_f64 v[14:15], |v[10:11]|, |v[10:11]|
	v_max_f64 v[32:33], v[14:15], v[6:7]
	v_min_f64 v[6:7], v[14:15], v[6:7]
	v_div_scale_f64 v[14:15], s[12:13], v[32:33], v[32:33], v[6:7]
	v_rcp_f64_e32 v[94:95], v[14:15]
	v_cmp_ngt_f64_e32 vcc, 0, v[2:3]
	v_cndmask_b32_e32 v4, v112, v4, vcc
	v_cmp_nge_f64_e32 vcc, 0, v[2:3]
	v_cndmask_b32_e32 v30, 0, v1, vcc
	v_cmp_neq_f64_e32 vcc, 0, v[2:3]
	v_fma_f64 v[2:3], -v[14:15], v[94:95], 1.0
	v_fmac_f64_e32 v[94:95], v[94:95], v[2:3]
	v_fma_f64 v[2:3], -v[14:15], v[94:95], 1.0
	v_cndmask_b32_e32 v31, v113, v4, vcc
	v_fmac_f64_e32 v[94:95], v[94:95], v[2:3]
	v_div_scale_f64 v[2:3], vcc, v[6:7], v[32:33], v[6:7]
	v_mul_f64 v[96:97], v[2:3], v[94:95]
	v_fma_f64 v[2:3], -v[14:15], v[96:97], v[2:3]
	v_pk_mov_b32 v[14:15], v[46:47], v[46:47] op_sel:[0,1]
	s_nop 0
	v_div_fmas_f64 v[2:3], v[2:3], v[94:95], v[96:97]
	v_div_fixup_f64 v[2:3], v[2:3], v[32:33], v[6:7]
	v_mul_f64 v[6:7], v[2:3], v[2:3]
	v_fmac_f64_e32 v[14:15], s[40:41], v[6:7]
	v_pk_mov_b32 v[32:33], v[48:49], v[48:49] op_sel:[0,1]
	v_fmac_f64_e32 v[32:33], v[6:7], v[14:15]
	v_pk_mov_b32 v[14:15], v[50:51], v[50:51] op_sel:[0,1]
	v_fmac_f64_e32 v[14:15], v[6:7], v[32:33]
	v_pk_mov_b32 v[32:33], v[52:53], v[52:53] op_sel:[0,1]
	v_fmac_f64_e32 v[32:33], v[6:7], v[14:15]
	v_pk_mov_b32 v[14:15], v[54:55], v[54:55] op_sel:[0,1]
	v_fmac_f64_e32 v[14:15], v[6:7], v[32:33]
	v_pk_mov_b32 v[32:33], v[56:57], v[56:57] op_sel:[0,1]
	v_fmac_f64_e32 v[32:33], v[6:7], v[14:15]
	v_pk_mov_b32 v[14:15], v[58:59], v[58:59] op_sel:[0,1]
	v_fmac_f64_e32 v[14:15], v[6:7], v[32:33]
	v_pk_mov_b32 v[32:33], v[60:61], v[60:61] op_sel:[0,1]
	v_fmac_f64_e32 v[32:33], v[6:7], v[14:15]
	v_pk_mov_b32 v[14:15], v[62:63], v[62:63] op_sel:[0,1]
	v_fmac_f64_e32 v[14:15], v[6:7], v[32:33]
	v_pk_mov_b32 v[32:33], v[64:65], v[64:65] op_sel:[0,1]
	v_fmac_f64_e32 v[32:33], v[6:7], v[14:15]
	v_pk_mov_b32 v[14:15], v[66:67], v[66:67] op_sel:[0,1]
	v_fmac_f64_e32 v[14:15], v[6:7], v[32:33]
	v_pk_mov_b32 v[32:33], v[68:69], v[68:69] op_sel:[0,1]
	v_fmac_f64_e32 v[32:33], v[6:7], v[14:15]
	v_pk_mov_b32 v[14:15], v[70:71], v[70:71] op_sel:[0,1]
	v_fmac_f64_e32 v[14:15], v[6:7], v[32:33]
	v_pk_mov_b32 v[32:33], v[72:73], v[72:73] op_sel:[0,1]
	v_fmac_f64_e32 v[32:33], v[6:7], v[14:15]
	v_pk_mov_b32 v[14:15], v[74:75], v[74:75] op_sel:[0,1]
	v_fmac_f64_e32 v[14:15], v[6:7], v[32:33]
	v_pk_mov_b32 v[32:33], v[76:77], v[76:77] op_sel:[0,1]
	v_fmac_f64_e32 v[32:33], v[6:7], v[14:15]
	v_pk_mov_b32 v[14:15], v[78:79], v[78:79] op_sel:[0,1]
	v_fmac_f64_e32 v[14:15], v[6:7], v[32:33]
	v_pk_mov_b32 v[32:33], v[80:81], v[80:81] op_sel:[0,1]
	v_fmac_f64_e32 v[32:33], v[6:7], v[14:15]
	v_pk_mov_b32 v[14:15], v[82:83], v[82:83] op_sel:[0,1]
	v_fmac_f64_e32 v[14:15], v[6:7], v[32:33]
	v_mul_f64 v[6:7], v[6:7], v[14:15]
	v_fmac_f64_e32 v[2:3], v[2:3], v[6:7]
	v_ashrrev_i32_e32 v6, 31, v11
	v_cmp_class_f64_e64 s[14:15], v[10:11], s75
	v_and_b32_e32 v8, 0x400921fb, v6
	v_and_b32_e32 v10, 0x54442d18, v6
	v_add_f64 v[6:7], -v[2:3], s[42:43]
	v_cndmask_b32_e64 v3, v3, v7, s[10:11]
	v_cndmask_b32_e64 v2, v2, v6, s[10:11]
	v_cmp_gt_i32_e32 vcc, 0, v11
	v_add_f64 v[6:7], -v[2:3], s[44:45]
	v_cmp_class_f64_e64 s[12:13], v[12:13], s75
	v_cndmask_b32_e32 v1, v114, v115, vcc
	v_cndmask_b32_e32 v4, v116, v117, vcc
	;; [unrolled: 1-line block ×4, first 2 shown]
	v_cmp_eq_f64_e32 vcc, 0, v[12:13]
	v_bfi_b32 v4, s74, v4, v13
	v_cndmask_b32_e32 v2, v2, v10, vcc
	v_cndmask_b32_e32 v3, v3, v8, vcc
	s_and_b64 vcc, s[12:13], s[14:15]
	v_cndmask_b32_e32 v33, v3, v4, vcc
	v_cndmask_b32_e32 v32, v2, v1, vcc
.LBB174_146:                            ;   in Loop: Header=BB174_4 Depth=1
	s_or_b64 exec, exec, s[56:57]
	s_andn2_saveexec_b64 s[10:11], s[54:55]
	s_cbranch_execz .LBB174_116
.LBB174_147:                            ;   in Loop: Header=BB174_4 Depth=1
	v_cmp_nlt_f64_e64 s[12:13], |v[10:11]|, s[52:53]
	v_cmp_nlt_f64_e64 s[14:15], |v[12:13]|, s[52:53]
	s_or_b64 s[12:13], s[14:15], s[12:13]
                                        ; implicit-def: $vgpr2_vgpr3
	s_and_saveexec_b64 s[14:15], s[12:13]
	s_xor_b64 s[12:13], exec, s[14:15]
; %bb.148:                              ;   in Loop: Header=BB174_4 Depth=1
	v_mul_f64 v[2:3], v[10:11], v[10:11]
	v_fmac_f64_e32 v[2:3], v[12:13], v[12:13]
; %bb.149:                              ;   in Loop: Header=BB174_4 Depth=1
	s_andn2_saveexec_b64 s[12:13], s[12:13]
; %bb.150:                              ;   in Loop: Header=BB174_4 Depth=1
	v_mul_f64 v[2:3], v[10:11], 4.0
	v_mul_f64 v[6:7], v[12:13], 4.0
	v_mul_f64 v[2:3], v[2:3], v[2:3]
	v_fmac_f64_e32 v[2:3], v[6:7], v[6:7]
	v_ldexp_f64 v[2:3], v[2:3], -4
; %bb.151:                              ;   in Loop: Header=BB174_4 Depth=1
	s_or_b64 exec, exec, s[12:13]
	v_frexp_mant_f64_e32 v[6:7], v[2:3]
	v_cmp_gt_f64_e32 vcc, s[28:29], v[6:7]
	v_cndmask_b32_e64 v85, v118, 2.0, vcc
	v_mul_f64 v[6:7], v[6:7], v[84:85]
	v_add_f64 v[10:11], v[6:7], 1.0
	v_rcp_f64_e32 v[14:15], v[10:11]
	v_add_f64 v[32:33], v[10:11], -1.0
	v_add_f64 v[30:31], v[6:7], -1.0
	v_add_f64 v[6:7], v[6:7], -v[32:33]
	v_fma_f64 v[32:33], -v[10:11], v[14:15], 1.0
	v_fmac_f64_e32 v[14:15], v[32:33], v[14:15]
	v_fma_f64 v[32:33], -v[10:11], v[14:15], 1.0
	v_fmac_f64_e32 v[14:15], v[32:33], v[14:15]
	v_mul_f64 v[32:33], v[30:31], v[14:15]
	v_mul_f64 v[94:95], v[10:11], v[32:33]
	v_fma_f64 v[10:11], v[32:33], v[10:11], -v[94:95]
	v_fmac_f64_e32 v[10:11], v[32:33], v[6:7]
	v_add_f64 v[6:7], v[94:95], v[10:11]
	v_add_f64 v[96:97], v[30:31], -v[6:7]
	v_add_f64 v[94:95], v[6:7], -v[94:95]
	;; [unrolled: 1-line block ×5, first 2 shown]
	v_add_f64 v[6:7], v[10:11], v[6:7]
	v_add_f64 v[6:7], v[96:97], v[6:7]
	v_mul_f64 v[6:7], v[14:15], v[6:7]
	v_add_f64 v[10:11], v[32:33], v[6:7]
	v_add_f64 v[14:15], v[10:11], -v[32:33]
	v_add_f64 v[6:7], v[6:7], -v[14:15]
	v_mul_f64 v[14:15], v[10:11], v[10:11]
	v_pk_mov_b32 v[30:31], v[34:35], v[34:35] op_sel:[0,1]
	v_fmac_f64_e32 v[30:31], s[30:31], v[14:15]
	v_pk_mov_b32 v[32:33], v[36:37], v[36:37] op_sel:[0,1]
	v_fmac_f64_e32 v[32:33], v[14:15], v[30:31]
	;; [unrolled: 2-line block ×6, first 2 shown]
	v_ldexp_f64 v[30:31], v[10:11], 1
	v_mul_f64 v[10:11], v[10:11], v[14:15]
	v_mul_f64 v[10:11], v[10:11], v[32:33]
	v_add_f64 v[14:15], v[30:31], v[10:11]
	v_add_f64 v[30:31], v[14:15], -v[30:31]
	v_ldexp_f64 v[6:7], v[6:7], 1
	v_add_f64 v[10:11], v[10:11], -v[30:31]
	v_add_f64 v[6:7], v[6:7], v[10:11]
	v_frexp_exp_i32_f64_e32 v1, v[2:3]
	v_add_f64 v[10:11], v[14:15], v[6:7]
	v_subbrev_co_u32_e32 v1, vcc, 0, v1, vcc
	v_add_f64 v[14:15], v[10:11], -v[14:15]
	v_add_f64 v[6:7], v[6:7], -v[14:15]
	v_cvt_f64_i32_e32 v[14:15], v1
	v_mul_f64 v[30:31], v[14:15], s[34:35]
	v_fma_f64 v[32:33], v[14:15], s[34:35], -v[30:31]
	v_fmac_f64_e32 v[32:33], s[36:37], v[14:15]
	v_add_f64 v[14:15], v[30:31], v[32:33]
	v_add_f64 v[30:31], v[14:15], -v[30:31]
	v_add_f64 v[30:31], v[32:33], -v[30:31]
	v_add_f64 v[32:33], v[14:15], v[10:11]
	v_add_f64 v[94:95], v[32:33], -v[14:15]
	v_add_f64 v[96:97], v[32:33], -v[94:95]
	;; [unrolled: 1-line block ×4, first 2 shown]
	v_add_f64 v[10:11], v[10:11], v[14:15]
	v_add_f64 v[14:15], v[30:31], v[6:7]
	v_add_f64 v[94:95], v[14:15], -v[30:31]
	v_add_f64 v[96:97], v[14:15], -v[94:95]
	v_add_f64 v[10:11], v[14:15], v[10:11]
	v_add_f64 v[30:31], v[30:31], -v[96:97]
	v_add_f64 v[6:7], v[6:7], -v[94:95]
	v_add_f64 v[14:15], v[32:33], v[10:11]
	v_add_f64 v[6:7], v[6:7], v[30:31]
	v_add_f64 v[30:31], v[14:15], -v[32:33]
	v_add_f64 v[10:11], v[10:11], -v[30:31]
	v_add_f64 v[6:7], v[6:7], v[10:11]
	v_add_f64 v[6:7], v[14:15], v[6:7]
	v_cmp_class_f64_e64 vcc, v[2:3], s75
	v_cndmask_b32_e32 v1, v6, v2, vcc
	v_cndmask_b32_e32 v4, v7, v3, vcc
	v_cmp_ngt_f64_e32 vcc, 0, v[2:3]
	v_cndmask_b32_e32 v4, v112, v4, vcc
	v_cmp_nge_f64_e32 vcc, 0, v[2:3]
	v_cndmask_b32_e32 v30, 0, v1, vcc
	v_cmp_neq_f64_e32 vcc, 0, v[2:3]
	v_mov_b32_e32 v32, 0
	v_cndmask_b32_e32 v31, v113, v4, vcc
	v_mov_b32_e32 v33, 0x7ff80000
	s_or_b64 exec, exec, s[10:11]
	s_and_saveexec_b64 s[10:11], s[0:1]
	s_xor_b64 s[0:1], exec, s[10:11]
	s_cbranch_execz .LBB174_117
.LBB174_152:                            ;   in Loop: Header=BB174_4 Depth=1
	v_mov_b32_e32 v1, s68
	v_add_co_u32_e32 v2, vcc, s33, v86
	v_bfi_b32 v21, s74, v21, v9
	v_addc_co_u32_e32 v3, vcc, v1, v87, vcc
	global_store_dwordx4 v[2:3], v[18:21], off
	s_or_b64 exec, exec, s[0:1]
	s_and_saveexec_b64 s[0:1], s[2:3]
	s_cbranch_execz .LBB174_118
.LBB174_153:                            ;   in Loop: Header=BB174_4 Depth=1
	v_mov_b32_e32 v1, s68
	v_add_co_u32_e32 v2, vcc, s33, v88
	v_bfi_b32 v25, s74, v25, v5
	v_addc_co_u32_e32 v3, vcc, v1, v89, vcc
	global_store_dwordx4 v[2:3], v[22:25], off
	s_or_b64 exec, exec, s[0:1]
	s_and_saveexec_b64 s[0:1], s[6:7]
	s_cbranch_execz .LBB174_119
.LBB174_154:                            ;   in Loop: Header=BB174_4 Depth=1
	v_mov_b32_e32 v1, s68
	v_add_co_u32_e32 v2, vcc, s33, v90
	v_bfi_b32 v29, s74, v29, v17
	v_addc_co_u32_e32 v3, vcc, v1, v91, vcc
	global_store_dwordx4 v[2:3], v[26:29], off
	s_or_b64 exec, exec, s[0:1]
	s_and_saveexec_b64 s[0:1], s[8:9]
	s_cbranch_execz .LBB174_3
.LBB174_155:                            ;   in Loop: Header=BB174_4 Depth=1
	v_mov_b32_e32 v1, s68
	v_add_co_u32_e32 v2, vcc, s33, v92
	v_bfi_b32 v33, s74, v33, v13
	v_addc_co_u32_e32 v3, vcc, v1, v93, vcc
	global_store_dwordx4 v[2:3], v[30:33], off
	s_branch .LBB174_3
.LBB174_156:
	s_cbranch_execz .LBB174_158
	s_branch .LBB174_297
.LBB174_157:
.LBB174_158:
	v_mov_b32_e32 v34, 0
	v_lshlrev_b32_e32 v2, 2, v0
	v_mov_b32_e32 v3, v34
	s_mov_b32 s58, 0
	v_cmp_gt_i64_e32 vcc, s[16:17], v[2:3]
	s_and_saveexec_b64 s[0:1], vcc
	s_cbranch_execz .LBB174_297
; %bb.159:
	s_load_dword s0, s[4:5], 0xd3c
	s_mov_b32 s8, 0x85ebc8a0
	s_mov_b32 s10, 0x4ad4b81f
	;; [unrolled: 1-line block ×14, first 2 shown]
	s_mov_b64 s[6:7], 0
	v_mov_b32_e32 v104, s68
	s_brev_b32 s59, -2
	s_waitcnt lgkmcnt(0)
	s_and_b32 s60, s0, 0xffff
	s_mov_b32 s9, 0x7fd1ccf3
	s_mov_b32 s11, 0x358dee7a
	;; [unrolled: 1-line block ×9, first 2 shown]
	s_movk_i32 s61, 0x204
	s_mov_b32 s29, 0x3ff921fb
	s_mov_b32 s31, 0x400921fb
	s_mov_b32 s35, 0x3fe66666
	s_mov_b32 s37, 0x20ca2fe7
	s_mov_b32 s39, 0x4005bf0a
	s_brev_b32 s41, 4
	s_mov_b64 s[42:43], 0xffff
	v_mov_b32_e32 v36, 0x6b47b09a
	v_mov_b32_e32 v37, 0x3fc38538
	;; [unrolled: 1-line block ×59, first 2 shown]
	s_branch .LBB174_162
.LBB174_160:                            ;   in Loop: Header=BB174_162 Depth=1
	s_or_b64 exec, exec, s[2:3]
	v_frexp_mant_f64_e32 v[2:3], v[6:7]
	v_cmp_gt_f64_e32 vcc, s[14:15], v[2:3]
	v_cndmask_b32_e64 v35, v111, 2.0, vcc
	v_mul_f64 v[2:3], v[2:3], v[34:35]
	v_add_f64 v[10:11], v[2:3], 1.0
	v_rcp_f64_e32 v[14:15], v[10:11]
	v_add_f64 v[32:33], v[10:11], -1.0
	v_add_f64 v[30:31], v[2:3], -1.0
	v_add_f64 v[2:3], v[2:3], -v[32:33]
	v_fma_f64 v[32:33], -v[10:11], v[14:15], 1.0
	v_fmac_f64_e32 v[14:15], v[32:33], v[14:15]
	v_fma_f64 v[32:33], -v[10:11], v[14:15], 1.0
	v_fmac_f64_e32 v[14:15], v[32:33], v[14:15]
	v_mul_f64 v[32:33], v[30:31], v[14:15]
	v_mul_f64 v[88:89], v[10:11], v[32:33]
	v_fma_f64 v[10:11], v[32:33], v[10:11], -v[88:89]
	v_fmac_f64_e32 v[10:11], v[32:33], v[2:3]
	v_add_f64 v[2:3], v[88:89], v[10:11]
	v_add_f64 v[90:91], v[30:31], -v[2:3]
	v_add_f64 v[88:89], v[2:3], -v[88:89]
	;; [unrolled: 1-line block ×5, first 2 shown]
	v_add_f64 v[2:3], v[10:11], v[2:3]
	v_add_f64 v[2:3], v[90:91], v[2:3]
	v_mul_f64 v[2:3], v[14:15], v[2:3]
	v_add_f64 v[10:11], v[32:33], v[2:3]
	v_add_f64 v[14:15], v[10:11], -v[32:33]
	v_add_f64 v[2:3], v[2:3], -v[14:15]
	v_mul_f64 v[14:15], v[10:11], v[10:11]
	v_pk_mov_b32 v[30:31], v[36:37], v[36:37] op_sel:[0,1]
	v_fmac_f64_e32 v[30:31], s[18:19], v[14:15]
	v_pk_mov_b32 v[32:33], v[38:39], v[38:39] op_sel:[0,1]
	v_fmac_f64_e32 v[32:33], v[14:15], v[30:31]
	;; [unrolled: 2-line block ×6, first 2 shown]
	v_ldexp_f64 v[30:31], v[10:11], 1
	v_mul_f64 v[10:11], v[10:11], v[14:15]
	v_mul_f64 v[10:11], v[10:11], v[32:33]
	v_add_f64 v[14:15], v[30:31], v[10:11]
	v_add_f64 v[30:31], v[14:15], -v[30:31]
	v_ldexp_f64 v[2:3], v[2:3], 1
	v_add_f64 v[10:11], v[10:11], -v[30:31]
	v_add_f64 v[2:3], v[2:3], v[10:11]
	v_frexp_exp_i32_f64_e32 v4, v[6:7]
	v_add_f64 v[10:11], v[14:15], v[2:3]
	v_subbrev_co_u32_e32 v4, vcc, 0, v4, vcc
	v_add_f64 v[14:15], v[10:11], -v[14:15]
	v_add_f64 v[2:3], v[2:3], -v[14:15]
	v_cvt_f64_i32_e32 v[14:15], v4
	v_mul_f64 v[30:31], v[14:15], s[20:21]
	v_fma_f64 v[32:33], v[14:15], s[20:21], -v[30:31]
	v_fmac_f64_e32 v[32:33], s[22:23], v[14:15]
	v_add_f64 v[14:15], v[30:31], v[32:33]
	v_add_f64 v[30:31], v[14:15], -v[30:31]
	v_add_f64 v[30:31], v[32:33], -v[30:31]
	v_add_f64 v[32:33], v[14:15], v[10:11]
	v_add_f64 v[88:89], v[32:33], -v[14:15]
	v_add_f64 v[90:91], v[32:33], -v[88:89]
	;; [unrolled: 1-line block ×4, first 2 shown]
	v_add_f64 v[10:11], v[10:11], v[14:15]
	v_add_f64 v[14:15], v[30:31], v[2:3]
	v_add_f64 v[88:89], v[14:15], -v[30:31]
	v_add_f64 v[90:91], v[14:15], -v[88:89]
	v_add_f64 v[10:11], v[14:15], v[10:11]
	v_add_f64 v[30:31], v[30:31], -v[90:91]
	v_add_f64 v[2:3], v[2:3], -v[88:89]
	v_add_f64 v[14:15], v[32:33], v[10:11]
	v_add_f64 v[2:3], v[2:3], v[30:31]
	v_add_f64 v[30:31], v[14:15], -v[32:33]
	v_add_f64 v[10:11], v[10:11], -v[30:31]
	v_add_f64 v[2:3], v[2:3], v[10:11]
	v_add_f64 v[2:3], v[14:15], v[2:3]
	v_cmp_class_f64_e64 vcc, v[6:7], s61
	v_cndmask_b32_e32 v2, v2, v6, vcc
	v_cndmask_b32_e32 v3, v3, v7, vcc
	v_cmp_ngt_f64_e32 vcc, 0, v[6:7]
	v_cndmask_b32_e32 v3, v105, v3, vcc
	v_cmp_nge_f64_e32 vcc, 0, v[6:7]
	v_cndmask_b32_e32 v30, 0, v2, vcc
	v_cmp_neq_f64_e32 vcc, 0, v[6:7]
	v_mov_b32_e32 v32, 0
	v_cndmask_b32_e32 v31, v106, v3, vcc
	v_mov_b32_e32 v33, 0x7ff80000
.LBB174_161:                            ;   in Loop: Header=BB174_162 Depth=1
	s_or_b64 exec, exec, s[0:1]
	v_mov_b32_e32 v2, s58
	v_add_co_u32_e32 v0, vcc, s60, v0
	v_addc_co_u32_e32 v1, vcc, v1, v2, vcc
	v_lshlrev_b64 v[2:3], 2, v[0:1]
	v_cmp_le_i64_e32 vcc, s[16:17], v[2:3]
	v_cmp_lt_u64_e64 s[0:1], s[42:43], v[2:3]
	s_or_b64 s[0:1], vcc, s[0:1]
	s_and_b64 s[0:1], exec, s[0:1]
	v_bfi_b32 v21, s59, v21, v9
	v_bfi_b32 v33, s59, v33, v5
	s_or_b64 s[6:7], s[0:1], s[6:7]
	v_bfi_b32 v29, s59, v29, v17
	v_bfi_b32 v25, s59, v25, v13
	global_store_dwordx4 v[86:87], v[18:21], off
	global_store_dwordx4 v[86:87], v[22:25], off offset:16
	global_store_dwordx4 v[86:87], v[26:29], off offset:32
	;; [unrolled: 1-line block ×3, first 2 shown]
	s_andn2_b64 exec, exec, s[6:7]
	s_cbranch_execz .LBB174_297
.LBB174_162:                            ; =>This Loop Header: Depth=1
                                        ;     Child Loop BB174_173 Depth 2
                                        ;     Child Loop BB174_207 Depth 2
	;; [unrolled: 1-line block ×4, first 2 shown]
	v_lshlrev_b64 v[2:3], 6, v[0:1]
	v_add_co_u32_e32 v86, vcc, s33, v2
	v_addc_co_u32_e32 v87, vcc, v104, v3, vcc
	global_load_dwordx4 v[10:13], v[86:87], off offset:16
	global_load_dwordx4 v[6:9], v[86:87], off
	global_load_dwordx4 v[2:5], v[86:87], off offset:48
	global_load_dwordx4 v[14:17], v[86:87], off offset:32
                                        ; implicit-def: $vgpr18_vgpr19
	s_waitcnt vmcnt(2)
	v_cmp_o_f64_e32 vcc, v[6:7], v[8:9]
	s_and_saveexec_b64 s[0:1], vcc
	s_xor_b64 s[44:45], exec, s[0:1]
	s_cbranch_execz .LBB174_190
; %bb.163:                              ;   in Loop: Header=BB174_162 Depth=1
	v_and_b32_e32 v24, 0x7fffffff, v7
	v_and_b32_e32 v21, 0x7fffffff, v9
	v_mov_b32_e32 v20, v8
	v_cmp_lt_f64_e64 s[0:1], |v[6:7]|, |v[8:9]|
	v_cndmask_b32_e64 v23, v21, v24, s[0:1]
	v_cndmask_b32_e64 v22, v20, v6, s[0:1]
	v_cmp_nlt_f64_e32 vcc, s[8:9], v[22:23]
                                        ; implicit-def: $vgpr18_vgpr19
	s_and_saveexec_b64 s[2:3], vcc
	s_xor_b64 s[4:5], exec, s[2:3]
	s_cbranch_execz .LBB174_187
; %bb.164:                              ;   in Loop: Header=BB174_162 Depth=1
	v_cndmask_b32_e64 v25, v24, v21, s[0:1]
	v_cndmask_b32_e64 v24, v6, v20, s[0:1]
	v_cmp_neq_f64_e32 vcc, 1.0, v[24:25]
                                        ; implicit-def: $vgpr18_vgpr19
	s_and_saveexec_b64 s[2:3], vcc
	s_xor_b64 s[46:47], exec, s[2:3]
	s_cbranch_execz .LBB174_180
; %bb.165:                              ;   in Loop: Header=BB174_162 Depth=1
	v_max_f64 v[18:19], v[22:23], v[22:23]
	v_max_f64 v[20:21], v[24:25], v[24:25]
	v_min_f64 v[26:27], v[20:21], v[18:19]
	v_max_f64 v[18:19], v[20:21], v[18:19]
	v_cmp_ngt_f64_e32 vcc, s[10:11], v[26:27]
	v_cmp_nlt_f64_e64 s[2:3], s[12:13], v[18:19]
	s_and_b64 s[2:3], s[2:3], vcc
                                        ; implicit-def: $vgpr18_vgpr19
	s_and_saveexec_b64 s[48:49], s[2:3]
	s_xor_b64 s[48:49], exec, s[48:49]
	s_cbranch_execz .LBB174_177
; %bb.166:                              ;   in Loop: Header=BB174_162 Depth=1
	v_cmp_le_f64_e32 vcc, 1.0, v[24:25]
                                        ; implicit-def: $vgpr18_vgpr19
	s_and_saveexec_b64 s[2:3], vcc
	s_xor_b64 s[2:3], exec, s[2:3]
	s_cbranch_execz .LBB174_168
; %bb.167:                              ;   in Loop: Header=BB174_162 Depth=1
	v_add_f64 v[18:19], v[24:25], -1.0
	v_add_f64 v[20:21], v[24:25], 1.0
	v_mul_f64 v[20:21], v[18:19], v[20:21]
	v_fmac_f64_e32 v[20:21], v[22:23], v[22:23]
	v_add_f64 v[18:19], v[20:21], 1.0
	v_add_f64 v[22:23], v[18:19], -1.0
	v_add_f64 v[24:25], v[22:23], -v[18:19]
	v_add_f64 v[24:25], v[24:25], 1.0
	v_add_f64 v[22:23], v[20:21], -v[22:23]
	v_add_f64 v[22:23], v[22:23], v[24:25]
	v_frexp_mant_f64_e32 v[24:25], v[18:19]
	v_frexp_exp_i32_f64_e32 v26, v[18:19]
	v_cmp_gt_f64_e32 vcc, s[14:15], v[24:25]
	v_subbrev_co_u32_e32 v35, vcc, 0, v26, vcc
	v_sub_u32_e32 v24, 0, v35
	v_ldexp_f64 v[18:19], v[18:19], v24
	v_ldexp_f64 v[22:23], v[22:23], v24
	v_add_f64 v[24:25], v[18:19], -1.0
	v_add_f64 v[30:31], v[18:19], 1.0
	v_add_f64 v[26:27], v[24:25], 1.0
	v_add_f64 v[32:33], v[30:31], -1.0
	v_add_f64 v[26:27], v[18:19], -v[26:27]
	v_add_f64 v[18:19], v[18:19], -v[32:33]
	v_add_f64 v[18:19], v[22:23], v[18:19]
	v_add_f64 v[26:27], v[22:23], v[26:27]
	;; [unrolled: 1-line block ×3, first 2 shown]
	v_rcp_f64_e32 v[32:33], v[22:23]
	v_add_f64 v[28:29], v[24:25], v[26:27]
	v_add_f64 v[24:25], v[28:29], -v[24:25]
	v_add_f64 v[24:25], v[26:27], -v[24:25]
	;; [unrolled: 1-line block ×4, first 2 shown]
	v_fma_f64 v[26:27], -v[22:23], v[32:33], 1.0
	v_fmac_f64_e32 v[32:33], v[26:27], v[32:33]
	v_fma_f64 v[26:27], -v[22:23], v[32:33], 1.0
	v_fmac_f64_e32 v[32:33], v[26:27], v[32:33]
	v_mul_f64 v[26:27], v[28:29], v[32:33]
	v_mul_f64 v[30:31], v[22:23], v[26:27]
	v_fma_f64 v[88:89], v[26:27], v[22:23], -v[30:31]
	v_fmac_f64_e32 v[88:89], v[26:27], v[18:19]
	v_add_f64 v[90:91], v[30:31], v[88:89]
	v_add_f64 v[92:93], v[28:29], -v[90:91]
	v_add_f64 v[28:29], v[28:29], -v[92:93]
	;; [unrolled: 1-line block ×4, first 2 shown]
	v_add_f64 v[24:25], v[24:25], v[28:29]
	v_add_f64 v[28:29], v[30:31], -v[88:89]
	v_add_f64 v[24:25], v[28:29], v[24:25]
	v_add_f64 v[28:29], v[92:93], v[24:25]
	v_add_f64 v[30:31], v[92:93], -v[28:29]
	v_add_f64 v[24:25], v[24:25], v[30:31]
	v_mul_f64 v[30:31], v[32:33], v[28:29]
	v_mul_f64 v[88:89], v[22:23], v[30:31]
	v_fma_f64 v[22:23], v[30:31], v[22:23], -v[88:89]
	v_fmac_f64_e32 v[22:23], v[30:31], v[18:19]
	v_add_f64 v[18:19], v[88:89], v[22:23]
	v_add_f64 v[90:91], v[28:29], -v[18:19]
	v_add_f64 v[28:29], v[28:29], -v[90:91]
	;; [unrolled: 1-line block ×4, first 2 shown]
	v_add_f64 v[18:19], v[24:25], v[18:19]
	v_add_f64 v[22:23], v[88:89], -v[22:23]
	v_add_f64 v[18:19], v[22:23], v[18:19]
	v_add_f64 v[22:23], v[26:27], v[30:31]
	;; [unrolled: 1-line block ×3, first 2 shown]
	v_add_f64 v[24:25], v[22:23], -v[26:27]
	v_mul_f64 v[18:19], v[32:33], v[18:19]
	v_add_f64 v[24:25], v[30:31], -v[24:25]
	v_add_f64 v[18:19], v[24:25], v[18:19]
	v_add_f64 v[24:25], v[22:23], v[18:19]
	v_add_f64 v[22:23], v[24:25], -v[22:23]
	v_add_f64 v[18:19], v[18:19], -v[22:23]
	v_mul_f64 v[22:23], v[24:25], v[24:25]
	v_pk_mov_b32 v[26:27], v[36:37], v[36:37] op_sel:[0,1]
	v_fmac_f64_e32 v[26:27], s[18:19], v[22:23]
	v_pk_mov_b32 v[28:29], v[38:39], v[38:39] op_sel:[0,1]
	v_fmac_f64_e32 v[28:29], v[22:23], v[26:27]
	;; [unrolled: 2-line block ×6, first 2 shown]
	v_cvt_f64_i32_e32 v[26:27], v35
	v_mul_f64 v[30:31], v[26:27], s[20:21]
	v_fma_f64 v[32:33], v[26:27], s[20:21], -v[30:31]
	v_fmac_f64_e32 v[32:33], s[22:23], v[26:27]
	v_add_f64 v[26:27], v[30:31], v[32:33]
	v_add_f64 v[30:31], v[26:27], -v[30:31]
	v_mul_f64 v[22:23], v[24:25], v[22:23]
	v_add_f64 v[30:31], v[32:33], -v[30:31]
	v_ldexp_f64 v[32:33], v[24:25], 1
	v_mul_f64 v[22:23], v[22:23], v[28:29]
	v_add_f64 v[24:25], v[32:33], v[22:23]
	v_add_f64 v[28:29], v[24:25], -v[32:33]
	v_ldexp_f64 v[18:19], v[18:19], 1
	v_add_f64 v[22:23], v[22:23], -v[28:29]
	v_add_f64 v[18:19], v[18:19], v[22:23]
	v_add_f64 v[22:23], v[24:25], v[18:19]
	v_add_f64 v[24:25], v[22:23], -v[24:25]
	v_add_f64 v[18:19], v[18:19], -v[24:25]
	v_add_f64 v[24:25], v[26:27], v[22:23]
	v_add_f64 v[28:29], v[24:25], -v[26:27]
	v_add_f64 v[32:33], v[24:25], -v[28:29]
	;; [unrolled: 1-line block ×4, first 2 shown]
	v_add_f64 v[22:23], v[22:23], v[26:27]
	v_add_f64 v[26:27], v[30:31], v[18:19]
	v_add_f64 v[28:29], v[26:27], -v[30:31]
	v_add_f64 v[22:23], v[26:27], v[22:23]
	v_add_f64 v[32:33], v[26:27], -v[28:29]
	;; [unrolled: 2-line block ×3, first 2 shown]
	v_add_f64 v[18:19], v[18:19], -v[28:29]
	v_add_f64 v[24:25], v[26:27], -v[24:25]
	v_add_f64 v[18:19], v[18:19], v[30:31]
	v_add_f64 v[22:23], v[22:23], -v[24:25]
	v_add_f64 v[18:19], v[18:19], v[22:23]
	v_max_f64 v[22:23], |v[8:9]|, |v[8:9]|
	v_max_f64 v[24:25], |v[6:7]|, |v[6:7]|
	v_add_f64 v[18:19], v[26:27], v[18:19]
	v_max_f64 v[26:27], v[24:25], v[22:23]
	v_min_f64 v[22:23], v[24:25], v[22:23]
	v_div_scale_f64 v[24:25], s[50:51], v[26:27], v[26:27], v[22:23]
	v_cmp_eq_f64_e32 vcc, s[24:25], v[20:21]
	v_rcp_f64_e32 v[28:29], v[24:25]
	v_cndmask_b32_e32 v19, v19, v21, vcc
	v_cndmask_b32_e32 v18, v18, v20, vcc
	v_mul_f64 v[18:19], v[18:19], 0.5
	v_cmp_ngt_f64_e32 vcc, -1.0, v[20:21]
	v_cndmask_b32_e32 v19, v105, v19, vcc
	v_cmp_nge_f64_e32 vcc, -1.0, v[20:21]
	v_cndmask_b32_e32 v18, 0, v18, vcc
	v_cmp_neq_f64_e32 vcc, -1.0, v[20:21]
	v_fma_f64 v[20:21], -v[24:25], v[28:29], 1.0
	v_fmac_f64_e32 v[28:29], v[28:29], v[20:21]
	v_fma_f64 v[20:21], -v[24:25], v[28:29], 1.0
	v_cndmask_b32_e32 v19, v106, v19, vcc
	v_fmac_f64_e32 v[28:29], v[28:29], v[20:21]
	v_div_scale_f64 v[20:21], vcc, v[22:23], v[26:27], v[22:23]
	v_mul_f64 v[30:31], v[20:21], v[28:29]
	v_fma_f64 v[20:21], -v[24:25], v[30:31], v[20:21]
	v_pk_mov_b32 v[24:25], v[48:49], v[48:49] op_sel:[0,1]
	s_nop 0
	v_div_fmas_f64 v[20:21], v[20:21], v[28:29], v[30:31]
	v_div_fixup_f64 v[20:21], v[20:21], v[26:27], v[22:23]
	v_mul_f64 v[22:23], v[20:21], v[20:21]
	v_fmac_f64_e32 v[24:25], s[26:27], v[22:23]
	v_pk_mov_b32 v[26:27], v[50:51], v[50:51] op_sel:[0,1]
	v_fmac_f64_e32 v[26:27], v[22:23], v[24:25]
	v_pk_mov_b32 v[24:25], v[52:53], v[52:53] op_sel:[0,1]
	;; [unrolled: 2-line block ×18, first 2 shown]
	v_fmac_f64_e32 v[24:25], v[22:23], v[26:27]
	v_cmp_gt_i32_e32 vcc, 0, v7
	v_mul_f64 v[22:23], v[22:23], v[24:25]
	v_cmp_class_f64_e64 s[52:53], v[6:7], s61
	v_cndmask_b32_e32 v6, v109, v110, vcc
	v_fmac_f64_e32 v[20:21], v[20:21], v[22:23]
	v_bfi_b32 v23, s59, v6, v9
	v_ashrrev_i32_e32 v6, 31, v7
	v_and_b32_e32 v24, 0x400921fb, v6
	v_and_b32_e32 v25, 0x54442d18, v6
	v_add_f64 v[6:7], -v[20:21], s[28:29]
	v_cndmask_b32_e64 v7, v21, v7, s[0:1]
	v_cndmask_b32_e64 v6, v20, v6, s[0:1]
	s_mov_b32 s30, s28
	v_add_f64 v[20:21], -v[6:7], s[30:31]
	v_cmp_class_f64_e64 s[50:51], v[8:9], s61
	v_cndmask_b32_e32 v22, v107, v108, vcc
	v_cndmask_b32_e32 v7, v7, v21, vcc
	;; [unrolled: 1-line block ×3, first 2 shown]
	v_cmp_eq_f64_e32 vcc, 0, v[8:9]
	v_cndmask_b32_e32 v6, v6, v25, vcc
	v_cndmask_b32_e32 v7, v7, v24, vcc
	s_and_b64 vcc, s[52:53], s[50:51]
	v_cndmask_b32_e32 v21, v7, v23, vcc
	v_cndmask_b32_e32 v20, v6, v22, vcc
                                        ; implicit-def: $vgpr22_vgpr23
                                        ; implicit-def: $vgpr24_vgpr25
.LBB174_168:                            ;   in Loop: Header=BB174_162 Depth=1
	s_andn2_saveexec_b64 s[50:51], s[2:3]
	s_cbranch_execz .LBB174_176
; %bb.169:                              ;   in Loop: Header=BB174_162 Depth=1
	v_mul_f64 v[20:21], v[22:23], v[22:23]
	v_fmac_f64_e32 v[20:21], v[24:25], v[24:25]
	v_cmp_ge_f64_e32 vcc, s[34:35], v[20:21]
                                        ; implicit-def: $vgpr18_vgpr19
	s_and_saveexec_b64 s[2:3], vcc
	s_xor_b64 s[2:3], exec, s[2:3]
	s_cbranch_execz .LBB174_171
; %bb.170:                              ;   in Loop: Header=BB174_162 Depth=1
	v_frexp_mant_f64_e32 v[18:19], v[20:21]
	v_cmp_gt_f64_e32 vcc, s[14:15], v[18:19]
	v_cndmask_b32_e64 v35, v111, 2.0, vcc
	v_frexp_exp_i32_f64_e32 v22, v[20:21]
	v_mul_f64 v[18:19], v[18:19], v[34:35]
	v_subbrev_co_u32_e32 v35, vcc, 0, v22, vcc
	v_add_f64 v[22:23], v[18:19], 1.0
	v_rcp_f64_e32 v[24:25], v[22:23]
	v_add_f64 v[28:29], v[22:23], -1.0
	v_add_f64 v[26:27], v[18:19], -1.0
	v_add_f64 v[18:19], v[18:19], -v[28:29]
	v_fma_f64 v[28:29], -v[22:23], v[24:25], 1.0
	v_fmac_f64_e32 v[24:25], v[28:29], v[24:25]
	v_fma_f64 v[28:29], -v[22:23], v[24:25], 1.0
	v_fmac_f64_e32 v[24:25], v[28:29], v[24:25]
	v_mul_f64 v[28:29], v[26:27], v[24:25]
	v_mul_f64 v[30:31], v[22:23], v[28:29]
	v_fma_f64 v[22:23], v[28:29], v[22:23], -v[30:31]
	v_fmac_f64_e32 v[22:23], v[28:29], v[18:19]
	v_add_f64 v[18:19], v[30:31], v[22:23]
	v_add_f64 v[32:33], v[26:27], -v[18:19]
	v_add_f64 v[30:31], v[18:19], -v[30:31]
	;; [unrolled: 1-line block ×5, first 2 shown]
	v_add_f64 v[18:19], v[22:23], v[18:19]
	v_add_f64 v[18:19], v[32:33], v[18:19]
	v_mul_f64 v[18:19], v[24:25], v[18:19]
	v_add_f64 v[22:23], v[28:29], v[18:19]
	v_add_f64 v[24:25], v[22:23], -v[28:29]
	v_add_f64 v[18:19], v[18:19], -v[24:25]
	v_mul_f64 v[24:25], v[22:23], v[22:23]
	v_pk_mov_b32 v[26:27], v[36:37], v[36:37] op_sel:[0,1]
	v_fmac_f64_e32 v[26:27], s[18:19], v[24:25]
	v_pk_mov_b32 v[28:29], v[38:39], v[38:39] op_sel:[0,1]
	v_fmac_f64_e32 v[28:29], v[24:25], v[26:27]
	v_pk_mov_b32 v[26:27], v[40:41], v[40:41] op_sel:[0,1]
	v_fmac_f64_e32 v[26:27], v[24:25], v[28:29]
	v_pk_mov_b32 v[28:29], v[42:43], v[42:43] op_sel:[0,1]
	v_fmac_f64_e32 v[28:29], v[24:25], v[26:27]
	v_pk_mov_b32 v[26:27], v[44:45], v[44:45] op_sel:[0,1]
	v_fmac_f64_e32 v[26:27], v[24:25], v[28:29]
	v_pk_mov_b32 v[28:29], v[46:47], v[46:47] op_sel:[0,1]
	v_fmac_f64_e32 v[28:29], v[24:25], v[26:27]
	v_ldexp_f64 v[26:27], v[22:23], 1
	v_mul_f64 v[22:23], v[22:23], v[24:25]
	v_mul_f64 v[22:23], v[22:23], v[28:29]
	v_add_f64 v[24:25], v[26:27], v[22:23]
	v_add_f64 v[26:27], v[24:25], -v[26:27]
	v_ldexp_f64 v[18:19], v[18:19], 1
	v_add_f64 v[22:23], v[22:23], -v[26:27]
	v_add_f64 v[18:19], v[18:19], v[22:23]
	v_add_f64 v[22:23], v[24:25], v[18:19]
	v_add_f64 v[24:25], v[22:23], -v[24:25]
	v_add_f64 v[18:19], v[18:19], -v[24:25]
	v_cvt_f64_i32_e32 v[24:25], v35
	v_mul_f64 v[26:27], v[24:25], s[20:21]
	v_fma_f64 v[28:29], v[24:25], s[20:21], -v[26:27]
	v_fmac_f64_e32 v[28:29], s[22:23], v[24:25]
	v_add_f64 v[24:25], v[26:27], v[28:29]
	v_add_f64 v[26:27], v[24:25], -v[26:27]
	v_add_f64 v[26:27], v[28:29], -v[26:27]
	v_add_f64 v[28:29], v[24:25], v[22:23]
	v_add_f64 v[30:31], v[28:29], -v[24:25]
	v_add_f64 v[32:33], v[28:29], -v[30:31]
	;; [unrolled: 1-line block ×4, first 2 shown]
	v_add_f64 v[22:23], v[22:23], v[24:25]
	v_add_f64 v[24:25], v[26:27], v[18:19]
	v_add_f64 v[30:31], v[24:25], -v[26:27]
	v_add_f64 v[32:33], v[24:25], -v[30:31]
	v_add_f64 v[22:23], v[24:25], v[22:23]
	v_add_f64 v[26:27], v[26:27], -v[32:33]
	v_add_f64 v[18:19], v[18:19], -v[30:31]
	v_add_f64 v[24:25], v[28:29], v[22:23]
	v_add_f64 v[18:19], v[18:19], v[26:27]
	v_add_f64 v[26:27], v[24:25], -v[28:29]
	v_add_f64 v[22:23], v[22:23], -v[26:27]
	v_add_f64 v[18:19], v[18:19], v[22:23]
	v_add_f64 v[18:19], v[24:25], v[18:19]
	v_max_f64 v[22:23], |v[8:9]|, |v[8:9]|
	v_max_f64 v[24:25], |v[6:7]|, |v[6:7]|
	v_max_f64 v[26:27], v[24:25], v[22:23]
	v_min_f64 v[22:23], v[24:25], v[22:23]
	v_div_scale_f64 v[24:25], s[52:53], v[26:27], v[26:27], v[22:23]
	v_rcp_f64_e32 v[28:29], v[24:25]
	v_cmp_neq_f64_e32 vcc, 0, v[20:21]
	v_mul_f64 v[18:19], v[18:19], 0.5
	v_cndmask_b32_e32 v19, v106, v19, vcc
	v_fma_f64 v[20:21], -v[24:25], v[28:29], 1.0
	v_fmac_f64_e32 v[28:29], v[28:29], v[20:21]
	v_fma_f64 v[20:21], -v[24:25], v[28:29], 1.0
	v_cndmask_b32_e32 v18, 0, v18, vcc
	v_fmac_f64_e32 v[28:29], v[28:29], v[20:21]
	v_div_scale_f64 v[20:21], vcc, v[22:23], v[26:27], v[22:23]
	v_mul_f64 v[30:31], v[20:21], v[28:29]
	v_fma_f64 v[20:21], -v[24:25], v[30:31], v[20:21]
	v_pk_mov_b32 v[24:25], v[48:49], v[48:49] op_sel:[0,1]
	s_nop 0
	v_div_fmas_f64 v[20:21], v[20:21], v[28:29], v[30:31]
	v_div_fixup_f64 v[20:21], v[20:21], v[26:27], v[22:23]
	v_mul_f64 v[22:23], v[20:21], v[20:21]
	v_fmac_f64_e32 v[24:25], s[26:27], v[22:23]
	v_pk_mov_b32 v[26:27], v[50:51], v[50:51] op_sel:[0,1]
	v_fmac_f64_e32 v[26:27], v[22:23], v[24:25]
	v_pk_mov_b32 v[24:25], v[52:53], v[52:53] op_sel:[0,1]
	;; [unrolled: 2-line block ×18, first 2 shown]
	v_fmac_f64_e32 v[24:25], v[22:23], v[26:27]
	v_cmp_gt_i32_e32 vcc, 0, v7
	v_mul_f64 v[22:23], v[22:23], v[24:25]
	v_cmp_class_f64_e64 s[54:55], v[6:7], s61
	v_cndmask_b32_e32 v6, v109, v110, vcc
	v_fmac_f64_e32 v[20:21], v[20:21], v[22:23]
	v_bfi_b32 v23, s59, v6, v9
	v_ashrrev_i32_e32 v6, 31, v7
	v_and_b32_e32 v24, 0x400921fb, v6
	v_and_b32_e32 v25, 0x54442d18, v6
	v_add_f64 v[6:7], -v[20:21], s[28:29]
	v_cndmask_b32_e64 v7, v21, v7, s[0:1]
	v_cndmask_b32_e64 v6, v20, v6, s[0:1]
	s_mov_b32 s30, s28
	v_add_f64 v[20:21], -v[6:7], s[30:31]
	v_cmp_class_f64_e64 s[52:53], v[8:9], s61
	v_cndmask_b32_e32 v22, v107, v108, vcc
	v_cndmask_b32_e32 v7, v7, v21, vcc
	;; [unrolled: 1-line block ×3, first 2 shown]
	v_cmp_eq_f64_e32 vcc, 0, v[8:9]
	v_cndmask_b32_e32 v6, v6, v25, vcc
	v_cndmask_b32_e32 v7, v7, v24, vcc
	s_and_b64 vcc, s[54:55], s[52:53]
	v_cndmask_b32_e32 v21, v7, v23, vcc
	v_cndmask_b32_e32 v20, v6, v22, vcc
                                        ; implicit-def: $vgpr24_vgpr25
                                        ; implicit-def: $vgpr22_vgpr23
.LBB174_171:                            ;   in Loop: Header=BB174_162 Depth=1
	s_andn2_saveexec_b64 s[52:53], s[2:3]
	s_cbranch_execz .LBB174_175
; %bb.172:                              ;   in Loop: Header=BB174_162 Depth=1
	v_and_b32_e32 v35, 0x7ffffff8, v25
	v_add_f64 v[18:19], v[24:25], -v[34:35]
	v_and_b32_e32 v89, -8, v19
	v_mov_b32_e32 v88, v34
	v_and_b32_e32 v25, 0x7ffffff8, v23
	v_mov_b32_e32 v24, v34
	v_add_f64 v[92:93], v[18:19], -v[88:89]
	v_add_f64 v[18:19], v[22:23], -v[24:25]
	v_and_b32_e32 v91, -8, v19
	v_mov_b32_e32 v90, v34
	v_add_f64 v[28:29], v[34:35], v[34:35]
	v_add_f64 v[96:97], v[24:25], v[24:25]
	v_add_f64 v[94:95], v[18:19], -v[90:91]
	v_mul_f64 v[20:21], v[24:25], v[24:25]
	v_mul_f64 v[26:27], v[28:29], v[88:89]
	;; [unrolled: 1-line block ×5, first 2 shown]
	v_add_f64 v[88:89], v[88:89], v[88:89]
	v_add_f64 v[90:91], v[90:91], v[90:91]
	v_mul_f64 v[18:19], v[34:35], v[34:35]
	v_mul_f64 v[30:31], v[28:29], v[92:93]
	;; [unrolled: 1-line block ×7, first 2 shown]
	s_mov_b64 s[54:55], 0
.LBB174_173:                            ;   Parent Loop BB174_162 Depth=1
                                        ; =>  This Inner Loop Header: Depth=2
	v_cmp_nlt_f64_e32 vcc, v[18:19], v[20:21]
	v_cndmask_b32_e32 v97, v19, v21, vcc
	v_cndmask_b32_e32 v96, v18, v20, vcc
	v_cmp_nlt_f64_e64 s[2:3], v[96:97], v[26:27]
	v_cndmask_b32_e64 v99, v97, v27, s[2:3]
	v_cndmask_b32_e64 v98, v96, v26, s[2:3]
	v_cndmask_b32_e32 v19, v21, v19, vcc
	v_cndmask_b32_e32 v18, v20, v18, vcc
	s_and_b64 s[56:57], vcc, s[2:3]
	v_cmp_nlt_f64_e32 vcc, v[98:99], v[24:25]
	v_cndmask_b32_e64 v21, v27, v97, s[2:3]
	v_cndmask_b32_e64 v20, v26, v96, s[2:3]
	v_cndmask_b32_e32 v97, v99, v25, vcc
	v_cndmask_b32_e32 v96, v98, v24, vcc
	v_cmp_nlt_f64_e64 s[2:3], v[96:97], v[32:33]
	v_cndmask_b32_e32 v27, v25, v99, vcc
	v_cndmask_b32_e32 v26, v24, v98, vcc
	v_cndmask_b32_e64 v99, v97, v33, s[2:3]
	v_cndmask_b32_e64 v98, v96, v32, s[2:3]
	s_and_b64 s[62:63], vcc, s[2:3]
	v_cmp_nlt_f64_e32 vcc, v[98:99], v[22:23]
	v_cndmask_b32_e64 v25, v33, v97, s[2:3]
	v_cndmask_b32_e64 v24, v32, v96, s[2:3]
	v_cndmask_b32_e32 v97, v99, v23, vcc
	v_cndmask_b32_e32 v96, v98, v22, vcc
	v_cmp_nlt_f64_e64 s[2:3], v[96:97], v[30:31]
	v_cndmask_b32_e32 v33, v23, v99, vcc
	v_cndmask_b32_e32 v32, v22, v98, vcc
	v_cndmask_b32_e64 v99, v97, v31, s[2:3]
	v_cndmask_b32_e64 v98, v96, v30, s[2:3]
	;; [unrolled: 1-line block ×4, first 2 shown]
	s_and_b64 s[2:3], vcc, s[2:3]
	v_cmp_nlt_f64_e32 vcc, v[98:99], v[28:29]
	v_cndmask_b32_e32 v97, v99, v29, vcc
	v_cndmask_b32_e32 v96, v98, v28, vcc
	v_cndmask_b32_e32 v31, v29, v99, vcc
	v_cndmask_b32_e32 v30, v28, v98, vcc
	s_and_b64 s[2:3], s[2:3], vcc
	v_cmp_nlt_f64_e32 vcc, v[96:97], v[88:89]
	v_cndmask_b32_e32 v99, v97, v89, vcc
	v_cndmask_b32_e32 v98, v96, v88, vcc
	v_cndmask_b32_e32 v29, v89, v97, vcc
	v_cndmask_b32_e32 v28, v88, v96, vcc
	s_and_b64 s[2:3], s[2:3], vcc
	;; [unrolled: 6-line block ×4, first 2 shown]
	v_cmp_nlt_f64_e32 vcc, v[98:99], v[94:95]
	s_and_b64 s[2:3], s[2:3], vcc
	s_and_b64 s[2:3], s[2:3], s[62:63]
	s_and_b64 s[2:3], s[2:3], s[56:57]
	v_cndmask_b32_e32 v97, v99, v95, vcc
	v_cndmask_b32_e32 v96, v98, v94, vcc
	s_and_b64 s[2:3], exec, s[2:3]
	v_cndmask_b32_e32 v93, v95, v99, vcc
	v_cndmask_b32_e32 v92, v94, v98, vcc
	s_or_b64 s[54:55], s[2:3], s[54:55]
	v_pk_mov_b32 v[94:95], v[96:97], v[96:97] op_sel:[0,1]
	s_andn2_b64 exec, exec, s[54:55]
	s_cbranch_execnz .LBB174_173
; %bb.174:                              ;   in Loop: Header=BB174_162 Depth=1
	s_or_b64 exec, exec, s[54:55]
	v_add_f64 v[18:19], v[18:19], -1.0
	v_add_f64 v[18:19], v[18:19], v[20:21]
	v_add_f64 v[18:19], v[18:19], v[26:27]
	;; [unrolled: 1-line block ×11, first 2 shown]
	v_add_f64 v[18:19], v[20:21], 1.0
	v_add_f64 v[22:23], v[18:19], -1.0
	v_add_f64 v[24:25], v[22:23], -v[18:19]
	v_add_f64 v[24:25], v[24:25], 1.0
	v_add_f64 v[22:23], v[20:21], -v[22:23]
	v_add_f64 v[22:23], v[22:23], v[24:25]
	v_frexp_mant_f64_e32 v[24:25], v[18:19]
	v_frexp_exp_i32_f64_e32 v26, v[18:19]
	v_cmp_gt_f64_e32 vcc, s[14:15], v[24:25]
	v_subbrev_co_u32_e32 v35, vcc, 0, v26, vcc
	v_sub_u32_e32 v24, 0, v35
	v_ldexp_f64 v[18:19], v[18:19], v24
	v_ldexp_f64 v[22:23], v[22:23], v24
	v_add_f64 v[24:25], v[18:19], -1.0
	v_add_f64 v[30:31], v[18:19], 1.0
	v_add_f64 v[26:27], v[24:25], 1.0
	v_add_f64 v[32:33], v[30:31], -1.0
	v_add_f64 v[26:27], v[18:19], -v[26:27]
	v_add_f64 v[18:19], v[18:19], -v[32:33]
	v_add_f64 v[18:19], v[22:23], v[18:19]
	v_add_f64 v[26:27], v[22:23], v[26:27]
	;; [unrolled: 1-line block ×3, first 2 shown]
	v_rcp_f64_e32 v[32:33], v[22:23]
	v_add_f64 v[28:29], v[24:25], v[26:27]
	v_add_f64 v[24:25], v[28:29], -v[24:25]
	v_add_f64 v[24:25], v[26:27], -v[24:25]
	v_add_f64 v[26:27], v[22:23], -v[30:31]
	v_add_f64 v[18:19], v[18:19], -v[26:27]
	v_fma_f64 v[26:27], -v[22:23], v[32:33], 1.0
	v_fmac_f64_e32 v[32:33], v[26:27], v[32:33]
	v_fma_f64 v[26:27], -v[22:23], v[32:33], 1.0
	v_fmac_f64_e32 v[32:33], v[26:27], v[32:33]
	v_mul_f64 v[26:27], v[28:29], v[32:33]
	v_mul_f64 v[30:31], v[22:23], v[26:27]
	v_fma_f64 v[88:89], v[26:27], v[22:23], -v[30:31]
	v_fmac_f64_e32 v[88:89], v[26:27], v[18:19]
	v_add_f64 v[90:91], v[30:31], v[88:89]
	v_add_f64 v[92:93], v[28:29], -v[90:91]
	v_add_f64 v[28:29], v[28:29], -v[92:93]
	;; [unrolled: 1-line block ×4, first 2 shown]
	v_add_f64 v[24:25], v[24:25], v[28:29]
	v_add_f64 v[28:29], v[30:31], -v[88:89]
	v_add_f64 v[24:25], v[28:29], v[24:25]
	v_add_f64 v[28:29], v[92:93], v[24:25]
	v_add_f64 v[30:31], v[92:93], -v[28:29]
	v_add_f64 v[24:25], v[24:25], v[30:31]
	v_mul_f64 v[30:31], v[32:33], v[28:29]
	v_mul_f64 v[88:89], v[22:23], v[30:31]
	v_fma_f64 v[22:23], v[30:31], v[22:23], -v[88:89]
	v_fmac_f64_e32 v[22:23], v[30:31], v[18:19]
	v_add_f64 v[18:19], v[88:89], v[22:23]
	v_add_f64 v[90:91], v[28:29], -v[18:19]
	v_add_f64 v[28:29], v[28:29], -v[90:91]
	;; [unrolled: 1-line block ×4, first 2 shown]
	v_add_f64 v[18:19], v[24:25], v[18:19]
	v_add_f64 v[22:23], v[88:89], -v[22:23]
	v_add_f64 v[18:19], v[22:23], v[18:19]
	v_add_f64 v[22:23], v[26:27], v[30:31]
	;; [unrolled: 1-line block ×3, first 2 shown]
	v_add_f64 v[24:25], v[22:23], -v[26:27]
	v_mul_f64 v[18:19], v[32:33], v[18:19]
	v_add_f64 v[24:25], v[30:31], -v[24:25]
	v_add_f64 v[18:19], v[24:25], v[18:19]
	v_add_f64 v[24:25], v[22:23], v[18:19]
	v_add_f64 v[22:23], v[24:25], -v[22:23]
	v_add_f64 v[18:19], v[18:19], -v[22:23]
	v_mul_f64 v[22:23], v[24:25], v[24:25]
	v_pk_mov_b32 v[26:27], v[36:37], v[36:37] op_sel:[0,1]
	v_fmac_f64_e32 v[26:27], s[18:19], v[22:23]
	v_pk_mov_b32 v[28:29], v[38:39], v[38:39] op_sel:[0,1]
	v_fmac_f64_e32 v[28:29], v[22:23], v[26:27]
	;; [unrolled: 2-line block ×6, first 2 shown]
	v_cvt_f64_i32_e32 v[26:27], v35
	v_mul_f64 v[30:31], v[26:27], s[20:21]
	v_fma_f64 v[32:33], v[26:27], s[20:21], -v[30:31]
	v_fmac_f64_e32 v[32:33], s[22:23], v[26:27]
	v_add_f64 v[26:27], v[30:31], v[32:33]
	v_add_f64 v[30:31], v[26:27], -v[30:31]
	v_mul_f64 v[22:23], v[24:25], v[22:23]
	v_add_f64 v[30:31], v[32:33], -v[30:31]
	v_ldexp_f64 v[32:33], v[24:25], 1
	v_mul_f64 v[22:23], v[22:23], v[28:29]
	v_add_f64 v[24:25], v[32:33], v[22:23]
	v_add_f64 v[28:29], v[24:25], -v[32:33]
	v_ldexp_f64 v[18:19], v[18:19], 1
	v_add_f64 v[22:23], v[22:23], -v[28:29]
	v_add_f64 v[18:19], v[18:19], v[22:23]
	v_add_f64 v[22:23], v[24:25], v[18:19]
	v_add_f64 v[24:25], v[22:23], -v[24:25]
	v_add_f64 v[18:19], v[18:19], -v[24:25]
	v_add_f64 v[24:25], v[26:27], v[22:23]
	v_add_f64 v[28:29], v[24:25], -v[26:27]
	v_add_f64 v[32:33], v[24:25], -v[28:29]
	;; [unrolled: 1-line block ×4, first 2 shown]
	v_add_f64 v[22:23], v[22:23], v[26:27]
	v_add_f64 v[26:27], v[30:31], v[18:19]
	v_add_f64 v[28:29], v[26:27], -v[30:31]
	v_add_f64 v[22:23], v[26:27], v[22:23]
	v_add_f64 v[32:33], v[26:27], -v[28:29]
	;; [unrolled: 2-line block ×3, first 2 shown]
	v_add_f64 v[18:19], v[18:19], -v[28:29]
	v_add_f64 v[24:25], v[26:27], -v[24:25]
	v_add_f64 v[18:19], v[18:19], v[30:31]
	v_add_f64 v[22:23], v[22:23], -v[24:25]
	v_add_f64 v[18:19], v[18:19], v[22:23]
	v_max_f64 v[22:23], |v[8:9]|, |v[8:9]|
	v_max_f64 v[24:25], |v[6:7]|, |v[6:7]|
	v_add_f64 v[18:19], v[26:27], v[18:19]
	v_max_f64 v[26:27], v[24:25], v[22:23]
	v_min_f64 v[22:23], v[24:25], v[22:23]
	v_div_scale_f64 v[24:25], s[2:3], v[26:27], v[26:27], v[22:23]
	v_cmp_eq_f64_e32 vcc, s[24:25], v[20:21]
	v_rcp_f64_e32 v[28:29], v[24:25]
	v_cndmask_b32_e32 v19, v19, v21, vcc
	v_cndmask_b32_e32 v18, v18, v20, vcc
	v_mul_f64 v[18:19], v[18:19], 0.5
	v_cmp_ngt_f64_e32 vcc, -1.0, v[20:21]
	v_cndmask_b32_e32 v19, v105, v19, vcc
	v_cmp_nge_f64_e32 vcc, -1.0, v[20:21]
	v_cndmask_b32_e32 v18, 0, v18, vcc
	v_cmp_neq_f64_e32 vcc, -1.0, v[20:21]
	v_fma_f64 v[20:21], -v[24:25], v[28:29], 1.0
	v_fmac_f64_e32 v[28:29], v[28:29], v[20:21]
	v_fma_f64 v[20:21], -v[24:25], v[28:29], 1.0
	v_cndmask_b32_e32 v19, v106, v19, vcc
	v_fmac_f64_e32 v[28:29], v[28:29], v[20:21]
	v_div_scale_f64 v[20:21], vcc, v[22:23], v[26:27], v[22:23]
	v_mul_f64 v[30:31], v[20:21], v[28:29]
	v_fma_f64 v[20:21], -v[24:25], v[30:31], v[20:21]
	v_pk_mov_b32 v[24:25], v[48:49], v[48:49] op_sel:[0,1]
	s_nop 0
	v_div_fmas_f64 v[20:21], v[20:21], v[28:29], v[30:31]
	v_div_fixup_f64 v[20:21], v[20:21], v[26:27], v[22:23]
	v_mul_f64 v[22:23], v[20:21], v[20:21]
	v_fmac_f64_e32 v[24:25], s[26:27], v[22:23]
	v_pk_mov_b32 v[26:27], v[50:51], v[50:51] op_sel:[0,1]
	v_fmac_f64_e32 v[26:27], v[22:23], v[24:25]
	v_pk_mov_b32 v[24:25], v[52:53], v[52:53] op_sel:[0,1]
	;; [unrolled: 2-line block ×18, first 2 shown]
	v_fmac_f64_e32 v[24:25], v[22:23], v[26:27]
	v_cmp_gt_i32_e32 vcc, 0, v7
	v_mul_f64 v[22:23], v[22:23], v[24:25]
	v_cmp_class_f64_e64 s[54:55], v[6:7], s61
	v_cndmask_b32_e32 v6, v109, v110, vcc
	v_fmac_f64_e32 v[20:21], v[20:21], v[22:23]
	v_bfi_b32 v23, s59, v6, v9
	v_ashrrev_i32_e32 v6, 31, v7
	v_and_b32_e32 v24, 0x400921fb, v6
	v_and_b32_e32 v25, 0x54442d18, v6
	v_add_f64 v[6:7], -v[20:21], s[28:29]
	v_cndmask_b32_e64 v7, v21, v7, s[0:1]
	v_cndmask_b32_e64 v6, v20, v6, s[0:1]
	s_mov_b32 s30, s28
	v_add_f64 v[20:21], -v[6:7], s[30:31]
	v_cmp_class_f64_e64 s[2:3], v[8:9], s61
	v_cndmask_b32_e32 v22, v107, v108, vcc
	v_cndmask_b32_e32 v7, v7, v21, vcc
	;; [unrolled: 1-line block ×3, first 2 shown]
	v_cmp_eq_f64_e32 vcc, 0, v[8:9]
	v_cndmask_b32_e32 v6, v6, v25, vcc
	v_cndmask_b32_e32 v7, v7, v24, vcc
	s_and_b64 vcc, s[54:55], s[2:3]
	v_cndmask_b32_e32 v21, v7, v23, vcc
	v_cndmask_b32_e32 v20, v6, v22, vcc
.LBB174_175:                            ;   in Loop: Header=BB174_162 Depth=1
	s_or_b64 exec, exec, s[52:53]
.LBB174_176:                            ;   in Loop: Header=BB174_162 Depth=1
	s_or_b64 exec, exec, s[50:51]
.LBB174_177:                            ;   in Loop: Header=BB174_162 Depth=1
	s_andn2_saveexec_b64 s[48:49], s[48:49]
	s_cbranch_execz .LBB174_179
; %bb.178:                              ;   in Loop: Header=BB174_162 Depth=1
	v_max_f64 v[18:19], |v[8:9]|, |v[8:9]|
	v_max_f64 v[20:21], |v[6:7]|, |v[6:7]|
	v_max_f64 v[22:23], v[20:21], v[18:19]
	v_frexp_exp_i32_f64_e32 v32, v[22:23]
	v_sub_u32_e32 v26, 0, v32
	v_ldexp_f64 v[24:25], |v[6:7]|, v26
	v_ldexp_f64 v[26:27], |v[8:9]|, v26
	v_mul_f64 v[26:27], v[26:27], v[26:27]
	v_fmac_f64_e32 v[26:27], v[24:25], v[24:25]
	v_rsq_f64_e32 v[24:25], v[26:27]
	v_cmp_eq_f64_e32 vcc, 0, v[26:27]
	v_cmp_class_f64_e64 s[50:51], v[6:7], s61
	v_cmp_class_f64_e64 s[52:53], v[8:9], s61
	v_mul_f64 v[28:29], v[26:27], v[24:25]
	v_mul_f64 v[24:25], v[24:25], 0.5
	v_fma_f64 v[30:31], -v[24:25], v[28:29], 0.5
	v_fmac_f64_e32 v[28:29], v[28:29], v[30:31]
	v_fmac_f64_e32 v[24:25], v[24:25], v[30:31]
	v_fma_f64 v[30:31], -v[28:29], v[28:29], v[26:27]
	v_fmac_f64_e32 v[28:29], v[30:31], v[24:25]
	v_cndmask_b32_e32 v25, v29, v27, vcc
	v_cndmask_b32_e32 v24, v28, v26, vcc
	v_ldexp_f64 v[24:25], v[24:25], v32
	s_or_b64 vcc, s[50:51], s[52:53]
	v_cndmask_b32_e32 v27, v25, v112, vcc
	v_cndmask_b32_e64 v26, v24, 0, vcc
	v_frexp_mant_f64_e32 v[28:29], v[26:27]
	v_cmp_gt_f64_e64 s[2:3], s[14:15], v[28:29]
	v_cndmask_b32_e64 v35, v111, 2.0, s[2:3]
	v_mul_f64 v[28:29], v[28:29], v[34:35]
	v_add_f64 v[30:31], v[28:29], 1.0
	v_rcp_f64_e32 v[32:33], v[30:31]
	v_add_f64 v[90:91], v[30:31], -1.0
	v_add_f64 v[88:89], v[28:29], -1.0
	v_add_f64 v[28:29], v[28:29], -v[90:91]
	v_fma_f64 v[90:91], -v[30:31], v[32:33], 1.0
	v_fmac_f64_e32 v[32:33], v[90:91], v[32:33]
	v_fma_f64 v[90:91], -v[30:31], v[32:33], 1.0
	v_fmac_f64_e32 v[32:33], v[90:91], v[32:33]
	v_mul_f64 v[90:91], v[88:89], v[32:33]
	v_mul_f64 v[92:93], v[30:31], v[90:91]
	v_fma_f64 v[30:31], v[90:91], v[30:31], -v[92:93]
	v_fmac_f64_e32 v[30:31], v[90:91], v[28:29]
	v_add_f64 v[28:29], v[92:93], v[30:31]
	v_add_f64 v[94:95], v[88:89], -v[28:29]
	v_add_f64 v[92:93], v[28:29], -v[92:93]
	;; [unrolled: 1-line block ×5, first 2 shown]
	v_add_f64 v[28:29], v[30:31], v[28:29]
	v_add_f64 v[28:29], v[94:95], v[28:29]
	v_mul_f64 v[28:29], v[32:33], v[28:29]
	v_add_f64 v[30:31], v[90:91], v[28:29]
	v_add_f64 v[32:33], v[30:31], -v[90:91]
	v_add_f64 v[28:29], v[28:29], -v[32:33]
	v_mul_f64 v[32:33], v[30:31], v[30:31]
	v_pk_mov_b32 v[88:89], v[36:37], v[36:37] op_sel:[0,1]
	v_fmac_f64_e32 v[88:89], s[18:19], v[32:33]
	v_pk_mov_b32 v[90:91], v[38:39], v[38:39] op_sel:[0,1]
	v_fmac_f64_e32 v[90:91], v[32:33], v[88:89]
	;; [unrolled: 2-line block ×6, first 2 shown]
	v_ldexp_f64 v[88:89], v[30:31], 1
	v_mul_f64 v[30:31], v[30:31], v[32:33]
	v_mul_f64 v[30:31], v[30:31], v[90:91]
	v_add_f64 v[32:33], v[88:89], v[30:31]
	v_add_f64 v[88:89], v[32:33], -v[88:89]
	v_ldexp_f64 v[28:29], v[28:29], 1
	v_add_f64 v[30:31], v[30:31], -v[88:89]
	v_add_f64 v[28:29], v[28:29], v[30:31]
	v_frexp_exp_i32_f64_e32 v6, v[26:27]
	v_add_f64 v[30:31], v[32:33], v[28:29]
	v_subbrev_co_u32_e64 v6, s[2:3], 0, v6, s[2:3]
	v_add_f64 v[32:33], v[30:31], -v[32:33]
	v_add_f64 v[28:29], v[28:29], -v[32:33]
	v_cvt_f64_i32_e32 v[32:33], v6
	v_mul_f64 v[88:89], v[32:33], s[20:21]
	v_fma_f64 v[90:91], v[32:33], s[20:21], -v[88:89]
	v_fmac_f64_e32 v[90:91], s[22:23], v[32:33]
	v_add_f64 v[32:33], v[88:89], v[90:91]
	v_add_f64 v[88:89], v[32:33], -v[88:89]
	v_add_f64 v[88:89], v[90:91], -v[88:89]
	v_add_f64 v[90:91], v[32:33], v[30:31]
	v_add_f64 v[92:93], v[90:91], -v[32:33]
	v_add_f64 v[94:95], v[90:91], -v[92:93]
	v_add_f64 v[32:33], v[32:33], -v[94:95]
	v_add_f64 v[30:31], v[30:31], -v[92:93]
	v_add_f64 v[30:31], v[30:31], v[32:33]
	v_add_f64 v[32:33], v[88:89], v[28:29]
	v_add_f64 v[92:93], v[32:33], -v[88:89]
	v_add_f64 v[94:95], v[32:33], -v[92:93]
	v_add_f64 v[30:31], v[32:33], v[30:31]
	v_add_f64 v[88:89], v[88:89], -v[94:95]
	v_add_f64 v[28:29], v[28:29], -v[92:93]
	v_add_f64 v[32:33], v[90:91], v[30:31]
	v_add_f64 v[28:29], v[28:29], v[88:89]
	v_add_f64 v[88:89], v[32:33], -v[90:91]
	v_add_f64 v[30:31], v[30:31], -v[88:89]
	v_add_f64 v[28:29], v[28:29], v[30:31]
	v_add_f64 v[28:29], v[32:33], v[28:29]
	v_cmp_class_f64_e64 s[2:3], v[24:25], s61
	v_cndmask_b32_e64 v24, v28, v24, s[2:3]
	v_min_f64 v[20:21], v[20:21], v[18:19]
	v_cndmask_b32_e64 v6, v29, v25, s[2:3]
	v_cndmask_b32_e64 v30, v24, 0, vcc
	v_div_scale_f64 v[24:25], s[2:3], v[22:23], v[22:23], v[20:21]
	v_rcp_f64_e32 v[28:29], v[24:25]
	v_cndmask_b32_e32 v6, v6, v112, vcc
	v_cmp_ngt_f64_e32 vcc, 0, v[26:27]
	v_cndmask_b32_e32 v6, v105, v6, vcc
	v_cmp_nge_f64_e32 vcc, 0, v[26:27]
	v_cndmask_b32_e32 v18, 0, v30, vcc
	v_cmp_neq_f64_e32 vcc, 0, v[26:27]
	v_fma_f64 v[26:27], -v[24:25], v[28:29], 1.0
	v_fmac_f64_e32 v[28:29], v[28:29], v[26:27]
	v_fma_f64 v[26:27], -v[24:25], v[28:29], 1.0
	v_cndmask_b32_e32 v19, v106, v6, vcc
	v_fmac_f64_e32 v[28:29], v[28:29], v[26:27]
	v_div_scale_f64 v[26:27], vcc, v[20:21], v[22:23], v[20:21]
	v_mul_f64 v[30:31], v[26:27], v[28:29]
	v_fma_f64 v[24:25], -v[24:25], v[30:31], v[26:27]
	v_pk_mov_b32 v[26:27], v[50:51], v[50:51] op_sel:[0,1]
	s_nop 0
	v_div_fmas_f64 v[24:25], v[24:25], v[28:29], v[30:31]
	v_div_fixup_f64 v[20:21], v[24:25], v[22:23], v[20:21]
	v_mul_f64 v[22:23], v[20:21], v[20:21]
	v_pk_mov_b32 v[24:25], v[48:49], v[48:49] op_sel:[0,1]
	v_fmac_f64_e32 v[24:25], s[26:27], v[22:23]
	v_fmac_f64_e32 v[26:27], v[22:23], v[24:25]
	v_pk_mov_b32 v[24:25], v[52:53], v[52:53] op_sel:[0,1]
	v_fmac_f64_e32 v[24:25], v[22:23], v[26:27]
	v_pk_mov_b32 v[26:27], v[54:55], v[54:55] op_sel:[0,1]
	;; [unrolled: 2-line block ×17, first 2 shown]
	v_fmac_f64_e32 v[24:25], v[22:23], v[26:27]
	v_cmp_gt_i32_e32 vcc, 0, v7
	v_mul_f64 v[22:23], v[22:23], v[24:25]
	v_cndmask_b32_e32 v6, v109, v110, vcc
	v_fmac_f64_e32 v[20:21], v[20:21], v[22:23]
	v_bfi_b32 v23, s59, v6, v9
	v_ashrrev_i32_e32 v6, 31, v7
	v_and_b32_e32 v24, 0x400921fb, v6
	v_and_b32_e32 v25, 0x54442d18, v6
	v_add_f64 v[6:7], -v[20:21], s[28:29]
	v_cndmask_b32_e64 v7, v21, v7, s[0:1]
	v_cndmask_b32_e64 v6, v20, v6, s[0:1]
	s_mov_b32 s30, s28
	v_add_f64 v[20:21], -v[6:7], s[30:31]
	v_cndmask_b32_e32 v22, v107, v108, vcc
	v_cndmask_b32_e32 v7, v7, v21, vcc
	;; [unrolled: 1-line block ×3, first 2 shown]
	v_cmp_eq_f64_e32 vcc, 0, v[8:9]
	v_cndmask_b32_e32 v6, v6, v25, vcc
	v_cndmask_b32_e32 v7, v7, v24, vcc
	s_and_b64 vcc, s[50:51], s[52:53]
	v_cndmask_b32_e32 v21, v7, v23, vcc
	v_cndmask_b32_e32 v20, v6, v22, vcc
.LBB174_179:                            ;   in Loop: Header=BB174_162 Depth=1
	s_or_b64 exec, exec, s[48:49]
                                        ; implicit-def: $vgpr22_vgpr23
.LBB174_180:                            ;   in Loop: Header=BB174_162 Depth=1
	s_andn2_saveexec_b64 s[2:3], s[46:47]
	s_cbranch_execz .LBB174_186
; %bb.181:                              ;   in Loop: Header=BB174_162 Depth=1
	v_cmp_ngt_f64_e32 vcc, s[36:37], v[22:23]
                                        ; implicit-def: $vgpr18_vgpr19
	s_and_saveexec_b64 s[46:47], vcc
	s_xor_b64 s[46:47], exec, s[46:47]
	s_cbranch_execz .LBB174_183
; %bb.182:                              ;   in Loop: Header=BB174_162 Depth=1
	v_mul_f64 v[18:19], v[22:23], v[22:23]
	v_add_f64 v[20:21], v[18:19], 1.0
	v_add_f64 v[22:23], v[20:21], -1.0
	v_add_f64 v[24:25], v[22:23], -v[20:21]
	v_add_f64 v[24:25], v[24:25], 1.0
	v_add_f64 v[22:23], v[18:19], -v[22:23]
	v_add_f64 v[22:23], v[22:23], v[24:25]
	v_frexp_mant_f64_e32 v[24:25], v[20:21]
	v_frexp_exp_i32_f64_e32 v26, v[20:21]
	v_cmp_gt_f64_e32 vcc, s[14:15], v[24:25]
	v_subbrev_co_u32_e32 v35, vcc, 0, v26, vcc
	v_sub_u32_e32 v24, 0, v35
	v_ldexp_f64 v[20:21], v[20:21], v24
	v_ldexp_f64 v[22:23], v[22:23], v24
	v_add_f64 v[24:25], v[20:21], -1.0
	v_add_f64 v[30:31], v[20:21], 1.0
	v_add_f64 v[26:27], v[24:25], 1.0
	v_add_f64 v[32:33], v[30:31], -1.0
	v_add_f64 v[26:27], v[20:21], -v[26:27]
	v_add_f64 v[20:21], v[20:21], -v[32:33]
	v_add_f64 v[20:21], v[22:23], v[20:21]
	v_add_f64 v[26:27], v[22:23], v[26:27]
	;; [unrolled: 1-line block ×3, first 2 shown]
	v_rcp_f64_e32 v[32:33], v[22:23]
	v_add_f64 v[28:29], v[24:25], v[26:27]
	v_add_f64 v[24:25], v[24:25], -v[28:29]
	v_add_f64 v[24:25], v[26:27], v[24:25]
	v_add_f64 v[26:27], v[30:31], -v[22:23]
	v_add_f64 v[20:21], v[20:21], v[26:27]
	v_fma_f64 v[26:27], -v[22:23], v[32:33], 1.0
	v_fmac_f64_e32 v[32:33], v[26:27], v[32:33]
	v_fma_f64 v[26:27], -v[22:23], v[32:33], 1.0
	v_fmac_f64_e32 v[32:33], v[26:27], v[32:33]
	v_mul_f64 v[26:27], v[28:29], v[32:33]
	v_mul_f64 v[30:31], v[22:23], v[26:27]
	v_fma_f64 v[88:89], v[26:27], v[22:23], -v[30:31]
	v_fmac_f64_e32 v[88:89], v[26:27], v[20:21]
	v_add_f64 v[90:91], v[30:31], v[88:89]
	v_add_f64 v[92:93], v[28:29], -v[90:91]
	v_add_f64 v[28:29], v[28:29], -v[92:93]
	;; [unrolled: 1-line block ×4, first 2 shown]
	v_add_f64 v[24:25], v[24:25], v[28:29]
	v_add_f64 v[28:29], v[30:31], -v[88:89]
	v_add_f64 v[24:25], v[28:29], v[24:25]
	v_add_f64 v[28:29], v[92:93], v[24:25]
	v_add_f64 v[30:31], v[92:93], -v[28:29]
	v_add_f64 v[24:25], v[24:25], v[30:31]
	v_mul_f64 v[30:31], v[32:33], v[28:29]
	v_mul_f64 v[88:89], v[22:23], v[30:31]
	v_fma_f64 v[22:23], v[30:31], v[22:23], -v[88:89]
	v_fmac_f64_e32 v[22:23], v[30:31], v[20:21]
	v_add_f64 v[20:21], v[88:89], v[22:23]
	v_add_f64 v[90:91], v[28:29], -v[20:21]
	v_add_f64 v[28:29], v[28:29], -v[90:91]
	;; [unrolled: 1-line block ×4, first 2 shown]
	v_add_f64 v[20:21], v[24:25], v[20:21]
	v_add_f64 v[22:23], v[88:89], -v[22:23]
	v_add_f64 v[20:21], v[22:23], v[20:21]
	v_add_f64 v[22:23], v[26:27], v[30:31]
	;; [unrolled: 1-line block ×3, first 2 shown]
	v_add_f64 v[24:25], v[22:23], -v[26:27]
	v_mul_f64 v[20:21], v[32:33], v[20:21]
	v_add_f64 v[24:25], v[30:31], -v[24:25]
	v_add_f64 v[20:21], v[24:25], v[20:21]
	v_add_f64 v[24:25], v[22:23], v[20:21]
	v_add_f64 v[22:23], v[24:25], -v[22:23]
	v_add_f64 v[20:21], v[20:21], -v[22:23]
	v_mul_f64 v[22:23], v[24:25], v[24:25]
	v_pk_mov_b32 v[26:27], v[36:37], v[36:37] op_sel:[0,1]
	v_fmac_f64_e32 v[26:27], s[18:19], v[22:23]
	v_pk_mov_b32 v[28:29], v[38:39], v[38:39] op_sel:[0,1]
	v_fmac_f64_e32 v[28:29], v[22:23], v[26:27]
	;; [unrolled: 2-line block ×6, first 2 shown]
	v_cvt_f64_i32_e32 v[26:27], v35
	v_mul_f64 v[30:31], v[26:27], s[20:21]
	v_fma_f64 v[32:33], v[26:27], s[20:21], -v[30:31]
	v_fmac_f64_e32 v[32:33], s[22:23], v[26:27]
	v_add_f64 v[26:27], v[30:31], v[32:33]
	v_add_f64 v[30:31], v[26:27], -v[30:31]
	v_mul_f64 v[22:23], v[24:25], v[22:23]
	v_add_f64 v[30:31], v[32:33], -v[30:31]
	v_ldexp_f64 v[32:33], v[24:25], 1
	v_mul_f64 v[22:23], v[22:23], v[28:29]
	v_add_f64 v[24:25], v[32:33], v[22:23]
	v_add_f64 v[28:29], v[24:25], -v[32:33]
	v_ldexp_f64 v[20:21], v[20:21], 1
	v_add_f64 v[22:23], v[22:23], -v[28:29]
	v_add_f64 v[20:21], v[20:21], v[22:23]
	v_add_f64 v[22:23], v[24:25], v[20:21]
	v_add_f64 v[24:25], v[22:23], -v[24:25]
	v_add_f64 v[20:21], v[20:21], -v[24:25]
	v_add_f64 v[24:25], v[26:27], v[22:23]
	v_add_f64 v[28:29], v[24:25], -v[26:27]
	v_add_f64 v[32:33], v[24:25], -v[28:29]
	;; [unrolled: 1-line block ×4, first 2 shown]
	v_add_f64 v[22:23], v[22:23], v[26:27]
	v_add_f64 v[26:27], v[30:31], v[20:21]
	v_add_f64 v[28:29], v[26:27], -v[30:31]
	v_add_f64 v[22:23], v[26:27], v[22:23]
	v_add_f64 v[32:33], v[26:27], -v[28:29]
	;; [unrolled: 2-line block ×3, first 2 shown]
	v_add_f64 v[20:21], v[20:21], -v[28:29]
	v_add_f64 v[24:25], v[26:27], -v[24:25]
	v_add_f64 v[20:21], v[20:21], v[30:31]
	v_add_f64 v[22:23], v[22:23], -v[24:25]
	v_add_f64 v[20:21], v[20:21], v[22:23]
	v_max_f64 v[22:23], |v[8:9]|, |v[8:9]|
	v_max_f64 v[24:25], |v[6:7]|, |v[6:7]|
	v_add_f64 v[20:21], v[26:27], v[20:21]
	v_max_f64 v[26:27], v[24:25], v[22:23]
	v_min_f64 v[22:23], v[24:25], v[22:23]
	v_div_scale_f64 v[24:25], s[48:49], v[26:27], v[26:27], v[22:23]
	v_rcp_f64_e32 v[28:29], v[24:25]
	v_cmp_eq_f64_e32 vcc, s[24:25], v[18:19]
	v_cndmask_b32_e32 v19, v21, v19, vcc
	v_cndmask_b32_e32 v18, v20, v18, vcc
	v_fma_f64 v[20:21], -v[24:25], v[28:29], 1.0
	v_fmac_f64_e32 v[28:29], v[28:29], v[20:21]
	v_fma_f64 v[20:21], -v[24:25], v[28:29], 1.0
	v_fmac_f64_e32 v[28:29], v[28:29], v[20:21]
	v_div_scale_f64 v[20:21], vcc, v[22:23], v[26:27], v[22:23]
	v_mul_f64 v[30:31], v[20:21], v[28:29]
	v_fma_f64 v[20:21], -v[24:25], v[30:31], v[20:21]
	v_pk_mov_b32 v[24:25], v[48:49], v[48:49] op_sel:[0,1]
	s_nop 0
	v_div_fmas_f64 v[20:21], v[20:21], v[28:29], v[30:31]
	v_div_fixup_f64 v[20:21], v[20:21], v[26:27], v[22:23]
	v_mul_f64 v[22:23], v[20:21], v[20:21]
	v_fmac_f64_e32 v[24:25], s[26:27], v[22:23]
	v_pk_mov_b32 v[26:27], v[50:51], v[50:51] op_sel:[0,1]
	v_fmac_f64_e32 v[26:27], v[22:23], v[24:25]
	v_pk_mov_b32 v[24:25], v[52:53], v[52:53] op_sel:[0,1]
	;; [unrolled: 2-line block ×18, first 2 shown]
	v_fmac_f64_e32 v[24:25], v[22:23], v[26:27]
	v_cmp_gt_i32_e32 vcc, 0, v7
	v_mul_f64 v[22:23], v[22:23], v[24:25]
	v_cmp_class_f64_e64 s[50:51], v[6:7], s61
	v_cndmask_b32_e32 v6, v109, v110, vcc
	v_fmac_f64_e32 v[20:21], v[20:21], v[22:23]
	v_bfi_b32 v23, s59, v6, v9
	v_ashrrev_i32_e32 v6, 31, v7
	v_and_b32_e32 v24, 0x400921fb, v6
	v_and_b32_e32 v25, 0x54442d18, v6
	v_add_f64 v[6:7], -v[20:21], s[28:29]
	v_cndmask_b32_e64 v7, v21, v7, s[0:1]
	v_cndmask_b32_e64 v6, v20, v6, s[0:1]
	s_mov_b32 s30, s28
	v_add_f64 v[20:21], -v[6:7], s[30:31]
	v_cmp_class_f64_e64 s[48:49], v[8:9], s61
	v_cndmask_b32_e32 v22, v107, v108, vcc
	v_cndmask_b32_e32 v7, v7, v21, vcc
	;; [unrolled: 1-line block ×3, first 2 shown]
	v_cmp_eq_f64_e32 vcc, 0, v[8:9]
	v_cndmask_b32_e32 v6, v6, v25, vcc
	v_cndmask_b32_e32 v7, v7, v24, vcc
	s_and_b64 vcc, s[50:51], s[48:49]
	v_mul_f64 v[18:19], v[18:19], 0.5
	v_cndmask_b32_e32 v21, v7, v23, vcc
	v_cndmask_b32_e32 v20, v6, v22, vcc
                                        ; implicit-def: $vgpr22_vgpr23
.LBB174_183:                            ;   in Loop: Header=BB174_162 Depth=1
	s_andn2_saveexec_b64 s[46:47], s[46:47]
	s_cbranch_execz .LBB174_185
; %bb.184:                              ;   in Loop: Header=BB174_162 Depth=1
	v_max_f64 v[18:19], |v[8:9]|, |v[8:9]|
	v_max_f64 v[20:21], |v[6:7]|, |v[6:7]|
	v_max_f64 v[24:25], v[20:21], v[18:19]
	v_min_f64 v[20:21], v[20:21], v[18:19]
	v_div_scale_f64 v[26:27], s[48:49], v[24:25], v[24:25], v[20:21]
	v_rcp_f64_e32 v[28:29], v[26:27]
	v_mul_f64 v[18:19], v[22:23], 0.5
	v_mul_f64 v[18:19], v[22:23], v[18:19]
	v_cmp_class_f64_e64 s[50:51], v[6:7], s61
	v_fma_f64 v[22:23], -v[26:27], v[28:29], 1.0
	v_fmac_f64_e32 v[28:29], v[28:29], v[22:23]
	v_fma_f64 v[22:23], -v[26:27], v[28:29], 1.0
	v_fmac_f64_e32 v[28:29], v[28:29], v[22:23]
	v_div_scale_f64 v[22:23], vcc, v[20:21], v[24:25], v[20:21]
	v_mul_f64 v[30:31], v[22:23], v[28:29]
	v_fma_f64 v[22:23], -v[26:27], v[30:31], v[22:23]
	v_pk_mov_b32 v[26:27], v[50:51], v[50:51] op_sel:[0,1]
	s_nop 0
	v_div_fmas_f64 v[22:23], v[22:23], v[28:29], v[30:31]
	v_div_fixup_f64 v[20:21], v[22:23], v[24:25], v[20:21]
	v_mul_f64 v[22:23], v[20:21], v[20:21]
	v_pk_mov_b32 v[24:25], v[48:49], v[48:49] op_sel:[0,1]
	v_fmac_f64_e32 v[24:25], s[26:27], v[22:23]
	v_fmac_f64_e32 v[26:27], v[22:23], v[24:25]
	v_pk_mov_b32 v[24:25], v[52:53], v[52:53] op_sel:[0,1]
	v_fmac_f64_e32 v[24:25], v[22:23], v[26:27]
	v_pk_mov_b32 v[26:27], v[54:55], v[54:55] op_sel:[0,1]
	;; [unrolled: 2-line block ×17, first 2 shown]
	v_fmac_f64_e32 v[24:25], v[22:23], v[26:27]
	v_cmp_gt_i32_e32 vcc, 0, v7
	v_mul_f64 v[22:23], v[22:23], v[24:25]
	v_cndmask_b32_e32 v6, v109, v110, vcc
	v_fmac_f64_e32 v[20:21], v[20:21], v[22:23]
	v_bfi_b32 v23, s59, v6, v9
	v_ashrrev_i32_e32 v6, 31, v7
	v_and_b32_e32 v24, 0x400921fb, v6
	v_and_b32_e32 v25, 0x54442d18, v6
	v_add_f64 v[6:7], -v[20:21], s[28:29]
	v_cndmask_b32_e64 v7, v21, v7, s[0:1]
	v_cndmask_b32_e64 v6, v20, v6, s[0:1]
	s_mov_b32 s30, s28
	v_add_f64 v[20:21], -v[6:7], s[30:31]
	v_cmp_class_f64_e64 s[48:49], v[8:9], s61
	v_cndmask_b32_e32 v22, v107, v108, vcc
	v_cndmask_b32_e32 v7, v7, v21, vcc
	;; [unrolled: 1-line block ×3, first 2 shown]
	v_cmp_eq_f64_e32 vcc, 0, v[8:9]
	v_cndmask_b32_e32 v6, v6, v25, vcc
	v_cndmask_b32_e32 v7, v7, v24, vcc
	s_and_b64 vcc, s[50:51], s[48:49]
	v_cndmask_b32_e32 v21, v7, v23, vcc
	v_cndmask_b32_e32 v20, v6, v22, vcc
.LBB174_185:                            ;   in Loop: Header=BB174_162 Depth=1
	s_or_b64 exec, exec, s[46:47]
.LBB174_186:                            ;   in Loop: Header=BB174_162 Depth=1
	s_or_b64 exec, exec, s[2:3]
.LBB174_187:                            ;   in Loop: Header=BB174_162 Depth=1
	s_andn2_saveexec_b64 s[46:47], s[4:5]
	s_cbranch_execz .LBB174_189
; %bb.188:                              ;   in Loop: Header=BB174_162 Depth=1
	v_div_scale_f64 v[18:19], s[2:3], s[38:39], s[38:39], v[6:7]
	v_rcp_f64_e32 v[20:21], v[18:19]
	v_div_scale_f64 v[22:23], vcc, v[6:7], s[38:39], v[6:7]
	s_mov_b32 s30, s28
	v_fma_f64 v[24:25], -v[18:19], v[20:21], 1.0
	v_fmac_f64_e32 v[20:21], v[20:21], v[24:25]
	v_fma_f64 v[24:25], -v[18:19], v[20:21], 1.0
	v_fmac_f64_e32 v[20:21], v[20:21], v[24:25]
	v_mul_f64 v[24:25], v[22:23], v[20:21]
	v_fma_f64 v[18:19], -v[18:19], v[24:25], v[22:23]
	v_div_scale_f64 v[22:23], s[2:3], s[38:39], s[38:39], v[8:9]
	v_rcp_f64_e32 v[26:27], v[22:23]
	v_div_fmas_f64 v[18:19], v[18:19], v[20:21], v[24:25]
	v_div_fixup_f64 v[18:19], v[18:19], s[38:39], v[6:7]
	v_cmp_class_f64_e64 s[4:5], v[18:19], s61
	v_fma_f64 v[20:21], -v[22:23], v[26:27], 1.0
	v_fmac_f64_e32 v[26:27], v[26:27], v[20:21]
	v_fma_f64 v[20:21], -v[22:23], v[26:27], 1.0
	v_fmac_f64_e32 v[26:27], v[26:27], v[20:21]
	v_div_scale_f64 v[20:21], vcc, v[8:9], s[38:39], v[8:9]
	v_mul_f64 v[24:25], v[20:21], v[26:27]
	v_fma_f64 v[20:21], -v[22:23], v[24:25], v[20:21]
	s_nop 1
	v_div_fmas_f64 v[20:21], v[20:21], v[26:27], v[24:25]
	v_div_fixup_f64 v[20:21], v[20:21], s[38:39], v[8:9]
	v_max_f64 v[22:23], |v[18:19]|, |v[20:21]|
	v_frexp_exp_i32_f64_e32 v30, v[22:23]
	v_sub_u32_e32 v24, 0, v30
	v_ldexp_f64 v[22:23], |v[18:19]|, v24
	v_ldexp_f64 v[24:25], |v[20:21]|, v24
	v_mul_f64 v[24:25], v[24:25], v[24:25]
	v_fmac_f64_e32 v[24:25], v[22:23], v[22:23]
	v_rsq_f64_e32 v[22:23], v[24:25]
	v_cmp_eq_f64_e32 vcc, 0, v[24:25]
	v_cmp_o_f64_e64 s[2:3], v[18:19], v[20:21]
	v_cmp_class_f64_e64 s[48:49], v[20:21], s61
	v_mul_f64 v[26:27], v[24:25], v[22:23]
	v_mul_f64 v[22:23], v[22:23], 0.5
	v_fma_f64 v[28:29], -v[22:23], v[26:27], 0.5
	v_fmac_f64_e32 v[26:27], v[26:27], v[28:29]
	v_fmac_f64_e32 v[22:23], v[22:23], v[28:29]
	v_fma_f64 v[28:29], -v[26:27], v[26:27], v[24:25]
	v_fmac_f64_e32 v[26:27], v[28:29], v[22:23]
	v_cndmask_b32_e32 v23, v27, v25, vcc
	v_cndmask_b32_e32 v22, v26, v24, vcc
	v_ldexp_f64 v[22:23], v[22:23], v30
	v_cndmask_b32_e64 v90, 0, v22, s[2:3]
	v_cndmask_b32_e64 v91, v105, v23, s[2:3]
	s_or_b64 vcc, s[4:5], s[48:49]
	v_cndmask_b32_e32 v21, v91, v112, vcc
	v_cndmask_b32_e64 v20, v90, 0, vcc
	v_frexp_mant_f64_e32 v[18:19], v[20:21]
	v_cmp_gt_f64_e64 s[4:5], s[14:15], v[18:19]
	v_cndmask_b32_e64 v35, v111, 2.0, s[4:5]
	v_frexp_exp_i32_f64_e32 v24, v[20:21]
	v_mul_f64 v[18:19], v[18:19], v[34:35]
	v_subbrev_co_u32_e64 v35, s[4:5], 0, v24, s[4:5]
	v_add_f64 v[24:25], v[18:19], 1.0
	v_rcp_f64_e32 v[26:27], v[24:25]
	v_add_f64 v[30:31], v[24:25], -1.0
	v_add_f64 v[28:29], v[18:19], -1.0
	v_add_f64 v[18:19], v[18:19], -v[30:31]
	v_fma_f64 v[30:31], -v[24:25], v[26:27], 1.0
	v_fmac_f64_e32 v[26:27], v[30:31], v[26:27]
	v_fma_f64 v[30:31], -v[24:25], v[26:27], 1.0
	v_fmac_f64_e32 v[26:27], v[30:31], v[26:27]
	v_mul_f64 v[30:31], v[28:29], v[26:27]
	v_mul_f64 v[32:33], v[24:25], v[30:31]
	v_fma_f64 v[24:25], v[30:31], v[24:25], -v[32:33]
	v_fmac_f64_e32 v[24:25], v[30:31], v[18:19]
	v_add_f64 v[18:19], v[32:33], v[24:25]
	v_add_f64 v[88:89], v[28:29], -v[18:19]
	v_add_f64 v[32:33], v[18:19], -v[32:33]
	;; [unrolled: 1-line block ×5, first 2 shown]
	v_add_f64 v[18:19], v[24:25], v[18:19]
	v_add_f64 v[18:19], v[88:89], v[18:19]
	v_mul_f64 v[18:19], v[26:27], v[18:19]
	v_add_f64 v[24:25], v[30:31], v[18:19]
	v_add_f64 v[26:27], v[24:25], -v[30:31]
	v_add_f64 v[18:19], v[18:19], -v[26:27]
	v_mul_f64 v[26:27], v[24:25], v[24:25]
	v_pk_mov_b32 v[28:29], v[36:37], v[36:37] op_sel:[0,1]
	v_fmac_f64_e32 v[28:29], s[18:19], v[26:27]
	v_pk_mov_b32 v[30:31], v[38:39], v[38:39] op_sel:[0,1]
	v_fmac_f64_e32 v[30:31], v[26:27], v[28:29]
	;; [unrolled: 2-line block ×6, first 2 shown]
	v_ldexp_f64 v[28:29], v[24:25], 1
	v_mul_f64 v[24:25], v[24:25], v[26:27]
	v_mul_f64 v[24:25], v[24:25], v[30:31]
	v_add_f64 v[26:27], v[28:29], v[24:25]
	v_add_f64 v[28:29], v[26:27], -v[28:29]
	v_ldexp_f64 v[18:19], v[18:19], 1
	v_add_f64 v[24:25], v[24:25], -v[28:29]
	v_add_f64 v[18:19], v[18:19], v[24:25]
	v_add_f64 v[24:25], v[26:27], v[18:19]
	v_add_f64 v[26:27], v[24:25], -v[26:27]
	v_add_f64 v[18:19], v[18:19], -v[26:27]
	v_cvt_f64_i32_e32 v[26:27], v35
	v_mul_f64 v[28:29], v[26:27], s[20:21]
	v_fma_f64 v[30:31], v[26:27], s[20:21], -v[28:29]
	v_fmac_f64_e32 v[30:31], s[22:23], v[26:27]
	v_add_f64 v[26:27], v[28:29], v[30:31]
	v_add_f64 v[28:29], v[26:27], -v[28:29]
	v_add_f64 v[28:29], v[30:31], -v[28:29]
	v_add_f64 v[30:31], v[26:27], v[24:25]
	v_add_f64 v[32:33], v[30:31], -v[26:27]
	v_add_f64 v[88:89], v[30:31], -v[32:33]
	;; [unrolled: 1-line block ×4, first 2 shown]
	v_add_f64 v[24:25], v[24:25], v[26:27]
	v_add_f64 v[26:27], v[28:29], v[18:19]
	v_add_f64 v[32:33], v[26:27], -v[28:29]
	v_add_f64 v[88:89], v[26:27], -v[32:33]
	v_add_f64 v[24:25], v[26:27], v[24:25]
	v_add_f64 v[28:29], v[28:29], -v[88:89]
	v_add_f64 v[18:19], v[18:19], -v[32:33]
	v_add_f64 v[26:27], v[30:31], v[24:25]
	v_add_f64 v[18:19], v[18:19], v[28:29]
	v_add_f64 v[28:29], v[26:27], -v[30:31]
	v_add_f64 v[24:25], v[24:25], -v[28:29]
	v_and_b32_e32 v23, 0x7fffffff, v23
	v_add_f64 v[18:19], v[18:19], v[24:25]
	v_cmp_eq_f64_e64 s[4:5], s[24:25], v[22:23]
	v_add_f64 v[18:19], v[26:27], v[18:19]
	s_and_b64 s[2:3], s[2:3], s[4:5]
	v_cndmask_b32_e64 v19, v19, v91, s[2:3]
	v_cndmask_b32_e64 v18, v18, v90, s[2:3]
	v_add_f64 v[18:19], v[18:19], 1.0
	v_cndmask_b32_e64 v30, v18, 0, vcc
	v_cndmask_b32_e32 v18, v19, v112, vcc
	v_cmp_ngt_f64_e32 vcc, 0, v[20:21]
	v_cndmask_b32_e32 v31, v105, v18, vcc
	v_max_f64 v[18:19], |v[8:9]|, |v[8:9]|
	v_max_f64 v[22:23], |v[6:7]|, |v[6:7]|
	v_max_f64 v[24:25], v[22:23], v[18:19]
	v_min_f64 v[22:23], v[22:23], v[18:19]
	v_div_scale_f64 v[26:27], s[2:3], v[24:25], v[24:25], v[22:23]
	v_rcp_f64_e32 v[28:29], v[26:27]
	v_cmp_nge_f64_e32 vcc, 0, v[20:21]
	v_cndmask_b32_e32 v18, 0, v30, vcc
	v_cmp_neq_f64_e32 vcc, 0, v[20:21]
	v_fma_f64 v[20:21], -v[26:27], v[28:29], 1.0
	v_fmac_f64_e32 v[28:29], v[28:29], v[20:21]
	v_fma_f64 v[20:21], -v[26:27], v[28:29], 1.0
	v_cndmask_b32_e32 v19, v106, v31, vcc
	v_fmac_f64_e32 v[28:29], v[28:29], v[20:21]
	v_div_scale_f64 v[20:21], vcc, v[22:23], v[24:25], v[22:23]
	v_mul_f64 v[30:31], v[20:21], v[28:29]
	v_fma_f64 v[20:21], -v[26:27], v[30:31], v[20:21]
	v_pk_mov_b32 v[26:27], v[50:51], v[50:51] op_sel:[0,1]
	s_nop 0
	v_div_fmas_f64 v[20:21], v[20:21], v[28:29], v[30:31]
	v_div_fixup_f64 v[20:21], v[20:21], v[24:25], v[22:23]
	v_mul_f64 v[22:23], v[20:21], v[20:21]
	v_pk_mov_b32 v[24:25], v[48:49], v[48:49] op_sel:[0,1]
	v_fmac_f64_e32 v[24:25], s[26:27], v[22:23]
	v_fmac_f64_e32 v[26:27], v[22:23], v[24:25]
	v_pk_mov_b32 v[24:25], v[52:53], v[52:53] op_sel:[0,1]
	v_fmac_f64_e32 v[24:25], v[22:23], v[26:27]
	v_pk_mov_b32 v[26:27], v[54:55], v[54:55] op_sel:[0,1]
	;; [unrolled: 2-line block ×17, first 2 shown]
	v_fmac_f64_e32 v[24:25], v[22:23], v[26:27]
	v_cmp_gt_i32_e32 vcc, 0, v7
	v_mul_f64 v[22:23], v[22:23], v[24:25]
	v_cmp_class_f64_e64 s[4:5], v[6:7], s61
	v_cndmask_b32_e32 v6, v109, v110, vcc
	v_fmac_f64_e32 v[20:21], v[20:21], v[22:23]
	v_bfi_b32 v23, s59, v6, v9
	v_ashrrev_i32_e32 v6, 31, v7
	v_and_b32_e32 v24, 0x400921fb, v6
	v_and_b32_e32 v25, 0x54442d18, v6
	v_add_f64 v[6:7], -v[20:21], s[28:29]
	v_cndmask_b32_e64 v7, v21, v7, s[0:1]
	v_cndmask_b32_e64 v6, v20, v6, s[0:1]
	v_add_f64 v[20:21], -v[6:7], s[30:31]
	v_cmp_class_f64_e64 s[2:3], v[8:9], s61
	v_cndmask_b32_e32 v22, v107, v108, vcc
	v_cndmask_b32_e32 v7, v7, v21, vcc
	;; [unrolled: 1-line block ×3, first 2 shown]
	v_cmp_eq_f64_e32 vcc, 0, v[8:9]
	v_cndmask_b32_e32 v6, v6, v25, vcc
	v_cndmask_b32_e32 v7, v7, v24, vcc
	s_and_b64 vcc, s[4:5], s[2:3]
	v_cndmask_b32_e32 v21, v7, v23, vcc
	v_cndmask_b32_e32 v20, v6, v22, vcc
.LBB174_189:                            ;   in Loop: Header=BB174_162 Depth=1
	s_or_b64 exec, exec, s[46:47]
.LBB174_190:                            ;   in Loop: Header=BB174_162 Depth=1
	s_andn2_saveexec_b64 s[0:1], s[44:45]
	s_cbranch_execz .LBB174_196
; %bb.191:                              ;   in Loop: Header=BB174_162 Depth=1
	v_cmp_nlt_f64_e64 s[2:3], |v[6:7]|, s[40:41]
	v_cmp_nlt_f64_e64 s[4:5], |v[8:9]|, s[40:41]
	s_or_b64 s[2:3], s[2:3], s[4:5]
                                        ; implicit-def: $vgpr20_vgpr21
	s_and_saveexec_b64 s[4:5], s[2:3]
	s_xor_b64 s[2:3], exec, s[4:5]
; %bb.192:                              ;   in Loop: Header=BB174_162 Depth=1
	v_mul_f64 v[20:21], v[8:9], v[8:9]
	v_fmac_f64_e32 v[20:21], v[6:7], v[6:7]
; %bb.193:                              ;   in Loop: Header=BB174_162 Depth=1
	s_andn2_saveexec_b64 s[2:3], s[2:3]
; %bb.194:                              ;   in Loop: Header=BB174_162 Depth=1
	v_mul_f64 v[18:19], v[8:9], 4.0
	v_mul_f64 v[6:7], v[6:7], 4.0
	v_mul_f64 v[18:19], v[18:19], v[18:19]
	v_fmac_f64_e32 v[18:19], v[6:7], v[6:7]
	v_ldexp_f64 v[20:21], v[18:19], -4
; %bb.195:                              ;   in Loop: Header=BB174_162 Depth=1
	s_or_b64 exec, exec, s[2:3]
	v_frexp_mant_f64_e32 v[6:7], v[20:21]
	v_cmp_gt_f64_e32 vcc, s[14:15], v[6:7]
	v_cndmask_b32_e64 v35, v111, 2.0, vcc
	v_mul_f64 v[6:7], v[6:7], v[34:35]
	v_add_f64 v[18:19], v[6:7], 1.0
	v_rcp_f64_e32 v[22:23], v[18:19]
	v_add_f64 v[26:27], v[18:19], -1.0
	v_add_f64 v[24:25], v[6:7], -1.0
	v_add_f64 v[6:7], v[6:7], -v[26:27]
	v_fma_f64 v[26:27], -v[18:19], v[22:23], 1.0
	v_fmac_f64_e32 v[22:23], v[26:27], v[22:23]
	v_fma_f64 v[26:27], -v[18:19], v[22:23], 1.0
	v_fmac_f64_e32 v[22:23], v[26:27], v[22:23]
	v_mul_f64 v[26:27], v[24:25], v[22:23]
	v_mul_f64 v[28:29], v[18:19], v[26:27]
	v_fma_f64 v[18:19], v[26:27], v[18:19], -v[28:29]
	v_fmac_f64_e32 v[18:19], v[26:27], v[6:7]
	v_add_f64 v[6:7], v[28:29], v[18:19]
	v_add_f64 v[30:31], v[24:25], -v[6:7]
	v_add_f64 v[28:29], v[6:7], -v[28:29]
	;; [unrolled: 1-line block ×5, first 2 shown]
	v_add_f64 v[6:7], v[18:19], v[6:7]
	v_add_f64 v[6:7], v[30:31], v[6:7]
	v_mul_f64 v[6:7], v[22:23], v[6:7]
	v_add_f64 v[18:19], v[26:27], v[6:7]
	v_add_f64 v[22:23], v[18:19], -v[26:27]
	v_add_f64 v[6:7], v[6:7], -v[22:23]
	v_mul_f64 v[22:23], v[18:19], v[18:19]
	v_pk_mov_b32 v[24:25], v[36:37], v[36:37] op_sel:[0,1]
	v_fmac_f64_e32 v[24:25], s[18:19], v[22:23]
	v_pk_mov_b32 v[26:27], v[38:39], v[38:39] op_sel:[0,1]
	v_fmac_f64_e32 v[26:27], v[22:23], v[24:25]
	;; [unrolled: 2-line block ×6, first 2 shown]
	v_ldexp_f64 v[24:25], v[18:19], 1
	v_mul_f64 v[18:19], v[18:19], v[22:23]
	v_mul_f64 v[18:19], v[18:19], v[26:27]
	v_add_f64 v[22:23], v[24:25], v[18:19]
	v_add_f64 v[24:25], v[22:23], -v[24:25]
	v_ldexp_f64 v[6:7], v[6:7], 1
	v_add_f64 v[18:19], v[18:19], -v[24:25]
	v_add_f64 v[6:7], v[6:7], v[18:19]
	v_frexp_exp_i32_f64_e32 v8, v[20:21]
	v_add_f64 v[18:19], v[22:23], v[6:7]
	v_subbrev_co_u32_e32 v8, vcc, 0, v8, vcc
	v_add_f64 v[22:23], v[18:19], -v[22:23]
	v_add_f64 v[6:7], v[6:7], -v[22:23]
	v_cvt_f64_i32_e32 v[22:23], v8
	v_mul_f64 v[24:25], v[22:23], s[20:21]
	v_fma_f64 v[26:27], v[22:23], s[20:21], -v[24:25]
	v_fmac_f64_e32 v[26:27], s[22:23], v[22:23]
	v_add_f64 v[22:23], v[24:25], v[26:27]
	v_add_f64 v[24:25], v[22:23], -v[24:25]
	v_add_f64 v[24:25], v[26:27], -v[24:25]
	v_add_f64 v[26:27], v[22:23], v[18:19]
	v_add_f64 v[28:29], v[26:27], -v[22:23]
	v_add_f64 v[30:31], v[26:27], -v[28:29]
	;; [unrolled: 1-line block ×4, first 2 shown]
	v_add_f64 v[18:19], v[18:19], v[22:23]
	v_add_f64 v[22:23], v[24:25], v[6:7]
	v_add_f64 v[28:29], v[22:23], -v[24:25]
	v_add_f64 v[30:31], v[22:23], -v[28:29]
	v_add_f64 v[18:19], v[22:23], v[18:19]
	v_add_f64 v[24:25], v[24:25], -v[30:31]
	v_add_f64 v[6:7], v[6:7], -v[28:29]
	v_add_f64 v[22:23], v[26:27], v[18:19]
	v_add_f64 v[6:7], v[6:7], v[24:25]
	v_add_f64 v[24:25], v[22:23], -v[26:27]
	v_add_f64 v[18:19], v[18:19], -v[24:25]
	v_add_f64 v[6:7], v[6:7], v[18:19]
	v_add_f64 v[6:7], v[22:23], v[6:7]
	v_cmp_class_f64_e64 vcc, v[20:21], s61
	v_cndmask_b32_e32 v6, v6, v20, vcc
	v_cndmask_b32_e32 v7, v7, v21, vcc
	v_cmp_ngt_f64_e32 vcc, 0, v[20:21]
	v_cndmask_b32_e32 v7, v105, v7, vcc
	v_cmp_nge_f64_e32 vcc, 0, v[20:21]
	v_cndmask_b32_e32 v18, 0, v6, vcc
	v_cmp_neq_f64_e32 vcc, 0, v[20:21]
	v_mov_b32_e32 v20, 0
	v_cndmask_b32_e32 v19, v106, v7, vcc
	v_mov_b32_e32 v21, 0x7ff80000
.LBB174_196:                            ;   in Loop: Header=BB174_162 Depth=1
	s_or_b64 exec, exec, s[0:1]
	v_cmp_o_f64_e32 vcc, v[10:11], v[12:13]
                                        ; implicit-def: $vgpr22_vgpr23
	s_and_saveexec_b64 s[0:1], vcc
	s_xor_b64 s[44:45], exec, s[0:1]
	s_cbranch_execz .LBB174_224
; %bb.197:                              ;   in Loop: Header=BB174_162 Depth=1
	v_and_b32_e32 v24, 0x7fffffff, v11
	v_and_b32_e32 v25, 0x7fffffff, v13
	v_mov_b32_e32 v8, v12
	v_cmp_lt_f64_e64 s[0:1], |v[10:11]|, |v[12:13]|
	v_cndmask_b32_e64 v7, v25, v24, s[0:1]
	v_cndmask_b32_e64 v6, v8, v10, s[0:1]
	v_cmp_nlt_f64_e32 vcc, s[8:9], v[6:7]
                                        ; implicit-def: $vgpr22_vgpr23
	s_and_saveexec_b64 s[2:3], vcc
	s_xor_b64 s[4:5], exec, s[2:3]
	s_cbranch_execz .LBB174_221
; %bb.198:                              ;   in Loop: Header=BB174_162 Depth=1
	v_cndmask_b32_e64 v27, v24, v25, s[0:1]
	v_cndmask_b32_e64 v26, v10, v8, s[0:1]
	v_cmp_neq_f64_e32 vcc, 1.0, v[26:27]
                                        ; implicit-def: $vgpr22_vgpr23
	s_and_saveexec_b64 s[2:3], vcc
	s_xor_b64 s[46:47], exec, s[2:3]
	s_cbranch_execz .LBB174_214
; %bb.199:                              ;   in Loop: Header=BB174_162 Depth=1
	v_max_f64 v[22:23], v[6:7], v[6:7]
	v_max_f64 v[24:25], v[26:27], v[26:27]
	v_min_f64 v[28:29], v[24:25], v[22:23]
	v_max_f64 v[22:23], v[24:25], v[22:23]
	v_cmp_ngt_f64_e32 vcc, s[10:11], v[28:29]
	v_cmp_nlt_f64_e64 s[2:3], s[12:13], v[22:23]
	s_and_b64 s[2:3], s[2:3], vcc
                                        ; implicit-def: $vgpr22_vgpr23
	s_and_saveexec_b64 s[48:49], s[2:3]
	s_xor_b64 s[48:49], exec, s[48:49]
	s_cbranch_execz .LBB174_211
; %bb.200:                              ;   in Loop: Header=BB174_162 Depth=1
	v_cmp_le_f64_e32 vcc, 1.0, v[26:27]
                                        ; implicit-def: $vgpr22_vgpr23
	s_and_saveexec_b64 s[2:3], vcc
	s_xor_b64 s[2:3], exec, s[2:3]
	s_cbranch_execz .LBB174_202
; %bb.201:                              ;   in Loop: Header=BB174_162 Depth=1
	v_add_f64 v[22:23], v[26:27], -1.0
	v_add_f64 v[24:25], v[26:27], 1.0
	v_mul_f64 v[24:25], v[22:23], v[24:25]
	v_fmac_f64_e32 v[24:25], v[6:7], v[6:7]
	v_add_f64 v[6:7], v[24:25], 1.0
	v_add_f64 v[22:23], v[6:7], -1.0
	v_add_f64 v[26:27], v[22:23], -v[6:7]
	v_add_f64 v[26:27], v[26:27], 1.0
	v_add_f64 v[22:23], v[24:25], -v[22:23]
	v_add_f64 v[22:23], v[22:23], v[26:27]
	v_frexp_mant_f64_e32 v[26:27], v[6:7]
	v_frexp_exp_i32_f64_e32 v8, v[6:7]
	v_cmp_gt_f64_e32 vcc, s[14:15], v[26:27]
	v_subbrev_co_u32_e32 v8, vcc, 0, v8, vcc
	v_sub_u32_e32 v26, 0, v8
	v_ldexp_f64 v[6:7], v[6:7], v26
	v_ldexp_f64 v[22:23], v[22:23], v26
	v_add_f64 v[26:27], v[6:7], -1.0
	v_add_f64 v[32:33], v[6:7], 1.0
	v_add_f64 v[28:29], v[26:27], 1.0
	v_add_f64 v[88:89], v[32:33], -1.0
	v_add_f64 v[28:29], v[6:7], -v[28:29]
	v_add_f64 v[6:7], v[6:7], -v[88:89]
	v_add_f64 v[6:7], v[22:23], v[6:7]
	v_add_f64 v[28:29], v[22:23], v[28:29]
	;; [unrolled: 1-line block ×3, first 2 shown]
	v_rcp_f64_e32 v[88:89], v[22:23]
	v_add_f64 v[30:31], v[26:27], v[28:29]
	v_add_f64 v[26:27], v[30:31], -v[26:27]
	v_add_f64 v[26:27], v[28:29], -v[26:27]
	;; [unrolled: 1-line block ×4, first 2 shown]
	v_fma_f64 v[28:29], -v[22:23], v[88:89], 1.0
	v_fmac_f64_e32 v[88:89], v[28:29], v[88:89]
	v_fma_f64 v[28:29], -v[22:23], v[88:89], 1.0
	v_fmac_f64_e32 v[88:89], v[28:29], v[88:89]
	v_mul_f64 v[28:29], v[30:31], v[88:89]
	v_mul_f64 v[32:33], v[22:23], v[28:29]
	v_fma_f64 v[90:91], v[28:29], v[22:23], -v[32:33]
	v_fmac_f64_e32 v[90:91], v[28:29], v[6:7]
	v_add_f64 v[92:93], v[32:33], v[90:91]
	v_add_f64 v[94:95], v[30:31], -v[92:93]
	v_add_f64 v[30:31], v[30:31], -v[94:95]
	;; [unrolled: 1-line block ×4, first 2 shown]
	v_add_f64 v[26:27], v[26:27], v[30:31]
	v_add_f64 v[30:31], v[32:33], -v[90:91]
	v_add_f64 v[26:27], v[30:31], v[26:27]
	v_add_f64 v[30:31], v[94:95], v[26:27]
	v_add_f64 v[32:33], v[94:95], -v[30:31]
	v_add_f64 v[26:27], v[26:27], v[32:33]
	v_mul_f64 v[32:33], v[88:89], v[30:31]
	v_mul_f64 v[90:91], v[22:23], v[32:33]
	v_fma_f64 v[22:23], v[32:33], v[22:23], -v[90:91]
	v_fmac_f64_e32 v[22:23], v[32:33], v[6:7]
	v_add_f64 v[6:7], v[90:91], v[22:23]
	v_add_f64 v[92:93], v[30:31], -v[6:7]
	v_add_f64 v[30:31], v[30:31], -v[92:93]
	;; [unrolled: 1-line block ×4, first 2 shown]
	v_add_f64 v[6:7], v[26:27], v[6:7]
	v_add_f64 v[22:23], v[90:91], -v[22:23]
	v_add_f64 v[6:7], v[22:23], v[6:7]
	v_add_f64 v[22:23], v[28:29], v[32:33]
	;; [unrolled: 1-line block ×3, first 2 shown]
	v_add_f64 v[26:27], v[22:23], -v[28:29]
	v_mul_f64 v[6:7], v[88:89], v[6:7]
	v_add_f64 v[26:27], v[32:33], -v[26:27]
	v_add_f64 v[6:7], v[26:27], v[6:7]
	v_add_f64 v[26:27], v[22:23], v[6:7]
	v_add_f64 v[22:23], v[26:27], -v[22:23]
	v_add_f64 v[6:7], v[6:7], -v[22:23]
	v_mul_f64 v[22:23], v[26:27], v[26:27]
	v_pk_mov_b32 v[28:29], v[36:37], v[36:37] op_sel:[0,1]
	v_fmac_f64_e32 v[28:29], s[18:19], v[22:23]
	v_pk_mov_b32 v[30:31], v[38:39], v[38:39] op_sel:[0,1]
	v_fmac_f64_e32 v[30:31], v[22:23], v[28:29]
	;; [unrolled: 2-line block ×6, first 2 shown]
	v_cvt_f64_i32_e32 v[28:29], v8
	v_mul_f64 v[32:33], v[28:29], s[20:21]
	v_fma_f64 v[88:89], v[28:29], s[20:21], -v[32:33]
	v_fmac_f64_e32 v[88:89], s[22:23], v[28:29]
	v_add_f64 v[28:29], v[32:33], v[88:89]
	v_add_f64 v[32:33], v[28:29], -v[32:33]
	v_mul_f64 v[22:23], v[26:27], v[22:23]
	v_add_f64 v[32:33], v[88:89], -v[32:33]
	v_ldexp_f64 v[88:89], v[26:27], 1
	v_mul_f64 v[22:23], v[22:23], v[30:31]
	v_add_f64 v[26:27], v[88:89], v[22:23]
	v_add_f64 v[30:31], v[26:27], -v[88:89]
	v_ldexp_f64 v[6:7], v[6:7], 1
	v_add_f64 v[22:23], v[22:23], -v[30:31]
	v_add_f64 v[6:7], v[6:7], v[22:23]
	v_add_f64 v[22:23], v[26:27], v[6:7]
	v_add_f64 v[26:27], v[22:23], -v[26:27]
	v_add_f64 v[6:7], v[6:7], -v[26:27]
	v_add_f64 v[26:27], v[28:29], v[22:23]
	v_add_f64 v[30:31], v[26:27], -v[28:29]
	v_add_f64 v[88:89], v[26:27], -v[30:31]
	;; [unrolled: 1-line block ×4, first 2 shown]
	v_add_f64 v[22:23], v[22:23], v[28:29]
	v_add_f64 v[28:29], v[32:33], v[6:7]
	v_add_f64 v[30:31], v[28:29], -v[32:33]
	v_add_f64 v[22:23], v[28:29], v[22:23]
	v_add_f64 v[88:89], v[28:29], -v[30:31]
	;; [unrolled: 2-line block ×3, first 2 shown]
	v_add_f64 v[6:7], v[6:7], -v[30:31]
	v_add_f64 v[26:27], v[28:29], -v[26:27]
	v_add_f64 v[6:7], v[6:7], v[32:33]
	v_add_f64 v[22:23], v[22:23], -v[26:27]
	v_add_f64 v[6:7], v[6:7], v[22:23]
	v_max_f64 v[22:23], |v[12:13]|, |v[12:13]|
	v_max_f64 v[26:27], |v[10:11]|, |v[10:11]|
	v_add_f64 v[6:7], v[28:29], v[6:7]
	v_max_f64 v[28:29], v[26:27], v[22:23]
	v_min_f64 v[26:27], v[26:27], v[22:23]
	v_cmp_eq_f64_e32 vcc, s[24:25], v[24:25]
	v_div_scale_f64 v[30:31], s[50:51], v[28:29], v[28:29], v[26:27]
	v_cndmask_b32_e32 v7, v7, v25, vcc
	v_cndmask_b32_e32 v6, v6, v24, vcc
	v_rcp_f64_e32 v[32:33], v[30:31]
	v_mul_f64 v[6:7], v[6:7], 0.5
	v_cmp_ngt_f64_e32 vcc, -1.0, v[24:25]
	v_cndmask_b32_e32 v7, v105, v7, vcc
	v_cmp_nge_f64_e32 vcc, -1.0, v[24:25]
	v_cndmask_b32_e32 v22, 0, v6, vcc
	v_cmp_neq_f64_e32 vcc, -1.0, v[24:25]
	v_cndmask_b32_e32 v23, v106, v7, vcc
	v_fma_f64 v[6:7], -v[30:31], v[32:33], 1.0
	v_fmac_f64_e32 v[32:33], v[32:33], v[6:7]
	v_fma_f64 v[6:7], -v[30:31], v[32:33], 1.0
	v_fmac_f64_e32 v[32:33], v[32:33], v[6:7]
	v_div_scale_f64 v[6:7], vcc, v[26:27], v[28:29], v[26:27]
	v_mul_f64 v[24:25], v[6:7], v[32:33]
	v_fma_f64 v[6:7], -v[30:31], v[24:25], v[6:7]
	v_cmp_class_f64_e64 s[52:53], v[10:11], s61
	s_nop 0
	v_div_fmas_f64 v[6:7], v[6:7], v[32:33], v[24:25]
	v_div_fixup_f64 v[6:7], v[6:7], v[28:29], v[26:27]
	v_mul_f64 v[24:25], v[6:7], v[6:7]
	v_pk_mov_b32 v[26:27], v[48:49], v[48:49] op_sel:[0,1]
	v_fmac_f64_e32 v[26:27], s[26:27], v[24:25]
	v_pk_mov_b32 v[28:29], v[50:51], v[50:51] op_sel:[0,1]
	v_fmac_f64_e32 v[28:29], v[24:25], v[26:27]
	;; [unrolled: 2-line block ×19, first 2 shown]
	v_cmp_gt_i32_e32 vcc, 0, v11
	v_mul_f64 v[24:25], v[24:25], v[26:27]
	v_cndmask_b32_e32 v10, v109, v110, vcc
	v_fmac_f64_e32 v[6:7], v[6:7], v[24:25]
	v_bfi_b32 v24, s59, v10, v13
	v_ashrrev_i32_e32 v10, 31, v11
	v_and_b32_e32 v25, 0x400921fb, v10
	v_and_b32_e32 v26, 0x54442d18, v10
	v_add_f64 v[10:11], -v[6:7], s[28:29]
	v_cndmask_b32_e64 v7, v7, v11, s[0:1]
	v_cndmask_b32_e64 v6, v6, v10, s[0:1]
	s_mov_b32 s30, s28
	v_add_f64 v[10:11], -v[6:7], s[30:31]
	v_cmp_class_f64_e64 s[50:51], v[12:13], s61
	v_cndmask_b32_e32 v8, v107, v108, vcc
	v_cndmask_b32_e32 v7, v7, v11, vcc
	;; [unrolled: 1-line block ×3, first 2 shown]
	v_cmp_eq_f64_e32 vcc, 0, v[12:13]
	v_cndmask_b32_e32 v6, v6, v26, vcc
	v_cndmask_b32_e32 v7, v7, v25, vcc
	s_and_b64 vcc, s[52:53], s[50:51]
	v_cndmask_b32_e32 v25, v7, v24, vcc
	v_cndmask_b32_e32 v24, v6, v8, vcc
                                        ; implicit-def: $vgpr6_vgpr7
                                        ; implicit-def: $vgpr26_vgpr27
.LBB174_202:                            ;   in Loop: Header=BB174_162 Depth=1
	s_andn2_saveexec_b64 s[50:51], s[2:3]
	s_cbranch_execz .LBB174_210
; %bb.203:                              ;   in Loop: Header=BB174_162 Depth=1
	v_mul_f64 v[24:25], v[6:7], v[6:7]
	v_fmac_f64_e32 v[24:25], v[26:27], v[26:27]
	v_cmp_ge_f64_e32 vcc, s[34:35], v[24:25]
                                        ; implicit-def: $vgpr22_vgpr23
	s_and_saveexec_b64 s[2:3], vcc
	s_xor_b64 s[2:3], exec, s[2:3]
	s_cbranch_execz .LBB174_205
; %bb.204:                              ;   in Loop: Header=BB174_162 Depth=1
	v_frexp_mant_f64_e32 v[6:7], v[24:25]
	v_cmp_gt_f64_e32 vcc, s[14:15], v[6:7]
	v_cndmask_b32_e64 v35, v111, 2.0, vcc
	v_mul_f64 v[6:7], v[6:7], v[34:35]
	v_add_f64 v[22:23], v[6:7], 1.0
	v_rcp_f64_e32 v[26:27], v[22:23]
	v_add_f64 v[30:31], v[22:23], -1.0
	v_add_f64 v[28:29], v[6:7], -1.0
	v_add_f64 v[6:7], v[6:7], -v[30:31]
	v_fma_f64 v[30:31], -v[22:23], v[26:27], 1.0
	v_fmac_f64_e32 v[26:27], v[30:31], v[26:27]
	v_fma_f64 v[30:31], -v[22:23], v[26:27], 1.0
	v_fmac_f64_e32 v[26:27], v[30:31], v[26:27]
	v_mul_f64 v[30:31], v[28:29], v[26:27]
	v_mul_f64 v[32:33], v[22:23], v[30:31]
	v_fma_f64 v[22:23], v[30:31], v[22:23], -v[32:33]
	v_fmac_f64_e32 v[22:23], v[30:31], v[6:7]
	v_add_f64 v[6:7], v[32:33], v[22:23]
	v_add_f64 v[88:89], v[28:29], -v[6:7]
	v_add_f64 v[32:33], v[6:7], -v[32:33]
	;; [unrolled: 1-line block ×5, first 2 shown]
	v_add_f64 v[6:7], v[22:23], v[6:7]
	v_add_f64 v[6:7], v[88:89], v[6:7]
	v_mul_f64 v[6:7], v[26:27], v[6:7]
	v_add_f64 v[22:23], v[30:31], v[6:7]
	v_add_f64 v[26:27], v[22:23], -v[30:31]
	v_add_f64 v[6:7], v[6:7], -v[26:27]
	v_mul_f64 v[26:27], v[22:23], v[22:23]
	v_pk_mov_b32 v[28:29], v[36:37], v[36:37] op_sel:[0,1]
	v_fmac_f64_e32 v[28:29], s[18:19], v[26:27]
	v_pk_mov_b32 v[30:31], v[38:39], v[38:39] op_sel:[0,1]
	v_fmac_f64_e32 v[30:31], v[26:27], v[28:29]
	;; [unrolled: 2-line block ×6, first 2 shown]
	v_ldexp_f64 v[28:29], v[22:23], 1
	v_mul_f64 v[22:23], v[22:23], v[26:27]
	v_mul_f64 v[22:23], v[22:23], v[30:31]
	v_add_f64 v[26:27], v[28:29], v[22:23]
	v_add_f64 v[28:29], v[26:27], -v[28:29]
	v_ldexp_f64 v[6:7], v[6:7], 1
	v_add_f64 v[22:23], v[22:23], -v[28:29]
	v_add_f64 v[6:7], v[6:7], v[22:23]
	v_frexp_exp_i32_f64_e32 v8, v[24:25]
	v_add_f64 v[22:23], v[26:27], v[6:7]
	v_subbrev_co_u32_e32 v8, vcc, 0, v8, vcc
	v_add_f64 v[26:27], v[22:23], -v[26:27]
	v_add_f64 v[6:7], v[6:7], -v[26:27]
	v_cvt_f64_i32_e32 v[26:27], v8
	v_mul_f64 v[28:29], v[26:27], s[20:21]
	v_fma_f64 v[30:31], v[26:27], s[20:21], -v[28:29]
	v_fmac_f64_e32 v[30:31], s[22:23], v[26:27]
	v_add_f64 v[26:27], v[28:29], v[30:31]
	v_add_f64 v[28:29], v[26:27], -v[28:29]
	v_add_f64 v[28:29], v[30:31], -v[28:29]
	v_add_f64 v[30:31], v[26:27], v[22:23]
	v_add_f64 v[32:33], v[30:31], -v[26:27]
	v_add_f64 v[88:89], v[30:31], -v[32:33]
	;; [unrolled: 1-line block ×4, first 2 shown]
	v_add_f64 v[22:23], v[22:23], v[26:27]
	v_add_f64 v[26:27], v[28:29], v[6:7]
	v_add_f64 v[32:33], v[26:27], -v[28:29]
	v_add_f64 v[88:89], v[26:27], -v[32:33]
	v_add_f64 v[22:23], v[26:27], v[22:23]
	v_add_f64 v[28:29], v[28:29], -v[88:89]
	v_add_f64 v[6:7], v[6:7], -v[32:33]
	v_add_f64 v[26:27], v[30:31], v[22:23]
	v_add_f64 v[6:7], v[6:7], v[28:29]
	v_add_f64 v[28:29], v[26:27], -v[30:31]
	v_add_f64 v[22:23], v[22:23], -v[28:29]
	v_add_f64 v[6:7], v[6:7], v[22:23]
	v_add_f64 v[6:7], v[26:27], v[6:7]
	v_max_f64 v[22:23], |v[12:13]|, |v[12:13]|
	v_max_f64 v[26:27], |v[10:11]|, |v[10:11]|
	v_max_f64 v[28:29], v[26:27], v[22:23]
	v_min_f64 v[26:27], v[26:27], v[22:23]
	v_div_scale_f64 v[30:31], s[52:53], v[28:29], v[28:29], v[26:27]
	v_rcp_f64_e32 v[32:33], v[30:31]
	v_mul_f64 v[6:7], v[6:7], 0.5
	v_cmp_neq_f64_e32 vcc, 0, v[24:25]
	v_cndmask_b32_e32 v23, v106, v7, vcc
	v_cndmask_b32_e32 v22, 0, v6, vcc
	v_fma_f64 v[6:7], -v[30:31], v[32:33], 1.0
	v_fmac_f64_e32 v[32:33], v[32:33], v[6:7]
	v_fma_f64 v[6:7], -v[30:31], v[32:33], 1.0
	v_fmac_f64_e32 v[32:33], v[32:33], v[6:7]
	v_div_scale_f64 v[6:7], vcc, v[26:27], v[28:29], v[26:27]
	v_mul_f64 v[24:25], v[6:7], v[32:33]
	v_fma_f64 v[6:7], -v[30:31], v[24:25], v[6:7]
	v_cmp_class_f64_e64 s[54:55], v[10:11], s61
	s_nop 0
	v_div_fmas_f64 v[6:7], v[6:7], v[32:33], v[24:25]
	v_div_fixup_f64 v[6:7], v[6:7], v[28:29], v[26:27]
	v_mul_f64 v[24:25], v[6:7], v[6:7]
	v_pk_mov_b32 v[26:27], v[48:49], v[48:49] op_sel:[0,1]
	v_fmac_f64_e32 v[26:27], s[26:27], v[24:25]
	v_pk_mov_b32 v[28:29], v[50:51], v[50:51] op_sel:[0,1]
	v_fmac_f64_e32 v[28:29], v[24:25], v[26:27]
	;; [unrolled: 2-line block ×19, first 2 shown]
	v_cmp_gt_i32_e32 vcc, 0, v11
	v_mul_f64 v[24:25], v[24:25], v[26:27]
	v_cndmask_b32_e32 v10, v109, v110, vcc
	v_fmac_f64_e32 v[6:7], v[6:7], v[24:25]
	v_bfi_b32 v24, s59, v10, v13
	v_ashrrev_i32_e32 v10, 31, v11
	v_and_b32_e32 v25, 0x400921fb, v10
	v_and_b32_e32 v26, 0x54442d18, v10
	v_add_f64 v[10:11], -v[6:7], s[28:29]
	v_cndmask_b32_e64 v7, v7, v11, s[0:1]
	v_cndmask_b32_e64 v6, v6, v10, s[0:1]
	s_mov_b32 s30, s28
	v_add_f64 v[10:11], -v[6:7], s[30:31]
	v_cmp_class_f64_e64 s[52:53], v[12:13], s61
	v_cndmask_b32_e32 v8, v107, v108, vcc
	v_cndmask_b32_e32 v7, v7, v11, vcc
	;; [unrolled: 1-line block ×3, first 2 shown]
	v_cmp_eq_f64_e32 vcc, 0, v[12:13]
	v_cndmask_b32_e32 v6, v6, v26, vcc
	v_cndmask_b32_e32 v7, v7, v25, vcc
	s_and_b64 vcc, s[54:55], s[52:53]
	v_cndmask_b32_e32 v25, v7, v24, vcc
	v_cndmask_b32_e32 v24, v6, v8, vcc
                                        ; implicit-def: $vgpr26_vgpr27
                                        ; implicit-def: $vgpr6_vgpr7
.LBB174_205:                            ;   in Loop: Header=BB174_162 Depth=1
	s_andn2_saveexec_b64 s[52:53], s[2:3]
	s_cbranch_execz .LBB174_209
; %bb.206:                              ;   in Loop: Header=BB174_162 Depth=1
	v_and_b32_e32 v35, 0x7ffffff8, v27
	v_and_b32_e32 v25, 0x7ffffff8, v7
	v_mov_b32_e32 v24, v34
	v_add_f64 v[22:23], v[26:27], -v[34:35]
	v_add_f64 v[6:7], v[6:7], -v[24:25]
	v_and_b32_e32 v91, -8, v23
	v_mov_b32_e32 v90, v34
	v_and_b32_e32 v93, -8, v7
	v_mov_b32_e32 v92, v34
	v_add_f64 v[30:31], v[34:35], v[34:35]
	v_add_f64 v[98:99], v[24:25], v[24:25]
	v_add_f64 v[94:95], v[22:23], -v[90:91]
	v_add_f64 v[96:97], v[6:7], -v[92:93]
	v_mul_f64 v[22:23], v[24:25], v[24:25]
	v_mul_f64 v[28:29], v[30:31], v[90:91]
	v_mul_f64 v[26:27], v[98:99], v[92:93]
	v_mul_f64 v[88:89], v[90:91], v[90:91]
	v_mul_f64 v[24:25], v[92:93], v[92:93]
	v_add_f64 v[90:91], v[90:91], v[90:91]
	v_add_f64 v[92:93], v[92:93], v[92:93]
	v_mul_f64 v[6:7], v[34:35], v[34:35]
	v_mul_f64 v[32:33], v[30:31], v[94:95]
	;; [unrolled: 1-line block ×7, first 2 shown]
	s_mov_b64 s[54:55], 0
.LBB174_207:                            ;   Parent Loop BB174_162 Depth=1
                                        ; =>  This Inner Loop Header: Depth=2
	v_cmp_nlt_f64_e32 vcc, v[6:7], v[22:23]
	v_cndmask_b32_e32 v99, v7, v23, vcc
	v_cndmask_b32_e32 v98, v6, v22, vcc
	v_cmp_nlt_f64_e64 s[2:3], v[98:99], v[28:29]
	v_cndmask_b32_e64 v101, v99, v29, s[2:3]
	v_cndmask_b32_e64 v100, v98, v28, s[2:3]
	v_cndmask_b32_e32 v7, v23, v7, vcc
	v_cndmask_b32_e32 v6, v22, v6, vcc
	s_and_b64 s[56:57], vcc, s[2:3]
	v_cmp_nlt_f64_e32 vcc, v[100:101], v[26:27]
	v_cndmask_b32_e64 v23, v29, v99, s[2:3]
	v_cndmask_b32_e64 v22, v28, v98, s[2:3]
	v_cndmask_b32_e32 v99, v101, v27, vcc
	v_cndmask_b32_e32 v98, v100, v26, vcc
	v_cmp_nlt_f64_e64 s[2:3], v[98:99], v[88:89]
	v_cndmask_b32_e32 v29, v27, v101, vcc
	v_cndmask_b32_e32 v28, v26, v100, vcc
	v_cndmask_b32_e64 v101, v99, v89, s[2:3]
	v_cndmask_b32_e64 v100, v98, v88, s[2:3]
	s_and_b64 s[62:63], vcc, s[2:3]
	v_cmp_nlt_f64_e32 vcc, v[100:101], v[24:25]
	v_cndmask_b32_e64 v27, v89, v99, s[2:3]
	v_cndmask_b32_e64 v26, v88, v98, s[2:3]
	v_cndmask_b32_e32 v99, v101, v25, vcc
	v_cndmask_b32_e32 v98, v100, v24, vcc
	v_cmp_nlt_f64_e64 s[2:3], v[98:99], v[32:33]
	v_cndmask_b32_e32 v89, v25, v101, vcc
	v_cndmask_b32_e32 v88, v24, v100, vcc
	v_cndmask_b32_e64 v101, v99, v33, s[2:3]
	v_cndmask_b32_e64 v100, v98, v32, s[2:3]
	;; [unrolled: 1-line block ×4, first 2 shown]
	s_and_b64 s[2:3], vcc, s[2:3]
	v_cmp_nlt_f64_e32 vcc, v[100:101], v[30:31]
	v_cndmask_b32_e32 v99, v101, v31, vcc
	v_cndmask_b32_e32 v98, v100, v30, vcc
	v_cndmask_b32_e32 v33, v31, v101, vcc
	v_cndmask_b32_e32 v32, v30, v100, vcc
	s_and_b64 s[2:3], s[2:3], vcc
	v_cmp_nlt_f64_e32 vcc, v[98:99], v[90:91]
	v_cndmask_b32_e32 v101, v99, v91, vcc
	v_cndmask_b32_e32 v100, v98, v90, vcc
	v_cndmask_b32_e32 v31, v91, v99, vcc
	v_cndmask_b32_e32 v30, v90, v98, vcc
	s_and_b64 s[2:3], s[2:3], vcc
	;; [unrolled: 6-line block ×4, first 2 shown]
	v_cmp_nlt_f64_e32 vcc, v[100:101], v[96:97]
	s_and_b64 s[2:3], s[2:3], vcc
	s_and_b64 s[2:3], s[2:3], s[62:63]
	s_and_b64 s[2:3], s[2:3], s[56:57]
	v_cndmask_b32_e32 v99, v101, v97, vcc
	v_cndmask_b32_e32 v98, v100, v96, vcc
	s_and_b64 s[2:3], exec, s[2:3]
	v_cndmask_b32_e32 v95, v97, v101, vcc
	v_cndmask_b32_e32 v94, v96, v100, vcc
	s_or_b64 s[54:55], s[2:3], s[54:55]
	v_pk_mov_b32 v[96:97], v[98:99], v[98:99] op_sel:[0,1]
	s_andn2_b64 exec, exec, s[54:55]
	s_cbranch_execnz .LBB174_207
; %bb.208:                              ;   in Loop: Header=BB174_162 Depth=1
	s_or_b64 exec, exec, s[54:55]
	v_add_f64 v[6:7], v[6:7], -1.0
	v_add_f64 v[6:7], v[6:7], v[22:23]
	v_add_f64 v[6:7], v[6:7], v[28:29]
	;; [unrolled: 1-line block ×11, first 2 shown]
	v_add_f64 v[22:23], v[6:7], 1.0
	v_add_f64 v[24:25], v[22:23], -1.0
	v_add_f64 v[26:27], v[24:25], -v[22:23]
	v_add_f64 v[26:27], v[26:27], 1.0
	v_add_f64 v[24:25], v[6:7], -v[24:25]
	v_add_f64 v[24:25], v[24:25], v[26:27]
	v_frexp_mant_f64_e32 v[26:27], v[22:23]
	v_frexp_exp_i32_f64_e32 v8, v[22:23]
	v_cmp_gt_f64_e32 vcc, s[14:15], v[26:27]
	v_subbrev_co_u32_e32 v8, vcc, 0, v8, vcc
	v_sub_u32_e32 v26, 0, v8
	v_ldexp_f64 v[22:23], v[22:23], v26
	v_ldexp_f64 v[24:25], v[24:25], v26
	v_add_f64 v[26:27], v[22:23], -1.0
	v_add_f64 v[32:33], v[22:23], 1.0
	v_add_f64 v[28:29], v[26:27], 1.0
	v_add_f64 v[88:89], v[32:33], -1.0
	v_add_f64 v[28:29], v[22:23], -v[28:29]
	v_add_f64 v[22:23], v[22:23], -v[88:89]
	v_add_f64 v[22:23], v[24:25], v[22:23]
	v_add_f64 v[28:29], v[24:25], v[28:29]
	;; [unrolled: 1-line block ×3, first 2 shown]
	v_rcp_f64_e32 v[88:89], v[24:25]
	v_add_f64 v[30:31], v[26:27], v[28:29]
	v_add_f64 v[26:27], v[30:31], -v[26:27]
	v_add_f64 v[26:27], v[28:29], -v[26:27]
	;; [unrolled: 1-line block ×4, first 2 shown]
	v_fma_f64 v[28:29], -v[24:25], v[88:89], 1.0
	v_fmac_f64_e32 v[88:89], v[28:29], v[88:89]
	v_fma_f64 v[28:29], -v[24:25], v[88:89], 1.0
	v_fmac_f64_e32 v[88:89], v[28:29], v[88:89]
	v_mul_f64 v[28:29], v[30:31], v[88:89]
	v_mul_f64 v[32:33], v[24:25], v[28:29]
	v_fma_f64 v[90:91], v[28:29], v[24:25], -v[32:33]
	v_fmac_f64_e32 v[90:91], v[28:29], v[22:23]
	v_add_f64 v[92:93], v[32:33], v[90:91]
	v_add_f64 v[94:95], v[30:31], -v[92:93]
	v_add_f64 v[30:31], v[30:31], -v[94:95]
	;; [unrolled: 1-line block ×4, first 2 shown]
	v_add_f64 v[26:27], v[26:27], v[30:31]
	v_add_f64 v[30:31], v[32:33], -v[90:91]
	v_add_f64 v[26:27], v[30:31], v[26:27]
	v_add_f64 v[30:31], v[94:95], v[26:27]
	v_add_f64 v[32:33], v[94:95], -v[30:31]
	v_add_f64 v[26:27], v[26:27], v[32:33]
	v_mul_f64 v[32:33], v[88:89], v[30:31]
	v_mul_f64 v[90:91], v[24:25], v[32:33]
	v_fma_f64 v[24:25], v[32:33], v[24:25], -v[90:91]
	v_fmac_f64_e32 v[24:25], v[32:33], v[22:23]
	v_add_f64 v[22:23], v[90:91], v[24:25]
	v_add_f64 v[92:93], v[30:31], -v[22:23]
	v_add_f64 v[30:31], v[30:31], -v[92:93]
	;; [unrolled: 1-line block ×4, first 2 shown]
	v_add_f64 v[22:23], v[26:27], v[22:23]
	v_add_f64 v[24:25], v[90:91], -v[24:25]
	v_add_f64 v[22:23], v[24:25], v[22:23]
	v_add_f64 v[24:25], v[28:29], v[32:33]
	;; [unrolled: 1-line block ×3, first 2 shown]
	v_add_f64 v[26:27], v[24:25], -v[28:29]
	v_mul_f64 v[22:23], v[88:89], v[22:23]
	v_add_f64 v[26:27], v[32:33], -v[26:27]
	v_add_f64 v[22:23], v[26:27], v[22:23]
	v_add_f64 v[26:27], v[24:25], v[22:23]
	v_add_f64 v[24:25], v[26:27], -v[24:25]
	v_add_f64 v[22:23], v[22:23], -v[24:25]
	v_mul_f64 v[24:25], v[26:27], v[26:27]
	v_pk_mov_b32 v[28:29], v[36:37], v[36:37] op_sel:[0,1]
	v_fmac_f64_e32 v[28:29], s[18:19], v[24:25]
	v_pk_mov_b32 v[30:31], v[38:39], v[38:39] op_sel:[0,1]
	v_fmac_f64_e32 v[30:31], v[24:25], v[28:29]
	;; [unrolled: 2-line block ×6, first 2 shown]
	v_cvt_f64_i32_e32 v[28:29], v8
	v_mul_f64 v[32:33], v[28:29], s[20:21]
	v_fma_f64 v[88:89], v[28:29], s[20:21], -v[32:33]
	v_fmac_f64_e32 v[88:89], s[22:23], v[28:29]
	v_add_f64 v[28:29], v[32:33], v[88:89]
	v_add_f64 v[32:33], v[28:29], -v[32:33]
	v_mul_f64 v[24:25], v[26:27], v[24:25]
	v_add_f64 v[32:33], v[88:89], -v[32:33]
	v_ldexp_f64 v[88:89], v[26:27], 1
	v_mul_f64 v[24:25], v[24:25], v[30:31]
	v_add_f64 v[26:27], v[88:89], v[24:25]
	v_add_f64 v[30:31], v[26:27], -v[88:89]
	v_ldexp_f64 v[22:23], v[22:23], 1
	v_add_f64 v[24:25], v[24:25], -v[30:31]
	v_add_f64 v[22:23], v[22:23], v[24:25]
	v_add_f64 v[24:25], v[26:27], v[22:23]
	v_add_f64 v[26:27], v[24:25], -v[26:27]
	v_add_f64 v[22:23], v[22:23], -v[26:27]
	v_add_f64 v[26:27], v[28:29], v[24:25]
	v_add_f64 v[30:31], v[26:27], -v[28:29]
	v_add_f64 v[88:89], v[26:27], -v[30:31]
	;; [unrolled: 1-line block ×4, first 2 shown]
	v_add_f64 v[24:25], v[24:25], v[28:29]
	v_add_f64 v[28:29], v[32:33], v[22:23]
	v_add_f64 v[30:31], v[28:29], -v[32:33]
	v_add_f64 v[24:25], v[28:29], v[24:25]
	v_add_f64 v[88:89], v[28:29], -v[30:31]
	;; [unrolled: 2-line block ×3, first 2 shown]
	v_add_f64 v[22:23], v[22:23], -v[30:31]
	v_add_f64 v[26:27], v[28:29], -v[26:27]
	v_add_f64 v[22:23], v[22:23], v[32:33]
	v_add_f64 v[24:25], v[24:25], -v[26:27]
	v_add_f64 v[22:23], v[22:23], v[24:25]
	v_max_f64 v[24:25], |v[12:13]|, |v[12:13]|
	v_max_f64 v[26:27], |v[10:11]|, |v[10:11]|
	v_add_f64 v[22:23], v[28:29], v[22:23]
	v_max_f64 v[28:29], v[26:27], v[24:25]
	v_min_f64 v[24:25], v[26:27], v[24:25]
	v_div_scale_f64 v[26:27], s[2:3], v[28:29], v[28:29], v[24:25]
	v_cmp_eq_f64_e32 vcc, s[24:25], v[6:7]
	v_rcp_f64_e32 v[30:31], v[26:27]
	v_cndmask_b32_e32 v23, v23, v7, vcc
	v_cndmask_b32_e32 v22, v22, v6, vcc
	v_mul_f64 v[22:23], v[22:23], 0.5
	v_cmp_ngt_f64_e32 vcc, -1.0, v[6:7]
	v_cndmask_b32_e32 v8, v105, v23, vcc
	v_cmp_nge_f64_e32 vcc, -1.0, v[6:7]
	v_cndmask_b32_e32 v22, 0, v22, vcc
	v_cmp_neq_f64_e32 vcc, -1.0, v[6:7]
	v_fma_f64 v[6:7], -v[26:27], v[30:31], 1.0
	v_fmac_f64_e32 v[30:31], v[30:31], v[6:7]
	v_fma_f64 v[6:7], -v[26:27], v[30:31], 1.0
	v_cndmask_b32_e32 v23, v106, v8, vcc
	v_fmac_f64_e32 v[30:31], v[30:31], v[6:7]
	v_div_scale_f64 v[6:7], vcc, v[24:25], v[28:29], v[24:25]
	v_mul_f64 v[32:33], v[6:7], v[30:31]
	v_fma_f64 v[6:7], -v[26:27], v[32:33], v[6:7]
	v_pk_mov_b32 v[26:27], v[48:49], v[48:49] op_sel:[0,1]
	s_nop 0
	v_div_fmas_f64 v[6:7], v[6:7], v[30:31], v[32:33]
	v_div_fixup_f64 v[6:7], v[6:7], v[28:29], v[24:25]
	v_mul_f64 v[24:25], v[6:7], v[6:7]
	v_fmac_f64_e32 v[26:27], s[26:27], v[24:25]
	v_pk_mov_b32 v[28:29], v[50:51], v[50:51] op_sel:[0,1]
	v_fmac_f64_e32 v[28:29], v[24:25], v[26:27]
	v_pk_mov_b32 v[26:27], v[52:53], v[52:53] op_sel:[0,1]
	;; [unrolled: 2-line block ×18, first 2 shown]
	v_fmac_f64_e32 v[26:27], v[24:25], v[28:29]
	v_cmp_gt_i32_e32 vcc, 0, v11
	v_mul_f64 v[24:25], v[24:25], v[26:27]
	v_cmp_class_f64_e64 s[54:55], v[10:11], s61
	v_cndmask_b32_e32 v10, v109, v110, vcc
	v_fmac_f64_e32 v[6:7], v[6:7], v[24:25]
	v_bfi_b32 v24, s59, v10, v13
	v_ashrrev_i32_e32 v10, 31, v11
	v_and_b32_e32 v25, 0x400921fb, v10
	v_and_b32_e32 v26, 0x54442d18, v10
	v_add_f64 v[10:11], -v[6:7], s[28:29]
	v_cndmask_b32_e64 v7, v7, v11, s[0:1]
	v_cndmask_b32_e64 v6, v6, v10, s[0:1]
	s_mov_b32 s30, s28
	v_add_f64 v[10:11], -v[6:7], s[30:31]
	v_cmp_class_f64_e64 s[2:3], v[12:13], s61
	v_cndmask_b32_e32 v8, v107, v108, vcc
	v_cndmask_b32_e32 v7, v7, v11, vcc
	;; [unrolled: 1-line block ×3, first 2 shown]
	v_cmp_eq_f64_e32 vcc, 0, v[12:13]
	v_cndmask_b32_e32 v6, v6, v26, vcc
	v_cndmask_b32_e32 v7, v7, v25, vcc
	s_and_b64 vcc, s[54:55], s[2:3]
	v_cndmask_b32_e32 v25, v7, v24, vcc
	v_cndmask_b32_e32 v24, v6, v8, vcc
.LBB174_209:                            ;   in Loop: Header=BB174_162 Depth=1
	s_or_b64 exec, exec, s[52:53]
.LBB174_210:                            ;   in Loop: Header=BB174_162 Depth=1
	s_or_b64 exec, exec, s[50:51]
.LBB174_211:                            ;   in Loop: Header=BB174_162 Depth=1
	s_andn2_saveexec_b64 s[48:49], s[48:49]
	s_cbranch_execz .LBB174_213
; %bb.212:                              ;   in Loop: Header=BB174_162 Depth=1
	v_max_f64 v[6:7], |v[12:13]|, |v[12:13]|
	v_max_f64 v[22:23], |v[10:11]|, |v[10:11]|
	v_max_f64 v[24:25], v[22:23], v[6:7]
	v_frexp_exp_i32_f64_e32 v8, v[24:25]
	v_sub_u32_e32 v28, 0, v8
	v_ldexp_f64 v[26:27], |v[10:11]|, v28
	v_ldexp_f64 v[28:29], |v[12:13]|, v28
	v_mul_f64 v[28:29], v[28:29], v[28:29]
	v_fmac_f64_e32 v[28:29], v[26:27], v[26:27]
	v_rsq_f64_e32 v[26:27], v[28:29]
	v_cmp_eq_f64_e32 vcc, 0, v[28:29]
	v_cmp_class_f64_e64 s[50:51], v[10:11], s61
	v_cmp_class_f64_e64 s[52:53], v[12:13], s61
	v_mul_f64 v[30:31], v[28:29], v[26:27]
	v_mul_f64 v[26:27], v[26:27], 0.5
	v_fma_f64 v[32:33], -v[26:27], v[30:31], 0.5
	v_fmac_f64_e32 v[30:31], v[30:31], v[32:33]
	v_fmac_f64_e32 v[26:27], v[26:27], v[32:33]
	v_fma_f64 v[32:33], -v[30:31], v[30:31], v[28:29]
	v_fmac_f64_e32 v[30:31], v[32:33], v[26:27]
	v_cndmask_b32_e32 v27, v31, v29, vcc
	v_cndmask_b32_e32 v26, v30, v28, vcc
	v_ldexp_f64 v[26:27], v[26:27], v8
	s_or_b64 vcc, s[50:51], s[52:53]
	v_cndmask_b32_e32 v29, v27, v112, vcc
	v_cndmask_b32_e64 v28, v26, 0, vcc
	v_frexp_mant_f64_e32 v[30:31], v[28:29]
	v_cmp_gt_f64_e64 s[2:3], s[14:15], v[30:31]
	v_cndmask_b32_e64 v35, v111, 2.0, s[2:3]
	v_mul_f64 v[30:31], v[30:31], v[34:35]
	v_add_f64 v[32:33], v[30:31], 1.0
	v_rcp_f64_e32 v[88:89], v[32:33]
	v_add_f64 v[92:93], v[32:33], -1.0
	v_add_f64 v[90:91], v[30:31], -1.0
	v_add_f64 v[30:31], v[30:31], -v[92:93]
	v_fma_f64 v[92:93], -v[32:33], v[88:89], 1.0
	v_fmac_f64_e32 v[88:89], v[92:93], v[88:89]
	v_fma_f64 v[92:93], -v[32:33], v[88:89], 1.0
	v_fmac_f64_e32 v[88:89], v[92:93], v[88:89]
	v_mul_f64 v[92:93], v[90:91], v[88:89]
	v_mul_f64 v[94:95], v[32:33], v[92:93]
	v_fma_f64 v[32:33], v[92:93], v[32:33], -v[94:95]
	v_fmac_f64_e32 v[32:33], v[92:93], v[30:31]
	v_add_f64 v[30:31], v[94:95], v[32:33]
	v_add_f64 v[96:97], v[90:91], -v[30:31]
	v_add_f64 v[94:95], v[30:31], -v[94:95]
	;; [unrolled: 1-line block ×5, first 2 shown]
	v_add_f64 v[30:31], v[32:33], v[30:31]
	v_add_f64 v[30:31], v[96:97], v[30:31]
	v_mul_f64 v[30:31], v[88:89], v[30:31]
	v_add_f64 v[32:33], v[92:93], v[30:31]
	v_add_f64 v[88:89], v[32:33], -v[92:93]
	v_add_f64 v[30:31], v[30:31], -v[88:89]
	v_mul_f64 v[88:89], v[32:33], v[32:33]
	v_pk_mov_b32 v[90:91], v[36:37], v[36:37] op_sel:[0,1]
	v_fmac_f64_e32 v[90:91], s[18:19], v[88:89]
	v_pk_mov_b32 v[92:93], v[38:39], v[38:39] op_sel:[0,1]
	v_fmac_f64_e32 v[92:93], v[88:89], v[90:91]
	;; [unrolled: 2-line block ×6, first 2 shown]
	v_ldexp_f64 v[90:91], v[32:33], 1
	v_mul_f64 v[32:33], v[32:33], v[88:89]
	v_mul_f64 v[32:33], v[32:33], v[92:93]
	v_add_f64 v[88:89], v[90:91], v[32:33]
	v_add_f64 v[90:91], v[88:89], -v[90:91]
	v_ldexp_f64 v[30:31], v[30:31], 1
	v_add_f64 v[32:33], v[32:33], -v[90:91]
	v_add_f64 v[30:31], v[30:31], v[32:33]
	v_frexp_exp_i32_f64_e32 v8, v[28:29]
	v_add_f64 v[32:33], v[88:89], v[30:31]
	v_subbrev_co_u32_e64 v8, s[2:3], 0, v8, s[2:3]
	v_add_f64 v[88:89], v[32:33], -v[88:89]
	v_add_f64 v[30:31], v[30:31], -v[88:89]
	v_cvt_f64_i32_e32 v[88:89], v8
	v_mul_f64 v[90:91], v[88:89], s[20:21]
	v_fma_f64 v[92:93], v[88:89], s[20:21], -v[90:91]
	v_fmac_f64_e32 v[92:93], s[22:23], v[88:89]
	v_add_f64 v[88:89], v[90:91], v[92:93]
	v_add_f64 v[90:91], v[88:89], -v[90:91]
	v_add_f64 v[90:91], v[92:93], -v[90:91]
	v_add_f64 v[92:93], v[88:89], v[32:33]
	v_add_f64 v[94:95], v[92:93], -v[88:89]
	v_add_f64 v[96:97], v[92:93], -v[94:95]
	;; [unrolled: 1-line block ×4, first 2 shown]
	v_add_f64 v[32:33], v[32:33], v[88:89]
	v_add_f64 v[88:89], v[90:91], v[30:31]
	v_add_f64 v[94:95], v[88:89], -v[90:91]
	v_add_f64 v[96:97], v[88:89], -v[94:95]
	v_add_f64 v[32:33], v[88:89], v[32:33]
	v_add_f64 v[90:91], v[90:91], -v[96:97]
	v_add_f64 v[30:31], v[30:31], -v[94:95]
	v_add_f64 v[88:89], v[92:93], v[32:33]
	v_add_f64 v[30:31], v[30:31], v[90:91]
	v_add_f64 v[90:91], v[88:89], -v[92:93]
	v_add_f64 v[32:33], v[32:33], -v[90:91]
	v_add_f64 v[30:31], v[30:31], v[32:33]
	v_add_f64 v[30:31], v[88:89], v[30:31]
	v_cmp_class_f64_e64 s[2:3], v[26:27], s61
	v_min_f64 v[6:7], v[22:23], v[6:7]
	v_cndmask_b32_e64 v8, v31, v27, s[2:3]
	v_cndmask_b32_e64 v10, v30, v26, s[2:3]
	v_div_scale_f64 v[26:27], s[2:3], v[24:25], v[24:25], v[6:7]
	v_rcp_f64_e32 v[30:31], v[26:27]
	v_cndmask_b32_e64 v10, v10, 0, vcc
	v_cndmask_b32_e32 v8, v8, v112, vcc
	v_cmp_ngt_f64_e32 vcc, 0, v[28:29]
	v_cndmask_b32_e32 v8, v105, v8, vcc
	v_cmp_nge_f64_e32 vcc, 0, v[28:29]
	v_cndmask_b32_e32 v22, 0, v10, vcc
	v_cmp_neq_f64_e32 vcc, 0, v[28:29]
	v_fma_f64 v[28:29], -v[26:27], v[30:31], 1.0
	v_fmac_f64_e32 v[30:31], v[30:31], v[28:29]
	v_fma_f64 v[28:29], -v[26:27], v[30:31], 1.0
	v_cndmask_b32_e32 v23, v106, v8, vcc
	v_fmac_f64_e32 v[30:31], v[30:31], v[28:29]
	v_div_scale_f64 v[28:29], vcc, v[6:7], v[24:25], v[6:7]
	v_mul_f64 v[32:33], v[28:29], v[30:31]
	v_fma_f64 v[26:27], -v[26:27], v[32:33], v[28:29]
	v_pk_mov_b32 v[28:29], v[50:51], v[50:51] op_sel:[0,1]
	s_nop 0
	v_div_fmas_f64 v[26:27], v[26:27], v[30:31], v[32:33]
	v_div_fixup_f64 v[6:7], v[26:27], v[24:25], v[6:7]
	v_mul_f64 v[24:25], v[6:7], v[6:7]
	v_pk_mov_b32 v[26:27], v[48:49], v[48:49] op_sel:[0,1]
	v_fmac_f64_e32 v[26:27], s[26:27], v[24:25]
	v_fmac_f64_e32 v[28:29], v[24:25], v[26:27]
	v_pk_mov_b32 v[26:27], v[52:53], v[52:53] op_sel:[0,1]
	v_fmac_f64_e32 v[26:27], v[24:25], v[28:29]
	v_pk_mov_b32 v[28:29], v[54:55], v[54:55] op_sel:[0,1]
	v_fmac_f64_e32 v[28:29], v[24:25], v[26:27]
	v_pk_mov_b32 v[26:27], v[56:57], v[56:57] op_sel:[0,1]
	v_fmac_f64_e32 v[26:27], v[24:25], v[28:29]
	v_pk_mov_b32 v[28:29], v[58:59], v[58:59] op_sel:[0,1]
	v_fmac_f64_e32 v[28:29], v[24:25], v[26:27]
	v_pk_mov_b32 v[26:27], v[60:61], v[60:61] op_sel:[0,1]
	v_fmac_f64_e32 v[26:27], v[24:25], v[28:29]
	v_pk_mov_b32 v[28:29], v[62:63], v[62:63] op_sel:[0,1]
	v_fmac_f64_e32 v[28:29], v[24:25], v[26:27]
	v_pk_mov_b32 v[26:27], v[64:65], v[64:65] op_sel:[0,1]
	v_fmac_f64_e32 v[26:27], v[24:25], v[28:29]
	v_pk_mov_b32 v[28:29], v[66:67], v[66:67] op_sel:[0,1]
	v_fmac_f64_e32 v[28:29], v[24:25], v[26:27]
	v_pk_mov_b32 v[26:27], v[68:69], v[68:69] op_sel:[0,1]
	v_fmac_f64_e32 v[26:27], v[24:25], v[28:29]
	v_pk_mov_b32 v[28:29], v[70:71], v[70:71] op_sel:[0,1]
	v_fmac_f64_e32 v[28:29], v[24:25], v[26:27]
	v_pk_mov_b32 v[26:27], v[72:73], v[72:73] op_sel:[0,1]
	v_fmac_f64_e32 v[26:27], v[24:25], v[28:29]
	v_pk_mov_b32 v[28:29], v[74:75], v[74:75] op_sel:[0,1]
	v_fmac_f64_e32 v[28:29], v[24:25], v[26:27]
	v_pk_mov_b32 v[26:27], v[76:77], v[76:77] op_sel:[0,1]
	v_fmac_f64_e32 v[26:27], v[24:25], v[28:29]
	v_pk_mov_b32 v[28:29], v[78:79], v[78:79] op_sel:[0,1]
	v_fmac_f64_e32 v[28:29], v[24:25], v[26:27]
	v_pk_mov_b32 v[26:27], v[80:81], v[80:81] op_sel:[0,1]
	v_fmac_f64_e32 v[26:27], v[24:25], v[28:29]
	v_pk_mov_b32 v[28:29], v[82:83], v[82:83] op_sel:[0,1]
	v_fmac_f64_e32 v[28:29], v[24:25], v[26:27]
	v_pk_mov_b32 v[26:27], v[84:85], v[84:85] op_sel:[0,1]
	v_fmac_f64_e32 v[26:27], v[24:25], v[28:29]
	v_cmp_gt_i32_e32 vcc, 0, v11
	v_mul_f64 v[24:25], v[24:25], v[26:27]
	v_cndmask_b32_e32 v10, v109, v110, vcc
	v_fmac_f64_e32 v[6:7], v[6:7], v[24:25]
	v_bfi_b32 v24, s59, v10, v13
	v_ashrrev_i32_e32 v10, 31, v11
	v_and_b32_e32 v25, 0x400921fb, v10
	v_and_b32_e32 v26, 0x54442d18, v10
	v_add_f64 v[10:11], -v[6:7], s[28:29]
	v_cndmask_b32_e64 v7, v7, v11, s[0:1]
	v_cndmask_b32_e64 v6, v6, v10, s[0:1]
	s_mov_b32 s30, s28
	v_add_f64 v[10:11], -v[6:7], s[30:31]
	v_cndmask_b32_e32 v8, v107, v108, vcc
	v_cndmask_b32_e32 v7, v7, v11, vcc
	;; [unrolled: 1-line block ×3, first 2 shown]
	v_cmp_eq_f64_e32 vcc, 0, v[12:13]
	v_cndmask_b32_e32 v6, v6, v26, vcc
	v_cndmask_b32_e32 v7, v7, v25, vcc
	s_and_b64 vcc, s[50:51], s[52:53]
	v_cndmask_b32_e32 v25, v7, v24, vcc
	v_cndmask_b32_e32 v24, v6, v8, vcc
.LBB174_213:                            ;   in Loop: Header=BB174_162 Depth=1
	s_or_b64 exec, exec, s[48:49]
                                        ; implicit-def: $vgpr6_vgpr7
.LBB174_214:                            ;   in Loop: Header=BB174_162 Depth=1
	s_andn2_saveexec_b64 s[2:3], s[46:47]
	s_cbranch_execz .LBB174_220
; %bb.215:                              ;   in Loop: Header=BB174_162 Depth=1
	v_cmp_ngt_f64_e32 vcc, s[36:37], v[6:7]
                                        ; implicit-def: $vgpr22_vgpr23
	s_and_saveexec_b64 s[46:47], vcc
	s_xor_b64 s[46:47], exec, s[46:47]
	s_cbranch_execz .LBB174_217
; %bb.216:                              ;   in Loop: Header=BB174_162 Depth=1
	v_mul_f64 v[6:7], v[6:7], v[6:7]
	v_add_f64 v[22:23], v[6:7], 1.0
	v_add_f64 v[24:25], v[22:23], -1.0
	v_add_f64 v[26:27], v[24:25], -v[22:23]
	v_add_f64 v[26:27], v[26:27], 1.0
	v_add_f64 v[24:25], v[6:7], -v[24:25]
	v_add_f64 v[24:25], v[24:25], v[26:27]
	v_frexp_mant_f64_e32 v[26:27], v[22:23]
	v_frexp_exp_i32_f64_e32 v8, v[22:23]
	v_cmp_gt_f64_e32 vcc, s[14:15], v[26:27]
	v_subbrev_co_u32_e32 v8, vcc, 0, v8, vcc
	v_sub_u32_e32 v26, 0, v8
	v_ldexp_f64 v[22:23], v[22:23], v26
	v_ldexp_f64 v[24:25], v[24:25], v26
	v_add_f64 v[26:27], v[22:23], -1.0
	v_add_f64 v[32:33], v[22:23], 1.0
	v_add_f64 v[28:29], v[26:27], 1.0
	v_add_f64 v[88:89], v[32:33], -1.0
	v_add_f64 v[28:29], v[22:23], -v[28:29]
	v_add_f64 v[22:23], v[22:23], -v[88:89]
	v_add_f64 v[22:23], v[24:25], v[22:23]
	v_add_f64 v[28:29], v[24:25], v[28:29]
	;; [unrolled: 1-line block ×3, first 2 shown]
	v_rcp_f64_e32 v[88:89], v[24:25]
	v_add_f64 v[30:31], v[26:27], v[28:29]
	v_add_f64 v[26:27], v[26:27], -v[30:31]
	v_add_f64 v[26:27], v[28:29], v[26:27]
	v_add_f64 v[28:29], v[32:33], -v[24:25]
	v_add_f64 v[22:23], v[22:23], v[28:29]
	v_fma_f64 v[28:29], -v[24:25], v[88:89], 1.0
	v_fmac_f64_e32 v[88:89], v[28:29], v[88:89]
	v_fma_f64 v[28:29], -v[24:25], v[88:89], 1.0
	v_fmac_f64_e32 v[88:89], v[28:29], v[88:89]
	v_mul_f64 v[28:29], v[30:31], v[88:89]
	v_mul_f64 v[32:33], v[24:25], v[28:29]
	v_fma_f64 v[90:91], v[28:29], v[24:25], -v[32:33]
	v_fmac_f64_e32 v[90:91], v[28:29], v[22:23]
	v_add_f64 v[92:93], v[32:33], v[90:91]
	v_add_f64 v[94:95], v[30:31], -v[92:93]
	v_add_f64 v[30:31], v[30:31], -v[94:95]
	;; [unrolled: 1-line block ×4, first 2 shown]
	v_add_f64 v[26:27], v[26:27], v[30:31]
	v_add_f64 v[30:31], v[32:33], -v[90:91]
	v_add_f64 v[26:27], v[30:31], v[26:27]
	v_add_f64 v[30:31], v[94:95], v[26:27]
	v_add_f64 v[32:33], v[94:95], -v[30:31]
	v_add_f64 v[26:27], v[26:27], v[32:33]
	v_mul_f64 v[32:33], v[88:89], v[30:31]
	v_mul_f64 v[90:91], v[24:25], v[32:33]
	v_fma_f64 v[24:25], v[32:33], v[24:25], -v[90:91]
	v_fmac_f64_e32 v[24:25], v[32:33], v[22:23]
	v_add_f64 v[22:23], v[90:91], v[24:25]
	v_add_f64 v[92:93], v[30:31], -v[22:23]
	v_add_f64 v[30:31], v[30:31], -v[92:93]
	;; [unrolled: 1-line block ×4, first 2 shown]
	v_add_f64 v[22:23], v[26:27], v[22:23]
	v_add_f64 v[24:25], v[90:91], -v[24:25]
	v_add_f64 v[22:23], v[24:25], v[22:23]
	v_add_f64 v[24:25], v[28:29], v[32:33]
	;; [unrolled: 1-line block ×3, first 2 shown]
	v_add_f64 v[26:27], v[24:25], -v[28:29]
	v_mul_f64 v[22:23], v[88:89], v[22:23]
	v_add_f64 v[26:27], v[32:33], -v[26:27]
	v_add_f64 v[22:23], v[26:27], v[22:23]
	v_add_f64 v[26:27], v[24:25], v[22:23]
	v_add_f64 v[24:25], v[26:27], -v[24:25]
	v_add_f64 v[22:23], v[22:23], -v[24:25]
	v_mul_f64 v[24:25], v[26:27], v[26:27]
	v_pk_mov_b32 v[28:29], v[36:37], v[36:37] op_sel:[0,1]
	v_fmac_f64_e32 v[28:29], s[18:19], v[24:25]
	v_pk_mov_b32 v[30:31], v[38:39], v[38:39] op_sel:[0,1]
	v_fmac_f64_e32 v[30:31], v[24:25], v[28:29]
	;; [unrolled: 2-line block ×6, first 2 shown]
	v_cvt_f64_i32_e32 v[28:29], v8
	v_mul_f64 v[32:33], v[28:29], s[20:21]
	v_fma_f64 v[88:89], v[28:29], s[20:21], -v[32:33]
	v_fmac_f64_e32 v[88:89], s[22:23], v[28:29]
	v_add_f64 v[28:29], v[32:33], v[88:89]
	v_add_f64 v[32:33], v[28:29], -v[32:33]
	v_mul_f64 v[24:25], v[26:27], v[24:25]
	v_add_f64 v[32:33], v[88:89], -v[32:33]
	v_ldexp_f64 v[88:89], v[26:27], 1
	v_mul_f64 v[24:25], v[24:25], v[30:31]
	v_add_f64 v[26:27], v[88:89], v[24:25]
	v_add_f64 v[30:31], v[26:27], -v[88:89]
	v_ldexp_f64 v[22:23], v[22:23], 1
	v_add_f64 v[24:25], v[24:25], -v[30:31]
	v_add_f64 v[22:23], v[22:23], v[24:25]
	v_add_f64 v[24:25], v[26:27], v[22:23]
	v_add_f64 v[26:27], v[24:25], -v[26:27]
	v_add_f64 v[22:23], v[22:23], -v[26:27]
	v_add_f64 v[26:27], v[28:29], v[24:25]
	v_add_f64 v[30:31], v[26:27], -v[28:29]
	v_add_f64 v[88:89], v[26:27], -v[30:31]
	;; [unrolled: 1-line block ×4, first 2 shown]
	v_add_f64 v[24:25], v[24:25], v[28:29]
	v_add_f64 v[28:29], v[32:33], v[22:23]
	v_add_f64 v[30:31], v[28:29], -v[32:33]
	v_add_f64 v[24:25], v[28:29], v[24:25]
	v_add_f64 v[88:89], v[28:29], -v[30:31]
	;; [unrolled: 2-line block ×3, first 2 shown]
	v_add_f64 v[22:23], v[22:23], -v[30:31]
	v_add_f64 v[26:27], v[28:29], -v[26:27]
	v_add_f64 v[22:23], v[22:23], v[32:33]
	v_add_f64 v[24:25], v[24:25], -v[26:27]
	v_add_f64 v[22:23], v[22:23], v[24:25]
	v_max_f64 v[24:25], |v[12:13]|, |v[12:13]|
	v_max_f64 v[26:27], |v[10:11]|, |v[10:11]|
	v_add_f64 v[22:23], v[28:29], v[22:23]
	v_max_f64 v[28:29], v[26:27], v[24:25]
	v_min_f64 v[24:25], v[26:27], v[24:25]
	v_div_scale_f64 v[26:27], s[48:49], v[28:29], v[28:29], v[24:25]
	v_rcp_f64_e32 v[30:31], v[26:27]
	v_cmp_eq_f64_e32 vcc, s[24:25], v[6:7]
	v_cndmask_b32_e32 v7, v23, v7, vcc
	v_cndmask_b32_e32 v6, v22, v6, vcc
	v_mul_f64 v[22:23], v[6:7], 0.5
	v_fma_f64 v[6:7], -v[26:27], v[30:31], 1.0
	v_fmac_f64_e32 v[30:31], v[30:31], v[6:7]
	v_fma_f64 v[6:7], -v[26:27], v[30:31], 1.0
	v_fmac_f64_e32 v[30:31], v[30:31], v[6:7]
	v_div_scale_f64 v[6:7], vcc, v[24:25], v[28:29], v[24:25]
	v_mul_f64 v[32:33], v[6:7], v[30:31]
	v_fma_f64 v[6:7], -v[26:27], v[32:33], v[6:7]
	v_pk_mov_b32 v[26:27], v[48:49], v[48:49] op_sel:[0,1]
	s_nop 0
	v_div_fmas_f64 v[6:7], v[6:7], v[30:31], v[32:33]
	v_div_fixup_f64 v[6:7], v[6:7], v[28:29], v[24:25]
	v_mul_f64 v[24:25], v[6:7], v[6:7]
	v_fmac_f64_e32 v[26:27], s[26:27], v[24:25]
	v_pk_mov_b32 v[28:29], v[50:51], v[50:51] op_sel:[0,1]
	v_fmac_f64_e32 v[28:29], v[24:25], v[26:27]
	v_pk_mov_b32 v[26:27], v[52:53], v[52:53] op_sel:[0,1]
	;; [unrolled: 2-line block ×18, first 2 shown]
	v_fmac_f64_e32 v[26:27], v[24:25], v[28:29]
	v_cmp_gt_i32_e32 vcc, 0, v11
	v_mul_f64 v[24:25], v[24:25], v[26:27]
	v_cmp_class_f64_e64 s[50:51], v[10:11], s61
	v_cndmask_b32_e32 v10, v109, v110, vcc
	v_fmac_f64_e32 v[6:7], v[6:7], v[24:25]
	v_bfi_b32 v24, s59, v10, v13
	v_ashrrev_i32_e32 v10, 31, v11
	v_and_b32_e32 v25, 0x400921fb, v10
	v_and_b32_e32 v26, 0x54442d18, v10
	v_add_f64 v[10:11], -v[6:7], s[28:29]
	v_cndmask_b32_e64 v7, v7, v11, s[0:1]
	v_cndmask_b32_e64 v6, v6, v10, s[0:1]
	s_mov_b32 s30, s28
	v_add_f64 v[10:11], -v[6:7], s[30:31]
	v_cmp_class_f64_e64 s[48:49], v[12:13], s61
	v_cndmask_b32_e32 v8, v107, v108, vcc
	v_cndmask_b32_e32 v7, v7, v11, vcc
	;; [unrolled: 1-line block ×3, first 2 shown]
	v_cmp_eq_f64_e32 vcc, 0, v[12:13]
	v_cndmask_b32_e32 v6, v6, v26, vcc
	v_cndmask_b32_e32 v7, v7, v25, vcc
	s_and_b64 vcc, s[50:51], s[48:49]
	v_cndmask_b32_e32 v25, v7, v24, vcc
	v_cndmask_b32_e32 v24, v6, v8, vcc
                                        ; implicit-def: $vgpr6_vgpr7
.LBB174_217:                            ;   in Loop: Header=BB174_162 Depth=1
	s_andn2_saveexec_b64 s[46:47], s[46:47]
	s_cbranch_execz .LBB174_219
; %bb.218:                              ;   in Loop: Header=BB174_162 Depth=1
	v_max_f64 v[22:23], |v[12:13]|, |v[12:13]|
	v_max_f64 v[24:25], |v[10:11]|, |v[10:11]|
	v_max_f64 v[26:27], v[24:25], v[22:23]
	v_min_f64 v[24:25], v[24:25], v[22:23]
	v_div_scale_f64 v[28:29], s[48:49], v[26:27], v[26:27], v[24:25]
	v_rcp_f64_e32 v[30:31], v[28:29]
	v_mul_f64 v[22:23], v[6:7], 0.5
	v_mul_f64 v[22:23], v[6:7], v[22:23]
	v_cmp_class_f64_e64 s[50:51], v[10:11], s61
	v_fma_f64 v[6:7], -v[28:29], v[30:31], 1.0
	v_fmac_f64_e32 v[30:31], v[30:31], v[6:7]
	v_fma_f64 v[6:7], -v[28:29], v[30:31], 1.0
	v_fmac_f64_e32 v[30:31], v[30:31], v[6:7]
	v_div_scale_f64 v[6:7], vcc, v[24:25], v[26:27], v[24:25]
	v_mul_f64 v[32:33], v[6:7], v[30:31]
	v_fma_f64 v[6:7], -v[28:29], v[32:33], v[6:7]
	v_pk_mov_b32 v[28:29], v[50:51], v[50:51] op_sel:[0,1]
	s_nop 0
	v_div_fmas_f64 v[6:7], v[6:7], v[30:31], v[32:33]
	v_div_fixup_f64 v[6:7], v[6:7], v[26:27], v[24:25]
	v_mul_f64 v[24:25], v[6:7], v[6:7]
	v_pk_mov_b32 v[26:27], v[48:49], v[48:49] op_sel:[0,1]
	v_fmac_f64_e32 v[26:27], s[26:27], v[24:25]
	v_fmac_f64_e32 v[28:29], v[24:25], v[26:27]
	v_pk_mov_b32 v[26:27], v[52:53], v[52:53] op_sel:[0,1]
	v_fmac_f64_e32 v[26:27], v[24:25], v[28:29]
	v_pk_mov_b32 v[28:29], v[54:55], v[54:55] op_sel:[0,1]
	;; [unrolled: 2-line block ×17, first 2 shown]
	v_fmac_f64_e32 v[26:27], v[24:25], v[28:29]
	v_cmp_gt_i32_e32 vcc, 0, v11
	v_mul_f64 v[24:25], v[24:25], v[26:27]
	v_cndmask_b32_e32 v10, v109, v110, vcc
	v_fmac_f64_e32 v[6:7], v[6:7], v[24:25]
	v_bfi_b32 v24, s59, v10, v13
	v_ashrrev_i32_e32 v10, 31, v11
	v_and_b32_e32 v25, 0x400921fb, v10
	v_and_b32_e32 v26, 0x54442d18, v10
	v_add_f64 v[10:11], -v[6:7], s[28:29]
	v_cndmask_b32_e64 v7, v7, v11, s[0:1]
	v_cndmask_b32_e64 v6, v6, v10, s[0:1]
	s_mov_b32 s30, s28
	v_add_f64 v[10:11], -v[6:7], s[30:31]
	v_cmp_class_f64_e64 s[48:49], v[12:13], s61
	v_cndmask_b32_e32 v8, v107, v108, vcc
	v_cndmask_b32_e32 v7, v7, v11, vcc
	;; [unrolled: 1-line block ×3, first 2 shown]
	v_cmp_eq_f64_e32 vcc, 0, v[12:13]
	v_cndmask_b32_e32 v6, v6, v26, vcc
	v_cndmask_b32_e32 v7, v7, v25, vcc
	s_and_b64 vcc, s[50:51], s[48:49]
	v_cndmask_b32_e32 v25, v7, v24, vcc
	v_cndmask_b32_e32 v24, v6, v8, vcc
.LBB174_219:                            ;   in Loop: Header=BB174_162 Depth=1
	s_or_b64 exec, exec, s[46:47]
.LBB174_220:                            ;   in Loop: Header=BB174_162 Depth=1
	s_or_b64 exec, exec, s[2:3]
.LBB174_221:                            ;   in Loop: Header=BB174_162 Depth=1
	s_andn2_saveexec_b64 s[46:47], s[4:5]
	s_cbranch_execz .LBB174_223
; %bb.222:                              ;   in Loop: Header=BB174_162 Depth=1
	v_div_scale_f64 v[6:7], s[2:3], s[38:39], s[38:39], v[10:11]
	v_rcp_f64_e32 v[22:23], v[6:7]
	v_div_scale_f64 v[24:25], vcc, v[10:11], s[38:39], v[10:11]
	s_mov_b32 s30, s28
	v_fma_f64 v[26:27], -v[6:7], v[22:23], 1.0
	v_fmac_f64_e32 v[22:23], v[22:23], v[26:27]
	v_fma_f64 v[26:27], -v[6:7], v[22:23], 1.0
	v_fmac_f64_e32 v[22:23], v[22:23], v[26:27]
	v_mul_f64 v[26:27], v[24:25], v[22:23]
	v_fma_f64 v[6:7], -v[6:7], v[26:27], v[24:25]
	v_div_scale_f64 v[24:25], s[2:3], s[38:39], s[38:39], v[12:13]
	v_rcp_f64_e32 v[28:29], v[24:25]
	v_div_fmas_f64 v[6:7], v[6:7], v[22:23], v[26:27]
	v_div_fixup_f64 v[6:7], v[6:7], s[38:39], v[10:11]
	v_cmp_class_f64_e64 s[4:5], v[6:7], s61
	v_fma_f64 v[22:23], -v[24:25], v[28:29], 1.0
	v_fmac_f64_e32 v[28:29], v[28:29], v[22:23]
	v_fma_f64 v[22:23], -v[24:25], v[28:29], 1.0
	v_fmac_f64_e32 v[28:29], v[28:29], v[22:23]
	v_div_scale_f64 v[22:23], vcc, v[12:13], s[38:39], v[12:13]
	v_mul_f64 v[26:27], v[22:23], v[28:29]
	v_fma_f64 v[22:23], -v[24:25], v[26:27], v[22:23]
	s_nop 1
	v_div_fmas_f64 v[22:23], v[22:23], v[28:29], v[26:27]
	v_div_fixup_f64 v[22:23], v[22:23], s[38:39], v[12:13]
	v_max_f64 v[24:25], |v[6:7]|, |v[22:23]|
	v_frexp_exp_i32_f64_e32 v8, v[24:25]
	v_sub_u32_e32 v26, 0, v8
	v_ldexp_f64 v[24:25], |v[6:7]|, v26
	v_ldexp_f64 v[26:27], |v[22:23]|, v26
	v_mul_f64 v[26:27], v[26:27], v[26:27]
	v_fmac_f64_e32 v[26:27], v[24:25], v[24:25]
	v_rsq_f64_e32 v[24:25], v[26:27]
	v_cmp_eq_f64_e32 vcc, 0, v[26:27]
	v_cmp_o_f64_e64 s[2:3], v[6:7], v[22:23]
	v_cmp_class_f64_e64 s[48:49], v[22:23], s61
	v_mul_f64 v[28:29], v[26:27], v[24:25]
	v_mul_f64 v[24:25], v[24:25], 0.5
	v_fma_f64 v[30:31], -v[24:25], v[28:29], 0.5
	v_fmac_f64_e32 v[28:29], v[28:29], v[30:31]
	v_fmac_f64_e32 v[24:25], v[24:25], v[30:31]
	v_fma_f64 v[30:31], -v[28:29], v[28:29], v[26:27]
	v_fmac_f64_e32 v[28:29], v[30:31], v[24:25]
	v_cndmask_b32_e32 v25, v29, v27, vcc
	v_cndmask_b32_e32 v24, v28, v26, vcc
	v_ldexp_f64 v[24:25], v[24:25], v8
	v_cndmask_b32_e64 v8, 0, v24, s[2:3]
	v_cndmask_b32_e64 v92, v105, v25, s[2:3]
	s_or_b64 vcc, s[4:5], s[48:49]
	v_cndmask_b32_e32 v7, v92, v112, vcc
	v_cndmask_b32_e64 v6, v8, 0, vcc
	v_frexp_mant_f64_e32 v[22:23], v[6:7]
	v_cmp_gt_f64_e64 s[4:5], s[14:15], v[22:23]
	v_cndmask_b32_e64 v35, v111, 2.0, s[4:5]
	v_frexp_exp_i32_f64_e32 v26, v[6:7]
	v_mul_f64 v[22:23], v[22:23], v[34:35]
	v_subbrev_co_u32_e64 v35, s[4:5], 0, v26, s[4:5]
	v_add_f64 v[26:27], v[22:23], 1.0
	v_rcp_f64_e32 v[28:29], v[26:27]
	v_add_f64 v[32:33], v[26:27], -1.0
	v_add_f64 v[30:31], v[22:23], -1.0
	v_add_f64 v[22:23], v[22:23], -v[32:33]
	v_fma_f64 v[32:33], -v[26:27], v[28:29], 1.0
	v_fmac_f64_e32 v[28:29], v[32:33], v[28:29]
	v_fma_f64 v[32:33], -v[26:27], v[28:29], 1.0
	v_fmac_f64_e32 v[28:29], v[32:33], v[28:29]
	v_mul_f64 v[32:33], v[30:31], v[28:29]
	v_mul_f64 v[88:89], v[26:27], v[32:33]
	v_fma_f64 v[26:27], v[32:33], v[26:27], -v[88:89]
	v_fmac_f64_e32 v[26:27], v[32:33], v[22:23]
	v_add_f64 v[22:23], v[88:89], v[26:27]
	v_add_f64 v[90:91], v[30:31], -v[22:23]
	v_add_f64 v[88:89], v[22:23], -v[88:89]
	;; [unrolled: 1-line block ×5, first 2 shown]
	v_add_f64 v[22:23], v[26:27], v[22:23]
	v_add_f64 v[22:23], v[90:91], v[22:23]
	v_mul_f64 v[22:23], v[28:29], v[22:23]
	v_add_f64 v[26:27], v[32:33], v[22:23]
	v_add_f64 v[28:29], v[26:27], -v[32:33]
	v_add_f64 v[22:23], v[22:23], -v[28:29]
	v_mul_f64 v[28:29], v[26:27], v[26:27]
	v_pk_mov_b32 v[30:31], v[36:37], v[36:37] op_sel:[0,1]
	v_fmac_f64_e32 v[30:31], s[18:19], v[28:29]
	v_pk_mov_b32 v[32:33], v[38:39], v[38:39] op_sel:[0,1]
	v_fmac_f64_e32 v[32:33], v[28:29], v[30:31]
	;; [unrolled: 2-line block ×6, first 2 shown]
	v_ldexp_f64 v[30:31], v[26:27], 1
	v_mul_f64 v[26:27], v[26:27], v[28:29]
	v_mul_f64 v[26:27], v[26:27], v[32:33]
	v_add_f64 v[28:29], v[30:31], v[26:27]
	v_add_f64 v[30:31], v[28:29], -v[30:31]
	v_ldexp_f64 v[22:23], v[22:23], 1
	v_add_f64 v[26:27], v[26:27], -v[30:31]
	v_add_f64 v[22:23], v[22:23], v[26:27]
	v_add_f64 v[26:27], v[28:29], v[22:23]
	v_add_f64 v[28:29], v[26:27], -v[28:29]
	v_add_f64 v[22:23], v[22:23], -v[28:29]
	v_cvt_f64_i32_e32 v[28:29], v35
	v_mul_f64 v[30:31], v[28:29], s[20:21]
	v_fma_f64 v[32:33], v[28:29], s[20:21], -v[30:31]
	v_fmac_f64_e32 v[32:33], s[22:23], v[28:29]
	v_add_f64 v[28:29], v[30:31], v[32:33]
	v_add_f64 v[30:31], v[28:29], -v[30:31]
	v_add_f64 v[30:31], v[32:33], -v[30:31]
	v_add_f64 v[32:33], v[28:29], v[26:27]
	v_add_f64 v[88:89], v[32:33], -v[28:29]
	v_add_f64 v[90:91], v[32:33], -v[88:89]
	v_add_f64 v[28:29], v[28:29], -v[90:91]
	v_add_f64 v[26:27], v[26:27], -v[88:89]
	v_add_f64 v[26:27], v[26:27], v[28:29]
	v_add_f64 v[28:29], v[30:31], v[22:23]
	v_add_f64 v[88:89], v[28:29], -v[30:31]
	v_add_f64 v[90:91], v[28:29], -v[88:89]
	v_add_f64 v[26:27], v[28:29], v[26:27]
	v_add_f64 v[30:31], v[30:31], -v[90:91]
	v_add_f64 v[22:23], v[22:23], -v[88:89]
	v_add_f64 v[28:29], v[32:33], v[26:27]
	v_add_f64 v[22:23], v[22:23], v[30:31]
	v_add_f64 v[30:31], v[28:29], -v[32:33]
	v_add_f64 v[26:27], v[26:27], -v[30:31]
	v_and_b32_e32 v25, 0x7fffffff, v25
	v_add_f64 v[22:23], v[22:23], v[26:27]
	v_cmp_eq_f64_e64 s[4:5], s[24:25], v[24:25]
	v_add_f64 v[22:23], v[28:29], v[22:23]
	s_and_b64 s[2:3], s[2:3], s[4:5]
	v_cndmask_b32_e64 v23, v23, v92, s[2:3]
	v_cndmask_b32_e64 v22, v22, v8, s[2:3]
	v_add_f64 v[22:23], v[22:23], 1.0
	v_cndmask_b32_e64 v8, v22, 0, vcc
	v_cndmask_b32_e32 v22, v23, v112, vcc
	v_cmp_ngt_f64_e32 vcc, 0, v[6:7]
	v_cndmask_b32_e32 v32, v105, v22, vcc
	v_max_f64 v[22:23], |v[12:13]|, |v[12:13]|
	v_max_f64 v[24:25], |v[10:11]|, |v[10:11]|
	v_max_f64 v[26:27], v[24:25], v[22:23]
	v_min_f64 v[24:25], v[24:25], v[22:23]
	v_div_scale_f64 v[28:29], s[2:3], v[26:27], v[26:27], v[24:25]
	v_rcp_f64_e32 v[30:31], v[28:29]
	v_cmp_nge_f64_e32 vcc, 0, v[6:7]
	v_cndmask_b32_e32 v22, 0, v8, vcc
	v_cmp_neq_f64_e32 vcc, 0, v[6:7]
	v_fma_f64 v[6:7], -v[28:29], v[30:31], 1.0
	v_fmac_f64_e32 v[30:31], v[30:31], v[6:7]
	v_fma_f64 v[6:7], -v[28:29], v[30:31], 1.0
	v_cndmask_b32_e32 v23, v106, v32, vcc
	v_fmac_f64_e32 v[30:31], v[30:31], v[6:7]
	v_div_scale_f64 v[6:7], vcc, v[24:25], v[26:27], v[24:25]
	v_mul_f64 v[32:33], v[6:7], v[30:31]
	v_fma_f64 v[6:7], -v[28:29], v[32:33], v[6:7]
	v_pk_mov_b32 v[28:29], v[50:51], v[50:51] op_sel:[0,1]
	s_nop 0
	v_div_fmas_f64 v[6:7], v[6:7], v[30:31], v[32:33]
	v_div_fixup_f64 v[6:7], v[6:7], v[26:27], v[24:25]
	v_mul_f64 v[24:25], v[6:7], v[6:7]
	v_pk_mov_b32 v[26:27], v[48:49], v[48:49] op_sel:[0,1]
	v_fmac_f64_e32 v[26:27], s[26:27], v[24:25]
	v_fmac_f64_e32 v[28:29], v[24:25], v[26:27]
	v_pk_mov_b32 v[26:27], v[52:53], v[52:53] op_sel:[0,1]
	v_fmac_f64_e32 v[26:27], v[24:25], v[28:29]
	v_pk_mov_b32 v[28:29], v[54:55], v[54:55] op_sel:[0,1]
	;; [unrolled: 2-line block ×17, first 2 shown]
	v_fmac_f64_e32 v[26:27], v[24:25], v[28:29]
	v_cmp_gt_i32_e32 vcc, 0, v11
	v_mul_f64 v[24:25], v[24:25], v[26:27]
	v_cmp_class_f64_e64 s[4:5], v[10:11], s61
	v_cndmask_b32_e32 v10, v109, v110, vcc
	v_fmac_f64_e32 v[6:7], v[6:7], v[24:25]
	v_bfi_b32 v24, s59, v10, v13
	v_ashrrev_i32_e32 v10, 31, v11
	v_and_b32_e32 v25, 0x400921fb, v10
	v_and_b32_e32 v26, 0x54442d18, v10
	v_add_f64 v[10:11], -v[6:7], s[28:29]
	v_cndmask_b32_e64 v7, v7, v11, s[0:1]
	v_cndmask_b32_e64 v6, v6, v10, s[0:1]
	v_add_f64 v[10:11], -v[6:7], s[30:31]
	v_cmp_class_f64_e64 s[2:3], v[12:13], s61
	v_cndmask_b32_e32 v8, v107, v108, vcc
	v_cndmask_b32_e32 v7, v7, v11, vcc
	v_cndmask_b32_e32 v6, v6, v10, vcc
	v_cmp_eq_f64_e32 vcc, 0, v[12:13]
	v_cndmask_b32_e32 v6, v6, v26, vcc
	v_cndmask_b32_e32 v7, v7, v25, vcc
	s_and_b64 vcc, s[4:5], s[2:3]
	v_cndmask_b32_e32 v25, v7, v24, vcc
	v_cndmask_b32_e32 v24, v6, v8, vcc
.LBB174_223:                            ;   in Loop: Header=BB174_162 Depth=1
	s_or_b64 exec, exec, s[46:47]
.LBB174_224:                            ;   in Loop: Header=BB174_162 Depth=1
	s_andn2_saveexec_b64 s[0:1], s[44:45]
	s_cbranch_execz .LBB174_230
; %bb.225:                              ;   in Loop: Header=BB174_162 Depth=1
	v_cmp_nlt_f64_e64 s[2:3], |v[10:11]|, s[40:41]
	v_cmp_nlt_f64_e64 s[4:5], |v[12:13]|, s[40:41]
	s_or_b64 s[2:3], s[2:3], s[4:5]
                                        ; implicit-def: $vgpr6_vgpr7
	s_and_saveexec_b64 s[4:5], s[2:3]
	s_xor_b64 s[2:3], exec, s[4:5]
; %bb.226:                              ;   in Loop: Header=BB174_162 Depth=1
	v_mul_f64 v[6:7], v[12:13], v[12:13]
	v_fmac_f64_e32 v[6:7], v[10:11], v[10:11]
; %bb.227:                              ;   in Loop: Header=BB174_162 Depth=1
	s_andn2_saveexec_b64 s[2:3], s[2:3]
; %bb.228:                              ;   in Loop: Header=BB174_162 Depth=1
	v_mul_f64 v[6:7], v[10:11], 4.0
	v_mul_f64 v[10:11], v[12:13], 4.0
	v_mul_f64 v[10:11], v[10:11], v[10:11]
	v_fmac_f64_e32 v[10:11], v[6:7], v[6:7]
	v_ldexp_f64 v[6:7], v[10:11], -4
; %bb.229:                              ;   in Loop: Header=BB174_162 Depth=1
	s_or_b64 exec, exec, s[2:3]
	v_frexp_mant_f64_e32 v[10:11], v[6:7]
	v_cmp_gt_f64_e32 vcc, s[14:15], v[10:11]
	v_cndmask_b32_e64 v35, v111, 2.0, vcc
	v_mul_f64 v[10:11], v[10:11], v[34:35]
	v_add_f64 v[22:23], v[10:11], 1.0
	v_rcp_f64_e32 v[24:25], v[22:23]
	v_add_f64 v[28:29], v[22:23], -1.0
	v_add_f64 v[26:27], v[10:11], -1.0
	v_add_f64 v[10:11], v[10:11], -v[28:29]
	v_fma_f64 v[28:29], -v[22:23], v[24:25], 1.0
	v_fmac_f64_e32 v[24:25], v[28:29], v[24:25]
	v_fma_f64 v[28:29], -v[22:23], v[24:25], 1.0
	v_fmac_f64_e32 v[24:25], v[28:29], v[24:25]
	v_mul_f64 v[28:29], v[26:27], v[24:25]
	v_mul_f64 v[30:31], v[22:23], v[28:29]
	v_fma_f64 v[22:23], v[28:29], v[22:23], -v[30:31]
	v_fmac_f64_e32 v[22:23], v[28:29], v[10:11]
	v_add_f64 v[10:11], v[30:31], v[22:23]
	v_add_f64 v[32:33], v[26:27], -v[10:11]
	v_add_f64 v[30:31], v[10:11], -v[30:31]
	;; [unrolled: 1-line block ×5, first 2 shown]
	v_add_f64 v[10:11], v[22:23], v[10:11]
	v_add_f64 v[10:11], v[32:33], v[10:11]
	v_mul_f64 v[10:11], v[24:25], v[10:11]
	v_add_f64 v[22:23], v[28:29], v[10:11]
	v_add_f64 v[24:25], v[22:23], -v[28:29]
	v_add_f64 v[10:11], v[10:11], -v[24:25]
	v_mul_f64 v[24:25], v[22:23], v[22:23]
	v_pk_mov_b32 v[26:27], v[36:37], v[36:37] op_sel:[0,1]
	v_fmac_f64_e32 v[26:27], s[18:19], v[24:25]
	v_pk_mov_b32 v[28:29], v[38:39], v[38:39] op_sel:[0,1]
	v_fmac_f64_e32 v[28:29], v[24:25], v[26:27]
	;; [unrolled: 2-line block ×6, first 2 shown]
	v_ldexp_f64 v[26:27], v[22:23], 1
	v_mul_f64 v[22:23], v[22:23], v[24:25]
	v_mul_f64 v[22:23], v[22:23], v[28:29]
	v_add_f64 v[24:25], v[26:27], v[22:23]
	v_add_f64 v[26:27], v[24:25], -v[26:27]
	v_ldexp_f64 v[10:11], v[10:11], 1
	v_add_f64 v[22:23], v[22:23], -v[26:27]
	v_add_f64 v[10:11], v[10:11], v[22:23]
	v_frexp_exp_i32_f64_e32 v8, v[6:7]
	v_add_f64 v[22:23], v[24:25], v[10:11]
	v_subbrev_co_u32_e32 v8, vcc, 0, v8, vcc
	v_add_f64 v[24:25], v[22:23], -v[24:25]
	v_add_f64 v[10:11], v[10:11], -v[24:25]
	v_cvt_f64_i32_e32 v[24:25], v8
	v_mul_f64 v[26:27], v[24:25], s[20:21]
	v_fma_f64 v[28:29], v[24:25], s[20:21], -v[26:27]
	v_fmac_f64_e32 v[28:29], s[22:23], v[24:25]
	v_add_f64 v[24:25], v[26:27], v[28:29]
	v_add_f64 v[26:27], v[24:25], -v[26:27]
	v_add_f64 v[26:27], v[28:29], -v[26:27]
	v_add_f64 v[28:29], v[24:25], v[22:23]
	v_add_f64 v[30:31], v[28:29], -v[24:25]
	v_add_f64 v[32:33], v[28:29], -v[30:31]
	;; [unrolled: 1-line block ×4, first 2 shown]
	v_add_f64 v[22:23], v[22:23], v[24:25]
	v_add_f64 v[24:25], v[26:27], v[10:11]
	v_add_f64 v[30:31], v[24:25], -v[26:27]
	v_add_f64 v[32:33], v[24:25], -v[30:31]
	v_add_f64 v[22:23], v[24:25], v[22:23]
	v_add_f64 v[26:27], v[26:27], -v[32:33]
	v_add_f64 v[10:11], v[10:11], -v[30:31]
	v_add_f64 v[24:25], v[28:29], v[22:23]
	v_add_f64 v[10:11], v[10:11], v[26:27]
	v_add_f64 v[26:27], v[24:25], -v[28:29]
	v_add_f64 v[22:23], v[22:23], -v[26:27]
	v_add_f64 v[10:11], v[10:11], v[22:23]
	v_add_f64 v[10:11], v[24:25], v[10:11]
	v_cmp_class_f64_e64 vcc, v[6:7], s61
	v_cndmask_b32_e32 v8, v10, v6, vcc
	v_cndmask_b32_e32 v10, v11, v7, vcc
	v_cmp_ngt_f64_e32 vcc, 0, v[6:7]
	v_cndmask_b32_e32 v10, v105, v10, vcc
	v_cmp_nge_f64_e32 vcc, 0, v[6:7]
	v_cndmask_b32_e32 v22, 0, v8, vcc
	v_cmp_neq_f64_e32 vcc, 0, v[6:7]
	v_mov_b32_e32 v24, 0
	v_cndmask_b32_e32 v23, v106, v10, vcc
	v_mov_b32_e32 v25, 0x7ff80000
.LBB174_230:                            ;   in Loop: Header=BB174_162 Depth=1
	s_or_b64 exec, exec, s[0:1]
	s_waitcnt vmcnt(0)
	v_cmp_o_f64_e32 vcc, v[14:15], v[16:17]
                                        ; implicit-def: $vgpr26_vgpr27
	s_and_saveexec_b64 s[0:1], vcc
	s_xor_b64 s[44:45], exec, s[0:1]
	s_cbranch_execz .LBB174_258
; %bb.231:                              ;   in Loop: Header=BB174_162 Depth=1
	v_and_b32_e32 v10, 0x7fffffff, v15
	v_and_b32_e32 v11, 0x7fffffff, v17
	v_mov_b32_e32 v8, v16
	v_cmp_lt_f64_e64 s[0:1], |v[14:15]|, |v[16:17]|
	v_cndmask_b32_e64 v7, v11, v10, s[0:1]
	v_cndmask_b32_e64 v6, v8, v14, s[0:1]
	v_cmp_nlt_f64_e32 vcc, s[8:9], v[6:7]
                                        ; implicit-def: $vgpr26_vgpr27
	s_and_saveexec_b64 s[2:3], vcc
	s_xor_b64 s[4:5], exec, s[2:3]
	s_cbranch_execz .LBB174_255
; %bb.232:                              ;   in Loop: Header=BB174_162 Depth=1
	v_cndmask_b32_e64 v31, v10, v11, s[0:1]
	v_cndmask_b32_e64 v30, v14, v8, s[0:1]
	v_cmp_neq_f64_e32 vcc, 1.0, v[30:31]
                                        ; implicit-def: $vgpr26_vgpr27
	s_and_saveexec_b64 s[2:3], vcc
	s_xor_b64 s[46:47], exec, s[2:3]
	s_cbranch_execz .LBB174_248
; %bb.233:                              ;   in Loop: Header=BB174_162 Depth=1
	v_max_f64 v[10:11], v[6:7], v[6:7]
	v_max_f64 v[26:27], v[30:31], v[30:31]
	v_min_f64 v[28:29], v[26:27], v[10:11]
	v_max_f64 v[10:11], v[26:27], v[10:11]
	v_cmp_ngt_f64_e32 vcc, s[10:11], v[28:29]
	v_cmp_nlt_f64_e64 s[2:3], s[12:13], v[10:11]
	s_and_b64 s[2:3], s[2:3], vcc
                                        ; implicit-def: $vgpr26_vgpr27
	s_and_saveexec_b64 s[48:49], s[2:3]
	s_xor_b64 s[48:49], exec, s[48:49]
	s_cbranch_execz .LBB174_245
; %bb.234:                              ;   in Loop: Header=BB174_162 Depth=1
	v_cmp_le_f64_e32 vcc, 1.0, v[30:31]
                                        ; implicit-def: $vgpr26_vgpr27
	s_and_saveexec_b64 s[2:3], vcc
	s_xor_b64 s[2:3], exec, s[2:3]
	s_cbranch_execz .LBB174_236
; %bb.235:                              ;   in Loop: Header=BB174_162 Depth=1
	v_add_f64 v[10:11], v[30:31], -1.0
	v_add_f64 v[26:27], v[30:31], 1.0
	v_mul_f64 v[10:11], v[10:11], v[26:27]
	v_fmac_f64_e32 v[10:11], v[6:7], v[6:7]
	v_add_f64 v[6:7], v[10:11], 1.0
	v_add_f64 v[26:27], v[6:7], -1.0
	v_add_f64 v[28:29], v[26:27], -v[6:7]
	v_add_f64 v[28:29], v[28:29], 1.0
	v_add_f64 v[26:27], v[10:11], -v[26:27]
	v_add_f64 v[26:27], v[26:27], v[28:29]
	v_frexp_mant_f64_e32 v[28:29], v[6:7]
	v_frexp_exp_i32_f64_e32 v8, v[6:7]
	v_cmp_gt_f64_e32 vcc, s[14:15], v[28:29]
	v_subbrev_co_u32_e32 v8, vcc, 0, v8, vcc
	v_sub_u32_e32 v12, 0, v8
	v_ldexp_f64 v[6:7], v[6:7], v12
	v_add_f64 v[28:29], v[6:7], -1.0
	v_add_f64 v[88:89], v[6:7], 1.0
	v_add_f64 v[30:31], v[28:29], 1.0
	v_add_f64 v[90:91], v[88:89], -1.0
	v_ldexp_f64 v[26:27], v[26:27], v12
	v_add_f64 v[30:31], v[6:7], -v[30:31]
	v_add_f64 v[6:7], v[6:7], -v[90:91]
	v_add_f64 v[6:7], v[26:27], v[6:7]
	v_add_f64 v[30:31], v[26:27], v[30:31]
	;; [unrolled: 1-line block ×3, first 2 shown]
	v_rcp_f64_e32 v[90:91], v[26:27]
	v_add_f64 v[32:33], v[28:29], v[30:31]
	v_add_f64 v[28:29], v[32:33], -v[28:29]
	v_add_f64 v[28:29], v[30:31], -v[28:29]
	;; [unrolled: 1-line block ×4, first 2 shown]
	v_fma_f64 v[30:31], -v[26:27], v[90:91], 1.0
	v_fmac_f64_e32 v[90:91], v[30:31], v[90:91]
	v_fma_f64 v[30:31], -v[26:27], v[90:91], 1.0
	v_fmac_f64_e32 v[90:91], v[30:31], v[90:91]
	v_mul_f64 v[30:31], v[32:33], v[90:91]
	v_mul_f64 v[88:89], v[26:27], v[30:31]
	v_fma_f64 v[92:93], v[30:31], v[26:27], -v[88:89]
	v_fmac_f64_e32 v[92:93], v[30:31], v[6:7]
	v_add_f64 v[94:95], v[88:89], v[92:93]
	v_add_f64 v[96:97], v[32:33], -v[94:95]
	v_add_f64 v[32:33], v[32:33], -v[96:97]
	;; [unrolled: 1-line block ×4, first 2 shown]
	v_add_f64 v[28:29], v[28:29], v[32:33]
	v_add_f64 v[32:33], v[88:89], -v[92:93]
	v_add_f64 v[28:29], v[32:33], v[28:29]
	v_add_f64 v[32:33], v[96:97], v[28:29]
	v_add_f64 v[88:89], v[96:97], -v[32:33]
	v_add_f64 v[28:29], v[28:29], v[88:89]
	v_mul_f64 v[88:89], v[90:91], v[32:33]
	v_mul_f64 v[92:93], v[26:27], v[88:89]
	v_fma_f64 v[26:27], v[88:89], v[26:27], -v[92:93]
	v_fmac_f64_e32 v[26:27], v[88:89], v[6:7]
	v_add_f64 v[6:7], v[92:93], v[26:27]
	v_add_f64 v[94:95], v[32:33], -v[6:7]
	v_add_f64 v[32:33], v[32:33], -v[94:95]
	;; [unrolled: 1-line block ×4, first 2 shown]
	v_add_f64 v[6:7], v[28:29], v[6:7]
	v_add_f64 v[26:27], v[92:93], -v[26:27]
	v_add_f64 v[6:7], v[26:27], v[6:7]
	v_add_f64 v[26:27], v[30:31], v[88:89]
	;; [unrolled: 1-line block ×3, first 2 shown]
	v_add_f64 v[28:29], v[26:27], -v[30:31]
	v_mul_f64 v[6:7], v[90:91], v[6:7]
	v_add_f64 v[28:29], v[88:89], -v[28:29]
	v_add_f64 v[6:7], v[28:29], v[6:7]
	v_add_f64 v[28:29], v[26:27], v[6:7]
	v_add_f64 v[26:27], v[28:29], -v[26:27]
	v_add_f64 v[6:7], v[6:7], -v[26:27]
	v_mul_f64 v[26:27], v[28:29], v[28:29]
	v_pk_mov_b32 v[30:31], v[36:37], v[36:37] op_sel:[0,1]
	v_fmac_f64_e32 v[30:31], s[18:19], v[26:27]
	v_pk_mov_b32 v[32:33], v[38:39], v[38:39] op_sel:[0,1]
	v_fmac_f64_e32 v[32:33], v[26:27], v[30:31]
	;; [unrolled: 2-line block ×6, first 2 shown]
	v_cvt_f64_i32_e32 v[30:31], v8
	v_mul_f64 v[88:89], v[30:31], s[20:21]
	v_fma_f64 v[90:91], v[30:31], s[20:21], -v[88:89]
	v_fmac_f64_e32 v[90:91], s[22:23], v[30:31]
	v_add_f64 v[30:31], v[88:89], v[90:91]
	v_add_f64 v[88:89], v[30:31], -v[88:89]
	v_mul_f64 v[26:27], v[28:29], v[26:27]
	v_add_f64 v[88:89], v[90:91], -v[88:89]
	v_ldexp_f64 v[90:91], v[28:29], 1
	v_mul_f64 v[26:27], v[26:27], v[32:33]
	v_add_f64 v[28:29], v[90:91], v[26:27]
	v_add_f64 v[32:33], v[28:29], -v[90:91]
	v_ldexp_f64 v[6:7], v[6:7], 1
	v_add_f64 v[26:27], v[26:27], -v[32:33]
	v_add_f64 v[6:7], v[6:7], v[26:27]
	v_add_f64 v[26:27], v[28:29], v[6:7]
	v_add_f64 v[28:29], v[26:27], -v[28:29]
	v_add_f64 v[6:7], v[6:7], -v[28:29]
	v_add_f64 v[28:29], v[30:31], v[26:27]
	v_add_f64 v[32:33], v[28:29], -v[30:31]
	v_add_f64 v[90:91], v[28:29], -v[32:33]
	;; [unrolled: 1-line block ×4, first 2 shown]
	v_add_f64 v[26:27], v[26:27], v[30:31]
	v_add_f64 v[30:31], v[88:89], v[6:7]
	v_add_f64 v[32:33], v[30:31], -v[88:89]
	v_add_f64 v[26:27], v[30:31], v[26:27]
	v_add_f64 v[90:91], v[30:31], -v[32:33]
	;; [unrolled: 2-line block ×3, first 2 shown]
	v_add_f64 v[6:7], v[6:7], -v[32:33]
	v_add_f64 v[28:29], v[30:31], -v[28:29]
	v_add_f64 v[6:7], v[6:7], v[88:89]
	v_add_f64 v[26:27], v[26:27], -v[28:29]
	v_add_f64 v[6:7], v[6:7], v[26:27]
	v_max_f64 v[26:27], |v[16:17]|, |v[16:17]|
	v_max_f64 v[28:29], |v[14:15]|, |v[14:15]|
	v_add_f64 v[6:7], v[30:31], v[6:7]
	v_max_f64 v[30:31], v[28:29], v[26:27]
	v_min_f64 v[28:29], v[28:29], v[26:27]
	v_cmp_eq_f64_e32 vcc, s[24:25], v[10:11]
	v_div_scale_f64 v[32:33], s[50:51], v[30:31], v[30:31], v[28:29]
	v_cndmask_b32_e32 v7, v7, v11, vcc
	v_cndmask_b32_e32 v6, v6, v10, vcc
	v_rcp_f64_e32 v[88:89], v[32:33]
	v_mul_f64 v[6:7], v[6:7], 0.5
	v_cmp_ngt_f64_e32 vcc, -1.0, v[10:11]
	v_cndmask_b32_e32 v7, v105, v7, vcc
	v_cmp_nge_f64_e32 vcc, -1.0, v[10:11]
	v_cndmask_b32_e32 v26, 0, v6, vcc
	v_cmp_neq_f64_e32 vcc, -1.0, v[10:11]
	v_cndmask_b32_e32 v27, v106, v7, vcc
	v_fma_f64 v[6:7], -v[32:33], v[88:89], 1.0
	v_fmac_f64_e32 v[88:89], v[88:89], v[6:7]
	v_fma_f64 v[6:7], -v[32:33], v[88:89], 1.0
	v_fmac_f64_e32 v[88:89], v[88:89], v[6:7]
	v_div_scale_f64 v[6:7], vcc, v[28:29], v[30:31], v[28:29]
	v_mul_f64 v[10:11], v[6:7], v[88:89]
	v_fma_f64 v[6:7], -v[32:33], v[10:11], v[6:7]
	v_cmp_class_f64_e64 s[52:53], v[14:15], s61
	s_nop 0
	v_div_fmas_f64 v[6:7], v[6:7], v[88:89], v[10:11]
	v_div_fixup_f64 v[6:7], v[6:7], v[30:31], v[28:29]
	v_mul_f64 v[10:11], v[6:7], v[6:7]
	v_pk_mov_b32 v[28:29], v[48:49], v[48:49] op_sel:[0,1]
	v_fmac_f64_e32 v[28:29], s[26:27], v[10:11]
	v_pk_mov_b32 v[30:31], v[50:51], v[50:51] op_sel:[0,1]
	v_fmac_f64_e32 v[30:31], v[10:11], v[28:29]
	v_pk_mov_b32 v[28:29], v[52:53], v[52:53] op_sel:[0,1]
	v_fmac_f64_e32 v[28:29], v[10:11], v[30:31]
	v_pk_mov_b32 v[30:31], v[54:55], v[54:55] op_sel:[0,1]
	v_fmac_f64_e32 v[30:31], v[10:11], v[28:29]
	v_pk_mov_b32 v[28:29], v[56:57], v[56:57] op_sel:[0,1]
	v_fmac_f64_e32 v[28:29], v[10:11], v[30:31]
	v_pk_mov_b32 v[30:31], v[58:59], v[58:59] op_sel:[0,1]
	v_fmac_f64_e32 v[30:31], v[10:11], v[28:29]
	v_pk_mov_b32 v[28:29], v[60:61], v[60:61] op_sel:[0,1]
	v_fmac_f64_e32 v[28:29], v[10:11], v[30:31]
	v_pk_mov_b32 v[30:31], v[62:63], v[62:63] op_sel:[0,1]
	v_fmac_f64_e32 v[30:31], v[10:11], v[28:29]
	v_pk_mov_b32 v[28:29], v[64:65], v[64:65] op_sel:[0,1]
	v_fmac_f64_e32 v[28:29], v[10:11], v[30:31]
	v_pk_mov_b32 v[30:31], v[66:67], v[66:67] op_sel:[0,1]
	v_fmac_f64_e32 v[30:31], v[10:11], v[28:29]
	v_pk_mov_b32 v[28:29], v[68:69], v[68:69] op_sel:[0,1]
	v_fmac_f64_e32 v[28:29], v[10:11], v[30:31]
	v_pk_mov_b32 v[30:31], v[70:71], v[70:71] op_sel:[0,1]
	v_fmac_f64_e32 v[30:31], v[10:11], v[28:29]
	v_pk_mov_b32 v[28:29], v[72:73], v[72:73] op_sel:[0,1]
	v_fmac_f64_e32 v[28:29], v[10:11], v[30:31]
	v_pk_mov_b32 v[30:31], v[74:75], v[74:75] op_sel:[0,1]
	v_fmac_f64_e32 v[30:31], v[10:11], v[28:29]
	v_pk_mov_b32 v[28:29], v[76:77], v[76:77] op_sel:[0,1]
	v_fmac_f64_e32 v[28:29], v[10:11], v[30:31]
	v_pk_mov_b32 v[30:31], v[78:79], v[78:79] op_sel:[0,1]
	v_fmac_f64_e32 v[30:31], v[10:11], v[28:29]
	v_pk_mov_b32 v[28:29], v[80:81], v[80:81] op_sel:[0,1]
	v_fmac_f64_e32 v[28:29], v[10:11], v[30:31]
	v_pk_mov_b32 v[30:31], v[82:83], v[82:83] op_sel:[0,1]
	v_fmac_f64_e32 v[30:31], v[10:11], v[28:29]
	v_pk_mov_b32 v[28:29], v[84:85], v[84:85] op_sel:[0,1]
	v_fmac_f64_e32 v[28:29], v[10:11], v[30:31]
	v_mul_f64 v[10:11], v[10:11], v[28:29]
	v_cmp_gt_i32_e32 vcc, 0, v15
	v_fmac_f64_e32 v[6:7], v[6:7], v[10:11]
	v_cndmask_b32_e32 v10, v109, v110, vcc
	v_bfi_b32 v12, s59, v10, v17
	v_ashrrev_i32_e32 v10, 31, v15
	v_and_b32_e32 v14, 0x400921fb, v10
	v_and_b32_e32 v15, 0x54442d18, v10
	v_add_f64 v[10:11], -v[6:7], s[28:29]
	v_cndmask_b32_e64 v7, v7, v11, s[0:1]
	v_cndmask_b32_e64 v6, v6, v10, s[0:1]
	s_mov_b32 s30, s28
	v_add_f64 v[10:11], -v[6:7], s[30:31]
	v_cmp_class_f64_e64 s[50:51], v[16:17], s61
	v_cndmask_b32_e32 v8, v107, v108, vcc
	v_cndmask_b32_e32 v7, v7, v11, vcc
	;; [unrolled: 1-line block ×3, first 2 shown]
	v_cmp_eq_f64_e32 vcc, 0, v[16:17]
	v_cndmask_b32_e32 v6, v6, v15, vcc
	v_cndmask_b32_e32 v7, v7, v14, vcc
	s_and_b64 vcc, s[52:53], s[50:51]
	v_cndmask_b32_e32 v29, v7, v12, vcc
	v_cndmask_b32_e32 v28, v6, v8, vcc
                                        ; implicit-def: $vgpr6_vgpr7
                                        ; implicit-def: $vgpr30_vgpr31
.LBB174_236:                            ;   in Loop: Header=BB174_162 Depth=1
	s_andn2_saveexec_b64 s[50:51], s[2:3]
	s_cbranch_execz .LBB174_244
; %bb.237:                              ;   in Loop: Header=BB174_162 Depth=1
	v_mul_f64 v[10:11], v[6:7], v[6:7]
	v_fmac_f64_e32 v[10:11], v[30:31], v[30:31]
	v_cmp_ge_f64_e32 vcc, s[34:35], v[10:11]
                                        ; implicit-def: $vgpr26_vgpr27
	s_and_saveexec_b64 s[2:3], vcc
	s_xor_b64 s[2:3], exec, s[2:3]
	s_cbranch_execz .LBB174_239
; %bb.238:                              ;   in Loop: Header=BB174_162 Depth=1
	v_frexp_mant_f64_e32 v[6:7], v[10:11]
	v_cmp_gt_f64_e32 vcc, s[14:15], v[6:7]
	v_cndmask_b32_e64 v35, v111, 2.0, vcc
	v_mul_f64 v[6:7], v[6:7], v[34:35]
	v_add_f64 v[26:27], v[6:7], 1.0
	v_rcp_f64_e32 v[28:29], v[26:27]
	v_add_f64 v[32:33], v[26:27], -1.0
	v_add_f64 v[30:31], v[6:7], -1.0
	v_add_f64 v[6:7], v[6:7], -v[32:33]
	v_fma_f64 v[32:33], -v[26:27], v[28:29], 1.0
	v_fmac_f64_e32 v[28:29], v[32:33], v[28:29]
	v_fma_f64 v[32:33], -v[26:27], v[28:29], 1.0
	v_fmac_f64_e32 v[28:29], v[32:33], v[28:29]
	v_mul_f64 v[32:33], v[30:31], v[28:29]
	v_mul_f64 v[88:89], v[26:27], v[32:33]
	v_fma_f64 v[26:27], v[32:33], v[26:27], -v[88:89]
	v_fmac_f64_e32 v[26:27], v[32:33], v[6:7]
	v_add_f64 v[6:7], v[88:89], v[26:27]
	v_add_f64 v[90:91], v[30:31], -v[6:7]
	v_add_f64 v[88:89], v[6:7], -v[88:89]
	;; [unrolled: 1-line block ×5, first 2 shown]
	v_add_f64 v[6:7], v[26:27], v[6:7]
	v_add_f64 v[6:7], v[90:91], v[6:7]
	v_mul_f64 v[6:7], v[28:29], v[6:7]
	v_add_f64 v[26:27], v[32:33], v[6:7]
	v_add_f64 v[28:29], v[26:27], -v[32:33]
	v_add_f64 v[6:7], v[6:7], -v[28:29]
	v_mul_f64 v[28:29], v[26:27], v[26:27]
	v_pk_mov_b32 v[30:31], v[36:37], v[36:37] op_sel:[0,1]
	v_fmac_f64_e32 v[30:31], s[18:19], v[28:29]
	v_pk_mov_b32 v[32:33], v[38:39], v[38:39] op_sel:[0,1]
	v_fmac_f64_e32 v[32:33], v[28:29], v[30:31]
	;; [unrolled: 2-line block ×6, first 2 shown]
	v_ldexp_f64 v[30:31], v[26:27], 1
	v_mul_f64 v[26:27], v[26:27], v[28:29]
	v_mul_f64 v[26:27], v[26:27], v[32:33]
	v_add_f64 v[28:29], v[30:31], v[26:27]
	v_add_f64 v[30:31], v[28:29], -v[30:31]
	v_ldexp_f64 v[6:7], v[6:7], 1
	v_add_f64 v[26:27], v[26:27], -v[30:31]
	v_add_f64 v[6:7], v[6:7], v[26:27]
	v_frexp_exp_i32_f64_e32 v8, v[10:11]
	v_add_f64 v[26:27], v[28:29], v[6:7]
	v_subbrev_co_u32_e32 v8, vcc, 0, v8, vcc
	v_add_f64 v[28:29], v[26:27], -v[28:29]
	v_add_f64 v[6:7], v[6:7], -v[28:29]
	v_cvt_f64_i32_e32 v[28:29], v8
	v_mul_f64 v[30:31], v[28:29], s[20:21]
	v_fma_f64 v[32:33], v[28:29], s[20:21], -v[30:31]
	v_fmac_f64_e32 v[32:33], s[22:23], v[28:29]
	v_add_f64 v[28:29], v[30:31], v[32:33]
	v_add_f64 v[30:31], v[28:29], -v[30:31]
	v_add_f64 v[30:31], v[32:33], -v[30:31]
	v_add_f64 v[32:33], v[28:29], v[26:27]
	v_add_f64 v[88:89], v[32:33], -v[28:29]
	v_add_f64 v[90:91], v[32:33], -v[88:89]
	;; [unrolled: 1-line block ×4, first 2 shown]
	v_add_f64 v[26:27], v[26:27], v[28:29]
	v_add_f64 v[28:29], v[30:31], v[6:7]
	v_add_f64 v[88:89], v[28:29], -v[30:31]
	v_add_f64 v[90:91], v[28:29], -v[88:89]
	v_add_f64 v[26:27], v[28:29], v[26:27]
	v_add_f64 v[30:31], v[30:31], -v[90:91]
	v_add_f64 v[6:7], v[6:7], -v[88:89]
	v_add_f64 v[28:29], v[32:33], v[26:27]
	v_add_f64 v[6:7], v[6:7], v[30:31]
	v_add_f64 v[30:31], v[28:29], -v[32:33]
	v_add_f64 v[26:27], v[26:27], -v[30:31]
	v_add_f64 v[6:7], v[6:7], v[26:27]
	v_add_f64 v[6:7], v[28:29], v[6:7]
	v_max_f64 v[26:27], |v[16:17]|, |v[16:17]|
	v_max_f64 v[28:29], |v[14:15]|, |v[14:15]|
	v_max_f64 v[30:31], v[28:29], v[26:27]
	v_min_f64 v[28:29], v[28:29], v[26:27]
	v_div_scale_f64 v[32:33], s[52:53], v[30:31], v[30:31], v[28:29]
	v_rcp_f64_e32 v[88:89], v[32:33]
	v_mul_f64 v[6:7], v[6:7], 0.5
	v_cmp_neq_f64_e32 vcc, 0, v[10:11]
	v_cndmask_b32_e32 v27, v106, v7, vcc
	v_cndmask_b32_e32 v26, 0, v6, vcc
	v_fma_f64 v[6:7], -v[32:33], v[88:89], 1.0
	v_fmac_f64_e32 v[88:89], v[88:89], v[6:7]
	v_fma_f64 v[6:7], -v[32:33], v[88:89], 1.0
	v_fmac_f64_e32 v[88:89], v[88:89], v[6:7]
	v_div_scale_f64 v[6:7], vcc, v[28:29], v[30:31], v[28:29]
	v_mul_f64 v[10:11], v[6:7], v[88:89]
	v_fma_f64 v[6:7], -v[32:33], v[10:11], v[6:7]
	v_cmp_class_f64_e64 s[54:55], v[14:15], s61
	s_nop 0
	v_div_fmas_f64 v[6:7], v[6:7], v[88:89], v[10:11]
	v_div_fixup_f64 v[6:7], v[6:7], v[30:31], v[28:29]
	v_mul_f64 v[10:11], v[6:7], v[6:7]
	v_pk_mov_b32 v[28:29], v[48:49], v[48:49] op_sel:[0,1]
	v_fmac_f64_e32 v[28:29], s[26:27], v[10:11]
	v_pk_mov_b32 v[30:31], v[50:51], v[50:51] op_sel:[0,1]
	v_fmac_f64_e32 v[30:31], v[10:11], v[28:29]
	;; [unrolled: 2-line block ×19, first 2 shown]
	v_mul_f64 v[10:11], v[10:11], v[28:29]
	v_cmp_gt_i32_e32 vcc, 0, v15
	v_fmac_f64_e32 v[6:7], v[6:7], v[10:11]
	v_cndmask_b32_e32 v10, v109, v110, vcc
	v_bfi_b32 v12, s59, v10, v17
	v_ashrrev_i32_e32 v10, 31, v15
	v_and_b32_e32 v14, 0x400921fb, v10
	v_and_b32_e32 v15, 0x54442d18, v10
	v_add_f64 v[10:11], -v[6:7], s[28:29]
	v_cndmask_b32_e64 v7, v7, v11, s[0:1]
	v_cndmask_b32_e64 v6, v6, v10, s[0:1]
	s_mov_b32 s30, s28
	v_add_f64 v[10:11], -v[6:7], s[30:31]
	v_cmp_class_f64_e64 s[52:53], v[16:17], s61
	v_cndmask_b32_e32 v8, v107, v108, vcc
	v_cndmask_b32_e32 v7, v7, v11, vcc
	;; [unrolled: 1-line block ×3, first 2 shown]
	v_cmp_eq_f64_e32 vcc, 0, v[16:17]
	v_cndmask_b32_e32 v6, v6, v15, vcc
	v_cndmask_b32_e32 v7, v7, v14, vcc
	s_and_b64 vcc, s[54:55], s[52:53]
	v_cndmask_b32_e32 v29, v7, v12, vcc
	v_cndmask_b32_e32 v28, v6, v8, vcc
                                        ; implicit-def: $vgpr30_vgpr31
                                        ; implicit-def: $vgpr6_vgpr7
.LBB174_239:                            ;   in Loop: Header=BB174_162 Depth=1
	s_andn2_saveexec_b64 s[52:53], s[2:3]
	s_cbranch_execz .LBB174_243
; %bb.240:                              ;   in Loop: Header=BB174_162 Depth=1
	v_and_b32_e32 v35, 0x7ffffff8, v31
	v_and_b32_e32 v27, 0x7ffffff8, v7
	v_mov_b32_e32 v26, v34
	v_add_f64 v[10:11], v[30:31], -v[34:35]
	v_add_f64 v[6:7], v[6:7], -v[26:27]
	v_and_b32_e32 v93, -8, v11
	v_mov_b32_e32 v92, v34
	v_and_b32_e32 v95, -8, v7
	v_mov_b32_e32 v94, v34
	v_add_f64 v[32:33], v[34:35], v[34:35]
	v_add_f64 v[100:101], v[26:27], v[26:27]
	v_add_f64 v[96:97], v[10:11], -v[92:93]
	v_add_f64 v[98:99], v[6:7], -v[94:95]
	v_mul_f64 v[10:11], v[26:27], v[26:27]
	v_mul_f64 v[30:31], v[32:33], v[92:93]
	;; [unrolled: 1-line block ×5, first 2 shown]
	v_add_f64 v[92:93], v[92:93], v[92:93]
	v_add_f64 v[94:95], v[94:95], v[94:95]
	v_mul_f64 v[6:7], v[34:35], v[34:35]
	v_mul_f64 v[88:89], v[32:33], v[96:97]
	;; [unrolled: 1-line block ×7, first 2 shown]
	s_mov_b64 s[54:55], 0
.LBB174_241:                            ;   Parent Loop BB174_162 Depth=1
                                        ; =>  This Inner Loop Header: Depth=2
	v_cmp_nlt_f64_e32 vcc, v[6:7], v[10:11]
	v_cndmask_b32_e32 v101, v7, v11, vcc
	v_cndmask_b32_e32 v100, v6, v10, vcc
	v_cmp_nlt_f64_e64 s[2:3], v[100:101], v[30:31]
	v_cndmask_b32_e64 v103, v101, v31, s[2:3]
	v_cndmask_b32_e64 v102, v100, v30, s[2:3]
	v_cndmask_b32_e32 v7, v11, v7, vcc
	v_cndmask_b32_e32 v6, v10, v6, vcc
	s_and_b64 s[56:57], vcc, s[2:3]
	v_cmp_nlt_f64_e32 vcc, v[102:103], v[28:29]
	v_cndmask_b32_e64 v11, v31, v101, s[2:3]
	v_cndmask_b32_e64 v10, v30, v100, s[2:3]
	v_cndmask_b32_e32 v101, v103, v29, vcc
	v_cndmask_b32_e32 v100, v102, v28, vcc
	v_cmp_nlt_f64_e64 s[2:3], v[100:101], v[90:91]
	v_cndmask_b32_e32 v31, v29, v103, vcc
	v_cndmask_b32_e32 v30, v28, v102, vcc
	v_cndmask_b32_e64 v103, v101, v91, s[2:3]
	v_cndmask_b32_e64 v102, v100, v90, s[2:3]
	s_and_b64 s[62:63], vcc, s[2:3]
	v_cmp_nlt_f64_e32 vcc, v[102:103], v[26:27]
	v_cndmask_b32_e64 v29, v91, v101, s[2:3]
	v_cndmask_b32_e64 v28, v90, v100, s[2:3]
	v_cndmask_b32_e32 v101, v103, v27, vcc
	v_cndmask_b32_e32 v100, v102, v26, vcc
	v_cmp_nlt_f64_e64 s[2:3], v[100:101], v[88:89]
	v_cndmask_b32_e32 v91, v27, v103, vcc
	v_cndmask_b32_e32 v90, v26, v102, vcc
	v_cndmask_b32_e64 v103, v101, v89, s[2:3]
	v_cndmask_b32_e64 v102, v100, v88, s[2:3]
	;; [unrolled: 1-line block ×4, first 2 shown]
	s_and_b64 s[2:3], vcc, s[2:3]
	v_cmp_nlt_f64_e32 vcc, v[102:103], v[32:33]
	v_cndmask_b32_e32 v101, v103, v33, vcc
	v_cndmask_b32_e32 v100, v102, v32, vcc
	v_cndmask_b32_e32 v89, v33, v103, vcc
	v_cndmask_b32_e32 v88, v32, v102, vcc
	s_and_b64 s[2:3], s[2:3], vcc
	v_cmp_nlt_f64_e32 vcc, v[100:101], v[92:93]
	v_cndmask_b32_e32 v103, v101, v93, vcc
	v_cndmask_b32_e32 v102, v100, v92, vcc
	v_cndmask_b32_e32 v33, v93, v101, vcc
	v_cndmask_b32_e32 v32, v92, v100, vcc
	s_and_b64 s[2:3], s[2:3], vcc
	;; [unrolled: 6-line block ×4, first 2 shown]
	v_cmp_nlt_f64_e32 vcc, v[102:103], v[98:99]
	s_and_b64 s[2:3], s[2:3], vcc
	s_and_b64 s[2:3], s[2:3], s[62:63]
	s_and_b64 s[2:3], s[2:3], s[56:57]
	v_cndmask_b32_e32 v101, v103, v99, vcc
	v_cndmask_b32_e32 v100, v102, v98, vcc
	s_and_b64 s[2:3], exec, s[2:3]
	v_cndmask_b32_e32 v97, v99, v103, vcc
	v_cndmask_b32_e32 v96, v98, v102, vcc
	s_or_b64 s[54:55], s[2:3], s[54:55]
	v_pk_mov_b32 v[98:99], v[100:101], v[100:101] op_sel:[0,1]
	s_andn2_b64 exec, exec, s[54:55]
	s_cbranch_execnz .LBB174_241
; %bb.242:                              ;   in Loop: Header=BB174_162 Depth=1
	s_or_b64 exec, exec, s[54:55]
	v_add_f64 v[6:7], v[6:7], -1.0
	v_add_f64 v[6:7], v[6:7], v[10:11]
	v_add_f64 v[6:7], v[6:7], v[30:31]
	;; [unrolled: 1-line block ×11, first 2 shown]
	v_add_f64 v[10:11], v[6:7], 1.0
	v_add_f64 v[26:27], v[10:11], -1.0
	v_add_f64 v[28:29], v[26:27], -v[10:11]
	v_add_f64 v[28:29], v[28:29], 1.0
	v_add_f64 v[26:27], v[6:7], -v[26:27]
	v_add_f64 v[26:27], v[26:27], v[28:29]
	v_frexp_mant_f64_e32 v[28:29], v[10:11]
	v_frexp_exp_i32_f64_e32 v8, v[10:11]
	v_cmp_gt_f64_e32 vcc, s[14:15], v[28:29]
	v_subbrev_co_u32_e32 v8, vcc, 0, v8, vcc
	v_sub_u32_e32 v12, 0, v8
	v_ldexp_f64 v[10:11], v[10:11], v12
	v_add_f64 v[28:29], v[10:11], -1.0
	v_add_f64 v[88:89], v[10:11], 1.0
	v_add_f64 v[30:31], v[28:29], 1.0
	v_add_f64 v[90:91], v[88:89], -1.0
	v_ldexp_f64 v[26:27], v[26:27], v12
	v_add_f64 v[30:31], v[10:11], -v[30:31]
	v_add_f64 v[10:11], v[10:11], -v[90:91]
	v_add_f64 v[10:11], v[26:27], v[10:11]
	v_add_f64 v[30:31], v[26:27], v[30:31]
	;; [unrolled: 1-line block ×3, first 2 shown]
	v_rcp_f64_e32 v[90:91], v[26:27]
	v_add_f64 v[32:33], v[28:29], v[30:31]
	v_add_f64 v[28:29], v[32:33], -v[28:29]
	v_add_f64 v[28:29], v[30:31], -v[28:29]
	;; [unrolled: 1-line block ×4, first 2 shown]
	v_fma_f64 v[30:31], -v[26:27], v[90:91], 1.0
	v_fmac_f64_e32 v[90:91], v[30:31], v[90:91]
	v_fma_f64 v[30:31], -v[26:27], v[90:91], 1.0
	v_fmac_f64_e32 v[90:91], v[30:31], v[90:91]
	v_mul_f64 v[30:31], v[32:33], v[90:91]
	v_mul_f64 v[88:89], v[26:27], v[30:31]
	v_fma_f64 v[92:93], v[30:31], v[26:27], -v[88:89]
	v_fmac_f64_e32 v[92:93], v[30:31], v[10:11]
	v_add_f64 v[94:95], v[88:89], v[92:93]
	v_add_f64 v[96:97], v[32:33], -v[94:95]
	v_add_f64 v[32:33], v[32:33], -v[96:97]
	;; [unrolled: 1-line block ×4, first 2 shown]
	v_add_f64 v[28:29], v[28:29], v[32:33]
	v_add_f64 v[32:33], v[88:89], -v[92:93]
	v_add_f64 v[28:29], v[32:33], v[28:29]
	v_add_f64 v[32:33], v[96:97], v[28:29]
	v_add_f64 v[88:89], v[96:97], -v[32:33]
	v_add_f64 v[28:29], v[28:29], v[88:89]
	v_mul_f64 v[88:89], v[90:91], v[32:33]
	v_mul_f64 v[92:93], v[26:27], v[88:89]
	v_fma_f64 v[26:27], v[88:89], v[26:27], -v[92:93]
	v_fmac_f64_e32 v[26:27], v[88:89], v[10:11]
	v_add_f64 v[10:11], v[92:93], v[26:27]
	v_add_f64 v[94:95], v[32:33], -v[10:11]
	v_add_f64 v[32:33], v[32:33], -v[94:95]
	;; [unrolled: 1-line block ×4, first 2 shown]
	v_add_f64 v[10:11], v[28:29], v[10:11]
	v_add_f64 v[26:27], v[92:93], -v[26:27]
	v_add_f64 v[10:11], v[26:27], v[10:11]
	v_add_f64 v[26:27], v[30:31], v[88:89]
	v_add_f64 v[10:11], v[94:95], v[10:11]
	v_add_f64 v[28:29], v[26:27], -v[30:31]
	v_mul_f64 v[10:11], v[90:91], v[10:11]
	v_add_f64 v[28:29], v[88:89], -v[28:29]
	v_add_f64 v[10:11], v[28:29], v[10:11]
	v_add_f64 v[28:29], v[26:27], v[10:11]
	v_add_f64 v[26:27], v[28:29], -v[26:27]
	v_add_f64 v[10:11], v[10:11], -v[26:27]
	v_mul_f64 v[26:27], v[28:29], v[28:29]
	v_pk_mov_b32 v[30:31], v[36:37], v[36:37] op_sel:[0,1]
	v_fmac_f64_e32 v[30:31], s[18:19], v[26:27]
	v_pk_mov_b32 v[32:33], v[38:39], v[38:39] op_sel:[0,1]
	v_fmac_f64_e32 v[32:33], v[26:27], v[30:31]
	;; [unrolled: 2-line block ×6, first 2 shown]
	v_cvt_f64_i32_e32 v[30:31], v8
	v_mul_f64 v[88:89], v[30:31], s[20:21]
	v_fma_f64 v[90:91], v[30:31], s[20:21], -v[88:89]
	v_fmac_f64_e32 v[90:91], s[22:23], v[30:31]
	v_add_f64 v[30:31], v[88:89], v[90:91]
	v_add_f64 v[88:89], v[30:31], -v[88:89]
	v_mul_f64 v[26:27], v[28:29], v[26:27]
	v_add_f64 v[88:89], v[90:91], -v[88:89]
	v_ldexp_f64 v[90:91], v[28:29], 1
	v_mul_f64 v[26:27], v[26:27], v[32:33]
	v_add_f64 v[28:29], v[90:91], v[26:27]
	v_add_f64 v[32:33], v[28:29], -v[90:91]
	v_ldexp_f64 v[10:11], v[10:11], 1
	v_add_f64 v[26:27], v[26:27], -v[32:33]
	v_add_f64 v[10:11], v[10:11], v[26:27]
	v_add_f64 v[26:27], v[28:29], v[10:11]
	v_add_f64 v[28:29], v[26:27], -v[28:29]
	v_add_f64 v[10:11], v[10:11], -v[28:29]
	v_add_f64 v[28:29], v[30:31], v[26:27]
	v_add_f64 v[32:33], v[28:29], -v[30:31]
	v_add_f64 v[90:91], v[28:29], -v[32:33]
	;; [unrolled: 1-line block ×4, first 2 shown]
	v_add_f64 v[26:27], v[26:27], v[30:31]
	v_add_f64 v[30:31], v[88:89], v[10:11]
	v_add_f64 v[32:33], v[30:31], -v[88:89]
	v_add_f64 v[26:27], v[30:31], v[26:27]
	v_add_f64 v[90:91], v[30:31], -v[32:33]
	;; [unrolled: 2-line block ×3, first 2 shown]
	v_add_f64 v[10:11], v[10:11], -v[32:33]
	v_add_f64 v[28:29], v[30:31], -v[28:29]
	v_add_f64 v[10:11], v[10:11], v[88:89]
	v_add_f64 v[26:27], v[26:27], -v[28:29]
	v_add_f64 v[10:11], v[10:11], v[26:27]
	v_max_f64 v[26:27], |v[16:17]|, |v[16:17]|
	v_max_f64 v[28:29], |v[14:15]|, |v[14:15]|
	v_add_f64 v[10:11], v[30:31], v[10:11]
	v_max_f64 v[30:31], v[28:29], v[26:27]
	v_min_f64 v[28:29], v[28:29], v[26:27]
	v_div_scale_f64 v[32:33], s[2:3], v[30:31], v[30:31], v[28:29]
	v_cmp_eq_f64_e32 vcc, s[24:25], v[6:7]
	v_rcp_f64_e32 v[88:89], v[32:33]
	v_cndmask_b32_e32 v11, v11, v7, vcc
	v_cndmask_b32_e32 v10, v10, v6, vcc
	v_mul_f64 v[10:11], v[10:11], 0.5
	v_cmp_ngt_f64_e32 vcc, -1.0, v[6:7]
	v_cndmask_b32_e32 v8, v105, v11, vcc
	v_cmp_nge_f64_e32 vcc, -1.0, v[6:7]
	v_cndmask_b32_e32 v26, 0, v10, vcc
	v_cmp_neq_f64_e32 vcc, -1.0, v[6:7]
	v_fma_f64 v[6:7], -v[32:33], v[88:89], 1.0
	v_fmac_f64_e32 v[88:89], v[88:89], v[6:7]
	v_fma_f64 v[6:7], -v[32:33], v[88:89], 1.0
	v_cndmask_b32_e32 v27, v106, v8, vcc
	v_fmac_f64_e32 v[88:89], v[88:89], v[6:7]
	v_div_scale_f64 v[6:7], vcc, v[28:29], v[30:31], v[28:29]
	v_mul_f64 v[10:11], v[6:7], v[88:89]
	v_fma_f64 v[6:7], -v[32:33], v[10:11], v[6:7]
	v_cmp_class_f64_e64 s[54:55], v[14:15], s61
	s_nop 0
	v_div_fmas_f64 v[6:7], v[6:7], v[88:89], v[10:11]
	v_div_fixup_f64 v[6:7], v[6:7], v[30:31], v[28:29]
	v_mul_f64 v[10:11], v[6:7], v[6:7]
	v_pk_mov_b32 v[28:29], v[48:49], v[48:49] op_sel:[0,1]
	v_fmac_f64_e32 v[28:29], s[26:27], v[10:11]
	v_pk_mov_b32 v[30:31], v[50:51], v[50:51] op_sel:[0,1]
	v_fmac_f64_e32 v[30:31], v[10:11], v[28:29]
	;; [unrolled: 2-line block ×19, first 2 shown]
	v_mul_f64 v[10:11], v[10:11], v[28:29]
	v_cmp_gt_i32_e32 vcc, 0, v15
	v_fmac_f64_e32 v[6:7], v[6:7], v[10:11]
	v_cndmask_b32_e32 v10, v109, v110, vcc
	v_bfi_b32 v12, s59, v10, v17
	v_ashrrev_i32_e32 v10, 31, v15
	v_and_b32_e32 v14, 0x400921fb, v10
	v_and_b32_e32 v15, 0x54442d18, v10
	v_add_f64 v[10:11], -v[6:7], s[28:29]
	v_cndmask_b32_e64 v7, v7, v11, s[0:1]
	v_cndmask_b32_e64 v6, v6, v10, s[0:1]
	s_mov_b32 s30, s28
	v_add_f64 v[10:11], -v[6:7], s[30:31]
	v_cmp_class_f64_e64 s[2:3], v[16:17], s61
	v_cndmask_b32_e32 v8, v107, v108, vcc
	v_cndmask_b32_e32 v7, v7, v11, vcc
	;; [unrolled: 1-line block ×3, first 2 shown]
	v_cmp_eq_f64_e32 vcc, 0, v[16:17]
	v_cndmask_b32_e32 v6, v6, v15, vcc
	v_cndmask_b32_e32 v7, v7, v14, vcc
	s_and_b64 vcc, s[54:55], s[2:3]
	v_cndmask_b32_e32 v29, v7, v12, vcc
	v_cndmask_b32_e32 v28, v6, v8, vcc
.LBB174_243:                            ;   in Loop: Header=BB174_162 Depth=1
	s_or_b64 exec, exec, s[52:53]
.LBB174_244:                            ;   in Loop: Header=BB174_162 Depth=1
	s_or_b64 exec, exec, s[50:51]
.LBB174_245:                            ;   in Loop: Header=BB174_162 Depth=1
	s_andn2_saveexec_b64 s[48:49], s[48:49]
	s_cbranch_execz .LBB174_247
; %bb.246:                              ;   in Loop: Header=BB174_162 Depth=1
	v_max_f64 v[6:7], |v[16:17]|, |v[16:17]|
	v_max_f64 v[10:11], |v[14:15]|, |v[14:15]|
	v_max_f64 v[28:29], v[10:11], v[6:7]
	v_frexp_exp_i32_f64_e32 v8, v[28:29]
	v_sub_u32_e32 v12, 0, v8
	v_ldexp_f64 v[30:31], |v[16:17]|, v12
	v_ldexp_f64 v[26:27], |v[14:15]|, v12
	v_mul_f64 v[30:31], v[30:31], v[30:31]
	v_fmac_f64_e32 v[30:31], v[26:27], v[26:27]
	v_rsq_f64_e32 v[26:27], v[30:31]
	v_cmp_eq_f64_e32 vcc, 0, v[30:31]
	v_cmp_class_f64_e64 s[50:51], v[14:15], s61
	v_cmp_class_f64_e64 s[52:53], v[16:17], s61
	v_mul_f64 v[32:33], v[30:31], v[26:27]
	v_mul_f64 v[26:27], v[26:27], 0.5
	v_fma_f64 v[88:89], -v[26:27], v[32:33], 0.5
	v_fmac_f64_e32 v[32:33], v[32:33], v[88:89]
	v_fmac_f64_e32 v[26:27], v[26:27], v[88:89]
	v_fma_f64 v[88:89], -v[32:33], v[32:33], v[30:31]
	v_fmac_f64_e32 v[32:33], v[88:89], v[26:27]
	v_cndmask_b32_e32 v27, v33, v31, vcc
	v_cndmask_b32_e32 v26, v32, v30, vcc
	v_ldexp_f64 v[26:27], v[26:27], v8
	s_or_b64 vcc, s[50:51], s[52:53]
	v_cndmask_b32_e32 v31, v27, v112, vcc
	v_cndmask_b32_e64 v30, v26, 0, vcc
	v_frexp_mant_f64_e32 v[32:33], v[30:31]
	v_cmp_gt_f64_e64 s[2:3], s[14:15], v[32:33]
	v_cndmask_b32_e64 v35, v111, 2.0, s[2:3]
	v_mul_f64 v[32:33], v[32:33], v[34:35]
	v_add_f64 v[88:89], v[32:33], 1.0
	v_rcp_f64_e32 v[90:91], v[88:89]
	v_add_f64 v[94:95], v[88:89], -1.0
	v_add_f64 v[92:93], v[32:33], -1.0
	v_add_f64 v[32:33], v[32:33], -v[94:95]
	v_fma_f64 v[94:95], -v[88:89], v[90:91], 1.0
	v_fmac_f64_e32 v[90:91], v[94:95], v[90:91]
	v_fma_f64 v[94:95], -v[88:89], v[90:91], 1.0
	v_fmac_f64_e32 v[90:91], v[94:95], v[90:91]
	v_mul_f64 v[94:95], v[92:93], v[90:91]
	v_mul_f64 v[96:97], v[88:89], v[94:95]
	v_fma_f64 v[88:89], v[94:95], v[88:89], -v[96:97]
	v_fmac_f64_e32 v[88:89], v[94:95], v[32:33]
	v_add_f64 v[32:33], v[96:97], v[88:89]
	v_add_f64 v[98:99], v[92:93], -v[32:33]
	v_add_f64 v[96:97], v[32:33], -v[96:97]
	;; [unrolled: 1-line block ×5, first 2 shown]
	v_add_f64 v[32:33], v[88:89], v[32:33]
	v_add_f64 v[32:33], v[98:99], v[32:33]
	v_mul_f64 v[32:33], v[90:91], v[32:33]
	v_add_f64 v[88:89], v[94:95], v[32:33]
	v_add_f64 v[90:91], v[88:89], -v[94:95]
	v_add_f64 v[32:33], v[32:33], -v[90:91]
	v_mul_f64 v[90:91], v[88:89], v[88:89]
	v_pk_mov_b32 v[92:93], v[36:37], v[36:37] op_sel:[0,1]
	v_fmac_f64_e32 v[92:93], s[18:19], v[90:91]
	v_pk_mov_b32 v[94:95], v[38:39], v[38:39] op_sel:[0,1]
	v_fmac_f64_e32 v[94:95], v[90:91], v[92:93]
	;; [unrolled: 2-line block ×6, first 2 shown]
	v_ldexp_f64 v[92:93], v[88:89], 1
	v_mul_f64 v[88:89], v[88:89], v[90:91]
	v_mul_f64 v[88:89], v[88:89], v[94:95]
	v_add_f64 v[90:91], v[92:93], v[88:89]
	v_add_f64 v[92:93], v[90:91], -v[92:93]
	v_ldexp_f64 v[32:33], v[32:33], 1
	v_add_f64 v[88:89], v[88:89], -v[92:93]
	v_add_f64 v[32:33], v[32:33], v[88:89]
	v_frexp_exp_i32_f64_e32 v8, v[30:31]
	v_add_f64 v[88:89], v[90:91], v[32:33]
	v_subbrev_co_u32_e64 v8, s[2:3], 0, v8, s[2:3]
	v_add_f64 v[90:91], v[88:89], -v[90:91]
	v_add_f64 v[32:33], v[32:33], -v[90:91]
	v_cvt_f64_i32_e32 v[90:91], v8
	v_mul_f64 v[92:93], v[90:91], s[20:21]
	v_fma_f64 v[94:95], v[90:91], s[20:21], -v[92:93]
	v_fmac_f64_e32 v[94:95], s[22:23], v[90:91]
	v_add_f64 v[90:91], v[92:93], v[94:95]
	v_add_f64 v[92:93], v[90:91], -v[92:93]
	v_add_f64 v[92:93], v[94:95], -v[92:93]
	v_add_f64 v[94:95], v[90:91], v[88:89]
	v_add_f64 v[96:97], v[94:95], -v[90:91]
	v_add_f64 v[98:99], v[94:95], -v[96:97]
	;; [unrolled: 1-line block ×4, first 2 shown]
	v_add_f64 v[88:89], v[88:89], v[90:91]
	v_add_f64 v[90:91], v[92:93], v[32:33]
	v_add_f64 v[96:97], v[90:91], -v[92:93]
	v_add_f64 v[98:99], v[90:91], -v[96:97]
	v_add_f64 v[88:89], v[90:91], v[88:89]
	v_add_f64 v[92:93], v[92:93], -v[98:99]
	v_add_f64 v[32:33], v[32:33], -v[96:97]
	v_add_f64 v[90:91], v[94:95], v[88:89]
	v_add_f64 v[32:33], v[32:33], v[92:93]
	v_add_f64 v[92:93], v[90:91], -v[94:95]
	v_add_f64 v[88:89], v[88:89], -v[92:93]
	v_add_f64 v[32:33], v[32:33], v[88:89]
	v_add_f64 v[32:33], v[90:91], v[32:33]
	v_cmp_class_f64_e64 s[2:3], v[26:27], s61
	v_min_f64 v[6:7], v[10:11], v[6:7]
	v_cndmask_b32_e64 v8, v33, v27, s[2:3]
	v_cndmask_b32_e64 v12, v32, v26, s[2:3]
	v_div_scale_f64 v[10:11], s[2:3], v[28:29], v[28:29], v[6:7]
	v_rcp_f64_e32 v[32:33], v[10:11]
	v_cndmask_b32_e64 v12, v12, 0, vcc
	v_cndmask_b32_e32 v8, v8, v112, vcc
	v_cmp_ngt_f64_e32 vcc, 0, v[30:31]
	v_cndmask_b32_e32 v8, v105, v8, vcc
	v_cmp_nge_f64_e32 vcc, 0, v[30:31]
	v_cndmask_b32_e32 v26, 0, v12, vcc
	v_cmp_neq_f64_e32 vcc, 0, v[30:31]
	v_fma_f64 v[30:31], -v[10:11], v[32:33], 1.0
	v_fmac_f64_e32 v[32:33], v[32:33], v[30:31]
	v_fma_f64 v[30:31], -v[10:11], v[32:33], 1.0
	v_cndmask_b32_e32 v27, v106, v8, vcc
	v_fmac_f64_e32 v[32:33], v[32:33], v[30:31]
	v_div_scale_f64 v[30:31], vcc, v[6:7], v[28:29], v[6:7]
	v_mul_f64 v[88:89], v[30:31], v[32:33]
	v_fma_f64 v[10:11], -v[10:11], v[88:89], v[30:31]
	v_pk_mov_b32 v[30:31], v[50:51], v[50:51] op_sel:[0,1]
	s_nop 0
	v_div_fmas_f64 v[10:11], v[10:11], v[32:33], v[88:89]
	v_div_fixup_f64 v[6:7], v[10:11], v[28:29], v[6:7]
	v_mul_f64 v[10:11], v[6:7], v[6:7]
	v_pk_mov_b32 v[28:29], v[48:49], v[48:49] op_sel:[0,1]
	v_fmac_f64_e32 v[28:29], s[26:27], v[10:11]
	v_fmac_f64_e32 v[30:31], v[10:11], v[28:29]
	v_pk_mov_b32 v[28:29], v[52:53], v[52:53] op_sel:[0,1]
	v_fmac_f64_e32 v[28:29], v[10:11], v[30:31]
	v_pk_mov_b32 v[30:31], v[54:55], v[54:55] op_sel:[0,1]
	;; [unrolled: 2-line block ×17, first 2 shown]
	v_fmac_f64_e32 v[28:29], v[10:11], v[30:31]
	v_mul_f64 v[10:11], v[10:11], v[28:29]
	v_cmp_gt_i32_e32 vcc, 0, v15
	v_fmac_f64_e32 v[6:7], v[6:7], v[10:11]
	v_cndmask_b32_e32 v10, v109, v110, vcc
	v_bfi_b32 v12, s59, v10, v17
	v_ashrrev_i32_e32 v10, 31, v15
	v_and_b32_e32 v14, 0x400921fb, v10
	v_and_b32_e32 v15, 0x54442d18, v10
	v_add_f64 v[10:11], -v[6:7], s[28:29]
	v_cndmask_b32_e64 v7, v7, v11, s[0:1]
	v_cndmask_b32_e64 v6, v6, v10, s[0:1]
	s_mov_b32 s30, s28
	v_add_f64 v[10:11], -v[6:7], s[30:31]
	v_cndmask_b32_e32 v8, v107, v108, vcc
	v_cndmask_b32_e32 v7, v7, v11, vcc
	;; [unrolled: 1-line block ×3, first 2 shown]
	v_cmp_eq_f64_e32 vcc, 0, v[16:17]
	v_cndmask_b32_e32 v6, v6, v15, vcc
	v_cndmask_b32_e32 v7, v7, v14, vcc
	s_and_b64 vcc, s[50:51], s[52:53]
	v_cndmask_b32_e32 v29, v7, v12, vcc
	v_cndmask_b32_e32 v28, v6, v8, vcc
.LBB174_247:                            ;   in Loop: Header=BB174_162 Depth=1
	s_or_b64 exec, exec, s[48:49]
                                        ; implicit-def: $vgpr6_vgpr7
.LBB174_248:                            ;   in Loop: Header=BB174_162 Depth=1
	s_andn2_saveexec_b64 s[2:3], s[46:47]
	s_cbranch_execz .LBB174_254
; %bb.249:                              ;   in Loop: Header=BB174_162 Depth=1
	v_cmp_ngt_f64_e32 vcc, s[36:37], v[6:7]
                                        ; implicit-def: $vgpr26_vgpr27
	s_and_saveexec_b64 s[46:47], vcc
	s_xor_b64 s[46:47], exec, s[46:47]
	s_cbranch_execz .LBB174_251
; %bb.250:                              ;   in Loop: Header=BB174_162 Depth=1
	v_mul_f64 v[6:7], v[6:7], v[6:7]
	v_add_f64 v[10:11], v[6:7], 1.0
	v_add_f64 v[26:27], v[10:11], -1.0
	v_add_f64 v[28:29], v[26:27], -v[10:11]
	v_add_f64 v[28:29], v[28:29], 1.0
	v_add_f64 v[26:27], v[6:7], -v[26:27]
	v_add_f64 v[26:27], v[26:27], v[28:29]
	v_frexp_mant_f64_e32 v[28:29], v[10:11]
	v_frexp_exp_i32_f64_e32 v8, v[10:11]
	v_cmp_gt_f64_e32 vcc, s[14:15], v[28:29]
	v_subbrev_co_u32_e32 v8, vcc, 0, v8, vcc
	v_sub_u32_e32 v12, 0, v8
	v_ldexp_f64 v[10:11], v[10:11], v12
	v_add_f64 v[28:29], v[10:11], -1.0
	v_add_f64 v[88:89], v[10:11], 1.0
	v_add_f64 v[30:31], v[28:29], 1.0
	v_add_f64 v[90:91], v[88:89], -1.0
	v_ldexp_f64 v[26:27], v[26:27], v12
	v_add_f64 v[30:31], v[10:11], -v[30:31]
	v_add_f64 v[10:11], v[10:11], -v[90:91]
	v_add_f64 v[10:11], v[26:27], v[10:11]
	v_add_f64 v[30:31], v[26:27], v[30:31]
	;; [unrolled: 1-line block ×3, first 2 shown]
	v_rcp_f64_e32 v[90:91], v[26:27]
	v_add_f64 v[32:33], v[28:29], v[30:31]
	v_add_f64 v[28:29], v[28:29], -v[32:33]
	v_add_f64 v[28:29], v[30:31], v[28:29]
	v_add_f64 v[30:31], v[88:89], -v[26:27]
	v_add_f64 v[10:11], v[10:11], v[30:31]
	v_fma_f64 v[30:31], -v[26:27], v[90:91], 1.0
	v_fmac_f64_e32 v[90:91], v[30:31], v[90:91]
	v_fma_f64 v[30:31], -v[26:27], v[90:91], 1.0
	v_fmac_f64_e32 v[90:91], v[30:31], v[90:91]
	v_mul_f64 v[30:31], v[32:33], v[90:91]
	v_mul_f64 v[88:89], v[26:27], v[30:31]
	v_fma_f64 v[92:93], v[30:31], v[26:27], -v[88:89]
	v_fmac_f64_e32 v[92:93], v[30:31], v[10:11]
	v_add_f64 v[94:95], v[88:89], v[92:93]
	v_add_f64 v[96:97], v[32:33], -v[94:95]
	v_add_f64 v[32:33], v[32:33], -v[96:97]
	;; [unrolled: 1-line block ×4, first 2 shown]
	v_add_f64 v[28:29], v[28:29], v[32:33]
	v_add_f64 v[32:33], v[88:89], -v[92:93]
	v_add_f64 v[28:29], v[32:33], v[28:29]
	v_add_f64 v[32:33], v[96:97], v[28:29]
	v_add_f64 v[88:89], v[96:97], -v[32:33]
	v_add_f64 v[28:29], v[28:29], v[88:89]
	v_mul_f64 v[88:89], v[90:91], v[32:33]
	v_mul_f64 v[92:93], v[26:27], v[88:89]
	v_fma_f64 v[26:27], v[88:89], v[26:27], -v[92:93]
	v_fmac_f64_e32 v[26:27], v[88:89], v[10:11]
	v_add_f64 v[10:11], v[92:93], v[26:27]
	v_add_f64 v[94:95], v[32:33], -v[10:11]
	v_add_f64 v[32:33], v[32:33], -v[94:95]
	;; [unrolled: 1-line block ×4, first 2 shown]
	v_add_f64 v[10:11], v[28:29], v[10:11]
	v_add_f64 v[26:27], v[92:93], -v[26:27]
	v_add_f64 v[10:11], v[26:27], v[10:11]
	v_add_f64 v[26:27], v[30:31], v[88:89]
	;; [unrolled: 1-line block ×3, first 2 shown]
	v_add_f64 v[28:29], v[26:27], -v[30:31]
	v_mul_f64 v[10:11], v[90:91], v[10:11]
	v_add_f64 v[28:29], v[88:89], -v[28:29]
	v_add_f64 v[10:11], v[28:29], v[10:11]
	v_add_f64 v[28:29], v[26:27], v[10:11]
	v_add_f64 v[26:27], v[28:29], -v[26:27]
	v_add_f64 v[10:11], v[10:11], -v[26:27]
	v_mul_f64 v[26:27], v[28:29], v[28:29]
	v_pk_mov_b32 v[30:31], v[36:37], v[36:37] op_sel:[0,1]
	v_fmac_f64_e32 v[30:31], s[18:19], v[26:27]
	v_pk_mov_b32 v[32:33], v[38:39], v[38:39] op_sel:[0,1]
	v_fmac_f64_e32 v[32:33], v[26:27], v[30:31]
	;; [unrolled: 2-line block ×6, first 2 shown]
	v_cvt_f64_i32_e32 v[30:31], v8
	v_mul_f64 v[88:89], v[30:31], s[20:21]
	v_fma_f64 v[90:91], v[30:31], s[20:21], -v[88:89]
	v_fmac_f64_e32 v[90:91], s[22:23], v[30:31]
	v_add_f64 v[30:31], v[88:89], v[90:91]
	v_add_f64 v[88:89], v[30:31], -v[88:89]
	v_mul_f64 v[26:27], v[28:29], v[26:27]
	v_add_f64 v[88:89], v[90:91], -v[88:89]
	v_ldexp_f64 v[90:91], v[28:29], 1
	v_mul_f64 v[26:27], v[26:27], v[32:33]
	v_add_f64 v[28:29], v[90:91], v[26:27]
	v_add_f64 v[32:33], v[28:29], -v[90:91]
	v_ldexp_f64 v[10:11], v[10:11], 1
	v_add_f64 v[26:27], v[26:27], -v[32:33]
	v_add_f64 v[10:11], v[10:11], v[26:27]
	v_add_f64 v[26:27], v[28:29], v[10:11]
	v_add_f64 v[28:29], v[26:27], -v[28:29]
	v_add_f64 v[10:11], v[10:11], -v[28:29]
	v_add_f64 v[28:29], v[30:31], v[26:27]
	v_add_f64 v[32:33], v[28:29], -v[30:31]
	v_add_f64 v[90:91], v[28:29], -v[32:33]
	;; [unrolled: 1-line block ×4, first 2 shown]
	v_add_f64 v[26:27], v[26:27], v[30:31]
	v_add_f64 v[30:31], v[88:89], v[10:11]
	v_add_f64 v[32:33], v[30:31], -v[88:89]
	v_add_f64 v[26:27], v[30:31], v[26:27]
	v_add_f64 v[90:91], v[30:31], -v[32:33]
	;; [unrolled: 2-line block ×3, first 2 shown]
	v_add_f64 v[10:11], v[10:11], -v[32:33]
	v_add_f64 v[28:29], v[30:31], -v[28:29]
	v_add_f64 v[10:11], v[10:11], v[88:89]
	v_add_f64 v[26:27], v[26:27], -v[28:29]
	v_add_f64 v[10:11], v[10:11], v[26:27]
	v_max_f64 v[26:27], |v[16:17]|, |v[16:17]|
	v_max_f64 v[28:29], |v[14:15]|, |v[14:15]|
	v_add_f64 v[10:11], v[30:31], v[10:11]
	v_max_f64 v[30:31], v[28:29], v[26:27]
	v_min_f64 v[28:29], v[28:29], v[26:27]
	v_div_scale_f64 v[32:33], s[48:49], v[30:31], v[30:31], v[28:29]
	v_rcp_f64_e32 v[88:89], v[32:33]
	v_cmp_eq_f64_e32 vcc, s[24:25], v[6:7]
	v_cndmask_b32_e32 v7, v11, v7, vcc
	v_cndmask_b32_e32 v6, v10, v6, vcc
	v_mul_f64 v[26:27], v[6:7], 0.5
	v_fma_f64 v[6:7], -v[32:33], v[88:89], 1.0
	v_fmac_f64_e32 v[88:89], v[88:89], v[6:7]
	v_fma_f64 v[6:7], -v[32:33], v[88:89], 1.0
	v_fmac_f64_e32 v[88:89], v[88:89], v[6:7]
	v_div_scale_f64 v[6:7], vcc, v[28:29], v[30:31], v[28:29]
	v_mul_f64 v[10:11], v[6:7], v[88:89]
	v_fma_f64 v[6:7], -v[32:33], v[10:11], v[6:7]
	v_cmp_class_f64_e64 s[50:51], v[14:15], s61
	s_nop 0
	v_div_fmas_f64 v[6:7], v[6:7], v[88:89], v[10:11]
	v_div_fixup_f64 v[6:7], v[6:7], v[30:31], v[28:29]
	v_mul_f64 v[10:11], v[6:7], v[6:7]
	v_pk_mov_b32 v[28:29], v[48:49], v[48:49] op_sel:[0,1]
	v_fmac_f64_e32 v[28:29], s[26:27], v[10:11]
	v_pk_mov_b32 v[30:31], v[50:51], v[50:51] op_sel:[0,1]
	v_fmac_f64_e32 v[30:31], v[10:11], v[28:29]
	;; [unrolled: 2-line block ×19, first 2 shown]
	v_mul_f64 v[10:11], v[10:11], v[28:29]
	v_cmp_gt_i32_e32 vcc, 0, v15
	v_fmac_f64_e32 v[6:7], v[6:7], v[10:11]
	v_cndmask_b32_e32 v10, v109, v110, vcc
	v_bfi_b32 v12, s59, v10, v17
	v_ashrrev_i32_e32 v10, 31, v15
	v_and_b32_e32 v14, 0x400921fb, v10
	v_and_b32_e32 v15, 0x54442d18, v10
	v_add_f64 v[10:11], -v[6:7], s[28:29]
	v_cndmask_b32_e64 v7, v7, v11, s[0:1]
	v_cndmask_b32_e64 v6, v6, v10, s[0:1]
	s_mov_b32 s30, s28
	v_add_f64 v[10:11], -v[6:7], s[30:31]
	v_cmp_class_f64_e64 s[48:49], v[16:17], s61
	v_cndmask_b32_e32 v8, v107, v108, vcc
	v_cndmask_b32_e32 v7, v7, v11, vcc
	;; [unrolled: 1-line block ×3, first 2 shown]
	v_cmp_eq_f64_e32 vcc, 0, v[16:17]
	v_cndmask_b32_e32 v6, v6, v15, vcc
	v_cndmask_b32_e32 v7, v7, v14, vcc
	s_and_b64 vcc, s[50:51], s[48:49]
	v_cndmask_b32_e32 v29, v7, v12, vcc
	v_cndmask_b32_e32 v28, v6, v8, vcc
                                        ; implicit-def: $vgpr6_vgpr7
.LBB174_251:                            ;   in Loop: Header=BB174_162 Depth=1
	s_andn2_saveexec_b64 s[46:47], s[46:47]
	s_cbranch_execz .LBB174_253
; %bb.252:                              ;   in Loop: Header=BB174_162 Depth=1
	v_max_f64 v[10:11], |v[16:17]|, |v[16:17]|
	v_max_f64 v[26:27], |v[14:15]|, |v[14:15]|
	v_max_f64 v[28:29], v[26:27], v[10:11]
	v_min_f64 v[10:11], v[26:27], v[10:11]
	v_div_scale_f64 v[30:31], s[48:49], v[28:29], v[28:29], v[10:11]
	v_rcp_f64_e32 v[32:33], v[30:31]
	v_mul_f64 v[26:27], v[6:7], 0.5
	v_mul_f64 v[26:27], v[6:7], v[26:27]
	v_cmp_class_f64_e64 s[50:51], v[14:15], s61
	v_fma_f64 v[6:7], -v[30:31], v[32:33], 1.0
	v_fmac_f64_e32 v[32:33], v[32:33], v[6:7]
	v_fma_f64 v[6:7], -v[30:31], v[32:33], 1.0
	v_fmac_f64_e32 v[32:33], v[32:33], v[6:7]
	v_div_scale_f64 v[6:7], vcc, v[10:11], v[28:29], v[10:11]
	v_mul_f64 v[88:89], v[6:7], v[32:33]
	v_fma_f64 v[6:7], -v[30:31], v[88:89], v[6:7]
	v_pk_mov_b32 v[30:31], v[50:51], v[50:51] op_sel:[0,1]
	s_nop 0
	v_div_fmas_f64 v[6:7], v[6:7], v[32:33], v[88:89]
	v_div_fixup_f64 v[6:7], v[6:7], v[28:29], v[10:11]
	v_mul_f64 v[10:11], v[6:7], v[6:7]
	v_pk_mov_b32 v[28:29], v[48:49], v[48:49] op_sel:[0,1]
	v_fmac_f64_e32 v[28:29], s[26:27], v[10:11]
	v_fmac_f64_e32 v[30:31], v[10:11], v[28:29]
	v_pk_mov_b32 v[28:29], v[52:53], v[52:53] op_sel:[0,1]
	v_fmac_f64_e32 v[28:29], v[10:11], v[30:31]
	v_pk_mov_b32 v[30:31], v[54:55], v[54:55] op_sel:[0,1]
	;; [unrolled: 2-line block ×17, first 2 shown]
	v_fmac_f64_e32 v[28:29], v[10:11], v[30:31]
	v_mul_f64 v[10:11], v[10:11], v[28:29]
	v_cmp_gt_i32_e32 vcc, 0, v15
	v_fmac_f64_e32 v[6:7], v[6:7], v[10:11]
	v_cndmask_b32_e32 v10, v109, v110, vcc
	v_bfi_b32 v12, s59, v10, v17
	v_ashrrev_i32_e32 v10, 31, v15
	v_and_b32_e32 v14, 0x400921fb, v10
	v_and_b32_e32 v15, 0x54442d18, v10
	v_add_f64 v[10:11], -v[6:7], s[28:29]
	v_cndmask_b32_e64 v7, v7, v11, s[0:1]
	v_cndmask_b32_e64 v6, v6, v10, s[0:1]
	s_mov_b32 s30, s28
	v_add_f64 v[10:11], -v[6:7], s[30:31]
	v_cmp_class_f64_e64 s[48:49], v[16:17], s61
	v_cndmask_b32_e32 v8, v107, v108, vcc
	v_cndmask_b32_e32 v7, v7, v11, vcc
	;; [unrolled: 1-line block ×3, first 2 shown]
	v_cmp_eq_f64_e32 vcc, 0, v[16:17]
	v_cndmask_b32_e32 v6, v6, v15, vcc
	v_cndmask_b32_e32 v7, v7, v14, vcc
	s_and_b64 vcc, s[50:51], s[48:49]
	v_cndmask_b32_e32 v29, v7, v12, vcc
	v_cndmask_b32_e32 v28, v6, v8, vcc
.LBB174_253:                            ;   in Loop: Header=BB174_162 Depth=1
	s_or_b64 exec, exec, s[46:47]
.LBB174_254:                            ;   in Loop: Header=BB174_162 Depth=1
	s_or_b64 exec, exec, s[2:3]
.LBB174_255:                            ;   in Loop: Header=BB174_162 Depth=1
	s_andn2_saveexec_b64 s[46:47], s[4:5]
	s_cbranch_execz .LBB174_257
; %bb.256:                              ;   in Loop: Header=BB174_162 Depth=1
	v_div_scale_f64 v[6:7], s[2:3], s[38:39], s[38:39], v[14:15]
	v_rcp_f64_e32 v[10:11], v[6:7]
	v_div_scale_f64 v[26:27], vcc, v[14:15], s[38:39], v[14:15]
	s_mov_b32 s30, s28
	v_fma_f64 v[28:29], -v[6:7], v[10:11], 1.0
	v_fmac_f64_e32 v[10:11], v[10:11], v[28:29]
	v_fma_f64 v[28:29], -v[6:7], v[10:11], 1.0
	v_fmac_f64_e32 v[10:11], v[10:11], v[28:29]
	v_mul_f64 v[28:29], v[26:27], v[10:11]
	v_fma_f64 v[6:7], -v[6:7], v[28:29], v[26:27]
	v_div_scale_f64 v[26:27], s[2:3], s[38:39], s[38:39], v[16:17]
	v_rcp_f64_e32 v[30:31], v[26:27]
	v_div_fmas_f64 v[6:7], v[6:7], v[10:11], v[28:29]
	v_div_fixup_f64 v[6:7], v[6:7], s[38:39], v[14:15]
	v_cmp_class_f64_e64 s[4:5], v[6:7], s61
	v_fma_f64 v[10:11], -v[26:27], v[30:31], 1.0
	v_fmac_f64_e32 v[30:31], v[30:31], v[10:11]
	v_fma_f64 v[10:11], -v[26:27], v[30:31], 1.0
	v_fmac_f64_e32 v[30:31], v[30:31], v[10:11]
	v_div_scale_f64 v[10:11], vcc, v[16:17], s[38:39], v[16:17]
	v_mul_f64 v[28:29], v[10:11], v[30:31]
	v_fma_f64 v[10:11], -v[26:27], v[28:29], v[10:11]
	s_nop 1
	v_div_fmas_f64 v[10:11], v[10:11], v[30:31], v[28:29]
	v_div_fixup_f64 v[10:11], v[10:11], s[38:39], v[16:17]
	v_max_f64 v[26:27], |v[6:7]|, |v[10:11]|
	v_frexp_exp_i32_f64_e32 v8, v[26:27]
	v_sub_u32_e32 v12, 0, v8
	v_ldexp_f64 v[28:29], |v[10:11]|, v12
	v_ldexp_f64 v[26:27], |v[6:7]|, v12
	v_mul_f64 v[28:29], v[28:29], v[28:29]
	v_fmac_f64_e32 v[28:29], v[26:27], v[26:27]
	v_rsq_f64_e32 v[26:27], v[28:29]
	v_cmp_eq_f64_e32 vcc, 0, v[28:29]
	v_cmp_o_f64_e64 s[2:3], v[6:7], v[10:11]
	v_cmp_class_f64_e64 s[48:49], v[10:11], s61
	v_mul_f64 v[30:31], v[28:29], v[26:27]
	v_mul_f64 v[26:27], v[26:27], 0.5
	v_fma_f64 v[32:33], -v[26:27], v[30:31], 0.5
	v_fmac_f64_e32 v[30:31], v[30:31], v[32:33]
	v_fmac_f64_e32 v[26:27], v[26:27], v[32:33]
	v_fma_f64 v[32:33], -v[30:31], v[30:31], v[28:29]
	v_fmac_f64_e32 v[30:31], v[32:33], v[26:27]
	v_cndmask_b32_e32 v27, v31, v29, vcc
	v_cndmask_b32_e32 v26, v30, v28, vcc
	v_ldexp_f64 v[26:27], v[26:27], v8
	v_cndmask_b32_e64 v8, 0, v26, s[2:3]
	v_cndmask_b32_e64 v12, v105, v27, s[2:3]
	s_or_b64 vcc, s[4:5], s[48:49]
	v_cndmask_b32_e32 v7, v12, v112, vcc
	v_cndmask_b32_e64 v6, v8, 0, vcc
	v_frexp_mant_f64_e32 v[10:11], v[6:7]
	v_cmp_gt_f64_e64 s[4:5], s[14:15], v[10:11]
	v_cndmask_b32_e64 v35, v111, 2.0, s[4:5]
	v_frexp_exp_i32_f64_e32 v28, v[6:7]
	v_mul_f64 v[10:11], v[10:11], v[34:35]
	v_subbrev_co_u32_e64 v35, s[4:5], 0, v28, s[4:5]
	v_add_f64 v[28:29], v[10:11], 1.0
	v_rcp_f64_e32 v[30:31], v[28:29]
	v_add_f64 v[88:89], v[28:29], -1.0
	v_add_f64 v[32:33], v[10:11], -1.0
	v_add_f64 v[10:11], v[10:11], -v[88:89]
	v_fma_f64 v[88:89], -v[28:29], v[30:31], 1.0
	v_fmac_f64_e32 v[30:31], v[88:89], v[30:31]
	v_fma_f64 v[88:89], -v[28:29], v[30:31], 1.0
	v_fmac_f64_e32 v[30:31], v[88:89], v[30:31]
	v_mul_f64 v[88:89], v[32:33], v[30:31]
	v_mul_f64 v[90:91], v[28:29], v[88:89]
	v_fma_f64 v[28:29], v[88:89], v[28:29], -v[90:91]
	v_fmac_f64_e32 v[28:29], v[88:89], v[10:11]
	v_add_f64 v[10:11], v[90:91], v[28:29]
	v_add_f64 v[92:93], v[32:33], -v[10:11]
	v_add_f64 v[90:91], v[10:11], -v[90:91]
	;; [unrolled: 1-line block ×5, first 2 shown]
	v_add_f64 v[10:11], v[28:29], v[10:11]
	v_add_f64 v[10:11], v[92:93], v[10:11]
	v_mul_f64 v[10:11], v[30:31], v[10:11]
	v_add_f64 v[28:29], v[88:89], v[10:11]
	v_add_f64 v[30:31], v[28:29], -v[88:89]
	v_add_f64 v[10:11], v[10:11], -v[30:31]
	v_mul_f64 v[30:31], v[28:29], v[28:29]
	v_pk_mov_b32 v[32:33], v[36:37], v[36:37] op_sel:[0,1]
	v_fmac_f64_e32 v[32:33], s[18:19], v[30:31]
	v_pk_mov_b32 v[88:89], v[38:39], v[38:39] op_sel:[0,1]
	v_fmac_f64_e32 v[88:89], v[30:31], v[32:33]
	;; [unrolled: 2-line block ×6, first 2 shown]
	v_ldexp_f64 v[32:33], v[28:29], 1
	v_mul_f64 v[28:29], v[28:29], v[30:31]
	v_mul_f64 v[28:29], v[28:29], v[88:89]
	v_add_f64 v[30:31], v[32:33], v[28:29]
	v_add_f64 v[32:33], v[30:31], -v[32:33]
	v_ldexp_f64 v[10:11], v[10:11], 1
	v_add_f64 v[28:29], v[28:29], -v[32:33]
	v_add_f64 v[10:11], v[10:11], v[28:29]
	v_add_f64 v[28:29], v[30:31], v[10:11]
	v_add_f64 v[30:31], v[28:29], -v[30:31]
	v_add_f64 v[10:11], v[10:11], -v[30:31]
	v_cvt_f64_i32_e32 v[30:31], v35
	v_mul_f64 v[32:33], v[30:31], s[20:21]
	v_fma_f64 v[88:89], v[30:31], s[20:21], -v[32:33]
	v_fmac_f64_e32 v[88:89], s[22:23], v[30:31]
	v_add_f64 v[30:31], v[32:33], v[88:89]
	v_add_f64 v[32:33], v[30:31], -v[32:33]
	v_add_f64 v[32:33], v[88:89], -v[32:33]
	v_add_f64 v[88:89], v[30:31], v[28:29]
	v_add_f64 v[90:91], v[88:89], -v[30:31]
	v_add_f64 v[92:93], v[88:89], -v[90:91]
	;; [unrolled: 1-line block ×4, first 2 shown]
	v_add_f64 v[28:29], v[28:29], v[30:31]
	v_add_f64 v[30:31], v[32:33], v[10:11]
	v_add_f64 v[90:91], v[30:31], -v[32:33]
	v_add_f64 v[92:93], v[30:31], -v[90:91]
	v_add_f64 v[28:29], v[30:31], v[28:29]
	v_add_f64 v[32:33], v[32:33], -v[92:93]
	v_add_f64 v[10:11], v[10:11], -v[90:91]
	v_add_f64 v[30:31], v[88:89], v[28:29]
	v_add_f64 v[10:11], v[10:11], v[32:33]
	v_add_f64 v[32:33], v[30:31], -v[88:89]
	v_add_f64 v[28:29], v[28:29], -v[32:33]
	v_and_b32_e32 v27, 0x7fffffff, v27
	v_add_f64 v[10:11], v[10:11], v[28:29]
	v_cmp_eq_f64_e64 s[4:5], s[24:25], v[26:27]
	v_add_f64 v[10:11], v[30:31], v[10:11]
	s_and_b64 s[2:3], s[2:3], s[4:5]
	v_cndmask_b32_e64 v11, v11, v12, s[2:3]
	v_cndmask_b32_e64 v10, v10, v8, s[2:3]
	v_add_f64 v[10:11], v[10:11], 1.0
	v_cndmask_b32_e64 v8, v10, 0, vcc
	v_cndmask_b32_e32 v10, v11, v112, vcc
	v_cmp_ngt_f64_e32 vcc, 0, v[6:7]
	v_cndmask_b32_e32 v12, v105, v10, vcc
	v_max_f64 v[10:11], |v[16:17]|, |v[16:17]|
	v_max_f64 v[26:27], |v[14:15]|, |v[14:15]|
	v_max_f64 v[28:29], v[26:27], v[10:11]
	v_min_f64 v[10:11], v[26:27], v[10:11]
	v_div_scale_f64 v[30:31], s[2:3], v[28:29], v[28:29], v[10:11]
	v_rcp_f64_e32 v[32:33], v[30:31]
	v_cmp_nge_f64_e32 vcc, 0, v[6:7]
	v_cndmask_b32_e32 v26, 0, v8, vcc
	v_cmp_neq_f64_e32 vcc, 0, v[6:7]
	v_fma_f64 v[6:7], -v[30:31], v[32:33], 1.0
	v_fmac_f64_e32 v[32:33], v[32:33], v[6:7]
	v_fma_f64 v[6:7], -v[30:31], v[32:33], 1.0
	v_cndmask_b32_e32 v27, v106, v12, vcc
	v_fmac_f64_e32 v[32:33], v[32:33], v[6:7]
	v_div_scale_f64 v[6:7], vcc, v[10:11], v[28:29], v[10:11]
	v_mul_f64 v[88:89], v[6:7], v[32:33]
	v_fma_f64 v[6:7], -v[30:31], v[88:89], v[6:7]
	v_pk_mov_b32 v[30:31], v[50:51], v[50:51] op_sel:[0,1]
	s_nop 0
	v_div_fmas_f64 v[6:7], v[6:7], v[32:33], v[88:89]
	v_div_fixup_f64 v[6:7], v[6:7], v[28:29], v[10:11]
	v_mul_f64 v[10:11], v[6:7], v[6:7]
	v_pk_mov_b32 v[28:29], v[48:49], v[48:49] op_sel:[0,1]
	v_fmac_f64_e32 v[28:29], s[26:27], v[10:11]
	v_fmac_f64_e32 v[30:31], v[10:11], v[28:29]
	v_pk_mov_b32 v[28:29], v[52:53], v[52:53] op_sel:[0,1]
	v_fmac_f64_e32 v[28:29], v[10:11], v[30:31]
	v_pk_mov_b32 v[30:31], v[54:55], v[54:55] op_sel:[0,1]
	;; [unrolled: 2-line block ×17, first 2 shown]
	v_fmac_f64_e32 v[28:29], v[10:11], v[30:31]
	v_mul_f64 v[10:11], v[10:11], v[28:29]
	v_cmp_gt_i32_e32 vcc, 0, v15
	v_fmac_f64_e32 v[6:7], v[6:7], v[10:11]
	v_cndmask_b32_e32 v10, v109, v110, vcc
	v_bfi_b32 v12, s59, v10, v17
	v_ashrrev_i32_e32 v10, 31, v15
	v_cmp_class_f64_e64 s[4:5], v[14:15], s61
	v_and_b32_e32 v14, 0x400921fb, v10
	v_and_b32_e32 v15, 0x54442d18, v10
	v_add_f64 v[10:11], -v[6:7], s[28:29]
	v_cndmask_b32_e64 v7, v7, v11, s[0:1]
	v_cndmask_b32_e64 v6, v6, v10, s[0:1]
	v_add_f64 v[10:11], -v[6:7], s[30:31]
	v_cmp_class_f64_e64 s[2:3], v[16:17], s61
	v_cndmask_b32_e32 v8, v107, v108, vcc
	v_cndmask_b32_e32 v7, v7, v11, vcc
	;; [unrolled: 1-line block ×3, first 2 shown]
	v_cmp_eq_f64_e32 vcc, 0, v[16:17]
	v_cndmask_b32_e32 v6, v6, v15, vcc
	v_cndmask_b32_e32 v7, v7, v14, vcc
	s_and_b64 vcc, s[4:5], s[2:3]
	v_cndmask_b32_e32 v29, v7, v12, vcc
	v_cndmask_b32_e32 v28, v6, v8, vcc
.LBB174_257:                            ;   in Loop: Header=BB174_162 Depth=1
	s_or_b64 exec, exec, s[46:47]
.LBB174_258:                            ;   in Loop: Header=BB174_162 Depth=1
	s_andn2_saveexec_b64 s[0:1], s[44:45]
	s_cbranch_execz .LBB174_264
; %bb.259:                              ;   in Loop: Header=BB174_162 Depth=1
	v_cmp_nlt_f64_e64 s[2:3], |v[14:15]|, s[40:41]
	v_cmp_nlt_f64_e64 s[4:5], |v[16:17]|, s[40:41]
	s_or_b64 s[2:3], s[2:3], s[4:5]
                                        ; implicit-def: $vgpr6_vgpr7
	s_and_saveexec_b64 s[4:5], s[2:3]
	s_xor_b64 s[2:3], exec, s[4:5]
; %bb.260:                              ;   in Loop: Header=BB174_162 Depth=1
	v_mul_f64 v[6:7], v[16:17], v[16:17]
	v_fmac_f64_e32 v[6:7], v[14:15], v[14:15]
; %bb.261:                              ;   in Loop: Header=BB174_162 Depth=1
	s_andn2_saveexec_b64 s[2:3], s[2:3]
; %bb.262:                              ;   in Loop: Header=BB174_162 Depth=1
	v_mul_f64 v[10:11], v[16:17], 4.0
	v_mul_f64 v[6:7], v[14:15], 4.0
	v_mul_f64 v[10:11], v[10:11], v[10:11]
	v_fmac_f64_e32 v[10:11], v[6:7], v[6:7]
	v_ldexp_f64 v[6:7], v[10:11], -4
; %bb.263:                              ;   in Loop: Header=BB174_162 Depth=1
	s_or_b64 exec, exec, s[2:3]
	v_frexp_mant_f64_e32 v[10:11], v[6:7]
	v_cmp_gt_f64_e32 vcc, s[14:15], v[10:11]
	v_cndmask_b32_e64 v35, v111, 2.0, vcc
	v_mul_f64 v[10:11], v[10:11], v[34:35]
	v_add_f64 v[14:15], v[10:11], 1.0
	v_rcp_f64_e32 v[26:27], v[14:15]
	v_add_f64 v[30:31], v[14:15], -1.0
	v_add_f64 v[28:29], v[10:11], -1.0
	v_add_f64 v[10:11], v[10:11], -v[30:31]
	v_fma_f64 v[30:31], -v[14:15], v[26:27], 1.0
	v_fmac_f64_e32 v[26:27], v[30:31], v[26:27]
	v_fma_f64 v[30:31], -v[14:15], v[26:27], 1.0
	v_fmac_f64_e32 v[26:27], v[30:31], v[26:27]
	v_mul_f64 v[30:31], v[28:29], v[26:27]
	v_mul_f64 v[32:33], v[14:15], v[30:31]
	v_fma_f64 v[14:15], v[30:31], v[14:15], -v[32:33]
	v_fmac_f64_e32 v[14:15], v[30:31], v[10:11]
	v_add_f64 v[10:11], v[32:33], v[14:15]
	v_add_f64 v[88:89], v[28:29], -v[10:11]
	v_add_f64 v[32:33], v[10:11], -v[32:33]
	;; [unrolled: 1-line block ×5, first 2 shown]
	v_add_f64 v[10:11], v[14:15], v[10:11]
	v_add_f64 v[10:11], v[88:89], v[10:11]
	v_mul_f64 v[10:11], v[26:27], v[10:11]
	v_add_f64 v[14:15], v[30:31], v[10:11]
	v_add_f64 v[26:27], v[14:15], -v[30:31]
	v_add_f64 v[10:11], v[10:11], -v[26:27]
	v_mul_f64 v[26:27], v[14:15], v[14:15]
	v_pk_mov_b32 v[28:29], v[36:37], v[36:37] op_sel:[0,1]
	v_fmac_f64_e32 v[28:29], s[18:19], v[26:27]
	v_pk_mov_b32 v[30:31], v[38:39], v[38:39] op_sel:[0,1]
	v_fmac_f64_e32 v[30:31], v[26:27], v[28:29]
	;; [unrolled: 2-line block ×6, first 2 shown]
	v_ldexp_f64 v[28:29], v[14:15], 1
	v_mul_f64 v[14:15], v[14:15], v[26:27]
	v_mul_f64 v[14:15], v[14:15], v[30:31]
	v_add_f64 v[26:27], v[28:29], v[14:15]
	v_add_f64 v[28:29], v[26:27], -v[28:29]
	v_ldexp_f64 v[10:11], v[10:11], 1
	v_add_f64 v[14:15], v[14:15], -v[28:29]
	v_add_f64 v[10:11], v[10:11], v[14:15]
	v_frexp_exp_i32_f64_e32 v8, v[6:7]
	v_add_f64 v[14:15], v[26:27], v[10:11]
	v_subbrev_co_u32_e32 v8, vcc, 0, v8, vcc
	v_add_f64 v[26:27], v[14:15], -v[26:27]
	v_add_f64 v[10:11], v[10:11], -v[26:27]
	v_cvt_f64_i32_e32 v[26:27], v8
	v_mul_f64 v[28:29], v[26:27], s[20:21]
	v_fma_f64 v[30:31], v[26:27], s[20:21], -v[28:29]
	v_fmac_f64_e32 v[30:31], s[22:23], v[26:27]
	v_add_f64 v[26:27], v[28:29], v[30:31]
	v_add_f64 v[28:29], v[26:27], -v[28:29]
	v_add_f64 v[28:29], v[30:31], -v[28:29]
	v_add_f64 v[30:31], v[26:27], v[14:15]
	v_add_f64 v[32:33], v[30:31], -v[26:27]
	v_add_f64 v[88:89], v[30:31], -v[32:33]
	;; [unrolled: 1-line block ×4, first 2 shown]
	v_add_f64 v[14:15], v[14:15], v[26:27]
	v_add_f64 v[26:27], v[28:29], v[10:11]
	v_add_f64 v[32:33], v[26:27], -v[28:29]
	v_add_f64 v[88:89], v[26:27], -v[32:33]
	v_add_f64 v[14:15], v[26:27], v[14:15]
	v_add_f64 v[28:29], v[28:29], -v[88:89]
	v_add_f64 v[10:11], v[10:11], -v[32:33]
	v_add_f64 v[26:27], v[30:31], v[14:15]
	v_add_f64 v[10:11], v[10:11], v[28:29]
	v_add_f64 v[28:29], v[26:27], -v[30:31]
	v_add_f64 v[14:15], v[14:15], -v[28:29]
	v_add_f64 v[10:11], v[10:11], v[14:15]
	v_add_f64 v[10:11], v[26:27], v[10:11]
	v_cmp_class_f64_e64 vcc, v[6:7], s61
	v_cndmask_b32_e32 v8, v10, v6, vcc
	v_cndmask_b32_e32 v10, v11, v7, vcc
	v_cmp_ngt_f64_e32 vcc, 0, v[6:7]
	v_cndmask_b32_e32 v10, v105, v10, vcc
	v_cmp_nge_f64_e32 vcc, 0, v[6:7]
	v_cndmask_b32_e32 v26, 0, v8, vcc
	v_cmp_neq_f64_e32 vcc, 0, v[6:7]
	v_mov_b32_e32 v28, 0
	v_cndmask_b32_e32 v27, v106, v10, vcc
	v_mov_b32_e32 v29, 0x7ff80000
.LBB174_264:                            ;   in Loop: Header=BB174_162 Depth=1
	s_or_b64 exec, exec, s[0:1]
	v_cmp_o_f64_e32 vcc, v[2:3], v[4:5]
                                        ; implicit-def: $vgpr30_vgpr31
	s_and_saveexec_b64 s[0:1], vcc
	s_xor_b64 s[44:45], exec, s[0:1]
	s_cbranch_execz .LBB174_292
; %bb.265:                              ;   in Loop: Header=BB174_162 Depth=1
	v_and_b32_e32 v10, 0x7fffffff, v3
	v_and_b32_e32 v11, 0x7fffffff, v5
	v_mov_b32_e32 v8, v4
	v_cmp_lt_f64_e64 s[0:1], |v[2:3]|, |v[4:5]|
	v_cndmask_b32_e64 v7, v11, v10, s[0:1]
	v_cndmask_b32_e64 v6, v8, v2, s[0:1]
	v_cmp_nlt_f64_e32 vcc, s[8:9], v[6:7]
                                        ; implicit-def: $vgpr30_vgpr31
	s_and_saveexec_b64 s[2:3], vcc
	s_xor_b64 s[4:5], exec, s[2:3]
	s_cbranch_execz .LBB174_289
; %bb.266:                              ;   in Loop: Header=BB174_162 Depth=1
	v_cndmask_b32_e64 v15, v10, v11, s[0:1]
	v_cndmask_b32_e64 v14, v2, v8, s[0:1]
	v_cmp_neq_f64_e32 vcc, 1.0, v[14:15]
                                        ; implicit-def: $vgpr30_vgpr31
	s_and_saveexec_b64 s[2:3], vcc
	s_xor_b64 s[46:47], exec, s[2:3]
	s_cbranch_execz .LBB174_282
; %bb.267:                              ;   in Loop: Header=BB174_162 Depth=1
	v_max_f64 v[10:11], v[6:7], v[6:7]
	v_max_f64 v[30:31], v[14:15], v[14:15]
	v_min_f64 v[32:33], v[30:31], v[10:11]
	v_max_f64 v[10:11], v[30:31], v[10:11]
	v_cmp_ngt_f64_e32 vcc, s[10:11], v[32:33]
	v_cmp_nlt_f64_e64 s[2:3], s[12:13], v[10:11]
	s_and_b64 s[2:3], s[2:3], vcc
                                        ; implicit-def: $vgpr30_vgpr31
	s_and_saveexec_b64 s[48:49], s[2:3]
	s_xor_b64 s[48:49], exec, s[48:49]
	s_cbranch_execz .LBB174_279
; %bb.268:                              ;   in Loop: Header=BB174_162 Depth=1
	v_cmp_le_f64_e32 vcc, 1.0, v[14:15]
                                        ; implicit-def: $vgpr30_vgpr31
	s_and_saveexec_b64 s[2:3], vcc
	s_xor_b64 s[2:3], exec, s[2:3]
	s_cbranch_execz .LBB174_270
; %bb.269:                              ;   in Loop: Header=BB174_162 Depth=1
	v_add_f64 v[10:11], v[14:15], -1.0
	v_add_f64 v[14:15], v[14:15], 1.0
	v_mul_f64 v[10:11], v[10:11], v[14:15]
	v_fmac_f64_e32 v[10:11], v[6:7], v[6:7]
	v_add_f64 v[6:7], v[10:11], 1.0
	v_add_f64 v[14:15], v[6:7], -1.0
	v_add_f64 v[30:31], v[14:15], -v[6:7]
	v_add_f64 v[30:31], v[30:31], 1.0
	v_add_f64 v[14:15], v[10:11], -v[14:15]
	v_add_f64 v[14:15], v[14:15], v[30:31]
	v_frexp_mant_f64_e32 v[30:31], v[6:7]
	v_frexp_exp_i32_f64_e32 v8, v[6:7]
	v_cmp_gt_f64_e32 vcc, s[14:15], v[30:31]
	v_subbrev_co_u32_e32 v8, vcc, 0, v8, vcc
	v_sub_u32_e32 v12, 0, v8
	v_ldexp_f64 v[6:7], v[6:7], v12
	v_add_f64 v[30:31], v[6:7], -1.0
	v_add_f64 v[90:91], v[6:7], 1.0
	v_add_f64 v[32:33], v[30:31], 1.0
	v_add_f64 v[92:93], v[90:91], -1.0
	v_ldexp_f64 v[14:15], v[14:15], v12
	v_add_f64 v[32:33], v[6:7], -v[32:33]
	v_add_f64 v[6:7], v[6:7], -v[92:93]
	v_add_f64 v[6:7], v[14:15], v[6:7]
	v_add_f64 v[32:33], v[14:15], v[32:33]
	;; [unrolled: 1-line block ×3, first 2 shown]
	v_rcp_f64_e32 v[92:93], v[14:15]
	v_add_f64 v[88:89], v[30:31], v[32:33]
	v_add_f64 v[30:31], v[88:89], -v[30:31]
	v_add_f64 v[30:31], v[32:33], -v[30:31]
	;; [unrolled: 1-line block ×4, first 2 shown]
	v_fma_f64 v[32:33], -v[14:15], v[92:93], 1.0
	v_fmac_f64_e32 v[92:93], v[32:33], v[92:93]
	v_fma_f64 v[32:33], -v[14:15], v[92:93], 1.0
	v_fmac_f64_e32 v[92:93], v[32:33], v[92:93]
	v_mul_f64 v[32:33], v[88:89], v[92:93]
	v_mul_f64 v[90:91], v[14:15], v[32:33]
	v_fma_f64 v[94:95], v[32:33], v[14:15], -v[90:91]
	v_fmac_f64_e32 v[94:95], v[32:33], v[6:7]
	v_add_f64 v[96:97], v[90:91], v[94:95]
	v_add_f64 v[98:99], v[88:89], -v[96:97]
	v_add_f64 v[88:89], v[88:89], -v[98:99]
	;; [unrolled: 1-line block ×4, first 2 shown]
	v_add_f64 v[30:31], v[30:31], v[88:89]
	v_add_f64 v[88:89], v[90:91], -v[94:95]
	v_add_f64 v[30:31], v[88:89], v[30:31]
	v_add_f64 v[88:89], v[98:99], v[30:31]
	v_add_f64 v[90:91], v[98:99], -v[88:89]
	v_add_f64 v[30:31], v[30:31], v[90:91]
	v_mul_f64 v[90:91], v[92:93], v[88:89]
	v_mul_f64 v[94:95], v[14:15], v[90:91]
	v_fma_f64 v[14:15], v[90:91], v[14:15], -v[94:95]
	v_fmac_f64_e32 v[14:15], v[90:91], v[6:7]
	v_add_f64 v[6:7], v[94:95], v[14:15]
	v_add_f64 v[96:97], v[88:89], -v[6:7]
	v_add_f64 v[88:89], v[88:89], -v[96:97]
	;; [unrolled: 1-line block ×4, first 2 shown]
	v_add_f64 v[6:7], v[30:31], v[6:7]
	v_add_f64 v[14:15], v[94:95], -v[14:15]
	v_add_f64 v[6:7], v[14:15], v[6:7]
	v_add_f64 v[14:15], v[32:33], v[90:91]
	;; [unrolled: 1-line block ×3, first 2 shown]
	v_add_f64 v[30:31], v[14:15], -v[32:33]
	v_mul_f64 v[6:7], v[92:93], v[6:7]
	v_add_f64 v[30:31], v[90:91], -v[30:31]
	v_add_f64 v[6:7], v[30:31], v[6:7]
	v_add_f64 v[30:31], v[14:15], v[6:7]
	v_add_f64 v[14:15], v[30:31], -v[14:15]
	v_add_f64 v[6:7], v[6:7], -v[14:15]
	v_mul_f64 v[14:15], v[30:31], v[30:31]
	v_pk_mov_b32 v[32:33], v[36:37], v[36:37] op_sel:[0,1]
	v_fmac_f64_e32 v[32:33], s[18:19], v[14:15]
	v_pk_mov_b32 v[88:89], v[38:39], v[38:39] op_sel:[0,1]
	v_fmac_f64_e32 v[88:89], v[14:15], v[32:33]
	v_pk_mov_b32 v[32:33], v[40:41], v[40:41] op_sel:[0,1]
	v_fmac_f64_e32 v[32:33], v[14:15], v[88:89]
	v_pk_mov_b32 v[88:89], v[42:43], v[42:43] op_sel:[0,1]
	v_fmac_f64_e32 v[88:89], v[14:15], v[32:33]
	v_pk_mov_b32 v[32:33], v[44:45], v[44:45] op_sel:[0,1]
	v_fmac_f64_e32 v[32:33], v[14:15], v[88:89]
	v_pk_mov_b32 v[88:89], v[46:47], v[46:47] op_sel:[0,1]
	v_fmac_f64_e32 v[88:89], v[14:15], v[32:33]
	v_cvt_f64_i32_e32 v[32:33], v8
	v_mul_f64 v[90:91], v[32:33], s[20:21]
	v_fma_f64 v[92:93], v[32:33], s[20:21], -v[90:91]
	v_fmac_f64_e32 v[92:93], s[22:23], v[32:33]
	v_add_f64 v[32:33], v[90:91], v[92:93]
	v_add_f64 v[90:91], v[32:33], -v[90:91]
	v_mul_f64 v[14:15], v[30:31], v[14:15]
	v_add_f64 v[90:91], v[92:93], -v[90:91]
	v_ldexp_f64 v[92:93], v[30:31], 1
	v_mul_f64 v[14:15], v[14:15], v[88:89]
	v_add_f64 v[30:31], v[92:93], v[14:15]
	v_add_f64 v[88:89], v[30:31], -v[92:93]
	v_ldexp_f64 v[6:7], v[6:7], 1
	v_add_f64 v[14:15], v[14:15], -v[88:89]
	v_add_f64 v[6:7], v[6:7], v[14:15]
	v_add_f64 v[14:15], v[30:31], v[6:7]
	v_add_f64 v[30:31], v[14:15], -v[30:31]
	v_add_f64 v[6:7], v[6:7], -v[30:31]
	v_add_f64 v[30:31], v[32:33], v[14:15]
	v_add_f64 v[88:89], v[30:31], -v[32:33]
	v_add_f64 v[92:93], v[30:31], -v[88:89]
	;; [unrolled: 1-line block ×4, first 2 shown]
	v_add_f64 v[14:15], v[14:15], v[32:33]
	v_add_f64 v[32:33], v[90:91], v[6:7]
	v_add_f64 v[88:89], v[32:33], -v[90:91]
	v_add_f64 v[14:15], v[32:33], v[14:15]
	v_add_f64 v[92:93], v[32:33], -v[88:89]
	;; [unrolled: 2-line block ×3, first 2 shown]
	v_add_f64 v[6:7], v[6:7], -v[88:89]
	v_add_f64 v[30:31], v[32:33], -v[30:31]
	v_add_f64 v[6:7], v[6:7], v[90:91]
	v_add_f64 v[14:15], v[14:15], -v[30:31]
	v_add_f64 v[6:7], v[6:7], v[14:15]
	v_max_f64 v[14:15], |v[4:5]|, |v[4:5]|
	v_max_f64 v[30:31], |v[2:3]|, |v[2:3]|
	v_add_f64 v[6:7], v[32:33], v[6:7]
	v_max_f64 v[32:33], v[30:31], v[14:15]
	v_min_f64 v[14:15], v[30:31], v[14:15]
	v_cmp_eq_f64_e32 vcc, s[24:25], v[10:11]
	v_div_scale_f64 v[88:89], s[50:51], v[32:33], v[32:33], v[14:15]
	v_cndmask_b32_e32 v7, v7, v11, vcc
	v_cndmask_b32_e32 v6, v6, v10, vcc
	v_rcp_f64_e32 v[90:91], v[88:89]
	v_mul_f64 v[6:7], v[6:7], 0.5
	v_cmp_ngt_f64_e32 vcc, -1.0, v[10:11]
	v_cndmask_b32_e32 v7, v105, v7, vcc
	v_cmp_nge_f64_e32 vcc, -1.0, v[10:11]
	v_cndmask_b32_e32 v30, 0, v6, vcc
	v_cmp_neq_f64_e32 vcc, -1.0, v[10:11]
	v_cndmask_b32_e32 v31, v106, v7, vcc
	v_fma_f64 v[6:7], -v[88:89], v[90:91], 1.0
	v_fmac_f64_e32 v[90:91], v[90:91], v[6:7]
	v_fma_f64 v[6:7], -v[88:89], v[90:91], 1.0
	v_fmac_f64_e32 v[90:91], v[90:91], v[6:7]
	v_div_scale_f64 v[6:7], vcc, v[14:15], v[32:33], v[14:15]
	v_mul_f64 v[10:11], v[6:7], v[90:91]
	v_fma_f64 v[6:7], -v[88:89], v[10:11], v[6:7]
	v_cmp_class_f64_e64 s[52:53], v[2:3], s61
	s_nop 0
	v_div_fmas_f64 v[6:7], v[6:7], v[90:91], v[10:11]
	v_div_fixup_f64 v[6:7], v[6:7], v[32:33], v[14:15]
	v_mul_f64 v[10:11], v[6:7], v[6:7]
	v_pk_mov_b32 v[14:15], v[48:49], v[48:49] op_sel:[0,1]
	v_fmac_f64_e32 v[14:15], s[26:27], v[10:11]
	v_pk_mov_b32 v[32:33], v[50:51], v[50:51] op_sel:[0,1]
	v_fmac_f64_e32 v[32:33], v[10:11], v[14:15]
	;; [unrolled: 2-line block ×19, first 2 shown]
	v_cmp_gt_i32_e32 vcc, 0, v3
	v_mul_f64 v[10:11], v[10:11], v[14:15]
	v_cndmask_b32_e32 v2, v109, v110, vcc
	v_fmac_f64_e32 v[6:7], v[6:7], v[10:11]
	v_bfi_b32 v10, s59, v2, v5
	v_ashrrev_i32_e32 v2, 31, v3
	v_and_b32_e32 v11, 0x400921fb, v2
	v_and_b32_e32 v12, 0x54442d18, v2
	v_add_f64 v[2:3], -v[6:7], s[28:29]
	v_cndmask_b32_e64 v3, v7, v3, s[0:1]
	v_cndmask_b32_e64 v2, v6, v2, s[0:1]
	s_mov_b32 s30, s28
	v_add_f64 v[6:7], -v[2:3], s[30:31]
	v_cmp_class_f64_e64 s[50:51], v[4:5], s61
	v_cndmask_b32_e32 v8, v107, v108, vcc
	v_cndmask_b32_e32 v3, v3, v7, vcc
	;; [unrolled: 1-line block ×3, first 2 shown]
	v_cmp_eq_f64_e32 vcc, 0, v[4:5]
	v_cndmask_b32_e32 v2, v2, v12, vcc
	v_cndmask_b32_e32 v3, v3, v11, vcc
	s_and_b64 vcc, s[52:53], s[50:51]
	v_cndmask_b32_e32 v33, v3, v10, vcc
	v_cndmask_b32_e32 v32, v2, v8, vcc
                                        ; implicit-def: $vgpr6_vgpr7
                                        ; implicit-def: $vgpr14_vgpr15
.LBB174_270:                            ;   in Loop: Header=BB174_162 Depth=1
	s_andn2_saveexec_b64 s[50:51], s[2:3]
	s_cbranch_execz .LBB174_278
; %bb.271:                              ;   in Loop: Header=BB174_162 Depth=1
	v_mul_f64 v[10:11], v[6:7], v[6:7]
	v_fmac_f64_e32 v[10:11], v[14:15], v[14:15]
	v_cmp_ge_f64_e32 vcc, s[34:35], v[10:11]
                                        ; implicit-def: $vgpr30_vgpr31
	s_and_saveexec_b64 s[2:3], vcc
	s_xor_b64 s[2:3], exec, s[2:3]
	s_cbranch_execz .LBB174_273
; %bb.272:                              ;   in Loop: Header=BB174_162 Depth=1
	v_frexp_mant_f64_e32 v[6:7], v[10:11]
	v_cmp_gt_f64_e32 vcc, s[14:15], v[6:7]
	v_cndmask_b32_e64 v35, v111, 2.0, vcc
	v_mul_f64 v[6:7], v[6:7], v[34:35]
	v_add_f64 v[14:15], v[6:7], 1.0
	v_rcp_f64_e32 v[30:31], v[14:15]
	v_add_f64 v[88:89], v[14:15], -1.0
	v_add_f64 v[32:33], v[6:7], -1.0
	v_add_f64 v[6:7], v[6:7], -v[88:89]
	v_fma_f64 v[88:89], -v[14:15], v[30:31], 1.0
	v_fmac_f64_e32 v[30:31], v[88:89], v[30:31]
	v_fma_f64 v[88:89], -v[14:15], v[30:31], 1.0
	v_fmac_f64_e32 v[30:31], v[88:89], v[30:31]
	v_mul_f64 v[88:89], v[32:33], v[30:31]
	v_mul_f64 v[90:91], v[14:15], v[88:89]
	v_fma_f64 v[14:15], v[88:89], v[14:15], -v[90:91]
	v_fmac_f64_e32 v[14:15], v[88:89], v[6:7]
	v_add_f64 v[6:7], v[90:91], v[14:15]
	v_add_f64 v[92:93], v[32:33], -v[6:7]
	v_add_f64 v[90:91], v[6:7], -v[90:91]
	;; [unrolled: 1-line block ×5, first 2 shown]
	v_add_f64 v[6:7], v[14:15], v[6:7]
	v_add_f64 v[6:7], v[92:93], v[6:7]
	v_mul_f64 v[6:7], v[30:31], v[6:7]
	v_add_f64 v[14:15], v[88:89], v[6:7]
	v_add_f64 v[30:31], v[14:15], -v[88:89]
	v_add_f64 v[6:7], v[6:7], -v[30:31]
	v_mul_f64 v[30:31], v[14:15], v[14:15]
	v_pk_mov_b32 v[32:33], v[36:37], v[36:37] op_sel:[0,1]
	v_fmac_f64_e32 v[32:33], s[18:19], v[30:31]
	v_pk_mov_b32 v[88:89], v[38:39], v[38:39] op_sel:[0,1]
	v_fmac_f64_e32 v[88:89], v[30:31], v[32:33]
	;; [unrolled: 2-line block ×6, first 2 shown]
	v_ldexp_f64 v[32:33], v[14:15], 1
	v_mul_f64 v[14:15], v[14:15], v[30:31]
	v_mul_f64 v[14:15], v[14:15], v[88:89]
	v_add_f64 v[30:31], v[32:33], v[14:15]
	v_add_f64 v[32:33], v[30:31], -v[32:33]
	v_ldexp_f64 v[6:7], v[6:7], 1
	v_add_f64 v[14:15], v[14:15], -v[32:33]
	v_add_f64 v[6:7], v[6:7], v[14:15]
	v_frexp_exp_i32_f64_e32 v8, v[10:11]
	v_add_f64 v[14:15], v[30:31], v[6:7]
	v_subbrev_co_u32_e32 v8, vcc, 0, v8, vcc
	v_add_f64 v[30:31], v[14:15], -v[30:31]
	v_add_f64 v[6:7], v[6:7], -v[30:31]
	v_cvt_f64_i32_e32 v[30:31], v8
	v_mul_f64 v[32:33], v[30:31], s[20:21]
	v_fma_f64 v[88:89], v[30:31], s[20:21], -v[32:33]
	v_fmac_f64_e32 v[88:89], s[22:23], v[30:31]
	v_add_f64 v[30:31], v[32:33], v[88:89]
	v_add_f64 v[32:33], v[30:31], -v[32:33]
	v_add_f64 v[32:33], v[88:89], -v[32:33]
	v_add_f64 v[88:89], v[30:31], v[14:15]
	v_add_f64 v[90:91], v[88:89], -v[30:31]
	v_add_f64 v[92:93], v[88:89], -v[90:91]
	;; [unrolled: 1-line block ×4, first 2 shown]
	v_add_f64 v[14:15], v[14:15], v[30:31]
	v_add_f64 v[30:31], v[32:33], v[6:7]
	v_add_f64 v[90:91], v[30:31], -v[32:33]
	v_add_f64 v[92:93], v[30:31], -v[90:91]
	v_add_f64 v[14:15], v[30:31], v[14:15]
	v_add_f64 v[32:33], v[32:33], -v[92:93]
	v_add_f64 v[6:7], v[6:7], -v[90:91]
	v_add_f64 v[30:31], v[88:89], v[14:15]
	v_add_f64 v[6:7], v[6:7], v[32:33]
	v_add_f64 v[32:33], v[30:31], -v[88:89]
	v_add_f64 v[14:15], v[14:15], -v[32:33]
	v_add_f64 v[6:7], v[6:7], v[14:15]
	v_add_f64 v[6:7], v[30:31], v[6:7]
	v_max_f64 v[14:15], |v[4:5]|, |v[4:5]|
	v_max_f64 v[30:31], |v[2:3]|, |v[2:3]|
	v_max_f64 v[32:33], v[30:31], v[14:15]
	v_min_f64 v[14:15], v[30:31], v[14:15]
	v_div_scale_f64 v[88:89], s[52:53], v[32:33], v[32:33], v[14:15]
	v_rcp_f64_e32 v[90:91], v[88:89]
	v_mul_f64 v[6:7], v[6:7], 0.5
	v_cmp_neq_f64_e32 vcc, 0, v[10:11]
	v_cndmask_b32_e32 v31, v106, v7, vcc
	v_cndmask_b32_e32 v30, 0, v6, vcc
	v_fma_f64 v[6:7], -v[88:89], v[90:91], 1.0
	v_fmac_f64_e32 v[90:91], v[90:91], v[6:7]
	v_fma_f64 v[6:7], -v[88:89], v[90:91], 1.0
	v_fmac_f64_e32 v[90:91], v[90:91], v[6:7]
	v_div_scale_f64 v[6:7], vcc, v[14:15], v[32:33], v[14:15]
	v_mul_f64 v[10:11], v[6:7], v[90:91]
	v_fma_f64 v[6:7], -v[88:89], v[10:11], v[6:7]
	v_cmp_class_f64_e64 s[54:55], v[2:3], s61
	s_nop 0
	v_div_fmas_f64 v[6:7], v[6:7], v[90:91], v[10:11]
	v_div_fixup_f64 v[6:7], v[6:7], v[32:33], v[14:15]
	v_mul_f64 v[10:11], v[6:7], v[6:7]
	v_pk_mov_b32 v[14:15], v[48:49], v[48:49] op_sel:[0,1]
	v_fmac_f64_e32 v[14:15], s[26:27], v[10:11]
	v_pk_mov_b32 v[32:33], v[50:51], v[50:51] op_sel:[0,1]
	v_fmac_f64_e32 v[32:33], v[10:11], v[14:15]
	;; [unrolled: 2-line block ×19, first 2 shown]
	v_cmp_gt_i32_e32 vcc, 0, v3
	v_mul_f64 v[10:11], v[10:11], v[14:15]
	v_cndmask_b32_e32 v2, v109, v110, vcc
	v_fmac_f64_e32 v[6:7], v[6:7], v[10:11]
	v_bfi_b32 v10, s59, v2, v5
	v_ashrrev_i32_e32 v2, 31, v3
	v_and_b32_e32 v11, 0x400921fb, v2
	v_and_b32_e32 v12, 0x54442d18, v2
	v_add_f64 v[2:3], -v[6:7], s[28:29]
	v_cndmask_b32_e64 v3, v7, v3, s[0:1]
	v_cndmask_b32_e64 v2, v6, v2, s[0:1]
	s_mov_b32 s30, s28
	v_add_f64 v[6:7], -v[2:3], s[30:31]
	v_cmp_class_f64_e64 s[52:53], v[4:5], s61
	v_cndmask_b32_e32 v8, v107, v108, vcc
	v_cndmask_b32_e32 v3, v3, v7, vcc
	;; [unrolled: 1-line block ×3, first 2 shown]
	v_cmp_eq_f64_e32 vcc, 0, v[4:5]
	v_cndmask_b32_e32 v2, v2, v12, vcc
	v_cndmask_b32_e32 v3, v3, v11, vcc
	s_and_b64 vcc, s[54:55], s[52:53]
	v_cndmask_b32_e32 v33, v3, v10, vcc
	v_cndmask_b32_e32 v32, v2, v8, vcc
                                        ; implicit-def: $vgpr14_vgpr15
                                        ; implicit-def: $vgpr6_vgpr7
.LBB174_273:                            ;   in Loop: Header=BB174_162 Depth=1
	s_andn2_saveexec_b64 s[52:53], s[2:3]
	s_cbranch_execz .LBB174_277
; %bb.274:                              ;   in Loop: Header=BB174_162 Depth=1
	v_and_b32_e32 v35, 0x7ffffff8, v15
	v_add_f64 v[10:11], v[14:15], -v[34:35]
	v_and_b32_e32 v15, 0x7ffffff8, v7
	v_mov_b32_e32 v14, v34
	v_add_f64 v[6:7], v[6:7], -v[14:15]
	v_and_b32_e32 v95, -8, v11
	v_mov_b32_e32 v94, v34
	v_and_b32_e32 v97, -8, v7
	v_mov_b32_e32 v96, v34
	v_add_f64 v[88:89], v[34:35], v[34:35]
	v_add_f64 v[102:103], v[14:15], v[14:15]
	v_add_f64 v[98:99], v[10:11], -v[94:95]
	v_add_f64 v[100:101], v[6:7], -v[96:97]
	v_mul_f64 v[10:11], v[14:15], v[14:15]
	v_mul_f64 v[32:33], v[88:89], v[94:95]
	;; [unrolled: 1-line block ×5, first 2 shown]
	v_add_f64 v[94:95], v[94:95], v[94:95]
	v_add_f64 v[96:97], v[96:97], v[96:97]
	v_mul_f64 v[6:7], v[34:35], v[34:35]
	v_mul_f64 v[90:91], v[88:89], v[98:99]
	;; [unrolled: 1-line block ×7, first 2 shown]
	s_mov_b64 s[54:55], 0
.LBB174_275:                            ;   Parent Loop BB174_162 Depth=1
                                        ; =>  This Inner Loop Header: Depth=2
	v_cmp_nlt_f64_e32 vcc, v[6:7], v[10:11]
	v_cndmask_b32_e32 v103, v7, v11, vcc
	v_cndmask_b32_e32 v102, v6, v10, vcc
	v_cmp_nlt_f64_e64 s[2:3], v[102:103], v[32:33]
	v_cndmask_b32_e64 v115, v103, v33, s[2:3]
	v_cndmask_b32_e64 v114, v102, v32, s[2:3]
	v_cndmask_b32_e32 v7, v11, v7, vcc
	v_cndmask_b32_e32 v6, v10, v6, vcc
	s_and_b64 s[56:57], vcc, s[2:3]
	v_cmp_nlt_f64_e32 vcc, v[114:115], v[30:31]
	v_cndmask_b32_e64 v11, v33, v103, s[2:3]
	v_cndmask_b32_e64 v10, v32, v102, s[2:3]
	v_cndmask_b32_e32 v103, v115, v31, vcc
	v_cndmask_b32_e32 v102, v114, v30, vcc
	v_cmp_nlt_f64_e64 s[2:3], v[102:103], v[92:93]
	v_cndmask_b32_e32 v33, v31, v115, vcc
	v_cndmask_b32_e32 v32, v30, v114, vcc
	v_cndmask_b32_e64 v115, v103, v93, s[2:3]
	v_cndmask_b32_e64 v114, v102, v92, s[2:3]
	s_and_b64 s[62:63], vcc, s[2:3]
	v_cmp_nlt_f64_e32 vcc, v[114:115], v[14:15]
	v_cndmask_b32_e64 v31, v93, v103, s[2:3]
	v_cndmask_b32_e64 v30, v92, v102, s[2:3]
	v_cndmask_b32_e32 v103, v115, v15, vcc
	v_cndmask_b32_e32 v102, v114, v14, vcc
	v_cmp_nlt_f64_e64 s[2:3], v[102:103], v[90:91]
	v_cndmask_b32_e32 v93, v15, v115, vcc
	v_cndmask_b32_e32 v92, v14, v114, vcc
	v_cndmask_b32_e64 v115, v103, v91, s[2:3]
	v_cndmask_b32_e64 v114, v102, v90, s[2:3]
	;; [unrolled: 1-line block ×4, first 2 shown]
	s_and_b64 s[2:3], vcc, s[2:3]
	v_cmp_nlt_f64_e32 vcc, v[114:115], v[88:89]
	v_cndmask_b32_e32 v103, v115, v89, vcc
	v_cndmask_b32_e32 v102, v114, v88, vcc
	v_cndmask_b32_e32 v91, v89, v115, vcc
	v_cndmask_b32_e32 v90, v88, v114, vcc
	s_and_b64 s[2:3], s[2:3], vcc
	v_cmp_nlt_f64_e32 vcc, v[102:103], v[94:95]
	v_cndmask_b32_e32 v115, v103, v95, vcc
	v_cndmask_b32_e32 v114, v102, v94, vcc
	v_cndmask_b32_e32 v89, v95, v103, vcc
	v_cndmask_b32_e32 v88, v94, v102, vcc
	s_and_b64 s[2:3], s[2:3], vcc
	;; [unrolled: 6-line block ×4, first 2 shown]
	v_cmp_nlt_f64_e32 vcc, v[114:115], v[100:101]
	s_and_b64 s[2:3], s[2:3], vcc
	s_and_b64 s[2:3], s[2:3], s[62:63]
	s_and_b64 s[2:3], s[2:3], s[56:57]
	v_cndmask_b32_e32 v103, v115, v101, vcc
	v_cndmask_b32_e32 v102, v114, v100, vcc
	s_and_b64 s[2:3], exec, s[2:3]
	v_cndmask_b32_e32 v99, v101, v115, vcc
	v_cndmask_b32_e32 v98, v100, v114, vcc
	s_or_b64 s[54:55], s[2:3], s[54:55]
	v_pk_mov_b32 v[100:101], v[102:103], v[102:103] op_sel:[0,1]
	s_andn2_b64 exec, exec, s[54:55]
	s_cbranch_execnz .LBB174_275
; %bb.276:                              ;   in Loop: Header=BB174_162 Depth=1
	s_or_b64 exec, exec, s[54:55]
	v_add_f64 v[6:7], v[6:7], -1.0
	v_add_f64 v[6:7], v[6:7], v[10:11]
	v_add_f64 v[6:7], v[6:7], v[32:33]
	;; [unrolled: 1-line block ×11, first 2 shown]
	v_add_f64 v[10:11], v[6:7], 1.0
	v_add_f64 v[14:15], v[10:11], -1.0
	v_add_f64 v[30:31], v[14:15], -v[10:11]
	v_add_f64 v[30:31], v[30:31], 1.0
	v_add_f64 v[14:15], v[6:7], -v[14:15]
	v_add_f64 v[14:15], v[14:15], v[30:31]
	v_frexp_mant_f64_e32 v[30:31], v[10:11]
	v_frexp_exp_i32_f64_e32 v8, v[10:11]
	v_cmp_gt_f64_e32 vcc, s[14:15], v[30:31]
	v_subbrev_co_u32_e32 v8, vcc, 0, v8, vcc
	v_sub_u32_e32 v12, 0, v8
	v_ldexp_f64 v[10:11], v[10:11], v12
	v_add_f64 v[30:31], v[10:11], -1.0
	v_add_f64 v[90:91], v[10:11], 1.0
	v_add_f64 v[32:33], v[30:31], 1.0
	v_add_f64 v[92:93], v[90:91], -1.0
	v_ldexp_f64 v[14:15], v[14:15], v12
	v_add_f64 v[32:33], v[10:11], -v[32:33]
	v_add_f64 v[10:11], v[10:11], -v[92:93]
	v_add_f64 v[10:11], v[14:15], v[10:11]
	v_add_f64 v[32:33], v[14:15], v[32:33]
	v_add_f64 v[14:15], v[90:91], v[10:11]
	v_rcp_f64_e32 v[92:93], v[14:15]
	v_add_f64 v[88:89], v[30:31], v[32:33]
	v_add_f64 v[30:31], v[88:89], -v[30:31]
	v_add_f64 v[30:31], v[32:33], -v[30:31]
	;; [unrolled: 1-line block ×4, first 2 shown]
	v_fma_f64 v[32:33], -v[14:15], v[92:93], 1.0
	v_fmac_f64_e32 v[92:93], v[32:33], v[92:93]
	v_fma_f64 v[32:33], -v[14:15], v[92:93], 1.0
	v_fmac_f64_e32 v[92:93], v[32:33], v[92:93]
	v_mul_f64 v[32:33], v[88:89], v[92:93]
	v_mul_f64 v[90:91], v[14:15], v[32:33]
	v_fma_f64 v[94:95], v[32:33], v[14:15], -v[90:91]
	v_fmac_f64_e32 v[94:95], v[32:33], v[10:11]
	v_add_f64 v[96:97], v[90:91], v[94:95]
	v_add_f64 v[98:99], v[88:89], -v[96:97]
	v_add_f64 v[88:89], v[88:89], -v[98:99]
	;; [unrolled: 1-line block ×4, first 2 shown]
	v_add_f64 v[30:31], v[30:31], v[88:89]
	v_add_f64 v[88:89], v[90:91], -v[94:95]
	v_add_f64 v[30:31], v[88:89], v[30:31]
	v_add_f64 v[88:89], v[98:99], v[30:31]
	v_add_f64 v[90:91], v[98:99], -v[88:89]
	v_add_f64 v[30:31], v[30:31], v[90:91]
	v_mul_f64 v[90:91], v[92:93], v[88:89]
	v_mul_f64 v[94:95], v[14:15], v[90:91]
	v_fma_f64 v[14:15], v[90:91], v[14:15], -v[94:95]
	v_fmac_f64_e32 v[14:15], v[90:91], v[10:11]
	v_add_f64 v[10:11], v[94:95], v[14:15]
	v_add_f64 v[96:97], v[88:89], -v[10:11]
	v_add_f64 v[88:89], v[88:89], -v[96:97]
	;; [unrolled: 1-line block ×4, first 2 shown]
	v_add_f64 v[10:11], v[30:31], v[10:11]
	v_add_f64 v[14:15], v[94:95], -v[14:15]
	v_add_f64 v[10:11], v[14:15], v[10:11]
	v_add_f64 v[14:15], v[32:33], v[90:91]
	;; [unrolled: 1-line block ×3, first 2 shown]
	v_add_f64 v[30:31], v[14:15], -v[32:33]
	v_mul_f64 v[10:11], v[92:93], v[10:11]
	v_add_f64 v[30:31], v[90:91], -v[30:31]
	v_add_f64 v[10:11], v[30:31], v[10:11]
	v_add_f64 v[30:31], v[14:15], v[10:11]
	v_add_f64 v[14:15], v[30:31], -v[14:15]
	v_add_f64 v[10:11], v[10:11], -v[14:15]
	v_mul_f64 v[14:15], v[30:31], v[30:31]
	v_pk_mov_b32 v[32:33], v[36:37], v[36:37] op_sel:[0,1]
	v_fmac_f64_e32 v[32:33], s[18:19], v[14:15]
	v_pk_mov_b32 v[88:89], v[38:39], v[38:39] op_sel:[0,1]
	v_fmac_f64_e32 v[88:89], v[14:15], v[32:33]
	;; [unrolled: 2-line block ×6, first 2 shown]
	v_cvt_f64_i32_e32 v[32:33], v8
	v_mul_f64 v[90:91], v[32:33], s[20:21]
	v_fma_f64 v[92:93], v[32:33], s[20:21], -v[90:91]
	v_fmac_f64_e32 v[92:93], s[22:23], v[32:33]
	v_add_f64 v[32:33], v[90:91], v[92:93]
	v_add_f64 v[90:91], v[32:33], -v[90:91]
	v_mul_f64 v[14:15], v[30:31], v[14:15]
	v_add_f64 v[90:91], v[92:93], -v[90:91]
	v_ldexp_f64 v[92:93], v[30:31], 1
	v_mul_f64 v[14:15], v[14:15], v[88:89]
	v_add_f64 v[30:31], v[92:93], v[14:15]
	v_add_f64 v[88:89], v[30:31], -v[92:93]
	v_ldexp_f64 v[10:11], v[10:11], 1
	v_add_f64 v[14:15], v[14:15], -v[88:89]
	v_add_f64 v[10:11], v[10:11], v[14:15]
	v_add_f64 v[14:15], v[30:31], v[10:11]
	v_add_f64 v[30:31], v[14:15], -v[30:31]
	v_add_f64 v[10:11], v[10:11], -v[30:31]
	v_add_f64 v[30:31], v[32:33], v[14:15]
	v_add_f64 v[88:89], v[30:31], -v[32:33]
	v_add_f64 v[92:93], v[30:31], -v[88:89]
	;; [unrolled: 1-line block ×4, first 2 shown]
	v_add_f64 v[14:15], v[14:15], v[32:33]
	v_add_f64 v[32:33], v[90:91], v[10:11]
	v_add_f64 v[88:89], v[32:33], -v[90:91]
	v_add_f64 v[14:15], v[32:33], v[14:15]
	v_add_f64 v[92:93], v[32:33], -v[88:89]
	;; [unrolled: 2-line block ×3, first 2 shown]
	v_add_f64 v[10:11], v[10:11], -v[88:89]
	v_add_f64 v[30:31], v[32:33], -v[30:31]
	v_add_f64 v[10:11], v[10:11], v[90:91]
	v_add_f64 v[14:15], v[14:15], -v[30:31]
	v_add_f64 v[10:11], v[10:11], v[14:15]
	v_max_f64 v[14:15], |v[4:5]|, |v[4:5]|
	v_max_f64 v[30:31], |v[2:3]|, |v[2:3]|
	v_add_f64 v[10:11], v[32:33], v[10:11]
	v_max_f64 v[32:33], v[30:31], v[14:15]
	v_min_f64 v[14:15], v[30:31], v[14:15]
	v_div_scale_f64 v[88:89], s[2:3], v[32:33], v[32:33], v[14:15]
	v_cmp_eq_f64_e32 vcc, s[24:25], v[6:7]
	v_rcp_f64_e32 v[90:91], v[88:89]
	v_cndmask_b32_e32 v11, v11, v7, vcc
	v_cndmask_b32_e32 v10, v10, v6, vcc
	v_mul_f64 v[10:11], v[10:11], 0.5
	v_cmp_ngt_f64_e32 vcc, -1.0, v[6:7]
	v_cndmask_b32_e32 v8, v105, v11, vcc
	v_cmp_nge_f64_e32 vcc, -1.0, v[6:7]
	v_cndmask_b32_e32 v30, 0, v10, vcc
	v_cmp_neq_f64_e32 vcc, -1.0, v[6:7]
	v_fma_f64 v[6:7], -v[88:89], v[90:91], 1.0
	v_fmac_f64_e32 v[90:91], v[90:91], v[6:7]
	v_fma_f64 v[6:7], -v[88:89], v[90:91], 1.0
	v_cndmask_b32_e32 v31, v106, v8, vcc
	v_fmac_f64_e32 v[90:91], v[90:91], v[6:7]
	v_div_scale_f64 v[6:7], vcc, v[14:15], v[32:33], v[14:15]
	v_mul_f64 v[10:11], v[6:7], v[90:91]
	v_fma_f64 v[6:7], -v[88:89], v[10:11], v[6:7]
	v_cmp_class_f64_e64 s[54:55], v[2:3], s61
	s_nop 0
	v_div_fmas_f64 v[6:7], v[6:7], v[90:91], v[10:11]
	v_div_fixup_f64 v[6:7], v[6:7], v[32:33], v[14:15]
	v_mul_f64 v[10:11], v[6:7], v[6:7]
	v_pk_mov_b32 v[14:15], v[48:49], v[48:49] op_sel:[0,1]
	v_fmac_f64_e32 v[14:15], s[26:27], v[10:11]
	v_pk_mov_b32 v[32:33], v[50:51], v[50:51] op_sel:[0,1]
	v_fmac_f64_e32 v[32:33], v[10:11], v[14:15]
	;; [unrolled: 2-line block ×19, first 2 shown]
	v_cmp_gt_i32_e32 vcc, 0, v3
	v_mul_f64 v[10:11], v[10:11], v[14:15]
	v_cndmask_b32_e32 v2, v109, v110, vcc
	v_fmac_f64_e32 v[6:7], v[6:7], v[10:11]
	v_bfi_b32 v10, s59, v2, v5
	v_ashrrev_i32_e32 v2, 31, v3
	v_and_b32_e32 v11, 0x400921fb, v2
	v_and_b32_e32 v12, 0x54442d18, v2
	v_add_f64 v[2:3], -v[6:7], s[28:29]
	v_cndmask_b32_e64 v3, v7, v3, s[0:1]
	v_cndmask_b32_e64 v2, v6, v2, s[0:1]
	s_mov_b32 s30, s28
	v_add_f64 v[6:7], -v[2:3], s[30:31]
	v_cmp_class_f64_e64 s[2:3], v[4:5], s61
	v_cndmask_b32_e32 v8, v107, v108, vcc
	v_cndmask_b32_e32 v3, v3, v7, vcc
	v_cndmask_b32_e32 v2, v2, v6, vcc
	v_cmp_eq_f64_e32 vcc, 0, v[4:5]
	v_cndmask_b32_e32 v2, v2, v12, vcc
	v_cndmask_b32_e32 v3, v3, v11, vcc
	s_and_b64 vcc, s[54:55], s[2:3]
	v_cndmask_b32_e32 v33, v3, v10, vcc
	v_cndmask_b32_e32 v32, v2, v8, vcc
.LBB174_277:                            ;   in Loop: Header=BB174_162 Depth=1
	s_or_b64 exec, exec, s[52:53]
.LBB174_278:                            ;   in Loop: Header=BB174_162 Depth=1
	s_or_b64 exec, exec, s[50:51]
.LBB174_279:                            ;   in Loop: Header=BB174_162 Depth=1
	s_andn2_saveexec_b64 s[48:49], s[48:49]
	s_cbranch_execz .LBB174_281
; %bb.280:                              ;   in Loop: Header=BB174_162 Depth=1
	v_max_f64 v[6:7], |v[4:5]|, |v[4:5]|
	v_max_f64 v[10:11], |v[2:3]|, |v[2:3]|
	v_max_f64 v[14:15], v[10:11], v[6:7]
	v_frexp_exp_i32_f64_e32 v8, v[14:15]
	v_sub_u32_e32 v12, 0, v8
	v_ldexp_f64 v[32:33], |v[4:5]|, v12
	v_ldexp_f64 v[30:31], |v[2:3]|, v12
	v_mul_f64 v[32:33], v[32:33], v[32:33]
	v_fmac_f64_e32 v[32:33], v[30:31], v[30:31]
	v_rsq_f64_e32 v[30:31], v[32:33]
	v_cmp_eq_f64_e32 vcc, 0, v[32:33]
	v_cmp_class_f64_e64 s[50:51], v[2:3], s61
	v_cmp_class_f64_e64 s[52:53], v[4:5], s61
	v_mul_f64 v[88:89], v[32:33], v[30:31]
	v_mul_f64 v[30:31], v[30:31], 0.5
	v_fma_f64 v[90:91], -v[30:31], v[88:89], 0.5
	v_fmac_f64_e32 v[88:89], v[88:89], v[90:91]
	v_fmac_f64_e32 v[30:31], v[30:31], v[90:91]
	v_fma_f64 v[90:91], -v[88:89], v[88:89], v[32:33]
	v_fmac_f64_e32 v[88:89], v[90:91], v[30:31]
	v_cndmask_b32_e32 v31, v89, v33, vcc
	v_cndmask_b32_e32 v30, v88, v32, vcc
	v_ldexp_f64 v[30:31], v[30:31], v8
	s_or_b64 vcc, s[50:51], s[52:53]
	v_cndmask_b32_e32 v33, v31, v112, vcc
	v_cndmask_b32_e64 v32, v30, 0, vcc
	v_frexp_mant_f64_e32 v[88:89], v[32:33]
	v_cmp_gt_f64_e64 s[2:3], s[14:15], v[88:89]
	v_cndmask_b32_e64 v35, v111, 2.0, s[2:3]
	v_mul_f64 v[88:89], v[88:89], v[34:35]
	v_add_f64 v[90:91], v[88:89], 1.0
	v_rcp_f64_e32 v[92:93], v[90:91]
	v_add_f64 v[96:97], v[90:91], -1.0
	v_add_f64 v[94:95], v[88:89], -1.0
	v_add_f64 v[88:89], v[88:89], -v[96:97]
	v_fma_f64 v[96:97], -v[90:91], v[92:93], 1.0
	v_fmac_f64_e32 v[92:93], v[96:97], v[92:93]
	v_fma_f64 v[96:97], -v[90:91], v[92:93], 1.0
	v_fmac_f64_e32 v[92:93], v[96:97], v[92:93]
	v_mul_f64 v[96:97], v[94:95], v[92:93]
	v_mul_f64 v[98:99], v[90:91], v[96:97]
	v_fma_f64 v[90:91], v[96:97], v[90:91], -v[98:99]
	v_fmac_f64_e32 v[90:91], v[96:97], v[88:89]
	v_add_f64 v[88:89], v[98:99], v[90:91]
	v_add_f64 v[100:101], v[94:95], -v[88:89]
	v_add_f64 v[98:99], v[88:89], -v[98:99]
	;; [unrolled: 1-line block ×5, first 2 shown]
	v_add_f64 v[88:89], v[90:91], v[88:89]
	v_add_f64 v[88:89], v[100:101], v[88:89]
	v_mul_f64 v[88:89], v[92:93], v[88:89]
	v_add_f64 v[90:91], v[96:97], v[88:89]
	v_add_f64 v[92:93], v[90:91], -v[96:97]
	v_add_f64 v[88:89], v[88:89], -v[92:93]
	v_mul_f64 v[92:93], v[90:91], v[90:91]
	v_pk_mov_b32 v[94:95], v[36:37], v[36:37] op_sel:[0,1]
	v_fmac_f64_e32 v[94:95], s[18:19], v[92:93]
	v_pk_mov_b32 v[96:97], v[38:39], v[38:39] op_sel:[0,1]
	v_fmac_f64_e32 v[96:97], v[92:93], v[94:95]
	;; [unrolled: 2-line block ×6, first 2 shown]
	v_ldexp_f64 v[94:95], v[90:91], 1
	v_mul_f64 v[90:91], v[90:91], v[92:93]
	v_mul_f64 v[90:91], v[90:91], v[96:97]
	v_add_f64 v[92:93], v[94:95], v[90:91]
	v_add_f64 v[94:95], v[92:93], -v[94:95]
	v_ldexp_f64 v[88:89], v[88:89], 1
	v_add_f64 v[90:91], v[90:91], -v[94:95]
	v_add_f64 v[88:89], v[88:89], v[90:91]
	v_frexp_exp_i32_f64_e32 v2, v[32:33]
	v_add_f64 v[90:91], v[92:93], v[88:89]
	v_subbrev_co_u32_e64 v2, s[2:3], 0, v2, s[2:3]
	v_add_f64 v[92:93], v[90:91], -v[92:93]
	v_add_f64 v[88:89], v[88:89], -v[92:93]
	v_cvt_f64_i32_e32 v[92:93], v2
	v_mul_f64 v[94:95], v[92:93], s[20:21]
	v_fma_f64 v[96:97], v[92:93], s[20:21], -v[94:95]
	v_fmac_f64_e32 v[96:97], s[22:23], v[92:93]
	v_add_f64 v[92:93], v[94:95], v[96:97]
	v_add_f64 v[94:95], v[92:93], -v[94:95]
	v_add_f64 v[94:95], v[96:97], -v[94:95]
	v_add_f64 v[96:97], v[92:93], v[90:91]
	v_add_f64 v[98:99], v[96:97], -v[92:93]
	v_add_f64 v[100:101], v[96:97], -v[98:99]
	;; [unrolled: 1-line block ×4, first 2 shown]
	v_add_f64 v[90:91], v[90:91], v[92:93]
	v_add_f64 v[92:93], v[94:95], v[88:89]
	v_add_f64 v[98:99], v[92:93], -v[94:95]
	v_add_f64 v[100:101], v[92:93], -v[98:99]
	v_add_f64 v[90:91], v[92:93], v[90:91]
	v_add_f64 v[94:95], v[94:95], -v[100:101]
	v_add_f64 v[88:89], v[88:89], -v[98:99]
	v_add_f64 v[92:93], v[96:97], v[90:91]
	v_add_f64 v[88:89], v[88:89], v[94:95]
	v_add_f64 v[94:95], v[92:93], -v[96:97]
	v_add_f64 v[90:91], v[90:91], -v[94:95]
	v_add_f64 v[88:89], v[88:89], v[90:91]
	v_add_f64 v[88:89], v[92:93], v[88:89]
	v_cmp_class_f64_e64 s[2:3], v[30:31], s61
	v_min_f64 v[6:7], v[10:11], v[6:7]
	v_cndmask_b32_e64 v2, v89, v31, s[2:3]
	v_cndmask_b32_e64 v8, v88, v30, s[2:3]
	v_div_scale_f64 v[10:11], s[2:3], v[14:15], v[14:15], v[6:7]
	v_rcp_f64_e32 v[88:89], v[10:11]
	v_cndmask_b32_e64 v8, v8, 0, vcc
	v_cndmask_b32_e32 v2, v2, v112, vcc
	v_cmp_ngt_f64_e32 vcc, 0, v[32:33]
	v_cndmask_b32_e32 v2, v105, v2, vcc
	v_cmp_nge_f64_e32 vcc, 0, v[32:33]
	v_cndmask_b32_e32 v30, 0, v8, vcc
	v_cmp_neq_f64_e32 vcc, 0, v[32:33]
	v_fma_f64 v[32:33], -v[10:11], v[88:89], 1.0
	v_fmac_f64_e32 v[88:89], v[88:89], v[32:33]
	v_fma_f64 v[32:33], -v[10:11], v[88:89], 1.0
	v_cndmask_b32_e32 v31, v106, v2, vcc
	v_fmac_f64_e32 v[88:89], v[88:89], v[32:33]
	v_div_scale_f64 v[32:33], vcc, v[6:7], v[14:15], v[6:7]
	v_mul_f64 v[90:91], v[32:33], v[88:89]
	v_fma_f64 v[10:11], -v[10:11], v[90:91], v[32:33]
	v_pk_mov_b32 v[32:33], v[50:51], v[50:51] op_sel:[0,1]
	s_nop 0
	v_div_fmas_f64 v[10:11], v[10:11], v[88:89], v[90:91]
	v_div_fixup_f64 v[6:7], v[10:11], v[14:15], v[6:7]
	v_mul_f64 v[10:11], v[6:7], v[6:7]
	v_pk_mov_b32 v[14:15], v[48:49], v[48:49] op_sel:[0,1]
	v_fmac_f64_e32 v[14:15], s[26:27], v[10:11]
	v_fmac_f64_e32 v[32:33], v[10:11], v[14:15]
	v_pk_mov_b32 v[14:15], v[52:53], v[52:53] op_sel:[0,1]
	v_fmac_f64_e32 v[14:15], v[10:11], v[32:33]
	v_pk_mov_b32 v[32:33], v[54:55], v[54:55] op_sel:[0,1]
	;; [unrolled: 2-line block ×17, first 2 shown]
	v_fmac_f64_e32 v[14:15], v[10:11], v[32:33]
	v_cmp_gt_i32_e32 vcc, 0, v3
	v_mul_f64 v[10:11], v[10:11], v[14:15]
	v_cndmask_b32_e32 v2, v109, v110, vcc
	v_fmac_f64_e32 v[6:7], v[6:7], v[10:11]
	v_bfi_b32 v10, s59, v2, v5
	v_ashrrev_i32_e32 v2, 31, v3
	v_and_b32_e32 v11, 0x400921fb, v2
	v_and_b32_e32 v12, 0x54442d18, v2
	v_add_f64 v[2:3], -v[6:7], s[28:29]
	v_cndmask_b32_e64 v3, v7, v3, s[0:1]
	v_cndmask_b32_e64 v2, v6, v2, s[0:1]
	s_mov_b32 s30, s28
	v_add_f64 v[6:7], -v[2:3], s[30:31]
	v_cndmask_b32_e32 v8, v107, v108, vcc
	v_cndmask_b32_e32 v3, v3, v7, vcc
	;; [unrolled: 1-line block ×3, first 2 shown]
	v_cmp_eq_f64_e32 vcc, 0, v[4:5]
	v_cndmask_b32_e32 v2, v2, v12, vcc
	v_cndmask_b32_e32 v3, v3, v11, vcc
	s_and_b64 vcc, s[50:51], s[52:53]
	v_cndmask_b32_e32 v33, v3, v10, vcc
	v_cndmask_b32_e32 v32, v2, v8, vcc
.LBB174_281:                            ;   in Loop: Header=BB174_162 Depth=1
	s_or_b64 exec, exec, s[48:49]
                                        ; implicit-def: $vgpr6_vgpr7
.LBB174_282:                            ;   in Loop: Header=BB174_162 Depth=1
	s_andn2_saveexec_b64 s[2:3], s[46:47]
	s_cbranch_execz .LBB174_288
; %bb.283:                              ;   in Loop: Header=BB174_162 Depth=1
	v_cmp_ngt_f64_e32 vcc, s[36:37], v[6:7]
                                        ; implicit-def: $vgpr30_vgpr31
	s_and_saveexec_b64 s[46:47], vcc
	s_xor_b64 s[46:47], exec, s[46:47]
	s_cbranch_execz .LBB174_285
; %bb.284:                              ;   in Loop: Header=BB174_162 Depth=1
	v_mul_f64 v[6:7], v[6:7], v[6:7]
	v_add_f64 v[10:11], v[6:7], 1.0
	v_add_f64 v[14:15], v[10:11], -1.0
	v_add_f64 v[30:31], v[14:15], -v[10:11]
	v_add_f64 v[30:31], v[30:31], 1.0
	v_add_f64 v[14:15], v[6:7], -v[14:15]
	v_add_f64 v[14:15], v[14:15], v[30:31]
	v_frexp_mant_f64_e32 v[30:31], v[10:11]
	v_frexp_exp_i32_f64_e32 v8, v[10:11]
	v_cmp_gt_f64_e32 vcc, s[14:15], v[30:31]
	v_subbrev_co_u32_e32 v8, vcc, 0, v8, vcc
	v_sub_u32_e32 v12, 0, v8
	v_ldexp_f64 v[10:11], v[10:11], v12
	v_add_f64 v[30:31], v[10:11], -1.0
	v_add_f64 v[90:91], v[10:11], 1.0
	v_add_f64 v[32:33], v[30:31], 1.0
	v_add_f64 v[92:93], v[90:91], -1.0
	v_ldexp_f64 v[14:15], v[14:15], v12
	v_add_f64 v[32:33], v[10:11], -v[32:33]
	v_add_f64 v[10:11], v[10:11], -v[92:93]
	v_add_f64 v[10:11], v[14:15], v[10:11]
	v_add_f64 v[32:33], v[14:15], v[32:33]
	v_add_f64 v[14:15], v[90:91], v[10:11]
	v_rcp_f64_e32 v[92:93], v[14:15]
	v_add_f64 v[88:89], v[30:31], v[32:33]
	v_add_f64 v[30:31], v[30:31], -v[88:89]
	v_add_f64 v[30:31], v[32:33], v[30:31]
	v_add_f64 v[32:33], v[90:91], -v[14:15]
	v_add_f64 v[10:11], v[10:11], v[32:33]
	v_fma_f64 v[32:33], -v[14:15], v[92:93], 1.0
	v_fmac_f64_e32 v[92:93], v[32:33], v[92:93]
	v_fma_f64 v[32:33], -v[14:15], v[92:93], 1.0
	v_fmac_f64_e32 v[92:93], v[32:33], v[92:93]
	v_mul_f64 v[32:33], v[88:89], v[92:93]
	v_mul_f64 v[90:91], v[14:15], v[32:33]
	v_fma_f64 v[94:95], v[32:33], v[14:15], -v[90:91]
	v_fmac_f64_e32 v[94:95], v[32:33], v[10:11]
	v_add_f64 v[96:97], v[90:91], v[94:95]
	v_add_f64 v[98:99], v[88:89], -v[96:97]
	v_add_f64 v[88:89], v[88:89], -v[98:99]
	;; [unrolled: 1-line block ×4, first 2 shown]
	v_add_f64 v[30:31], v[30:31], v[88:89]
	v_add_f64 v[88:89], v[90:91], -v[94:95]
	v_add_f64 v[30:31], v[88:89], v[30:31]
	v_add_f64 v[88:89], v[98:99], v[30:31]
	v_add_f64 v[90:91], v[98:99], -v[88:89]
	v_add_f64 v[30:31], v[30:31], v[90:91]
	v_mul_f64 v[90:91], v[92:93], v[88:89]
	v_mul_f64 v[94:95], v[14:15], v[90:91]
	v_fma_f64 v[14:15], v[90:91], v[14:15], -v[94:95]
	v_fmac_f64_e32 v[14:15], v[90:91], v[10:11]
	v_add_f64 v[10:11], v[94:95], v[14:15]
	v_add_f64 v[96:97], v[88:89], -v[10:11]
	v_add_f64 v[88:89], v[88:89], -v[96:97]
	;; [unrolled: 1-line block ×4, first 2 shown]
	v_add_f64 v[10:11], v[30:31], v[10:11]
	v_add_f64 v[14:15], v[94:95], -v[14:15]
	v_add_f64 v[10:11], v[14:15], v[10:11]
	v_add_f64 v[14:15], v[32:33], v[90:91]
	;; [unrolled: 1-line block ×3, first 2 shown]
	v_add_f64 v[30:31], v[14:15], -v[32:33]
	v_mul_f64 v[10:11], v[92:93], v[10:11]
	v_add_f64 v[30:31], v[90:91], -v[30:31]
	v_add_f64 v[10:11], v[30:31], v[10:11]
	v_add_f64 v[30:31], v[14:15], v[10:11]
	v_add_f64 v[14:15], v[30:31], -v[14:15]
	v_add_f64 v[10:11], v[10:11], -v[14:15]
	v_mul_f64 v[14:15], v[30:31], v[30:31]
	v_pk_mov_b32 v[32:33], v[36:37], v[36:37] op_sel:[0,1]
	v_fmac_f64_e32 v[32:33], s[18:19], v[14:15]
	v_pk_mov_b32 v[88:89], v[38:39], v[38:39] op_sel:[0,1]
	v_fmac_f64_e32 v[88:89], v[14:15], v[32:33]
	;; [unrolled: 2-line block ×6, first 2 shown]
	v_cvt_f64_i32_e32 v[32:33], v8
	v_mul_f64 v[90:91], v[32:33], s[20:21]
	v_fma_f64 v[92:93], v[32:33], s[20:21], -v[90:91]
	v_fmac_f64_e32 v[92:93], s[22:23], v[32:33]
	v_add_f64 v[32:33], v[90:91], v[92:93]
	v_add_f64 v[90:91], v[32:33], -v[90:91]
	v_mul_f64 v[14:15], v[30:31], v[14:15]
	v_add_f64 v[90:91], v[92:93], -v[90:91]
	v_ldexp_f64 v[92:93], v[30:31], 1
	v_mul_f64 v[14:15], v[14:15], v[88:89]
	v_add_f64 v[30:31], v[92:93], v[14:15]
	v_add_f64 v[88:89], v[30:31], -v[92:93]
	v_ldexp_f64 v[10:11], v[10:11], 1
	v_add_f64 v[14:15], v[14:15], -v[88:89]
	v_add_f64 v[10:11], v[10:11], v[14:15]
	v_add_f64 v[14:15], v[30:31], v[10:11]
	v_add_f64 v[30:31], v[14:15], -v[30:31]
	v_add_f64 v[10:11], v[10:11], -v[30:31]
	v_add_f64 v[30:31], v[32:33], v[14:15]
	v_add_f64 v[88:89], v[30:31], -v[32:33]
	v_add_f64 v[92:93], v[30:31], -v[88:89]
	;; [unrolled: 1-line block ×4, first 2 shown]
	v_add_f64 v[14:15], v[14:15], v[32:33]
	v_add_f64 v[32:33], v[90:91], v[10:11]
	v_add_f64 v[88:89], v[32:33], -v[90:91]
	v_add_f64 v[14:15], v[32:33], v[14:15]
	v_add_f64 v[92:93], v[32:33], -v[88:89]
	;; [unrolled: 2-line block ×3, first 2 shown]
	v_add_f64 v[10:11], v[10:11], -v[88:89]
	v_add_f64 v[30:31], v[32:33], -v[30:31]
	v_add_f64 v[10:11], v[10:11], v[90:91]
	v_add_f64 v[14:15], v[14:15], -v[30:31]
	v_add_f64 v[10:11], v[10:11], v[14:15]
	v_max_f64 v[14:15], |v[4:5]|, |v[4:5]|
	v_max_f64 v[30:31], |v[2:3]|, |v[2:3]|
	v_add_f64 v[10:11], v[32:33], v[10:11]
	v_max_f64 v[32:33], v[30:31], v[14:15]
	v_min_f64 v[14:15], v[30:31], v[14:15]
	v_div_scale_f64 v[88:89], s[48:49], v[32:33], v[32:33], v[14:15]
	v_rcp_f64_e32 v[90:91], v[88:89]
	v_cmp_eq_f64_e32 vcc, s[24:25], v[6:7]
	v_cndmask_b32_e32 v7, v11, v7, vcc
	v_cndmask_b32_e32 v6, v10, v6, vcc
	v_mul_f64 v[30:31], v[6:7], 0.5
	v_fma_f64 v[6:7], -v[88:89], v[90:91], 1.0
	v_fmac_f64_e32 v[90:91], v[90:91], v[6:7]
	v_fma_f64 v[6:7], -v[88:89], v[90:91], 1.0
	v_fmac_f64_e32 v[90:91], v[90:91], v[6:7]
	v_div_scale_f64 v[6:7], vcc, v[14:15], v[32:33], v[14:15]
	v_mul_f64 v[10:11], v[6:7], v[90:91]
	v_fma_f64 v[6:7], -v[88:89], v[10:11], v[6:7]
	v_cmp_class_f64_e64 s[50:51], v[2:3], s61
	s_nop 0
	v_div_fmas_f64 v[6:7], v[6:7], v[90:91], v[10:11]
	v_div_fixup_f64 v[6:7], v[6:7], v[32:33], v[14:15]
	v_mul_f64 v[10:11], v[6:7], v[6:7]
	v_pk_mov_b32 v[14:15], v[48:49], v[48:49] op_sel:[0,1]
	v_fmac_f64_e32 v[14:15], s[26:27], v[10:11]
	v_pk_mov_b32 v[32:33], v[50:51], v[50:51] op_sel:[0,1]
	v_fmac_f64_e32 v[32:33], v[10:11], v[14:15]
	;; [unrolled: 2-line block ×19, first 2 shown]
	v_cmp_gt_i32_e32 vcc, 0, v3
	v_mul_f64 v[10:11], v[10:11], v[14:15]
	v_cndmask_b32_e32 v2, v109, v110, vcc
	v_fmac_f64_e32 v[6:7], v[6:7], v[10:11]
	v_bfi_b32 v10, s59, v2, v5
	v_ashrrev_i32_e32 v2, 31, v3
	v_and_b32_e32 v11, 0x400921fb, v2
	v_and_b32_e32 v12, 0x54442d18, v2
	v_add_f64 v[2:3], -v[6:7], s[28:29]
	v_cndmask_b32_e64 v3, v7, v3, s[0:1]
	v_cndmask_b32_e64 v2, v6, v2, s[0:1]
	s_mov_b32 s30, s28
	v_add_f64 v[6:7], -v[2:3], s[30:31]
	v_cmp_class_f64_e64 s[48:49], v[4:5], s61
	v_cndmask_b32_e32 v8, v107, v108, vcc
	v_cndmask_b32_e32 v3, v3, v7, vcc
	;; [unrolled: 1-line block ×3, first 2 shown]
	v_cmp_eq_f64_e32 vcc, 0, v[4:5]
	v_cndmask_b32_e32 v2, v2, v12, vcc
	v_cndmask_b32_e32 v3, v3, v11, vcc
	s_and_b64 vcc, s[50:51], s[48:49]
	v_cndmask_b32_e32 v33, v3, v10, vcc
	v_cndmask_b32_e32 v32, v2, v8, vcc
                                        ; implicit-def: $vgpr6_vgpr7
.LBB174_285:                            ;   in Loop: Header=BB174_162 Depth=1
	s_andn2_saveexec_b64 s[46:47], s[46:47]
	s_cbranch_execz .LBB174_287
; %bb.286:                              ;   in Loop: Header=BB174_162 Depth=1
	v_max_f64 v[10:11], |v[4:5]|, |v[4:5]|
	v_max_f64 v[14:15], |v[2:3]|, |v[2:3]|
	v_max_f64 v[32:33], v[14:15], v[10:11]
	v_min_f64 v[10:11], v[14:15], v[10:11]
	v_div_scale_f64 v[14:15], s[48:49], v[32:33], v[32:33], v[10:11]
	v_rcp_f64_e32 v[88:89], v[14:15]
	v_mul_f64 v[30:31], v[6:7], 0.5
	v_mul_f64 v[30:31], v[6:7], v[30:31]
	v_cmp_class_f64_e64 s[50:51], v[2:3], s61
	v_fma_f64 v[6:7], -v[14:15], v[88:89], 1.0
	v_fmac_f64_e32 v[88:89], v[88:89], v[6:7]
	v_fma_f64 v[6:7], -v[14:15], v[88:89], 1.0
	v_fmac_f64_e32 v[88:89], v[88:89], v[6:7]
	v_div_scale_f64 v[6:7], vcc, v[10:11], v[32:33], v[10:11]
	v_mul_f64 v[90:91], v[6:7], v[88:89]
	v_fma_f64 v[6:7], -v[14:15], v[90:91], v[6:7]
	v_pk_mov_b32 v[14:15], v[48:49], v[48:49] op_sel:[0,1]
	s_nop 0
	v_div_fmas_f64 v[6:7], v[6:7], v[88:89], v[90:91]
	v_div_fixup_f64 v[6:7], v[6:7], v[32:33], v[10:11]
	v_mul_f64 v[10:11], v[6:7], v[6:7]
	v_fmac_f64_e32 v[14:15], s[26:27], v[10:11]
	v_pk_mov_b32 v[32:33], v[50:51], v[50:51] op_sel:[0,1]
	v_fmac_f64_e32 v[32:33], v[10:11], v[14:15]
	v_pk_mov_b32 v[14:15], v[52:53], v[52:53] op_sel:[0,1]
	;; [unrolled: 2-line block ×18, first 2 shown]
	v_fmac_f64_e32 v[14:15], v[10:11], v[32:33]
	v_cmp_gt_i32_e32 vcc, 0, v3
	v_mul_f64 v[10:11], v[10:11], v[14:15]
	v_cndmask_b32_e32 v2, v109, v110, vcc
	v_fmac_f64_e32 v[6:7], v[6:7], v[10:11]
	v_bfi_b32 v10, s59, v2, v5
	v_ashrrev_i32_e32 v2, 31, v3
	v_and_b32_e32 v11, 0x400921fb, v2
	v_and_b32_e32 v12, 0x54442d18, v2
	v_add_f64 v[2:3], -v[6:7], s[28:29]
	v_cndmask_b32_e64 v3, v7, v3, s[0:1]
	v_cndmask_b32_e64 v2, v6, v2, s[0:1]
	s_mov_b32 s30, s28
	v_add_f64 v[6:7], -v[2:3], s[30:31]
	v_cmp_class_f64_e64 s[48:49], v[4:5], s61
	v_cndmask_b32_e32 v8, v107, v108, vcc
	v_cndmask_b32_e32 v3, v3, v7, vcc
	v_cndmask_b32_e32 v2, v2, v6, vcc
	v_cmp_eq_f64_e32 vcc, 0, v[4:5]
	v_cndmask_b32_e32 v2, v2, v12, vcc
	v_cndmask_b32_e32 v3, v3, v11, vcc
	s_and_b64 vcc, s[50:51], s[48:49]
	v_cndmask_b32_e32 v33, v3, v10, vcc
	v_cndmask_b32_e32 v32, v2, v8, vcc
.LBB174_287:                            ;   in Loop: Header=BB174_162 Depth=1
	s_or_b64 exec, exec, s[46:47]
.LBB174_288:                            ;   in Loop: Header=BB174_162 Depth=1
	s_or_b64 exec, exec, s[2:3]
.LBB174_289:                            ;   in Loop: Header=BB174_162 Depth=1
	s_andn2_saveexec_b64 s[46:47], s[4:5]
	s_cbranch_execz .LBB174_291
; %bb.290:                              ;   in Loop: Header=BB174_162 Depth=1
	v_div_scale_f64 v[6:7], s[2:3], s[38:39], s[38:39], v[2:3]
	v_rcp_f64_e32 v[10:11], v[6:7]
	v_div_scale_f64 v[14:15], vcc, v[2:3], s[38:39], v[2:3]
	s_mov_b32 s30, s28
	v_fma_f64 v[30:31], -v[6:7], v[10:11], 1.0
	v_fmac_f64_e32 v[10:11], v[10:11], v[30:31]
	v_fma_f64 v[30:31], -v[6:7], v[10:11], 1.0
	v_fmac_f64_e32 v[10:11], v[10:11], v[30:31]
	v_mul_f64 v[30:31], v[14:15], v[10:11]
	v_fma_f64 v[6:7], -v[6:7], v[30:31], v[14:15]
	v_div_scale_f64 v[14:15], s[2:3], s[38:39], s[38:39], v[4:5]
	v_rcp_f64_e32 v[32:33], v[14:15]
	v_div_fmas_f64 v[6:7], v[6:7], v[10:11], v[30:31]
	v_div_fixup_f64 v[6:7], v[6:7], s[38:39], v[2:3]
	v_cmp_class_f64_e64 s[4:5], v[6:7], s61
	v_fma_f64 v[10:11], -v[14:15], v[32:33], 1.0
	v_fmac_f64_e32 v[32:33], v[32:33], v[10:11]
	v_fma_f64 v[10:11], -v[14:15], v[32:33], 1.0
	v_fmac_f64_e32 v[32:33], v[32:33], v[10:11]
	v_div_scale_f64 v[10:11], vcc, v[4:5], s[38:39], v[4:5]
	v_mul_f64 v[30:31], v[10:11], v[32:33]
	v_fma_f64 v[10:11], -v[14:15], v[30:31], v[10:11]
	s_nop 1
	v_div_fmas_f64 v[10:11], v[10:11], v[32:33], v[30:31]
	v_div_fixup_f64 v[10:11], v[10:11], s[38:39], v[4:5]
	v_max_f64 v[14:15], |v[6:7]|, |v[10:11]|
	v_frexp_exp_i32_f64_e32 v8, v[14:15]
	v_sub_u32_e32 v12, 0, v8
	v_ldexp_f64 v[30:31], |v[10:11]|, v12
	v_ldexp_f64 v[14:15], |v[6:7]|, v12
	v_mul_f64 v[30:31], v[30:31], v[30:31]
	v_fmac_f64_e32 v[30:31], v[14:15], v[14:15]
	v_rsq_f64_e32 v[14:15], v[30:31]
	v_cmp_eq_f64_e32 vcc, 0, v[30:31]
	v_cmp_o_f64_e64 s[2:3], v[6:7], v[10:11]
	v_cmp_class_f64_e64 s[48:49], v[10:11], s61
	v_mul_f64 v[32:33], v[30:31], v[14:15]
	v_mul_f64 v[14:15], v[14:15], 0.5
	v_fma_f64 v[88:89], -v[14:15], v[32:33], 0.5
	v_fmac_f64_e32 v[32:33], v[32:33], v[88:89]
	v_fmac_f64_e32 v[14:15], v[14:15], v[88:89]
	v_fma_f64 v[88:89], -v[32:33], v[32:33], v[30:31]
	v_fmac_f64_e32 v[32:33], v[88:89], v[14:15]
	v_cndmask_b32_e32 v15, v33, v31, vcc
	v_cndmask_b32_e32 v14, v32, v30, vcc
	v_ldexp_f64 v[14:15], v[14:15], v8
	v_cndmask_b32_e64 v8, 0, v14, s[2:3]
	v_cndmask_b32_e64 v12, v105, v15, s[2:3]
	s_or_b64 vcc, s[4:5], s[48:49]
	v_cndmask_b32_e32 v7, v12, v112, vcc
	v_cndmask_b32_e64 v6, v8, 0, vcc
	v_frexp_mant_f64_e32 v[10:11], v[6:7]
	v_cmp_gt_f64_e64 s[4:5], s[14:15], v[10:11]
	v_cndmask_b32_e64 v35, v111, 2.0, s[4:5]
	v_mul_f64 v[10:11], v[10:11], v[34:35]
	v_add_f64 v[30:31], v[10:11], 1.0
	v_rcp_f64_e32 v[32:33], v[30:31]
	v_add_f64 v[90:91], v[30:31], -1.0
	v_add_f64 v[88:89], v[10:11], -1.0
	v_add_f64 v[10:11], v[10:11], -v[90:91]
	v_fma_f64 v[90:91], -v[30:31], v[32:33], 1.0
	v_fmac_f64_e32 v[32:33], v[90:91], v[32:33]
	v_fma_f64 v[90:91], -v[30:31], v[32:33], 1.0
	v_fmac_f64_e32 v[32:33], v[90:91], v[32:33]
	v_mul_f64 v[90:91], v[88:89], v[32:33]
	v_mul_f64 v[92:93], v[30:31], v[90:91]
	v_fma_f64 v[30:31], v[90:91], v[30:31], -v[92:93]
	v_fmac_f64_e32 v[30:31], v[90:91], v[10:11]
	v_add_f64 v[10:11], v[92:93], v[30:31]
	v_add_f64 v[94:95], v[88:89], -v[10:11]
	v_add_f64 v[92:93], v[10:11], -v[92:93]
	;; [unrolled: 1-line block ×5, first 2 shown]
	v_add_f64 v[10:11], v[30:31], v[10:11]
	v_add_f64 v[10:11], v[94:95], v[10:11]
	v_mul_f64 v[10:11], v[32:33], v[10:11]
	v_add_f64 v[30:31], v[90:91], v[10:11]
	v_add_f64 v[32:33], v[30:31], -v[90:91]
	v_add_f64 v[10:11], v[10:11], -v[32:33]
	v_mul_f64 v[32:33], v[30:31], v[30:31]
	v_pk_mov_b32 v[88:89], v[36:37], v[36:37] op_sel:[0,1]
	v_fmac_f64_e32 v[88:89], s[18:19], v[32:33]
	v_pk_mov_b32 v[90:91], v[38:39], v[38:39] op_sel:[0,1]
	v_fmac_f64_e32 v[90:91], v[32:33], v[88:89]
	;; [unrolled: 2-line block ×6, first 2 shown]
	v_ldexp_f64 v[88:89], v[30:31], 1
	v_mul_f64 v[30:31], v[30:31], v[32:33]
	v_mul_f64 v[30:31], v[30:31], v[90:91]
	v_add_f64 v[32:33], v[88:89], v[30:31]
	v_add_f64 v[88:89], v[32:33], -v[88:89]
	v_ldexp_f64 v[10:11], v[10:11], 1
	v_add_f64 v[30:31], v[30:31], -v[88:89]
	v_add_f64 v[10:11], v[10:11], v[30:31]
	v_frexp_exp_i32_f64_e32 v16, v[6:7]
	v_add_f64 v[30:31], v[32:33], v[10:11]
	v_subbrev_co_u32_e64 v16, s[4:5], 0, v16, s[4:5]
	v_add_f64 v[32:33], v[30:31], -v[32:33]
	v_add_f64 v[10:11], v[10:11], -v[32:33]
	v_cvt_f64_i32_e32 v[32:33], v16
	v_mul_f64 v[88:89], v[32:33], s[20:21]
	v_fma_f64 v[90:91], v[32:33], s[20:21], -v[88:89]
	v_fmac_f64_e32 v[90:91], s[22:23], v[32:33]
	v_add_f64 v[32:33], v[88:89], v[90:91]
	v_add_f64 v[88:89], v[32:33], -v[88:89]
	v_add_f64 v[88:89], v[90:91], -v[88:89]
	v_add_f64 v[90:91], v[32:33], v[30:31]
	v_add_f64 v[92:93], v[90:91], -v[32:33]
	v_add_f64 v[94:95], v[90:91], -v[92:93]
	v_add_f64 v[32:33], v[32:33], -v[94:95]
	v_add_f64 v[30:31], v[30:31], -v[92:93]
	v_add_f64 v[30:31], v[30:31], v[32:33]
	v_add_f64 v[32:33], v[88:89], v[10:11]
	v_add_f64 v[92:93], v[32:33], -v[88:89]
	v_add_f64 v[94:95], v[32:33], -v[92:93]
	v_add_f64 v[30:31], v[32:33], v[30:31]
	v_add_f64 v[88:89], v[88:89], -v[94:95]
	v_add_f64 v[10:11], v[10:11], -v[92:93]
	v_add_f64 v[32:33], v[90:91], v[30:31]
	v_add_f64 v[10:11], v[10:11], v[88:89]
	v_add_f64 v[88:89], v[32:33], -v[90:91]
	v_add_f64 v[30:31], v[30:31], -v[88:89]
	v_and_b32_e32 v15, 0x7fffffff, v15
	v_add_f64 v[10:11], v[10:11], v[30:31]
	v_cmp_eq_f64_e64 s[4:5], s[24:25], v[14:15]
	v_add_f64 v[10:11], v[32:33], v[10:11]
	s_and_b64 s[2:3], s[2:3], s[4:5]
	v_cndmask_b32_e64 v11, v11, v12, s[2:3]
	v_cndmask_b32_e64 v10, v10, v8, s[2:3]
	v_add_f64 v[10:11], v[10:11], 1.0
	v_cndmask_b32_e64 v8, v10, 0, vcc
	v_cndmask_b32_e32 v10, v11, v112, vcc
	v_cmp_ngt_f64_e32 vcc, 0, v[6:7]
	v_cndmask_b32_e32 v12, v105, v10, vcc
	v_max_f64 v[10:11], |v[4:5]|, |v[4:5]|
	v_max_f64 v[14:15], |v[2:3]|, |v[2:3]|
	v_max_f64 v[32:33], v[14:15], v[10:11]
	v_min_f64 v[10:11], v[14:15], v[10:11]
	v_div_scale_f64 v[14:15], s[2:3], v[32:33], v[32:33], v[10:11]
	v_rcp_f64_e32 v[88:89], v[14:15]
	v_cmp_nge_f64_e32 vcc, 0, v[6:7]
	v_cndmask_b32_e32 v30, 0, v8, vcc
	v_cmp_neq_f64_e32 vcc, 0, v[6:7]
	v_fma_f64 v[6:7], -v[14:15], v[88:89], 1.0
	v_fmac_f64_e32 v[88:89], v[88:89], v[6:7]
	v_fma_f64 v[6:7], -v[14:15], v[88:89], 1.0
	v_cndmask_b32_e32 v31, v106, v12, vcc
	v_fmac_f64_e32 v[88:89], v[88:89], v[6:7]
	v_div_scale_f64 v[6:7], vcc, v[10:11], v[32:33], v[10:11]
	v_mul_f64 v[90:91], v[6:7], v[88:89]
	v_fma_f64 v[6:7], -v[14:15], v[90:91], v[6:7]
	v_pk_mov_b32 v[14:15], v[48:49], v[48:49] op_sel:[0,1]
	s_nop 0
	v_div_fmas_f64 v[6:7], v[6:7], v[88:89], v[90:91]
	v_div_fixup_f64 v[6:7], v[6:7], v[32:33], v[10:11]
	v_mul_f64 v[10:11], v[6:7], v[6:7]
	v_fmac_f64_e32 v[14:15], s[26:27], v[10:11]
	v_pk_mov_b32 v[32:33], v[50:51], v[50:51] op_sel:[0,1]
	v_fmac_f64_e32 v[32:33], v[10:11], v[14:15]
	v_pk_mov_b32 v[14:15], v[52:53], v[52:53] op_sel:[0,1]
	;; [unrolled: 2-line block ×18, first 2 shown]
	v_fmac_f64_e32 v[14:15], v[10:11], v[32:33]
	v_cmp_gt_i32_e32 vcc, 0, v3
	v_mul_f64 v[10:11], v[10:11], v[14:15]
	v_cmp_class_f64_e64 s[4:5], v[2:3], s61
	v_cndmask_b32_e32 v2, v109, v110, vcc
	v_fmac_f64_e32 v[6:7], v[6:7], v[10:11]
	v_bfi_b32 v10, s59, v2, v5
	v_ashrrev_i32_e32 v2, 31, v3
	v_and_b32_e32 v11, 0x400921fb, v2
	v_and_b32_e32 v12, 0x54442d18, v2
	v_add_f64 v[2:3], -v[6:7], s[28:29]
	v_cndmask_b32_e64 v3, v7, v3, s[0:1]
	v_cndmask_b32_e64 v2, v6, v2, s[0:1]
	v_add_f64 v[6:7], -v[2:3], s[30:31]
	v_cmp_class_f64_e64 s[2:3], v[4:5], s61
	v_cndmask_b32_e32 v8, v107, v108, vcc
	v_cndmask_b32_e32 v3, v3, v7, vcc
	;; [unrolled: 1-line block ×3, first 2 shown]
	v_cmp_eq_f64_e32 vcc, 0, v[4:5]
	v_cndmask_b32_e32 v2, v2, v12, vcc
	v_cndmask_b32_e32 v3, v3, v11, vcc
	s_and_b64 vcc, s[4:5], s[2:3]
	v_cndmask_b32_e32 v33, v3, v10, vcc
	v_cndmask_b32_e32 v32, v2, v8, vcc
.LBB174_291:                            ;   in Loop: Header=BB174_162 Depth=1
	s_or_b64 exec, exec, s[46:47]
.LBB174_292:                            ;   in Loop: Header=BB174_162 Depth=1
	s_andn2_saveexec_b64 s[0:1], s[44:45]
	s_cbranch_execz .LBB174_161
; %bb.293:                              ;   in Loop: Header=BB174_162 Depth=1
	v_cmp_nlt_f64_e64 s[2:3], |v[2:3]|, s[40:41]
	v_cmp_nlt_f64_e64 s[4:5], |v[4:5]|, s[40:41]
	s_or_b64 s[2:3], s[2:3], s[4:5]
                                        ; implicit-def: $vgpr6_vgpr7
	s_and_saveexec_b64 s[4:5], s[2:3]
	s_xor_b64 s[2:3], exec, s[4:5]
; %bb.294:                              ;   in Loop: Header=BB174_162 Depth=1
	v_mul_f64 v[6:7], v[4:5], v[4:5]
	v_fmac_f64_e32 v[6:7], v[2:3], v[2:3]
; %bb.295:                              ;   in Loop: Header=BB174_162 Depth=1
	s_andn2_saveexec_b64 s[2:3], s[2:3]
	s_cbranch_execz .LBB174_160
; %bb.296:                              ;   in Loop: Header=BB174_162 Depth=1
	v_mul_f64 v[6:7], v[4:5], 4.0
	v_mul_f64 v[2:3], v[2:3], 4.0
	v_mul_f64 v[6:7], v[6:7], v[6:7]
	v_fmac_f64_e32 v[6:7], v[2:3], v[2:3]
	v_ldexp_f64 v[6:7], v[6:7], -4
	s_branch .LBB174_160
.LBB174_297:
	s_endpgm
	.section	.rodata,"a",@progbits
	.p2align	6, 0x0
	.amdhsa_kernel _ZN2at6native12_GLOBAL__N_125multi_tensor_apply_kernelINS1_18TensorListMetadataILi1EEENS1_14UnaryOpFunctorIN3c107complexIdEELi1ELi1ELi0EEEJNS0_3LogIS8_EEEEEvT_T0_DpT1_
		.amdhsa_group_segment_fixed_size 0
		.amdhsa_private_segment_fixed_size 0
		.amdhsa_kernarg_size 3632
		.amdhsa_user_sgpr_count 6
		.amdhsa_user_sgpr_private_segment_buffer 1
		.amdhsa_user_sgpr_dispatch_ptr 0
		.amdhsa_user_sgpr_queue_ptr 0
		.amdhsa_user_sgpr_kernarg_segment_ptr 1
		.amdhsa_user_sgpr_dispatch_id 0
		.amdhsa_user_sgpr_flat_scratch_init 0
		.amdhsa_user_sgpr_kernarg_preload_length 0
		.amdhsa_user_sgpr_kernarg_preload_offset 0
		.amdhsa_user_sgpr_private_segment_size 0
		.amdhsa_uses_dynamic_stack 0
		.amdhsa_system_sgpr_private_segment_wavefront_offset 0
		.amdhsa_system_sgpr_workgroup_id_x 1
		.amdhsa_system_sgpr_workgroup_id_y 0
		.amdhsa_system_sgpr_workgroup_id_z 0
		.amdhsa_system_sgpr_workgroup_info 0
		.amdhsa_system_vgpr_workitem_id 0
		.amdhsa_next_free_vgpr 122
		.amdhsa_next_free_sgpr 78
		.amdhsa_accum_offset 124
		.amdhsa_reserve_vcc 1
		.amdhsa_reserve_flat_scratch 0
		.amdhsa_float_round_mode_32 0
		.amdhsa_float_round_mode_16_64 0
		.amdhsa_float_denorm_mode_32 3
		.amdhsa_float_denorm_mode_16_64 3
		.amdhsa_dx10_clamp 1
		.amdhsa_ieee_mode 1
		.amdhsa_fp16_overflow 0
		.amdhsa_tg_split 0
		.amdhsa_exception_fp_ieee_invalid_op 0
		.amdhsa_exception_fp_denorm_src 0
		.amdhsa_exception_fp_ieee_div_zero 0
		.amdhsa_exception_fp_ieee_overflow 0
		.amdhsa_exception_fp_ieee_underflow 0
		.amdhsa_exception_fp_ieee_inexact 0
		.amdhsa_exception_int_div_zero 0
	.end_amdhsa_kernel
	.section	.text._ZN2at6native12_GLOBAL__N_125multi_tensor_apply_kernelINS1_18TensorListMetadataILi1EEENS1_14UnaryOpFunctorIN3c107complexIdEELi1ELi1ELi0EEEJNS0_3LogIS8_EEEEEvT_T0_DpT1_,"axG",@progbits,_ZN2at6native12_GLOBAL__N_125multi_tensor_apply_kernelINS1_18TensorListMetadataILi1EEENS1_14UnaryOpFunctorIN3c107complexIdEELi1ELi1ELi0EEEJNS0_3LogIS8_EEEEEvT_T0_DpT1_,comdat
.Lfunc_end174:
	.size	_ZN2at6native12_GLOBAL__N_125multi_tensor_apply_kernelINS1_18TensorListMetadataILi1EEENS1_14UnaryOpFunctorIN3c107complexIdEELi1ELi1ELi0EEEJNS0_3LogIS8_EEEEEvT_T0_DpT1_, .Lfunc_end174-_ZN2at6native12_GLOBAL__N_125multi_tensor_apply_kernelINS1_18TensorListMetadataILi1EEENS1_14UnaryOpFunctorIN3c107complexIdEELi1ELi1ELi0EEEJNS0_3LogIS8_EEEEEvT_T0_DpT1_
                                        ; -- End function
	.section	.AMDGPU.csdata,"",@progbits
; Kernel info:
; codeLenInByte = 83720
; NumSgprs: 82
; NumVgprs: 122
; NumAgprs: 0
; TotalNumVgprs: 122
; ScratchSize: 0
; MemoryBound: 1
; FloatMode: 240
; IeeeMode: 1
; LDSByteSize: 0 bytes/workgroup (compile time only)
; SGPRBlocks: 10
; VGPRBlocks: 15
; NumSGPRsForWavesPerEU: 82
; NumVGPRsForWavesPerEU: 122
; AccumOffset: 124
; Occupancy: 4
; WaveLimiterHint : 0
; COMPUTE_PGM_RSRC2:SCRATCH_EN: 0
; COMPUTE_PGM_RSRC2:USER_SGPR: 6
; COMPUTE_PGM_RSRC2:TRAP_HANDLER: 0
; COMPUTE_PGM_RSRC2:TGID_X_EN: 1
; COMPUTE_PGM_RSRC2:TGID_Y_EN: 0
; COMPUTE_PGM_RSRC2:TGID_Z_EN: 0
; COMPUTE_PGM_RSRC2:TIDIG_COMP_CNT: 0
; COMPUTE_PGM_RSRC3_GFX90A:ACCUM_OFFSET: 30
; COMPUTE_PGM_RSRC3_GFX90A:TG_SPLIT: 0
	.section	.text._ZN2at6native12_GLOBAL__N_125multi_tensor_apply_kernelINS1_18TensorListMetadataILi1EEENS1_14UnaryOpFunctorIN3c107complexIfEELi1ELi1ELi0EEEJNS0_3LogIS8_EEEEEvT_T0_DpT1_,"axG",@progbits,_ZN2at6native12_GLOBAL__N_125multi_tensor_apply_kernelINS1_18TensorListMetadataILi1EEENS1_14UnaryOpFunctorIN3c107complexIfEELi1ELi1ELi0EEEJNS0_3LogIS8_EEEEEvT_T0_DpT1_,comdat
	.globl	_ZN2at6native12_GLOBAL__N_125multi_tensor_apply_kernelINS1_18TensorListMetadataILi1EEENS1_14UnaryOpFunctorIN3c107complexIfEELi1ELi1ELi0EEEJNS0_3LogIS8_EEEEEvT_T0_DpT1_ ; -- Begin function _ZN2at6native12_GLOBAL__N_125multi_tensor_apply_kernelINS1_18TensorListMetadataILi1EEENS1_14UnaryOpFunctorIN3c107complexIfEELi1ELi1ELi0EEEJNS0_3LogIS8_EEEEEvT_T0_DpT1_
	.p2align	8
	.type	_ZN2at6native12_GLOBAL__N_125multi_tensor_apply_kernelINS1_18TensorListMetadataILi1EEENS1_14UnaryOpFunctorIN3c107complexIfEELi1ELi1ELi0EEEJNS0_3LogIS8_EEEEEvT_T0_DpT1_,@function
_ZN2at6native12_GLOBAL__N_125multi_tensor_apply_kernelINS1_18TensorListMetadataILi1EEENS1_14UnaryOpFunctorIN3c107complexIfEELi1ELi1ELi0EEEJNS0_3LogIS8_EEEEEvT_T0_DpT1_: ; @_ZN2at6native12_GLOBAL__N_125multi_tensor_apply_kernelINS1_18TensorListMetadataILi1EEENS1_14UnaryOpFunctorIN3c107complexIfEELi1ELi1ELi0EEEJNS0_3LogIS8_EEEEEvT_T0_DpT1_
; %bb.0:
	v_mov_b32_e32 v1, s6
	global_load_ubyte v1, v1, s[4:5] offset:1760
	s_add_u32 s0, s4, s6
	s_mul_hi_u32 s1, s6, 3
	s_mul_i32 s6, s6, 3
	s_addc_u32 s2, s5, 0
	s_add_u32 s0, s0, s6
	s_addc_u32 s1, s2, s1
	s_load_dword s0, s[0:1], 0x820
	s_mov_b32 s9, 0
	s_waitcnt vmcnt(0)
	v_readfirstlane_b32 s1, v1
	s_lshl_b32 s1, s1, 3
	s_load_dwordx2 s[2:3], s[4:5], s1 offset:0x0
	s_load_dwordx2 s[6:7], s[4:5], s1 offset:0x370
	s_waitcnt lgkmcnt(0)
	s_ashr_i32 s1, s0, 31
	s_lshl_b64 s[10:11], s[0:1], 19
	s_add_u32 s33, s2, s10
	s_addc_u32 s38, s3, s11
	s_lshl_b64 s[0:1], s[0:1], 16
	s_and_b32 s8, s33, 31
	s_sub_u32 s14, s6, s0
	s_subb_u32 s15, s7, s1
	s_and_b32 s0, s6, 3
	s_mov_b32 s1, s9
	s_or_b64 s[0:1], s[8:9], s[0:1]
	s_cmp_eq_u64 s[0:1], 0
	s_cbranch_scc1 .LBB175_157
; %bb.1:
	v_cmp_lt_i64_e64 s[0:1], s[14:15], 1
	s_and_b64 vcc, exec, s[0:1]
	s_cbranch_vccnz .LBB175_156
; %bb.2:
	s_load_dword s0, s[4:5], 0xd3c
	v_mov_b32_e32 v2, 0x10000
	v_mov_b32_e32 v3, 0
	v_cmp_lt_u64_e32 vcc, s[14:15], v[2:3]
	s_mov_b32 s2, 0
	s_waitcnt lgkmcnt(0)
	s_and_b32 s39, s0, 0xffff
	s_and_b64 s[0:1], vcc, exec
	s_mov_b32 s20, -1.0
	s_cselect_b32 s17, s15, 0
	s_cselect_b32 s16, s14, 0x10000
	s_lshl_b32 s40, s39, 1
	s_mul_i32 s41, s39, 3
	s_lshl_b32 s42, s39, 2
	s_mov_b64 s[18:19], 0
	v_mov_b32_e32 v1, s2
	v_mov_b32_e32 v28, s2
	;; [unrolled: 1-line block ×3, first 2 shown]
	s_brev_b32 s43, -2
	s_mov_b32 s44, 0x77f684df
	s_mov_b32 s21, 1.0
	s_mov_b32 s45, 0x358637bd
	s_mov_b32 s46, 0x49742400
	;; [unrolled: 1-line block ×3, first 2 shown]
	v_mov_b32_e32 v30, 0x3f2aaada
	s_mov_b32 s48, 0x3f317218
	s_mov_b32 s49, 0x7f800000
	;; [unrolled: 1-line block ×3, first 2 shown]
	v_mov_b32_e32 v31, 0x3d29fb3f
	v_mov_b32_e32 v32, 0xbd97d4d7
	;; [unrolled: 1-line block ×6, first 2 shown]
	s_movk_i32 s51, 0x204
	s_mov_b32 s52, 0x3f333333
	s_mov_b32 s53, 0x800000
	;; [unrolled: 1-line block ×5, first 2 shown]
	s_brev_b32 s57, 4
	v_mov_b32_e32 v2, 0x3f317218
	v_mov_b32_e32 v37, 0x7fc00000
	;; [unrolled: 1-line block ×9, first 2 shown]
	s_branch .LBB175_4
.LBB175_3:                              ;   in Loop: Header=BB175_4 Depth=1
	s_or_b64 exec, exec, s[0:1]
	s_add_u32 s18, s18, s42
	s_addc_u32 s19, s19, 0
	v_pk_mov_b32 v[4:5], s[14:15], s[14:15] op_sel:[0,1]
	v_cmp_ge_i64_e32 vcc, s[18:19], v[4:5]
	v_mov_b32_e32 v4, 0xffff
	v_mov_b32_e32 v5, 0
	v_cmp_gt_u64_e64 s[0:1], s[18:19], v[4:5]
	s_or_b64 s[0:1], vcc, s[0:1]
	s_and_b64 vcc, exec, s[0:1]
	s_cbranch_vccnz .LBB175_156
.LBB175_4:                              ; =>This Loop Header: Depth=1
                                        ;     Child Loop BB175_23 Depth 2
                                        ;     Child Loop BB175_57 Depth 2
	;; [unrolled: 1-line block ×4, first 2 shown]
	v_mov_b32_e32 v3, s19
	v_add_co_u32_e32 v16, vcc, s18, v0
	v_addc_co_u32_e32 v17, vcc, 0, v3, vcc
	v_cmp_gt_u64_e64 s[0:1], s[16:17], v[16:17]
	v_lshlrev_b64 v[4:5], 3, v[16:17]
	v_mov_b32_e32 v10, 0
	v_mov_b32_e32 v11, 0
	s_and_saveexec_b64 s[2:3], s[0:1]
	s_cbranch_execz .LBB175_6
; %bb.5:                                ;   in Loop: Header=BB175_4 Depth=1
	v_mov_b32_e32 v3, s38
	v_add_co_u32_e32 v6, vcc, s33, v4
	v_addc_co_u32_e32 v7, vcc, v3, v5, vcc
	global_load_dwordx2 v[10:11], v[6:7], off
.LBB175_6:                              ;   in Loop: Header=BB175_4 Depth=1
	s_or_b64 exec, exec, s[2:3]
	v_add_co_u32_e32 v8, vcc, s39, v16
	v_addc_co_u32_e32 v9, vcc, v17, v1, vcc
	v_cmp_gt_u64_e64 s[2:3], s[16:17], v[8:9]
	v_mov_b32_e32 v6, 0
	v_lshlrev_b64 v[8:9], 3, v[8:9]
	v_mov_b32_e32 v14, 0
	v_mov_b32_e32 v15, 0
	s_and_saveexec_b64 s[6:7], s[2:3]
	s_cbranch_execz .LBB175_8
; %bb.7:                                ;   in Loop: Header=BB175_4 Depth=1
	v_mov_b32_e32 v3, s38
	v_add_co_u32_e32 v12, vcc, s33, v8
	v_addc_co_u32_e32 v13, vcc, v3, v9, vcc
	global_load_dwordx2 v[14:15], v[12:13], off
.LBB175_8:                              ;   in Loop: Header=BB175_4 Depth=1
	s_or_b64 exec, exec, s[6:7]
	v_add_co_u32_e32 v12, vcc, s40, v16
	v_addc_co_u32_e32 v13, vcc, v17, v28, vcc
	v_cmp_gt_u64_e64 s[6:7], s[16:17], v[12:13]
	v_lshlrev_b64 v[12:13], 3, v[12:13]
	v_mov_b32_e32 v7, 0
	s_and_saveexec_b64 s[8:9], s[6:7]
	s_cbranch_execz .LBB175_10
; %bb.9:                                ;   in Loop: Header=BB175_4 Depth=1
	v_mov_b32_e32 v3, s38
	v_add_co_u32_e32 v6, vcc, s33, v12
	v_addc_co_u32_e32 v7, vcc, v3, v13, vcc
	global_load_dwordx2 v[6:7], v[6:7], off
.LBB175_10:                             ;   in Loop: Header=BB175_4 Depth=1
	s_or_b64 exec, exec, s[8:9]
	v_add_co_u32_e32 v16, vcc, s41, v16
	v_addc_co_u32_e32 v17, vcc, v17, v29, vcc
	v_mov_b32_e32 v18, 0
	v_cmp_gt_u64_e64 s[8:9], s[16:17], v[16:17]
	v_lshlrev_b64 v[16:17], 3, v[16:17]
	v_mov_b32_e32 v19, v18
	s_and_saveexec_b64 s[10:11], s[8:9]
	s_cbranch_execz .LBB175_12
; %bb.11:                               ;   in Loop: Header=BB175_4 Depth=1
	v_mov_b32_e32 v3, s38
	v_add_co_u32_e32 v18, vcc, s33, v16
	v_addc_co_u32_e32 v19, vcc, v3, v17, vcc
	global_load_dwordx2 v[18:19], v[18:19], off
.LBB175_12:                             ;   in Loop: Header=BB175_4 Depth=1
	s_or_b64 exec, exec, s[10:11]
	s_waitcnt vmcnt(0)
	v_cmp_o_f32_e32 vcc, v11, v10
                                        ; implicit-def: $vgpr20
                                        ; implicit-def: $vgpr21
	s_and_saveexec_b64 s[10:11], vcc
	s_xor_b64 s[22:23], exec, s[10:11]
	s_cbranch_execz .LBB175_40
; %bb.13:                               ;   in Loop: Header=BB175_4 Depth=1
	v_cmp_lt_f32_e64 s[10:11], |v10|, |v11|
	v_cndmask_b32_e64 v3, v11, v10, s[10:11]
	v_cmp_ngt_f32_e64 s[12:13], |v3|, s44
                                        ; implicit-def: $vgpr20
                                        ; implicit-def: $vgpr21
	s_and_saveexec_b64 s[24:25], s[12:13]
	s_xor_b64 s[24:25], exec, s[24:25]
	s_cbranch_execz .LBB175_37
; %bb.14:                               ;   in Loop: Header=BB175_4 Depth=1
	v_cndmask_b32_e64 v20, v10, v11, s[10:11]
	v_and_b32_e32 v23, 0x7fffffff, v20
	v_and_b32_e32 v22, 0x7fffffff, v3
	v_cmp_neq_f32_e32 vcc, 1.0, v23
                                        ; implicit-def: $vgpr20
                                        ; implicit-def: $vgpr21
	s_and_saveexec_b64 s[12:13], vcc
	s_xor_b64 s[26:27], exec, s[12:13]
	s_cbranch_execz .LBB175_30
; %bb.15:                               ;   in Loop: Header=BB175_4 Depth=1
	v_max_f32_e32 v3, v22, v22
	v_max_f32_e32 v20, v23, v23
	v_min_f32_e32 v21, v20, v3
	v_max_f32_e32 v3, v20, v3
	v_cmp_ngt_f32_e32 vcc, s45, v21
	v_cmp_nlt_f32_e64 s[12:13], s46, v3
	s_and_b64 s[12:13], s[12:13], vcc
                                        ; implicit-def: $vgpr20
                                        ; implicit-def: $vgpr21
	s_and_saveexec_b64 s[28:29], s[12:13]
	s_xor_b64 s[28:29], exec, s[28:29]
	s_cbranch_execz .LBB175_27
; %bb.16:                               ;   in Loop: Header=BB175_4 Depth=1
	v_cmp_le_f32_e32 vcc, 1.0, v23
                                        ; implicit-def: $vgpr20
                                        ; implicit-def: $vgpr21
	s_and_saveexec_b64 s[12:13], vcc
	s_xor_b64 s[30:31], exec, s[12:13]
	s_cbranch_execz .LBB175_18
; %bb.17:                               ;   in Loop: Header=BB175_4 Depth=1
	v_pk_add_f32 v[20:21], v[22:23], s[20:21] op_sel:[1,0]
	v_mov_b32_e32 v24, v21
	v_pk_mul_f32 v[20:21], v[20:21], v[24:25]
	v_pk_fma_f32 v[20:21], v[22:23], v[22:23], v[20:21]
	v_add_f32_e32 v23, 1.0, v20
	v_add_f32_e32 v21, -1.0, v23
	v_mov_b32_e32 v22, v21
	v_pk_add_f32 v[24:25], v[20:21], v[22:23] neg_lo:[0,1] neg_hi:[0,1]
	v_add_f32_e32 v3, 1.0, v25
	v_add_f32_e32 v3, v24, v3
	v_frexp_mant_f32_e32 v21, v23
	v_cvt_f64_f32_e32 v[24:25], v23
	v_frexp_exp_i32_f64_e32 v22, v[24:25]
	v_cmp_gt_f32_e32 vcc, s47, v21
	v_subbrev_co_u32_e32 v21, vcc, 0, v22, vcc
	v_sub_u32_e32 v22, 0, v21
	v_ldexp_f32 v23, v23, v22
	v_ldexp_f32 v3, v3, v22
	v_add_f32_e32 v22, -1.0, v23
	v_add_f32_e32 v25, 1.0, v23
	v_add_f32_e32 v24, 1.0, v22
	v_add_f32_e32 v26, -1.0, v25
	v_sub_f32_e32 v24, v23, v24
	v_sub_f32_e32 v23, v23, v26
	v_add_f32_e32 v24, v3, v24
	v_add_f32_e32 v3, v3, v23
	v_add_f32_e32 v45, v25, v3
	v_rcp_f32_e32 v48, v45
	v_sub_f32_e32 v23, v45, v25
	v_sub_f32_e32 v3, v3, v23
	v_add_f32_e32 v23, v22, v24
	v_sub_f32_e32 v22, v23, v22
	v_mul_f32_e32 v50, v23, v48
	v_sub_f32_e32 v49, v24, v22
	v_mul_f32_e32 v24, v45, v50
	v_fma_f32 v26, v50, v45, -v24
	v_fmac_f32_e32 v26, v50, v3
	v_add_f32_e32 v22, v24, v26
	v_sub_f32_e32 v25, v23, v22
	v_pk_add_f32 v[46:47], v[22:23], v[24:25] neg_lo:[0,1] neg_hi:[0,1]
	v_mov_b32_e32 v27, v22
	v_pk_add_f32 v[22:23], v[46:47], v[26:27] neg_lo:[0,1] neg_hi:[0,1]
	v_add_f32_e32 v23, v49, v23
	v_add_f32_e32 v22, v22, v23
	;; [unrolled: 1-line block ×3, first 2 shown]
	v_mul_f32_e32 v49, v48, v23
	v_mul_f32_e32 v24, v45, v49
	v_fma_f32 v26, v49, v45, -v24
	v_fmac_f32_e32 v26, v49, v3
	v_sub_f32_e32 v3, v25, v23
	v_add_f32_e32 v3, v22, v3
	v_add_f32_e32 v22, v24, v26
	v_sub_f32_e32 v25, v23, v22
	v_pk_add_f32 v[46:47], v[22:23], v[24:25] neg_lo:[0,1] neg_hi:[0,1]
	v_mov_b32_e32 v27, v22
	v_pk_add_f32 v[22:23], v[46:47], v[26:27] neg_lo:[0,1] neg_hi:[0,1]
	v_add_f32_e32 v3, v3, v23
	v_add_f32_e32 v3, v22, v3
	;; [unrolled: 1-line block ×4, first 2 shown]
	v_sub_f32_e32 v22, v23, v50
	v_mul_f32_e32 v3, v48, v3
	v_sub_f32_e32 v22, v49, v22
	v_add_f32_e32 v24, v22, v3
	v_add_f32_e32 v26, v23, v24
	v_cvt_f32_i32_e32 v22, v21
	v_mul_f32_e32 v27, v26, v26
	v_mov_b32_e32 v3, 0x3ecc95a3
	v_fmac_f32_e32 v3, 0x3e9b6dac, v27
	v_fma_f32 v3, v27, v3, v30
	v_sub_f32_e32 v21, v26, v23
	v_mul_f32_e32 v23, v26, v27
	v_ldexp_f32 v25, v26, 1
	v_pk_mul_f32 v[26:27], v[22:23], v[2:3]
	v_sub_f32_e32 v21, v24, v21
	v_fma_f32 v24, v22, s48, -v26
	v_fmac_f32_e32 v24, 0xb102e308, v22
	v_pk_add_f32 v[22:23], v[26:27], v[24:25]
	v_sub_f32_e32 v3, v23, v25
	v_ldexp_f32 v21, v21, 1
	v_sub_f32_e32 v3, v27, v3
	v_add_f32_e32 v47, v21, v3
	v_mov_b32_e32 v46, v26
	v_pk_add_f32 v[26:27], v[22:23], v[26:27] neg_lo:[0,1] neg_hi:[0,1]
	v_pk_add_f32 v[48:49], v[22:23], v[46:47]
	v_mov_b32_e32 v27, v49
	v_mov_b32_e32 v25, v22
	v_pk_add_f32 v[50:51], v[24:25], v[26:27] neg_lo:[0,1] neg_hi:[0,1]
	v_pk_add_f32 v[24:25], v[24:25], v[26:27]
	v_mov_b32_e32 v26, v25
	v_pk_add_f32 v[52:53], v[26:27], v[22:23] neg_lo:[0,1] neg_hi:[0,1]
	v_mov_b32_e32 v3, v52
	v_pk_add_f32 v[54:55], v[48:49], v[2:3] neg_lo:[0,1] neg_hi:[0,1]
	v_mov_b32_e32 v24, v49
	v_mov_b32_e32 v48, v23
	;; [unrolled: 1-line block ×4, first 2 shown]
	v_pk_add_f32 v[24:25], v[24:25], v[48:49] neg_lo:[0,1] neg_hi:[0,1]
	v_mov_b32_e32 v46, v47
	v_mov_b32_e32 v47, v22
	v_pk_add_f32 v[22:23], v[46:47], v[24:25] neg_lo:[0,1] neg_hi:[0,1]
	v_mov_b32_e32 v54, v50
	v_pk_add_f32 v[24:25], v[54:55], v[22:23]
	v_mov_b32_e32 v46, v25
	v_pk_add_f32 v[46:47], v[24:25], v[46:47]
	v_pk_add_f32 v[26:27], v[26:27], v[46:47]
	v_mov_b32_e32 v25, v26
	v_pk_add_f32 v[48:49], v[24:25], v[50:51] neg_lo:[0,1] neg_hi:[0,1]
	v_mov_b32_e32 v23, v46
	v_sub_f32_e32 v3, v24, v48
	v_pk_add_f32 v[22:23], v[22:23], v[48:49] neg_lo:[0,1] neg_hi:[0,1]
	v_sub_f32_e32 v3, v50, v3
	v_add_f32_e32 v3, v22, v3
	v_add_f32_e32 v3, v3, v23
	;; [unrolled: 1-line block ×3, first 2 shown]
	v_cmp_eq_f32_e32 vcc, s49, v20
	v_cndmask_b32_e32 v3, v3, v20, vcc
	v_cmp_ngt_f32_e32 vcc, -1.0, v20
	v_cndmask_b32_e32 v3, v37, v3, vcc
	v_cmp_neq_f32_e32 vcc, -1.0, v20
	v_cndmask_b32_e32 v3, v38, v3, vcc
	v_cmp_lt_f32_e64 vcc, |v20|, s50
	v_cndmask_b32_e32 v3, v3, v20, vcc
	v_mul_f32_e32 v20, 0.5, v3
	v_max_f32_e64 v3, |v11|, |v11|
	v_max_f32_e64 v21, |v10|, |v10|
	v_min_f32_e32 v22, v21, v3
	v_max_f32_e32 v3, v21, v3
	v_frexp_mant_f32_e32 v21, v3
	v_rcp_f32_e32 v21, v21
	v_frexp_exp_i32_f32_e32 v3, v3
	v_frexp_exp_i32_f32_e32 v23, v22
	v_frexp_mant_f32_e32 v22, v22
	v_mul_f32_e32 v21, v22, v21
	v_sub_u32_e32 v3, v23, v3
	v_ldexp_f32 v3, v21, v3
	v_mul_f32_e32 v21, v3, v3
	v_mov_b32_e32 v22, 0xbc7a590c
	v_fmac_f32_e32 v22, 0x3b2d2a58, v21
	v_fma_f32 v22, v21, v22, v31
	v_fma_f32 v22, v21, v22, v32
	v_fma_f32 v22, v21, v22, v33
	v_fma_f32 v22, v21, v22, v34
	v_fma_f32 v22, v21, v22, v35
	v_fma_f32 v22, v21, v22, v36
	v_mul_f32_e32 v21, v21, v22
	v_fmac_f32_e32 v3, v3, v21
	v_sub_f32_e32 v21, 0x3fc90fdb, v3
	v_cndmask_b32_e64 v3, v3, v21, s[10:11]
	v_sub_f32_e32 v21, 0x40490fdb, v3
	v_cmp_gt_f32_e32 vcc, 0, v10
	v_cmp_gt_i32_e64 s[12:13], 0, v10
	v_cndmask_b32_e32 v3, v3, v21, vcc
	v_cndmask_b32_e64 v21, 0, v39, s[12:13]
	v_cmp_eq_f32_e64 s[12:13], 0, v11
	v_cndmask_b32_e64 v3, v3, v21, s[12:13]
	v_cmp_class_f32_e64 s[12:13], v10, s51
	v_cmp_class_f32_e64 s[34:35], v11, s51
	v_cndmask_b32_e32 v21, v40, v41, vcc
	s_and_b64 vcc, s[34:35], s[12:13]
	v_cndmask_b32_e32 v21, v3, v21, vcc
                                        ; implicit-def: $vgpr22_vgpr23
.LBB175_18:                             ;   in Loop: Header=BB175_4 Depth=1
	s_andn2_saveexec_b64 s[30:31], s[30:31]
	s_cbranch_execz .LBB175_26
; %bb.19:                               ;   in Loop: Header=BB175_4 Depth=1
	v_pk_mul_f32 v[20:21], v[22:23], v[22:23]
	v_add_f32_e32 v3, v21, v20
	v_cmp_ge_f32_e32 vcc, s52, v3
                                        ; implicit-def: $vgpr20
                                        ; implicit-def: $vgpr21
	s_and_saveexec_b64 s[12:13], vcc
	s_xor_b64 s[34:35], exec, s[12:13]
	s_cbranch_execz .LBB175_21
; %bb.20:                               ;   in Loop: Header=BB175_4 Depth=1
	v_cmp_gt_f32_e32 vcc, s53, v3
	v_cndmask_b32_e32 v20, 1.0, v42, vcc
	v_mul_f32_e32 v3, v3, v20
	v_log_f32_e32 v3, v3
	v_cndmask_b32_e32 v20, 0, v43, vcc
	v_cmp_gt_i32_e64 s[12:13], 0, v10
	v_cmp_class_f32_e64 s[36:37], v11, s51
	v_mul_f32_e32 v21, 0x3f317217, v3
	v_fma_f32 v22, v3, s54, -v21
	v_fmac_f32_e32 v22, 0x3377d1cf, v3
	v_add_f32_e32 v21, v21, v22
	v_cmp_lt_f32_e64 vcc, |v3|, s49
	v_cndmask_b32_e32 v3, v3, v21, vcc
	v_sub_f32_e32 v3, v3, v20
	v_mul_f32_e32 v20, 0.5, v3
	v_max_f32_e64 v3, |v11|, |v11|
	v_max_f32_e64 v21, |v10|, |v10|
	v_min_f32_e32 v22, v21, v3
	v_max_f32_e32 v3, v21, v3
	v_frexp_mant_f32_e32 v21, v3
	v_rcp_f32_e32 v21, v21
	v_frexp_exp_i32_f32_e32 v3, v3
	v_frexp_exp_i32_f32_e32 v23, v22
	v_frexp_mant_f32_e32 v22, v22
	v_mul_f32_e32 v21, v22, v21
	v_sub_u32_e32 v3, v23, v3
	v_ldexp_f32 v3, v21, v3
	v_mul_f32_e32 v21, v3, v3
	v_mov_b32_e32 v22, 0xbc7a590c
	v_fmac_f32_e32 v22, 0x3b2d2a58, v21
	v_fma_f32 v22, v21, v22, v31
	v_fma_f32 v22, v21, v22, v32
	;; [unrolled: 1-line block ×6, first 2 shown]
	v_mul_f32_e32 v21, v21, v22
	v_fmac_f32_e32 v3, v3, v21
	v_sub_f32_e32 v21, 0x3fc90fdb, v3
	v_cndmask_b32_e64 v3, v3, v21, s[10:11]
	v_sub_f32_e32 v21, 0x40490fdb, v3
	v_cmp_gt_f32_e32 vcc, 0, v10
	v_cndmask_b32_e32 v3, v3, v21, vcc
	v_cndmask_b32_e64 v21, 0, v39, s[12:13]
	v_cmp_eq_f32_e64 s[12:13], 0, v11
	v_cndmask_b32_e64 v3, v3, v21, s[12:13]
	v_cmp_class_f32_e64 s[12:13], v10, s51
	v_cndmask_b32_e32 v21, v40, v41, vcc
	s_and_b64 vcc, s[36:37], s[12:13]
	v_cndmask_b32_e32 v21, v3, v21, vcc
                                        ; implicit-def: $vgpr22_vgpr23
.LBB175_21:                             ;   in Loop: Header=BB175_4 Depth=1
	s_andn2_saveexec_b64 s[34:35], s[34:35]
	s_cbranch_execz .LBB175_25
; %bb.22:                               ;   in Loop: Header=BB175_4 Depth=1
	v_and_b32_e32 v25, 0x7fff0000, v22
	v_and_b32_e32 v24, 0x7fff0000, v23
	v_pk_add_f32 v[20:21], v[22:23], v[24:25] op_sel:[1,0] op_sel_hi:[0,1] neg_lo:[0,1] neg_hi:[0,1]
	v_and_b32_e32 v47, 0xffff0000, v21
	v_and_b32_e32 v46, 0xffff0000, v20
	v_pk_add_f32 v[48:49], v[20:21], v[46:47] neg_lo:[0,1] neg_hi:[0,1]
	v_pk_mul_f32 v[20:21], v[24:25], v[24:25]
	v_add_f32_e32 v24, v24, v24
	v_mul_f32_e32 v26, v24, v46
	v_mul_f32_e32 v45, v24, v48
	v_add_f32_e32 v24, v46, v46
	v_add_f32_e32 v25, v25, v25
	v_pk_mul_f32 v[22:23], v[46:47], v[46:47]
	v_mul_f32_e32 v46, v24, v48
	v_add_f32_e32 v24, v47, v47
	v_mul_f32_e32 v3, v25, v47
	v_mul_f32_e32 v27, v25, v49
	;; [unrolled: 1-line block ×3, first 2 shown]
	v_pk_mul_f32 v[24:25], v[48:49], v[48:49]
	s_mov_b64 s[36:37], 0
.LBB175_23:                             ;   Parent Loop BB175_4 Depth=1
                                        ; =>  This Inner Loop Header: Depth=2
	v_cmp_nlt_f32_e32 vcc, v20, v21
	v_cndmask_b32_e32 v48, v20, v21, vcc
	v_cmp_nlt_f32_e64 s[12:13], v48, v26
	v_cndmask_b32_e64 v49, v48, v26, s[12:13]
	v_cndmask_b32_e32 v20, v21, v20, vcc
	s_and_b64 s[58:59], vcc, s[12:13]
	v_cmp_nlt_f32_e32 vcc, v49, v3
	v_cndmask_b32_e64 v21, v26, v48, s[12:13]
	v_cndmask_b32_e32 v48, v49, v3, vcc
	v_cmp_nlt_f32_e64 s[12:13], v48, v22
	v_cndmask_b32_e32 v26, v3, v49, vcc
	v_cndmask_b32_e64 v49, v48, v22, s[12:13]
	s_and_b64 s[60:61], vcc, s[12:13]
	v_cmp_nlt_f32_e32 vcc, v49, v23
	v_cndmask_b32_e64 v3, v22, v48, s[12:13]
	v_cndmask_b32_e32 v48, v49, v23, vcc
	v_cmp_nlt_f32_e64 s[12:13], v48, v45
	v_cndmask_b32_e32 v22, v23, v49, vcc
	v_cndmask_b32_e64 v49, v48, v45, s[12:13]
	v_cndmask_b32_e64 v23, v45, v48, s[12:13]
	s_and_b64 s[12:13], vcc, s[12:13]
	v_cmp_nlt_f32_e32 vcc, v49, v27
	v_cndmask_b32_e32 v48, v49, v27, vcc
	v_cndmask_b32_e32 v45, v27, v49, vcc
	s_and_b64 s[12:13], s[12:13], vcc
	v_cmp_nlt_f32_e32 vcc, v48, v46
	v_cndmask_b32_e32 v49, v48, v46, vcc
	v_cndmask_b32_e32 v27, v46, v48, vcc
	s_and_b64 s[12:13], s[12:13], vcc
	;; [unrolled: 4-line block ×4, first 2 shown]
	v_cmp_nlt_f32_e32 vcc, v49, v25
	s_and_b64 s[12:13], s[12:13], vcc
	s_and_b64 s[12:13], s[12:13], s[60:61]
	s_and_b64 s[12:13], s[12:13], s[58:59]
	s_and_b64 s[12:13], exec, s[12:13]
	v_cndmask_b32_e32 v24, v25, v49, vcc
	s_or_b64 s[36:37], s[12:13], s[36:37]
	v_cndmask_b32_e32 v25, v49, v25, vcc
	s_andn2_b64 exec, exec, s[36:37]
	s_cbranch_execnz .LBB175_23
; %bb.24:                               ;   in Loop: Header=BB175_4 Depth=1
	s_or_b64 exec, exec, s[36:37]
	v_add_f32_e32 v20, -1.0, v20
	v_add_f32_e32 v20, v20, v21
	v_add_f32_e32 v20, v20, v26
	;; [unrolled: 1-line block ×11, first 2 shown]
	v_add_f32_e32 v23, 1.0, v20
	v_add_f32_e32 v21, -1.0, v23
	v_mov_b32_e32 v22, v21
	v_pk_add_f32 v[24:25], v[20:21], v[22:23] neg_lo:[0,1] neg_hi:[0,1]
	v_add_f32_e32 v3, 1.0, v25
	v_add_f32_e32 v3, v24, v3
	v_frexp_mant_f32_e32 v21, v23
	v_cvt_f64_f32_e32 v[24:25], v23
	v_frexp_exp_i32_f64_e32 v22, v[24:25]
	v_cmp_gt_f32_e32 vcc, s47, v21
	v_subbrev_co_u32_e32 v21, vcc, 0, v22, vcc
	v_sub_u32_e32 v22, 0, v21
	v_ldexp_f32 v23, v23, v22
	v_ldexp_f32 v3, v3, v22
	v_add_f32_e32 v22, -1.0, v23
	v_add_f32_e32 v25, 1.0, v23
	v_add_f32_e32 v24, 1.0, v22
	v_add_f32_e32 v26, -1.0, v25
	v_sub_f32_e32 v24, v23, v24
	v_sub_f32_e32 v23, v23, v26
	v_add_f32_e32 v24, v3, v24
	v_add_f32_e32 v3, v3, v23
	;; [unrolled: 1-line block ×3, first 2 shown]
	v_rcp_f32_e32 v48, v45
	v_sub_f32_e32 v23, v45, v25
	v_sub_f32_e32 v3, v3, v23
	v_add_f32_e32 v23, v22, v24
	v_sub_f32_e32 v22, v23, v22
	v_mul_f32_e32 v50, v23, v48
	v_sub_f32_e32 v49, v24, v22
	v_mul_f32_e32 v24, v45, v50
	v_fma_f32 v26, v50, v45, -v24
	v_fmac_f32_e32 v26, v50, v3
	v_add_f32_e32 v22, v24, v26
	v_sub_f32_e32 v25, v23, v22
	v_pk_add_f32 v[46:47], v[22:23], v[24:25] neg_lo:[0,1] neg_hi:[0,1]
	v_mov_b32_e32 v27, v22
	v_pk_add_f32 v[22:23], v[46:47], v[26:27] neg_lo:[0,1] neg_hi:[0,1]
	v_add_f32_e32 v23, v49, v23
	v_add_f32_e32 v22, v22, v23
	;; [unrolled: 1-line block ×3, first 2 shown]
	v_mul_f32_e32 v49, v48, v23
	v_mul_f32_e32 v24, v45, v49
	v_fma_f32 v26, v49, v45, -v24
	v_fmac_f32_e32 v26, v49, v3
	v_sub_f32_e32 v3, v25, v23
	v_add_f32_e32 v3, v22, v3
	v_add_f32_e32 v22, v24, v26
	v_sub_f32_e32 v25, v23, v22
	v_pk_add_f32 v[46:47], v[22:23], v[24:25] neg_lo:[0,1] neg_hi:[0,1]
	v_mov_b32_e32 v27, v22
	v_pk_add_f32 v[22:23], v[46:47], v[26:27] neg_lo:[0,1] neg_hi:[0,1]
	v_add_f32_e32 v3, v3, v23
	v_add_f32_e32 v3, v22, v3
	;; [unrolled: 1-line block ×4, first 2 shown]
	v_sub_f32_e32 v22, v23, v50
	v_mul_f32_e32 v3, v48, v3
	v_sub_f32_e32 v22, v49, v22
	v_add_f32_e32 v24, v22, v3
	v_add_f32_e32 v26, v23, v24
	v_cvt_f32_i32_e32 v22, v21
	v_mul_f32_e32 v27, v26, v26
	v_mov_b32_e32 v3, 0x3ecc95a3
	v_fmac_f32_e32 v3, 0x3e9b6dac, v27
	v_fma_f32 v3, v27, v3, v30
	v_sub_f32_e32 v21, v26, v23
	v_mul_f32_e32 v23, v26, v27
	v_ldexp_f32 v25, v26, 1
	v_pk_mul_f32 v[26:27], v[22:23], v[2:3]
	v_sub_f32_e32 v21, v24, v21
	v_fma_f32 v24, v22, s48, -v26
	v_fmac_f32_e32 v24, 0xb102e308, v22
	v_pk_add_f32 v[22:23], v[26:27], v[24:25]
	v_sub_f32_e32 v3, v23, v25
	v_ldexp_f32 v21, v21, 1
	v_sub_f32_e32 v3, v27, v3
	v_add_f32_e32 v47, v21, v3
	v_mov_b32_e32 v46, v26
	v_pk_add_f32 v[26:27], v[22:23], v[26:27] neg_lo:[0,1] neg_hi:[0,1]
	v_pk_add_f32 v[48:49], v[22:23], v[46:47]
	v_mov_b32_e32 v27, v49
	v_mov_b32_e32 v25, v22
	v_pk_add_f32 v[50:51], v[24:25], v[26:27] neg_lo:[0,1] neg_hi:[0,1]
	v_pk_add_f32 v[24:25], v[24:25], v[26:27]
	v_mov_b32_e32 v26, v25
	v_pk_add_f32 v[52:53], v[26:27], v[22:23] neg_lo:[0,1] neg_hi:[0,1]
	v_mov_b32_e32 v3, v52
	v_pk_add_f32 v[54:55], v[48:49], v[2:3] neg_lo:[0,1] neg_hi:[0,1]
	v_mov_b32_e32 v24, v49
	v_mov_b32_e32 v48, v23
	;; [unrolled: 1-line block ×4, first 2 shown]
	v_pk_add_f32 v[24:25], v[24:25], v[48:49] neg_lo:[0,1] neg_hi:[0,1]
	v_mov_b32_e32 v46, v47
	v_mov_b32_e32 v47, v22
	v_pk_add_f32 v[22:23], v[46:47], v[24:25] neg_lo:[0,1] neg_hi:[0,1]
	v_mov_b32_e32 v54, v50
	v_pk_add_f32 v[24:25], v[54:55], v[22:23]
	v_mov_b32_e32 v46, v25
	v_pk_add_f32 v[46:47], v[24:25], v[46:47]
	v_pk_add_f32 v[26:27], v[26:27], v[46:47]
	v_mov_b32_e32 v25, v26
	v_pk_add_f32 v[48:49], v[24:25], v[50:51] neg_lo:[0,1] neg_hi:[0,1]
	v_mov_b32_e32 v23, v46
	v_sub_f32_e32 v3, v24, v48
	v_pk_add_f32 v[22:23], v[22:23], v[48:49] neg_lo:[0,1] neg_hi:[0,1]
	v_sub_f32_e32 v3, v50, v3
	v_add_f32_e32 v3, v22, v3
	v_add_f32_e32 v3, v3, v23
	;; [unrolled: 1-line block ×3, first 2 shown]
	v_cmp_eq_f32_e32 vcc, s49, v20
	v_cndmask_b32_e32 v3, v3, v20, vcc
	v_cmp_ngt_f32_e32 vcc, -1.0, v20
	v_cndmask_b32_e32 v3, v37, v3, vcc
	v_cmp_neq_f32_e32 vcc, -1.0, v20
	v_cndmask_b32_e32 v3, v38, v3, vcc
	v_cmp_lt_f32_e64 vcc, |v20|, s50
	v_cndmask_b32_e32 v3, v3, v20, vcc
	v_mul_f32_e32 v20, 0.5, v3
	v_max_f32_e64 v3, |v11|, |v11|
	v_max_f32_e64 v21, |v10|, |v10|
	v_min_f32_e32 v22, v21, v3
	v_max_f32_e32 v3, v21, v3
	v_frexp_mant_f32_e32 v21, v3
	v_rcp_f32_e32 v21, v21
	v_frexp_exp_i32_f32_e32 v3, v3
	v_frexp_exp_i32_f32_e32 v23, v22
	v_frexp_mant_f32_e32 v22, v22
	v_mul_f32_e32 v21, v22, v21
	v_sub_u32_e32 v3, v23, v3
	v_ldexp_f32 v3, v21, v3
	v_mul_f32_e32 v21, v3, v3
	v_mov_b32_e32 v22, 0xbc7a590c
	v_fmac_f32_e32 v22, 0x3b2d2a58, v21
	v_fma_f32 v22, v21, v22, v31
	v_fma_f32 v22, v21, v22, v32
	;; [unrolled: 1-line block ×6, first 2 shown]
	v_mul_f32_e32 v21, v21, v22
	v_fmac_f32_e32 v3, v3, v21
	v_sub_f32_e32 v21, 0x3fc90fdb, v3
	v_cndmask_b32_e64 v3, v3, v21, s[10:11]
	v_sub_f32_e32 v21, 0x40490fdb, v3
	v_cmp_gt_f32_e32 vcc, 0, v10
	v_cmp_gt_i32_e64 s[12:13], 0, v10
	v_cndmask_b32_e32 v3, v3, v21, vcc
	v_cndmask_b32_e64 v21, 0, v39, s[12:13]
	v_cmp_eq_f32_e64 s[12:13], 0, v11
	v_cndmask_b32_e64 v3, v3, v21, s[12:13]
	v_cmp_class_f32_e64 s[12:13], v10, s51
	v_cmp_class_f32_e64 s[36:37], v11, s51
	v_cndmask_b32_e32 v21, v40, v41, vcc
	s_and_b64 vcc, s[36:37], s[12:13]
	v_cndmask_b32_e32 v21, v3, v21, vcc
.LBB175_25:                             ;   in Loop: Header=BB175_4 Depth=1
	s_or_b64 exec, exec, s[34:35]
.LBB175_26:                             ;   in Loop: Header=BB175_4 Depth=1
	s_or_b64 exec, exec, s[30:31]
.LBB175_27:                             ;   in Loop: Header=BB175_4 Depth=1
	s_andn2_saveexec_b64 s[28:29], s[28:29]
	s_cbranch_execz .LBB175_29
; %bb.28:                               ;   in Loop: Header=BB175_4 Depth=1
	v_max_f32_e64 v3, |v11|, |v11|
	v_max_f32_e64 v22, |v10|, |v10|
	v_max_f32_e32 v23, v22, v3
	v_cvt_f64_f32_e32 v[20:21], v23
	v_frexp_exp_i32_f64_e32 v20, v[20:21]
	v_sub_u32_e32 v21, 0, v20
	v_ldexp_f32 v24, |v10|, v21
	v_ldexp_f32 v21, |v11|, v21
	v_mul_f32_e32 v21, v21, v21
	v_fmac_f32_e32 v21, v24, v24
	v_sqrt_f32_e32 v21, v21
	v_cmp_neq_f32_e32 vcc, s49, v23
	v_min_f32_e32 v3, v22, v3
	v_frexp_exp_i32_f32_e32 v22, v23
	v_ldexp_f32 v20, v21, v20
	v_cndmask_b32_e32 v20, v44, v20, vcc
	v_cmp_gt_f32_e32 vcc, s53, v20
	v_cndmask_b32_e32 v21, 1.0, v42, vcc
	v_mul_f32_e32 v20, v20, v21
	v_log_f32_e32 v20, v20
	v_cndmask_b32_e32 v21, 0, v43, vcc
	v_cmp_gt_i32_e64 s[12:13], 0, v10
	v_cmp_class_f32_e64 s[30:31], v11, s51
	v_mul_f32_e32 v24, 0x3f317217, v20
	v_fma_f32 v25, v20, s54, -v24
	v_fmac_f32_e32 v25, 0x3377d1cf, v20
	v_add_f32_e32 v24, v24, v25
	v_cmp_lt_f32_e64 vcc, |v20|, s49
	v_cndmask_b32_e32 v20, v20, v24, vcc
	v_sub_f32_e32 v20, v20, v21
	v_frexp_mant_f32_e32 v21, v23
	v_rcp_f32_e32 v21, v21
	v_frexp_exp_i32_f32_e32 v23, v3
	v_frexp_mant_f32_e32 v3, v3
	v_cmp_gt_f32_e32 vcc, 0, v10
	v_mul_f32_e32 v3, v3, v21
	v_sub_u32_e32 v21, v23, v22
	v_ldexp_f32 v3, v3, v21
	v_mul_f32_e32 v21, v3, v3
	v_mov_b32_e32 v22, 0xbc7a590c
	v_fmac_f32_e32 v22, 0x3b2d2a58, v21
	v_fma_f32 v22, v21, v22, v31
	v_fma_f32 v22, v21, v22, v32
	;; [unrolled: 1-line block ×6, first 2 shown]
	v_mul_f32_e32 v21, v21, v22
	v_fmac_f32_e32 v3, v3, v21
	v_sub_f32_e32 v21, 0x3fc90fdb, v3
	v_cndmask_b32_e64 v3, v3, v21, s[10:11]
	v_sub_f32_e32 v21, 0x40490fdb, v3
	v_cndmask_b32_e32 v3, v3, v21, vcc
	v_cndmask_b32_e64 v21, 0, v39, s[12:13]
	v_cmp_eq_f32_e64 s[12:13], 0, v11
	v_cndmask_b32_e64 v3, v3, v21, s[12:13]
	v_cmp_class_f32_e64 s[12:13], v10, s51
	v_cndmask_b32_e32 v21, v40, v41, vcc
	s_and_b64 vcc, s[30:31], s[12:13]
	v_cndmask_b32_e32 v21, v3, v21, vcc
.LBB175_29:                             ;   in Loop: Header=BB175_4 Depth=1
	s_or_b64 exec, exec, s[28:29]
                                        ; implicit-def: $vgpr22
.LBB175_30:                             ;   in Loop: Header=BB175_4 Depth=1
	s_andn2_saveexec_b64 s[26:27], s[26:27]
	s_cbranch_execz .LBB175_36
; %bb.31:                               ;   in Loop: Header=BB175_4 Depth=1
	v_cmp_ngt_f32_e32 vcc, s55, v22
                                        ; implicit-def: $vgpr20
                                        ; implicit-def: $vgpr21
	s_and_saveexec_b64 s[12:13], vcc
	s_xor_b64 s[28:29], exec, s[12:13]
	s_cbranch_execz .LBB175_33
; %bb.32:                               ;   in Loop: Header=BB175_4 Depth=1
	v_pk_mul_f32 v[20:21], v[22:23], v[22:23]
	v_add_f32_e32 v23, 1.0, v20
	v_add_f32_e32 v21, -1.0, v23
	v_mov_b32_e32 v22, v21
	v_pk_add_f32 v[24:25], v[20:21], v[22:23] neg_lo:[0,1] neg_hi:[0,1]
	v_add_f32_e32 v3, 1.0, v25
	v_add_f32_e32 v3, v24, v3
	v_frexp_mant_f32_e32 v21, v23
	v_cvt_f64_f32_e32 v[24:25], v23
	v_frexp_exp_i32_f64_e32 v22, v[24:25]
	v_cmp_gt_f32_e32 vcc, s47, v21
	v_subbrev_co_u32_e32 v21, vcc, 0, v22, vcc
	v_sub_u32_e32 v22, 0, v21
	v_ldexp_f32 v23, v23, v22
	v_ldexp_f32 v3, v3, v22
	v_add_f32_e32 v22, -1.0, v23
	v_add_f32_e32 v25, 1.0, v23
	v_add_f32_e32 v24, 1.0, v22
	v_add_f32_e32 v26, -1.0, v25
	v_sub_f32_e32 v24, v23, v24
	v_sub_f32_e32 v23, v23, v26
	v_add_f32_e32 v24, v3, v24
	v_add_f32_e32 v3, v3, v23
	;; [unrolled: 1-line block ×3, first 2 shown]
	v_rcp_f32_e32 v48, v45
	v_sub_f32_e32 v23, v25, v45
	v_add_f32_e32 v3, v3, v23
	v_add_f32_e32 v23, v22, v24
	v_sub_f32_e32 v22, v22, v23
	v_mul_f32_e32 v50, v23, v48
	v_add_f32_e32 v49, v24, v22
	v_mul_f32_e32 v24, v45, v50
	v_fma_f32 v26, v50, v45, -v24
	v_fmac_f32_e32 v26, v50, v3
	v_add_f32_e32 v22, v24, v26
	v_sub_f32_e32 v25, v23, v22
	v_pk_add_f32 v[46:47], v[22:23], v[24:25] neg_lo:[0,1] neg_hi:[0,1]
	v_mov_b32_e32 v27, v22
	v_pk_add_f32 v[22:23], v[46:47], v[26:27] neg_lo:[0,1] neg_hi:[0,1]
	v_add_f32_e32 v23, v49, v23
	v_add_f32_e32 v22, v22, v23
	;; [unrolled: 1-line block ×3, first 2 shown]
	v_mul_f32_e32 v49, v48, v23
	v_mul_f32_e32 v24, v45, v49
	v_fma_f32 v26, v49, v45, -v24
	v_fmac_f32_e32 v26, v49, v3
	v_sub_f32_e32 v3, v25, v23
	v_add_f32_e32 v3, v22, v3
	v_add_f32_e32 v22, v24, v26
	v_sub_f32_e32 v25, v23, v22
	v_pk_add_f32 v[46:47], v[22:23], v[24:25] neg_lo:[0,1] neg_hi:[0,1]
	v_mov_b32_e32 v27, v22
	v_pk_add_f32 v[22:23], v[46:47], v[26:27] neg_lo:[0,1] neg_hi:[0,1]
	v_add_f32_e32 v3, v3, v23
	v_add_f32_e32 v3, v22, v3
	;; [unrolled: 1-line block ×4, first 2 shown]
	v_sub_f32_e32 v22, v23, v50
	v_mul_f32_e32 v3, v48, v3
	v_sub_f32_e32 v22, v49, v22
	v_add_f32_e32 v24, v22, v3
	v_add_f32_e32 v26, v23, v24
	v_cvt_f32_i32_e32 v22, v21
	v_mul_f32_e32 v27, v26, v26
	v_mov_b32_e32 v3, 0x3ecc95a3
	v_fmac_f32_e32 v3, 0x3e9b6dac, v27
	v_fma_f32 v3, v27, v3, v30
	v_sub_f32_e32 v21, v26, v23
	v_mul_f32_e32 v23, v26, v27
	v_ldexp_f32 v25, v26, 1
	v_pk_mul_f32 v[26:27], v[22:23], v[2:3]
	v_sub_f32_e32 v21, v24, v21
	v_fma_f32 v24, v22, s48, -v26
	v_fmac_f32_e32 v24, 0xb102e308, v22
	v_pk_add_f32 v[22:23], v[26:27], v[24:25]
	v_sub_f32_e32 v3, v23, v25
	v_ldexp_f32 v21, v21, 1
	v_sub_f32_e32 v3, v27, v3
	v_add_f32_e32 v47, v21, v3
	v_mov_b32_e32 v46, v26
	v_pk_add_f32 v[26:27], v[22:23], v[26:27] neg_lo:[0,1] neg_hi:[0,1]
	v_pk_add_f32 v[48:49], v[22:23], v[46:47]
	v_mov_b32_e32 v27, v49
	v_mov_b32_e32 v25, v22
	v_pk_add_f32 v[50:51], v[24:25], v[26:27] neg_lo:[0,1] neg_hi:[0,1]
	v_pk_add_f32 v[24:25], v[24:25], v[26:27]
	v_mov_b32_e32 v26, v25
	v_pk_add_f32 v[52:53], v[26:27], v[22:23] neg_lo:[0,1] neg_hi:[0,1]
	v_mov_b32_e32 v3, v52
	v_pk_add_f32 v[54:55], v[48:49], v[2:3] neg_lo:[0,1] neg_hi:[0,1]
	v_mov_b32_e32 v24, v49
	v_mov_b32_e32 v48, v23
	;; [unrolled: 1-line block ×4, first 2 shown]
	v_pk_add_f32 v[24:25], v[24:25], v[48:49] neg_lo:[0,1] neg_hi:[0,1]
	v_mov_b32_e32 v46, v47
	v_mov_b32_e32 v47, v22
	v_pk_add_f32 v[22:23], v[46:47], v[24:25] neg_lo:[0,1] neg_hi:[0,1]
	v_mov_b32_e32 v54, v50
	v_pk_add_f32 v[24:25], v[54:55], v[22:23]
	v_mov_b32_e32 v46, v25
	v_pk_add_f32 v[46:47], v[24:25], v[46:47]
	v_pk_add_f32 v[26:27], v[26:27], v[46:47]
	v_mov_b32_e32 v25, v26
	v_pk_add_f32 v[48:49], v[24:25], v[50:51] neg_lo:[0,1] neg_hi:[0,1]
	v_mov_b32_e32 v23, v46
	v_sub_f32_e32 v3, v24, v48
	v_pk_add_f32 v[22:23], v[22:23], v[48:49] neg_lo:[0,1] neg_hi:[0,1]
	v_sub_f32_e32 v3, v50, v3
	v_add_f32_e32 v3, v22, v3
	v_add_f32_e32 v3, v3, v23
	v_cmp_eq_f32_e32 vcc, s49, v20
	v_cmp_lt_f32_e64 s[12:13], |v20|, s50
	v_add_f32_e32 v3, v26, v3
	s_or_b64 vcc, vcc, s[12:13]
	v_cndmask_b32_e32 v3, v3, v20, vcc
	v_mul_f32_e32 v20, 0.5, v3
	v_max_f32_e64 v3, |v11|, |v11|
	v_max_f32_e64 v21, |v10|, |v10|
	v_min_f32_e32 v22, v21, v3
	v_max_f32_e32 v3, v21, v3
	v_frexp_mant_f32_e32 v21, v3
	v_rcp_f32_e32 v21, v21
	v_frexp_exp_i32_f32_e32 v3, v3
	v_frexp_exp_i32_f32_e32 v23, v22
	v_frexp_mant_f32_e32 v22, v22
	v_mul_f32_e32 v21, v22, v21
	v_sub_u32_e32 v3, v23, v3
	v_ldexp_f32 v3, v21, v3
	v_mul_f32_e32 v21, v3, v3
	v_mov_b32_e32 v22, 0xbc7a590c
	v_fmac_f32_e32 v22, 0x3b2d2a58, v21
	v_fma_f32 v22, v21, v22, v31
	v_fma_f32 v22, v21, v22, v32
	;; [unrolled: 1-line block ×6, first 2 shown]
	v_mul_f32_e32 v21, v21, v22
	v_fmac_f32_e32 v3, v3, v21
	v_sub_f32_e32 v21, 0x3fc90fdb, v3
	v_cndmask_b32_e64 v3, v3, v21, s[10:11]
	v_sub_f32_e32 v21, 0x40490fdb, v3
	v_cmp_gt_f32_e32 vcc, 0, v10
	v_cmp_gt_i32_e64 s[12:13], 0, v10
	v_cndmask_b32_e32 v3, v3, v21, vcc
	v_cndmask_b32_e64 v21, 0, v39, s[12:13]
	v_cmp_eq_f32_e64 s[12:13], 0, v11
	v_cndmask_b32_e64 v3, v3, v21, s[12:13]
	v_cmp_class_f32_e64 s[12:13], v10, s51
	v_cmp_class_f32_e64 s[30:31], v11, s51
	v_cndmask_b32_e32 v21, v40, v41, vcc
	s_and_b64 vcc, s[30:31], s[12:13]
	v_cndmask_b32_e32 v21, v3, v21, vcc
                                        ; implicit-def: $vgpr22
.LBB175_33:                             ;   in Loop: Header=BB175_4 Depth=1
	s_andn2_saveexec_b64 s[28:29], s[28:29]
	s_cbranch_execz .LBB175_35
; %bb.34:                               ;   in Loop: Header=BB175_4 Depth=1
	v_mul_f32_e32 v3, 0.5, v22
	v_mul_f32_e32 v20, v22, v3
	v_max_f32_e64 v3, |v11|, |v11|
	v_max_f32_e64 v21, |v10|, |v10|
	v_min_f32_e32 v22, v21, v3
	v_max_f32_e32 v3, v21, v3
	v_frexp_mant_f32_e32 v21, v3
	v_rcp_f32_e32 v21, v21
	v_frexp_exp_i32_f32_e32 v3, v3
	v_frexp_exp_i32_f32_e32 v23, v22
	v_frexp_mant_f32_e32 v22, v22
	v_mul_f32_e32 v21, v22, v21
	v_sub_u32_e32 v3, v23, v3
	v_ldexp_f32 v3, v21, v3
	v_mul_f32_e32 v21, v3, v3
	v_mov_b32_e32 v22, 0xbc7a590c
	v_fmac_f32_e32 v22, 0x3b2d2a58, v21
	v_fma_f32 v22, v21, v22, v31
	v_fma_f32 v22, v21, v22, v32
	;; [unrolled: 1-line block ×6, first 2 shown]
	v_mul_f32_e32 v21, v21, v22
	v_fmac_f32_e32 v3, v3, v21
	v_sub_f32_e32 v21, 0x3fc90fdb, v3
	v_cndmask_b32_e64 v3, v3, v21, s[10:11]
	v_sub_f32_e32 v21, 0x40490fdb, v3
	v_cmp_gt_f32_e32 vcc, 0, v10
	v_cmp_gt_i32_e64 s[12:13], 0, v10
	v_cndmask_b32_e32 v3, v3, v21, vcc
	v_cndmask_b32_e64 v21, 0, v39, s[12:13]
	v_cmp_eq_f32_e64 s[12:13], 0, v11
	v_cndmask_b32_e64 v3, v3, v21, s[12:13]
	v_cmp_class_f32_e64 s[12:13], v10, s51
	v_cmp_class_f32_e64 s[30:31], v11, s51
	v_cndmask_b32_e32 v21, v40, v41, vcc
	s_and_b64 vcc, s[30:31], s[12:13]
	v_cndmask_b32_e32 v21, v3, v21, vcc
.LBB175_35:                             ;   in Loop: Header=BB175_4 Depth=1
	s_or_b64 exec, exec, s[28:29]
.LBB175_36:                             ;   in Loop: Header=BB175_4 Depth=1
	s_or_b64 exec, exec, s[26:27]
.LBB175_37:                             ;   in Loop: Header=BB175_4 Depth=1
	s_andn2_saveexec_b64 s[24:25], s[24:25]
	s_cbranch_execz .LBB175_39
; %bb.38:                               ;   in Loop: Header=BB175_4 Depth=1
	v_div_scale_f32 v3, s[12:13], s56, s56, v10
	v_rcp_f32_e32 v20, v3
	v_div_scale_f32 v21, vcc, v10, s56, v10
	v_fma_f32 v22, -v3, v20, 1.0
	v_fmac_f32_e32 v20, v22, v20
	v_mul_f32_e32 v22, v21, v20
	v_fma_f32 v23, -v3, v22, v21
	v_fmac_f32_e32 v22, v23, v20
	v_fma_f32 v3, -v3, v22, v21
	v_div_scale_f32 v21, s[12:13], s56, s56, v11
	v_rcp_f32_e32 v23, v21
	v_div_fmas_f32 v3, v3, v20, v22
	v_div_fixup_f32 v3, v3, s56, v10
	v_fma_f32 v20, -v21, v23, 1.0
	v_fmac_f32_e32 v23, v20, v23
	v_div_scale_f32 v20, vcc, v11, s56, v11
	v_mul_f32_e32 v22, v20, v23
	v_fma_f32 v24, -v21, v22, v20
	v_fmac_f32_e32 v22, v24, v23
	v_fma_f32 v20, -v21, v22, v20
	v_div_fmas_f32 v20, v20, v23, v22
	v_div_fixup_f32 v22, v20, s56, v11
	v_max_f32_e64 v23, |v3|, |v22|
	v_cvt_f64_f32_e32 v[20:21], v23
	v_frexp_exp_i32_f64_e32 v20, v[20:21]
	v_sub_u32_e32 v21, 0, v20
	v_ldexp_f32 v3, |v3|, v21
	v_ldexp_f32 v21, |v22|, v21
	v_mul_f32_e32 v21, v21, v21
	v_fmac_f32_e32 v21, v3, v3
	v_sqrt_f32_e32 v3, v21
	v_cmp_neq_f32_e32 vcc, s49, v23
	v_ldexp_f32 v3, v3, v20
	v_cndmask_b32_e32 v3, v44, v3, vcc
	v_cmp_gt_f32_e32 vcc, s53, v3
	v_cndmask_b32_e32 v20, 1.0, v42, vcc
	v_mul_f32_e32 v3, v3, v20
	v_log_f32_e32 v3, v3
	v_mul_f32_e32 v20, 0x3f317217, v3
	v_fma_f32 v21, v3, s54, -v20
	v_fmac_f32_e32 v21, 0x3377d1cf, v3
	v_add_f32_e32 v20, v20, v21
	v_cmp_lt_f32_e64 s[12:13], |v3|, s49
	v_cndmask_b32_e64 v3, v3, v20, s[12:13]
	v_cndmask_b32_e32 v20, 0, v43, vcc
	v_sub_f32_e32 v3, v3, v20
	v_add_f32_e32 v20, 1.0, v3
	v_max_f32_e64 v3, |v11|, |v11|
	v_max_f32_e64 v21, |v10|, |v10|
	v_min_f32_e32 v22, v21, v3
	v_max_f32_e32 v3, v21, v3
	v_frexp_mant_f32_e32 v21, v3
	v_rcp_f32_e32 v21, v21
	v_frexp_exp_i32_f32_e32 v3, v3
	v_frexp_exp_i32_f32_e32 v23, v22
	v_frexp_mant_f32_e32 v22, v22
	v_mul_f32_e32 v21, v22, v21
	v_sub_u32_e32 v3, v23, v3
	v_ldexp_f32 v3, v21, v3
	v_mul_f32_e32 v21, v3, v3
	v_mov_b32_e32 v22, 0xbc7a590c
	v_fmac_f32_e32 v22, 0x3b2d2a58, v21
	v_fma_f32 v22, v21, v22, v31
	v_fma_f32 v22, v21, v22, v32
	;; [unrolled: 1-line block ×6, first 2 shown]
	v_mul_f32_e32 v21, v21, v22
	v_fmac_f32_e32 v3, v3, v21
	v_sub_f32_e32 v21, 0x3fc90fdb, v3
	v_cndmask_b32_e64 v3, v3, v21, s[10:11]
	v_sub_f32_e32 v21, 0x40490fdb, v3
	v_cmp_gt_f32_e32 vcc, 0, v10
	v_cmp_gt_i32_e64 s[10:11], 0, v10
	v_cndmask_b32_e32 v3, v3, v21, vcc
	v_cndmask_b32_e64 v21, 0, v39, s[10:11]
	v_cmp_eq_f32_e64 s[10:11], 0, v11
	v_cndmask_b32_e64 v3, v3, v21, s[10:11]
	v_cmp_class_f32_e64 s[10:11], v10, s51
	v_cmp_class_f32_e64 s[12:13], v11, s51
	v_cndmask_b32_e32 v21, v40, v41, vcc
	s_and_b64 vcc, s[12:13], s[10:11]
	v_cndmask_b32_e32 v21, v3, v21, vcc
.LBB175_39:                             ;   in Loop: Header=BB175_4 Depth=1
	s_or_b64 exec, exec, s[24:25]
.LBB175_40:                             ;   in Loop: Header=BB175_4 Depth=1
	s_andn2_saveexec_b64 s[10:11], s[22:23]
	s_cbranch_execz .LBB175_46
; %bb.41:                               ;   in Loop: Header=BB175_4 Depth=1
	v_cmp_nlt_f32_e64 s[12:13], |v10|, s57
	v_cmp_nlt_f32_e64 s[22:23], |v11|, s57
	s_or_b64 s[12:13], s[22:23], s[12:13]
                                        ; implicit-def: $vgpr3
	s_and_saveexec_b64 s[22:23], s[12:13]
	s_xor_b64 s[12:13], exec, s[22:23]
; %bb.42:                               ;   in Loop: Header=BB175_4 Depth=1
	v_pk_mul_f32 v[20:21], v[10:11], v[10:11]
	v_add_f32_e32 v3, v21, v20
; %bb.43:                               ;   in Loop: Header=BB175_4 Depth=1
	s_andn2_saveexec_b64 s[12:13], s[12:13]
; %bb.44:                               ;   in Loop: Header=BB175_4 Depth=1
	v_pk_mul_f32 v[20:21], v[10:11], 4.0 op_sel_hi:[1,0]
	v_pk_mul_f32 v[20:21], v[20:21], v[20:21]
	v_add_f32_e32 v3, v21, v20
	v_mul_f32_e32 v3, 0x3d800000, v3
; %bb.45:                               ;   in Loop: Header=BB175_4 Depth=1
	s_or_b64 exec, exec, s[12:13]
	v_cmp_gt_f32_e32 vcc, s53, v3
	v_cndmask_b32_e32 v10, 1.0, v42, vcc
	v_mul_f32_e32 v3, v3, v10
	v_log_f32_e32 v3, v3
	v_cndmask_b32_e32 v10, 0, v43, vcc
	v_mul_f32_e32 v20, 0x3f317217, v3
	v_fma_f32 v21, v3, s54, -v20
	v_fmac_f32_e32 v21, 0x3377d1cf, v3
	v_add_f32_e32 v20, v20, v21
	v_cmp_lt_f32_e64 vcc, |v3|, s49
	v_cndmask_b32_e32 v3, v3, v20, vcc
	v_sub_f32_e32 v20, v3, v10
	v_mov_b32_e32 v21, 0x7fc00000
.LBB175_46:                             ;   in Loop: Header=BB175_4 Depth=1
	s_or_b64 exec, exec, s[10:11]
	v_cmp_o_f32_e32 vcc, v15, v14
                                        ; implicit-def: $vgpr10
                                        ; implicit-def: $vgpr45
	s_and_saveexec_b64 s[10:11], vcc
	s_xor_b64 s[22:23], exec, s[10:11]
	s_cbranch_execz .LBB175_74
; %bb.47:                               ;   in Loop: Header=BB175_4 Depth=1
	v_cmp_lt_f32_e64 s[10:11], |v14|, |v15|
	v_cndmask_b32_e64 v3, v15, v14, s[10:11]
	v_cmp_ngt_f32_e64 s[12:13], |v3|, s44
                                        ; implicit-def: $vgpr10
                                        ; implicit-def: $vgpr45
	s_and_saveexec_b64 s[24:25], s[12:13]
	s_xor_b64 s[24:25], exec, s[24:25]
	s_cbranch_execz .LBB175_71
; %bb.48:                               ;   in Loop: Header=BB175_4 Depth=1
	v_cndmask_b32_e64 v10, v14, v15, s[10:11]
	v_and_b32_e32 v23, 0x7fffffff, v10
	v_and_b32_e32 v22, 0x7fffffff, v3
	v_cmp_neq_f32_e32 vcc, 1.0, v23
                                        ; implicit-def: $vgpr10
                                        ; implicit-def: $vgpr45
	s_and_saveexec_b64 s[12:13], vcc
	s_xor_b64 s[26:27], exec, s[12:13]
	s_cbranch_execz .LBB175_64
; %bb.49:                               ;   in Loop: Header=BB175_4 Depth=1
	v_max_f32_e32 v3, v22, v22
	v_max_f32_e32 v10, v23, v23
	v_min_f32_e32 v24, v10, v3
	v_max_f32_e32 v3, v10, v3
	v_cmp_ngt_f32_e32 vcc, s45, v24
	v_cmp_nlt_f32_e64 s[12:13], s46, v3
	s_and_b64 s[12:13], s[12:13], vcc
                                        ; implicit-def: $vgpr10
                                        ; implicit-def: $vgpr45
	s_and_saveexec_b64 s[28:29], s[12:13]
	s_xor_b64 s[28:29], exec, s[28:29]
	s_cbranch_execz .LBB175_61
; %bb.50:                               ;   in Loop: Header=BB175_4 Depth=1
	v_cmp_le_f32_e32 vcc, 1.0, v23
                                        ; implicit-def: $vgpr10
                                        ; implicit-def: $vgpr45
	s_and_saveexec_b64 s[12:13], vcc
	s_xor_b64 s[30:31], exec, s[12:13]
	s_cbranch_execz .LBB175_52
; %bb.51:                               ;   in Loop: Header=BB175_4 Depth=1
	v_pk_add_f32 v[24:25], v[22:23], s[20:21] op_sel:[1,0]
	v_mov_b32_e32 v10, v25
	v_pk_mul_f32 v[24:25], v[24:25], v[10:11]
	v_pk_fma_f32 v[22:23], v[22:23], v[22:23], v[24:25]
	v_add_f32_e32 v25, 1.0, v22
	v_add_f32_e32 v23, -1.0, v25
	v_mov_b32_e32 v24, v23
	v_pk_add_f32 v[26:27], v[22:23], v[24:25] neg_lo:[0,1] neg_hi:[0,1]
	v_add_f32_e32 v3, 1.0, v27
	v_add_f32_e32 v3, v26, v3
	v_frexp_mant_f32_e32 v10, v25
	v_cvt_f64_f32_e32 v[26:27], v25
	v_frexp_exp_i32_f64_e32 v23, v[26:27]
	v_cmp_gt_f32_e32 vcc, s47, v10
	v_subbrev_co_u32_e32 v10, vcc, 0, v23, vcc
	v_sub_u32_e32 v23, 0, v10
	v_ldexp_f32 v24, v25, v23
	v_ldexp_f32 v3, v3, v23
	v_add_f32_e32 v23, -1.0, v24
	v_add_f32_e32 v25, 1.0, v23
	v_sub_f32_e32 v25, v24, v25
	v_add_f32_e32 v26, v3, v25
	v_add_f32_e32 v25, 1.0, v24
	v_add_f32_e32 v27, -1.0, v25
	v_sub_f32_e32 v24, v24, v27
	v_add_f32_e32 v3, v3, v24
	v_add_f32_e32 v45, v25, v3
	v_rcp_f32_e32 v50, v45
	v_sub_f32_e32 v24, v45, v25
	v_add_f32_e32 v25, v23, v26
	v_sub_f32_e32 v23, v25, v23
	v_mul_f32_e32 v51, v25, v50
	v_sub_f32_e32 v23, v26, v23
	v_mul_f32_e32 v26, v45, v51
	v_sub_f32_e32 v3, v3, v24
	v_fma_f32 v46, v51, v45, -v26
	v_fmac_f32_e32 v46, v51, v3
	v_add_f32_e32 v24, v26, v46
	v_sub_f32_e32 v27, v25, v24
	v_pk_add_f32 v[48:49], v[24:25], v[26:27] neg_lo:[0,1] neg_hi:[0,1]
	v_mov_b32_e32 v47, v24
	v_pk_add_f32 v[24:25], v[48:49], v[46:47] neg_lo:[0,1] neg_hi:[0,1]
	v_add_f32_e32 v23, v23, v25
	v_add_f32_e32 v23, v24, v23
	;; [unrolled: 1-line block ×3, first 2 shown]
	v_mul_f32_e32 v52, v50, v25
	v_mul_f32_e32 v26, v45, v52
	v_fma_f32 v46, v52, v45, -v26
	v_fmac_f32_e32 v46, v52, v3
	v_add_f32_e32 v24, v26, v46
	v_sub_f32_e32 v3, v27, v25
	v_sub_f32_e32 v27, v25, v24
	v_pk_add_f32 v[48:49], v[24:25], v[26:27] neg_lo:[0,1] neg_hi:[0,1]
	v_mov_b32_e32 v47, v24
	v_add_f32_e32 v3, v23, v3
	v_pk_add_f32 v[24:25], v[48:49], v[46:47] neg_lo:[0,1] neg_hi:[0,1]
	v_add_f32_e32 v3, v3, v25
	v_add_f32_e32 v3, v24, v3
	;; [unrolled: 1-line block ×4, first 2 shown]
	v_sub_f32_e32 v24, v23, v51
	v_mul_f32_e32 v3, v50, v3
	v_sub_f32_e32 v24, v52, v24
	v_add_f32_e32 v25, v24, v3
	v_add_f32_e32 v26, v23, v25
	v_cvt_f32_i32_e32 v24, v10
	v_mul_f32_e32 v45, v26, v26
	v_mov_b32_e32 v3, 0x3ecc95a3
	v_fmac_f32_e32 v3, 0x3e9b6dac, v45
	v_sub_f32_e32 v10, v26, v23
	v_fma_f32 v3, v45, v3, v30
	v_sub_f32_e32 v10, v25, v10
	v_mul_f32_e32 v25, v26, v45
	v_pk_mul_f32 v[46:47], v[24:25], v[2:3]
	v_ldexp_f32 v27, v26, 1
	v_fma_f32 v26, v24, s48, -v46
	v_fmac_f32_e32 v26, 0xb102e308, v24
	v_pk_add_f32 v[24:25], v[46:47], v[26:27]
	v_sub_f32_e32 v3, v25, v27
	v_ldexp_f32 v10, v10, 1
	v_sub_f32_e32 v3, v47, v3
	v_add_f32_e32 v49, v10, v3
	v_mov_b32_e32 v48, v46
	v_pk_add_f32 v[46:47], v[24:25], v[46:47] neg_lo:[0,1] neg_hi:[0,1]
	v_pk_add_f32 v[50:51], v[24:25], v[48:49]
	v_mov_b32_e32 v47, v51
	v_mov_b32_e32 v27, v24
	v_pk_add_f32 v[52:53], v[26:27], v[46:47] neg_lo:[0,1] neg_hi:[0,1]
	v_pk_add_f32 v[26:27], v[26:27], v[46:47]
	v_mov_b32_e32 v10, v27
	v_pk_add_f32 v[46:47], v[10:11], v[24:25] neg_lo:[0,1] neg_hi:[0,1]
	v_mov_b32_e32 v3, v46
	v_pk_add_f32 v[54:55], v[50:51], v[2:3] neg_lo:[0,1] neg_hi:[0,1]
	v_mov_b32_e32 v26, v51
	v_mov_b32_e32 v50, v25
	;; [unrolled: 1-line block ×4, first 2 shown]
	v_pk_add_f32 v[26:27], v[26:27], v[50:51] neg_lo:[0,1] neg_hi:[0,1]
	v_mov_b32_e32 v46, v49
	v_mov_b32_e32 v47, v24
	v_pk_add_f32 v[24:25], v[46:47], v[26:27] neg_lo:[0,1] neg_hi:[0,1]
	v_mov_b32_e32 v54, v52
	v_pk_add_f32 v[26:27], v[54:55], v[24:25]
	v_mov_b32_e32 v46, v27
	v_pk_add_f32 v[46:47], v[26:27], v[46:47]
	v_pk_add_f32 v[48:49], v[10:11], v[46:47]
	v_mov_b32_e32 v27, v48
	v_pk_add_f32 v[50:51], v[26:27], v[52:53] neg_lo:[0,1] neg_hi:[0,1]
	v_mov_b32_e32 v25, v46
	v_sub_f32_e32 v3, v26, v50
	v_pk_add_f32 v[24:25], v[24:25], v[50:51] neg_lo:[0,1] neg_hi:[0,1]
	v_sub_f32_e32 v3, v52, v3
	v_add_f32_e32 v3, v24, v3
	v_add_f32_e32 v3, v3, v25
	;; [unrolled: 1-line block ×3, first 2 shown]
	v_cmp_eq_f32_e32 vcc, s49, v22
	v_cndmask_b32_e32 v3, v3, v22, vcc
	v_cmp_ngt_f32_e32 vcc, -1.0, v22
	v_cndmask_b32_e32 v3, v37, v3, vcc
	v_cmp_neq_f32_e32 vcc, -1.0, v22
	v_cndmask_b32_e32 v3, v38, v3, vcc
	v_cmp_lt_f32_e64 vcc, |v22|, s50
	v_cndmask_b32_e32 v3, v3, v22, vcc
	v_mul_f32_e32 v10, 0.5, v3
	v_max_f32_e64 v3, |v15|, |v15|
	v_max_f32_e64 v22, |v14|, |v14|
	v_min_f32_e32 v23, v22, v3
	v_max_f32_e32 v3, v22, v3
	v_frexp_mant_f32_e32 v22, v3
	v_rcp_f32_e32 v22, v22
	v_frexp_exp_i32_f32_e32 v3, v3
	v_frexp_exp_i32_f32_e32 v24, v23
	v_frexp_mant_f32_e32 v23, v23
	v_mul_f32_e32 v22, v23, v22
	v_sub_u32_e32 v3, v24, v3
	v_ldexp_f32 v3, v22, v3
	v_mul_f32_e32 v22, v3, v3
	v_mov_b32_e32 v23, 0xbc7a590c
	v_fmac_f32_e32 v23, 0x3b2d2a58, v22
	v_fma_f32 v23, v22, v23, v31
	v_fma_f32 v23, v22, v23, v32
	;; [unrolled: 1-line block ×6, first 2 shown]
	v_mul_f32_e32 v22, v22, v23
	v_fmac_f32_e32 v3, v3, v22
	v_sub_f32_e32 v22, 0x3fc90fdb, v3
	v_cndmask_b32_e64 v3, v3, v22, s[10:11]
	v_sub_f32_e32 v22, 0x40490fdb, v3
	v_cmp_gt_f32_e32 vcc, 0, v14
	v_cmp_gt_i32_e64 s[12:13], 0, v14
	v_cndmask_b32_e32 v3, v3, v22, vcc
	v_cndmask_b32_e64 v22, 0, v39, s[12:13]
	v_cmp_eq_f32_e64 s[12:13], 0, v15
	v_cndmask_b32_e64 v3, v3, v22, s[12:13]
	v_cmp_class_f32_e64 s[12:13], v14, s51
	v_cmp_class_f32_e64 s[34:35], v15, s51
	v_cndmask_b32_e32 v22, v40, v41, vcc
	s_and_b64 vcc, s[34:35], s[12:13]
	v_cndmask_b32_e32 v45, v3, v22, vcc
                                        ; implicit-def: $vgpr22_vgpr23
.LBB175_52:                             ;   in Loop: Header=BB175_4 Depth=1
	s_andn2_saveexec_b64 s[30:31], s[30:31]
	s_cbranch_execz .LBB175_60
; %bb.53:                               ;   in Loop: Header=BB175_4 Depth=1
	v_pk_mul_f32 v[24:25], v[22:23], v[22:23]
	v_add_f32_e32 v3, v25, v24
	v_cmp_ge_f32_e32 vcc, s52, v3
                                        ; implicit-def: $vgpr10
                                        ; implicit-def: $vgpr45
	s_and_saveexec_b64 s[12:13], vcc
	s_xor_b64 s[34:35], exec, s[12:13]
	s_cbranch_execz .LBB175_55
; %bb.54:                               ;   in Loop: Header=BB175_4 Depth=1
	v_cmp_gt_f32_e32 vcc, s53, v3
	v_cndmask_b32_e32 v10, 1.0, v42, vcc
	v_mul_f32_e32 v3, v3, v10
	v_log_f32_e32 v3, v3
	v_cndmask_b32_e32 v10, 0, v43, vcc
	v_cmp_gt_i32_e64 s[12:13], 0, v14
	v_cmp_class_f32_e64 s[36:37], v15, s51
	v_mul_f32_e32 v22, 0x3f317217, v3
	v_fma_f32 v23, v3, s54, -v22
	v_fmac_f32_e32 v23, 0x3377d1cf, v3
	v_add_f32_e32 v22, v22, v23
	v_cmp_lt_f32_e64 vcc, |v3|, s49
	v_cndmask_b32_e32 v3, v3, v22, vcc
	v_sub_f32_e32 v3, v3, v10
	v_mul_f32_e32 v10, 0.5, v3
	v_max_f32_e64 v3, |v15|, |v15|
	v_max_f32_e64 v22, |v14|, |v14|
	v_min_f32_e32 v23, v22, v3
	v_max_f32_e32 v3, v22, v3
	v_frexp_mant_f32_e32 v22, v3
	v_rcp_f32_e32 v22, v22
	v_frexp_exp_i32_f32_e32 v3, v3
	v_frexp_exp_i32_f32_e32 v24, v23
	v_frexp_mant_f32_e32 v23, v23
	v_mul_f32_e32 v22, v23, v22
	v_sub_u32_e32 v3, v24, v3
	v_ldexp_f32 v3, v22, v3
	v_mul_f32_e32 v22, v3, v3
	v_mov_b32_e32 v23, 0xbc7a590c
	v_fmac_f32_e32 v23, 0x3b2d2a58, v22
	v_fma_f32 v23, v22, v23, v31
	v_fma_f32 v23, v22, v23, v32
	;; [unrolled: 1-line block ×6, first 2 shown]
	v_mul_f32_e32 v22, v22, v23
	v_fmac_f32_e32 v3, v3, v22
	v_sub_f32_e32 v22, 0x3fc90fdb, v3
	v_cndmask_b32_e64 v3, v3, v22, s[10:11]
	v_sub_f32_e32 v22, 0x40490fdb, v3
	v_cmp_gt_f32_e32 vcc, 0, v14
	v_cndmask_b32_e32 v3, v3, v22, vcc
	v_cndmask_b32_e64 v22, 0, v39, s[12:13]
	v_cmp_eq_f32_e64 s[12:13], 0, v15
	v_cndmask_b32_e64 v3, v3, v22, s[12:13]
	v_cmp_class_f32_e64 s[12:13], v14, s51
	v_cndmask_b32_e32 v22, v40, v41, vcc
	s_and_b64 vcc, s[36:37], s[12:13]
	v_cndmask_b32_e32 v45, v3, v22, vcc
                                        ; implicit-def: $vgpr22_vgpr23
.LBB175_55:                             ;   in Loop: Header=BB175_4 Depth=1
	s_andn2_saveexec_b64 s[34:35], s[34:35]
	s_cbranch_execz .LBB175_59
; %bb.56:                               ;   in Loop: Header=BB175_4 Depth=1
	v_and_b32_e32 v25, 0x7fff0000, v22
	v_and_b32_e32 v24, 0x7fff0000, v23
	v_pk_add_f32 v[22:23], v[22:23], v[24:25] op_sel:[1,0] op_sel_hi:[0,1] neg_lo:[0,1] neg_hi:[0,1]
	v_and_b32_e32 v27, 0xffff0000, v23
	v_and_b32_e32 v26, 0xffff0000, v22
	v_add_f32_e32 v45, v24, v24
	v_pk_add_f32 v[50:51], v[22:23], v[26:27] neg_lo:[0,1] neg_hi:[0,1]
	v_pk_mul_f32 v[22:23], v[24:25], v[24:25]
	v_mul_f32_e32 v10, v45, v26
	v_add_f32_e32 v47, v25, v25
	v_pk_mul_f32 v[24:25], v[26:27], v[26:27]
	v_add_f32_e32 v26, v26, v26
	v_mul_f32_e32 v3, v47, v27
	v_mul_f32_e32 v46, v45, v50
	;; [unrolled: 1-line block ×4, first 2 shown]
	v_add_f32_e32 v26, v27, v27
	v_mul_f32_e32 v48, v26, v51
	v_pk_mul_f32 v[26:27], v[50:51], v[50:51]
	s_mov_b64 s[36:37], 0
.LBB175_57:                             ;   Parent Loop BB175_4 Depth=1
                                        ; =>  This Inner Loop Header: Depth=2
	v_cmp_nlt_f32_e32 vcc, v22, v23
	v_cndmask_b32_e32 v49, v22, v23, vcc
	v_cmp_nlt_f32_e64 s[12:13], v49, v10
	v_cndmask_b32_e64 v50, v49, v10, s[12:13]
	v_cndmask_b32_e32 v22, v23, v22, vcc
	s_and_b64 s[58:59], vcc, s[12:13]
	v_cmp_nlt_f32_e32 vcc, v50, v3
	v_cndmask_b32_e64 v23, v10, v49, s[12:13]
	v_cndmask_b32_e32 v49, v50, v3, vcc
	v_cmp_nlt_f32_e64 s[12:13], v49, v24
	v_cndmask_b32_e32 v10, v3, v50, vcc
	v_cndmask_b32_e64 v50, v49, v24, s[12:13]
	s_and_b64 s[60:61], vcc, s[12:13]
	v_cmp_nlt_f32_e32 vcc, v50, v25
	v_cndmask_b32_e64 v3, v24, v49, s[12:13]
	v_cndmask_b32_e32 v49, v50, v25, vcc
	v_cmp_nlt_f32_e64 s[12:13], v49, v46
	v_cndmask_b32_e32 v24, v25, v50, vcc
	v_cndmask_b32_e64 v50, v49, v46, s[12:13]
	v_cndmask_b32_e64 v25, v46, v49, s[12:13]
	s_and_b64 s[12:13], vcc, s[12:13]
	v_cmp_nlt_f32_e32 vcc, v50, v45
	v_cndmask_b32_e32 v49, v50, v45, vcc
	v_cndmask_b32_e32 v46, v45, v50, vcc
	s_and_b64 s[12:13], s[12:13], vcc
	v_cmp_nlt_f32_e32 vcc, v49, v47
	v_cndmask_b32_e32 v50, v49, v47, vcc
	v_cndmask_b32_e32 v45, v47, v49, vcc
	s_and_b64 s[12:13], s[12:13], vcc
	;; [unrolled: 4-line block ×4, first 2 shown]
	v_cmp_nlt_f32_e32 vcc, v50, v27
	s_and_b64 s[12:13], s[12:13], vcc
	s_and_b64 s[12:13], s[12:13], s[60:61]
	s_and_b64 s[12:13], s[12:13], s[58:59]
	s_and_b64 s[12:13], exec, s[12:13]
	v_cndmask_b32_e32 v26, v27, v50, vcc
	s_or_b64 s[36:37], s[12:13], s[36:37]
	v_cndmask_b32_e32 v27, v50, v27, vcc
	s_andn2_b64 exec, exec, s[36:37]
	s_cbranch_execnz .LBB175_57
; %bb.58:                               ;   in Loop: Header=BB175_4 Depth=1
	s_or_b64 exec, exec, s[36:37]
	v_add_f32_e32 v22, -1.0, v22
	v_add_f32_e32 v22, v22, v23
	v_add_f32_e32 v10, v22, v10
	;; [unrolled: 1-line block ×11, first 2 shown]
	v_add_f32_e32 v25, 1.0, v22
	v_add_f32_e32 v23, -1.0, v25
	v_mov_b32_e32 v24, v23
	v_pk_add_f32 v[26:27], v[22:23], v[24:25] neg_lo:[0,1] neg_hi:[0,1]
	v_add_f32_e32 v3, 1.0, v27
	v_add_f32_e32 v3, v26, v3
	v_frexp_mant_f32_e32 v10, v25
	v_cvt_f64_f32_e32 v[26:27], v25
	v_frexp_exp_i32_f64_e32 v23, v[26:27]
	v_cmp_gt_f32_e32 vcc, s47, v10
	v_subbrev_co_u32_e32 v10, vcc, 0, v23, vcc
	v_sub_u32_e32 v23, 0, v10
	v_ldexp_f32 v24, v25, v23
	v_ldexp_f32 v3, v3, v23
	v_add_f32_e32 v23, -1.0, v24
	v_add_f32_e32 v25, 1.0, v23
	v_sub_f32_e32 v25, v24, v25
	v_add_f32_e32 v26, v3, v25
	v_add_f32_e32 v25, 1.0, v24
	v_add_f32_e32 v27, -1.0, v25
	v_sub_f32_e32 v24, v24, v27
	v_add_f32_e32 v3, v3, v24
	v_add_f32_e32 v45, v25, v3
	v_rcp_f32_e32 v50, v45
	v_sub_f32_e32 v24, v45, v25
	v_add_f32_e32 v25, v23, v26
	v_sub_f32_e32 v23, v25, v23
	v_mul_f32_e32 v51, v25, v50
	v_sub_f32_e32 v23, v26, v23
	v_mul_f32_e32 v26, v45, v51
	v_sub_f32_e32 v3, v3, v24
	v_fma_f32 v46, v51, v45, -v26
	v_fmac_f32_e32 v46, v51, v3
	v_add_f32_e32 v24, v26, v46
	v_sub_f32_e32 v27, v25, v24
	v_pk_add_f32 v[48:49], v[24:25], v[26:27] neg_lo:[0,1] neg_hi:[0,1]
	v_mov_b32_e32 v47, v24
	v_pk_add_f32 v[24:25], v[48:49], v[46:47] neg_lo:[0,1] neg_hi:[0,1]
	v_add_f32_e32 v23, v23, v25
	v_add_f32_e32 v23, v24, v23
	;; [unrolled: 1-line block ×3, first 2 shown]
	v_mul_f32_e32 v52, v50, v25
	v_mul_f32_e32 v26, v45, v52
	v_fma_f32 v46, v52, v45, -v26
	v_fmac_f32_e32 v46, v52, v3
	v_add_f32_e32 v24, v26, v46
	v_sub_f32_e32 v3, v27, v25
	v_sub_f32_e32 v27, v25, v24
	v_pk_add_f32 v[48:49], v[24:25], v[26:27] neg_lo:[0,1] neg_hi:[0,1]
	v_mov_b32_e32 v47, v24
	v_add_f32_e32 v3, v23, v3
	v_pk_add_f32 v[24:25], v[48:49], v[46:47] neg_lo:[0,1] neg_hi:[0,1]
	v_add_f32_e32 v3, v3, v25
	v_add_f32_e32 v3, v24, v3
	;; [unrolled: 1-line block ×4, first 2 shown]
	v_sub_f32_e32 v24, v23, v51
	v_mul_f32_e32 v3, v50, v3
	v_sub_f32_e32 v24, v52, v24
	v_add_f32_e32 v25, v24, v3
	v_add_f32_e32 v26, v23, v25
	v_cvt_f32_i32_e32 v24, v10
	v_mul_f32_e32 v45, v26, v26
	v_mov_b32_e32 v3, 0x3ecc95a3
	v_fmac_f32_e32 v3, 0x3e9b6dac, v45
	v_sub_f32_e32 v10, v26, v23
	v_fma_f32 v3, v45, v3, v30
	v_sub_f32_e32 v10, v25, v10
	v_mul_f32_e32 v25, v26, v45
	v_pk_mul_f32 v[46:47], v[24:25], v[2:3]
	v_ldexp_f32 v27, v26, 1
	v_fma_f32 v26, v24, s48, -v46
	v_fmac_f32_e32 v26, 0xb102e308, v24
	v_pk_add_f32 v[24:25], v[46:47], v[26:27]
	v_sub_f32_e32 v3, v25, v27
	v_ldexp_f32 v10, v10, 1
	v_sub_f32_e32 v3, v47, v3
	v_add_f32_e32 v49, v10, v3
	v_mov_b32_e32 v48, v46
	v_pk_add_f32 v[46:47], v[24:25], v[46:47] neg_lo:[0,1] neg_hi:[0,1]
	v_pk_add_f32 v[50:51], v[24:25], v[48:49]
	v_mov_b32_e32 v47, v51
	v_mov_b32_e32 v27, v24
	v_pk_add_f32 v[52:53], v[26:27], v[46:47] neg_lo:[0,1] neg_hi:[0,1]
	v_pk_add_f32 v[26:27], v[26:27], v[46:47]
	v_mov_b32_e32 v10, v27
	v_pk_add_f32 v[46:47], v[10:11], v[24:25] neg_lo:[0,1] neg_hi:[0,1]
	v_mov_b32_e32 v3, v46
	v_pk_add_f32 v[54:55], v[50:51], v[2:3] neg_lo:[0,1] neg_hi:[0,1]
	v_mov_b32_e32 v26, v51
	v_mov_b32_e32 v50, v25
	;; [unrolled: 1-line block ×4, first 2 shown]
	v_pk_add_f32 v[26:27], v[26:27], v[50:51] neg_lo:[0,1] neg_hi:[0,1]
	v_mov_b32_e32 v46, v49
	v_mov_b32_e32 v47, v24
	v_pk_add_f32 v[24:25], v[46:47], v[26:27] neg_lo:[0,1] neg_hi:[0,1]
	v_mov_b32_e32 v54, v52
	v_pk_add_f32 v[26:27], v[54:55], v[24:25]
	v_mov_b32_e32 v46, v27
	v_pk_add_f32 v[46:47], v[26:27], v[46:47]
	v_pk_add_f32 v[48:49], v[10:11], v[46:47]
	v_mov_b32_e32 v27, v48
	v_pk_add_f32 v[50:51], v[26:27], v[52:53] neg_lo:[0,1] neg_hi:[0,1]
	v_mov_b32_e32 v25, v46
	v_sub_f32_e32 v3, v26, v50
	v_pk_add_f32 v[24:25], v[24:25], v[50:51] neg_lo:[0,1] neg_hi:[0,1]
	v_sub_f32_e32 v3, v52, v3
	v_add_f32_e32 v3, v24, v3
	v_add_f32_e32 v3, v3, v25
	;; [unrolled: 1-line block ×3, first 2 shown]
	v_cmp_eq_f32_e32 vcc, s49, v22
	v_cndmask_b32_e32 v3, v3, v22, vcc
	v_cmp_ngt_f32_e32 vcc, -1.0, v22
	v_cndmask_b32_e32 v3, v37, v3, vcc
	v_cmp_neq_f32_e32 vcc, -1.0, v22
	v_cndmask_b32_e32 v3, v38, v3, vcc
	v_cmp_lt_f32_e64 vcc, |v22|, s50
	v_cndmask_b32_e32 v3, v3, v22, vcc
	v_mul_f32_e32 v10, 0.5, v3
	v_max_f32_e64 v3, |v15|, |v15|
	v_max_f32_e64 v22, |v14|, |v14|
	v_min_f32_e32 v23, v22, v3
	v_max_f32_e32 v3, v22, v3
	v_frexp_mant_f32_e32 v22, v3
	v_rcp_f32_e32 v22, v22
	v_frexp_exp_i32_f32_e32 v3, v3
	v_frexp_exp_i32_f32_e32 v24, v23
	v_frexp_mant_f32_e32 v23, v23
	v_mul_f32_e32 v22, v23, v22
	v_sub_u32_e32 v3, v24, v3
	v_ldexp_f32 v3, v22, v3
	v_mul_f32_e32 v22, v3, v3
	v_mov_b32_e32 v23, 0xbc7a590c
	v_fmac_f32_e32 v23, 0x3b2d2a58, v22
	v_fma_f32 v23, v22, v23, v31
	v_fma_f32 v23, v22, v23, v32
	;; [unrolled: 1-line block ×6, first 2 shown]
	v_mul_f32_e32 v22, v22, v23
	v_fmac_f32_e32 v3, v3, v22
	v_sub_f32_e32 v22, 0x3fc90fdb, v3
	v_cndmask_b32_e64 v3, v3, v22, s[10:11]
	v_sub_f32_e32 v22, 0x40490fdb, v3
	v_cmp_gt_f32_e32 vcc, 0, v14
	v_cmp_gt_i32_e64 s[12:13], 0, v14
	v_cndmask_b32_e32 v3, v3, v22, vcc
	v_cndmask_b32_e64 v22, 0, v39, s[12:13]
	v_cmp_eq_f32_e64 s[12:13], 0, v15
	v_cndmask_b32_e64 v3, v3, v22, s[12:13]
	v_cmp_class_f32_e64 s[12:13], v14, s51
	v_cmp_class_f32_e64 s[36:37], v15, s51
	v_cndmask_b32_e32 v22, v40, v41, vcc
	s_and_b64 vcc, s[36:37], s[12:13]
	v_cndmask_b32_e32 v45, v3, v22, vcc
.LBB175_59:                             ;   in Loop: Header=BB175_4 Depth=1
	s_or_b64 exec, exec, s[34:35]
.LBB175_60:                             ;   in Loop: Header=BB175_4 Depth=1
	s_or_b64 exec, exec, s[30:31]
.LBB175_61:                             ;   in Loop: Header=BB175_4 Depth=1
	s_andn2_saveexec_b64 s[28:29], s[28:29]
	s_cbranch_execz .LBB175_63
; %bb.62:                               ;   in Loop: Header=BB175_4 Depth=1
	v_max_f32_e64 v3, |v15|, |v15|
	v_max_f32_e64 v24, |v14|, |v14|
	v_max_f32_e32 v25, v24, v3
	v_cvt_f64_f32_e32 v[22:23], v25
	v_frexp_exp_i32_f64_e32 v10, v[22:23]
	v_sub_u32_e32 v22, 0, v10
	v_ldexp_f32 v23, |v14|, v22
	v_ldexp_f32 v22, |v15|, v22
	v_mul_f32_e32 v22, v22, v22
	v_fmac_f32_e32 v22, v23, v23
	v_sqrt_f32_e32 v22, v22
	v_cmp_neq_f32_e32 vcc, s49, v25
	v_min_f32_e32 v3, v24, v3
	v_frexp_exp_i32_f32_e32 v24, v3
	v_ldexp_f32 v10, v22, v10
	v_cndmask_b32_e32 v10, v44, v10, vcc
	v_cmp_gt_f32_e32 vcc, s53, v10
	v_cndmask_b32_e32 v22, 1.0, v42, vcc
	v_mul_f32_e32 v10, v10, v22
	v_log_f32_e32 v10, v10
	v_cndmask_b32_e32 v22, 0, v43, vcc
	v_frexp_mant_f32_e32 v3, v3
	v_cmp_gt_i32_e64 s[12:13], 0, v14
	v_mul_f32_e32 v23, 0x3f317217, v10
	v_fma_f32 v26, v10, s54, -v23
	v_fmac_f32_e32 v26, 0x3377d1cf, v10
	v_add_f32_e32 v23, v23, v26
	v_cmp_lt_f32_e64 vcc, |v10|, s49
	v_cndmask_b32_e32 v10, v10, v23, vcc
	v_sub_f32_e32 v10, v10, v22
	v_frexp_mant_f32_e32 v22, v25
	v_rcp_f32_e32 v22, v22
	v_frexp_exp_i32_f32_e32 v23, v25
	v_cmp_gt_f32_e32 vcc, 0, v14
	v_cmp_class_f32_e64 s[30:31], v15, s51
	v_mul_f32_e32 v3, v3, v22
	v_sub_u32_e32 v22, v24, v23
	v_ldexp_f32 v3, v3, v22
	v_mul_f32_e32 v22, v3, v3
	v_mov_b32_e32 v23, 0xbc7a590c
	v_fmac_f32_e32 v23, 0x3b2d2a58, v22
	v_fma_f32 v23, v22, v23, v31
	v_fma_f32 v23, v22, v23, v32
	;; [unrolled: 1-line block ×6, first 2 shown]
	v_mul_f32_e32 v22, v22, v23
	v_fmac_f32_e32 v3, v3, v22
	v_sub_f32_e32 v22, 0x3fc90fdb, v3
	v_cndmask_b32_e64 v3, v3, v22, s[10:11]
	v_sub_f32_e32 v22, 0x40490fdb, v3
	v_cndmask_b32_e32 v3, v3, v22, vcc
	v_cndmask_b32_e64 v22, 0, v39, s[12:13]
	v_cmp_eq_f32_e64 s[12:13], 0, v15
	v_cndmask_b32_e64 v3, v3, v22, s[12:13]
	v_cmp_class_f32_e64 s[12:13], v14, s51
	v_cndmask_b32_e32 v22, v40, v41, vcc
	s_and_b64 vcc, s[30:31], s[12:13]
	v_cndmask_b32_e32 v45, v3, v22, vcc
.LBB175_63:                             ;   in Loop: Header=BB175_4 Depth=1
	s_or_b64 exec, exec, s[28:29]
                                        ; implicit-def: $vgpr22
.LBB175_64:                             ;   in Loop: Header=BB175_4 Depth=1
	s_andn2_saveexec_b64 s[26:27], s[26:27]
	s_cbranch_execz .LBB175_70
; %bb.65:                               ;   in Loop: Header=BB175_4 Depth=1
	v_cmp_ngt_f32_e32 vcc, s55, v22
                                        ; implicit-def: $vgpr10
                                        ; implicit-def: $vgpr45
	s_and_saveexec_b64 s[12:13], vcc
	s_xor_b64 s[28:29], exec, s[12:13]
	s_cbranch_execz .LBB175_67
; %bb.66:                               ;   in Loop: Header=BB175_4 Depth=1
	v_pk_mul_f32 v[22:23], v[22:23], v[22:23]
	v_add_f32_e32 v25, 1.0, v22
	v_add_f32_e32 v23, -1.0, v25
	v_mov_b32_e32 v24, v23
	v_pk_add_f32 v[26:27], v[22:23], v[24:25] neg_lo:[0,1] neg_hi:[0,1]
	v_add_f32_e32 v3, 1.0, v27
	v_add_f32_e32 v3, v26, v3
	v_frexp_mant_f32_e32 v10, v25
	v_cvt_f64_f32_e32 v[26:27], v25
	v_frexp_exp_i32_f64_e32 v23, v[26:27]
	v_cmp_gt_f32_e32 vcc, s47, v10
	v_subbrev_co_u32_e32 v10, vcc, 0, v23, vcc
	v_sub_u32_e32 v23, 0, v10
	v_ldexp_f32 v24, v25, v23
	v_ldexp_f32 v3, v3, v23
	v_add_f32_e32 v23, -1.0, v24
	v_add_f32_e32 v25, 1.0, v23
	v_sub_f32_e32 v25, v24, v25
	v_add_f32_e32 v26, v3, v25
	v_add_f32_e32 v25, 1.0, v24
	v_add_f32_e32 v27, -1.0, v25
	v_sub_f32_e32 v24, v24, v27
	v_add_f32_e32 v3, v3, v24
	v_add_f32_e32 v45, v25, v3
	v_rcp_f32_e32 v50, v45
	v_sub_f32_e32 v24, v25, v45
	v_add_f32_e32 v25, v23, v26
	v_sub_f32_e32 v23, v23, v25
	v_mul_f32_e32 v51, v25, v50
	v_add_f32_e32 v23, v26, v23
	v_mul_f32_e32 v26, v45, v51
	v_add_f32_e32 v3, v3, v24
	v_fma_f32 v46, v51, v45, -v26
	v_fmac_f32_e32 v46, v51, v3
	v_add_f32_e32 v24, v26, v46
	v_sub_f32_e32 v27, v25, v24
	v_pk_add_f32 v[48:49], v[24:25], v[26:27] neg_lo:[0,1] neg_hi:[0,1]
	v_mov_b32_e32 v47, v24
	v_pk_add_f32 v[24:25], v[48:49], v[46:47] neg_lo:[0,1] neg_hi:[0,1]
	v_add_f32_e32 v23, v23, v25
	v_add_f32_e32 v23, v24, v23
	v_add_f32_e32 v25, v27, v23
	v_mul_f32_e32 v52, v50, v25
	v_mul_f32_e32 v26, v45, v52
	v_fma_f32 v46, v52, v45, -v26
	v_fmac_f32_e32 v46, v52, v3
	v_add_f32_e32 v24, v26, v46
	v_sub_f32_e32 v3, v27, v25
	v_sub_f32_e32 v27, v25, v24
	v_pk_add_f32 v[48:49], v[24:25], v[26:27] neg_lo:[0,1] neg_hi:[0,1]
	v_mov_b32_e32 v47, v24
	v_add_f32_e32 v3, v23, v3
	v_pk_add_f32 v[24:25], v[48:49], v[46:47] neg_lo:[0,1] neg_hi:[0,1]
	v_add_f32_e32 v3, v3, v25
	v_add_f32_e32 v3, v24, v3
	;; [unrolled: 1-line block ×4, first 2 shown]
	v_sub_f32_e32 v24, v23, v51
	v_mul_f32_e32 v3, v50, v3
	v_sub_f32_e32 v24, v52, v24
	v_add_f32_e32 v25, v24, v3
	v_add_f32_e32 v26, v23, v25
	v_cvt_f32_i32_e32 v24, v10
	v_mul_f32_e32 v45, v26, v26
	v_mov_b32_e32 v3, 0x3ecc95a3
	v_fmac_f32_e32 v3, 0x3e9b6dac, v45
	v_sub_f32_e32 v10, v26, v23
	v_fma_f32 v3, v45, v3, v30
	v_sub_f32_e32 v10, v25, v10
	v_mul_f32_e32 v25, v26, v45
	v_pk_mul_f32 v[46:47], v[24:25], v[2:3]
	v_ldexp_f32 v27, v26, 1
	v_fma_f32 v26, v24, s48, -v46
	v_fmac_f32_e32 v26, 0xb102e308, v24
	v_pk_add_f32 v[24:25], v[46:47], v[26:27]
	v_sub_f32_e32 v3, v25, v27
	v_ldexp_f32 v10, v10, 1
	v_sub_f32_e32 v3, v47, v3
	v_add_f32_e32 v49, v10, v3
	v_mov_b32_e32 v48, v46
	v_pk_add_f32 v[46:47], v[24:25], v[46:47] neg_lo:[0,1] neg_hi:[0,1]
	v_pk_add_f32 v[50:51], v[24:25], v[48:49]
	v_mov_b32_e32 v47, v51
	v_mov_b32_e32 v27, v24
	v_pk_add_f32 v[52:53], v[26:27], v[46:47] neg_lo:[0,1] neg_hi:[0,1]
	v_pk_add_f32 v[26:27], v[26:27], v[46:47]
	v_mov_b32_e32 v10, v27
	v_pk_add_f32 v[46:47], v[10:11], v[24:25] neg_lo:[0,1] neg_hi:[0,1]
	v_mov_b32_e32 v3, v46
	v_pk_add_f32 v[54:55], v[50:51], v[2:3] neg_lo:[0,1] neg_hi:[0,1]
	v_mov_b32_e32 v26, v51
	v_mov_b32_e32 v50, v25
	;; [unrolled: 1-line block ×4, first 2 shown]
	v_pk_add_f32 v[26:27], v[26:27], v[50:51] neg_lo:[0,1] neg_hi:[0,1]
	v_mov_b32_e32 v46, v49
	v_mov_b32_e32 v47, v24
	v_pk_add_f32 v[24:25], v[46:47], v[26:27] neg_lo:[0,1] neg_hi:[0,1]
	v_mov_b32_e32 v54, v52
	v_pk_add_f32 v[26:27], v[54:55], v[24:25]
	v_mov_b32_e32 v46, v27
	v_pk_add_f32 v[46:47], v[26:27], v[46:47]
	v_pk_add_f32 v[48:49], v[10:11], v[46:47]
	v_mov_b32_e32 v27, v48
	v_pk_add_f32 v[50:51], v[26:27], v[52:53] neg_lo:[0,1] neg_hi:[0,1]
	v_mov_b32_e32 v25, v46
	v_sub_f32_e32 v3, v26, v50
	v_pk_add_f32 v[24:25], v[24:25], v[50:51] neg_lo:[0,1] neg_hi:[0,1]
	v_sub_f32_e32 v3, v52, v3
	v_add_f32_e32 v3, v24, v3
	v_add_f32_e32 v3, v3, v25
	v_cmp_eq_f32_e32 vcc, s49, v22
	v_cmp_lt_f32_e64 s[12:13], |v22|, s50
	v_add_f32_e32 v3, v48, v3
	s_or_b64 vcc, vcc, s[12:13]
	v_cndmask_b32_e32 v3, v3, v22, vcc
	v_mul_f32_e32 v10, 0.5, v3
	v_max_f32_e64 v3, |v15|, |v15|
	v_max_f32_e64 v22, |v14|, |v14|
	v_min_f32_e32 v23, v22, v3
	v_max_f32_e32 v3, v22, v3
	v_frexp_mant_f32_e32 v22, v3
	v_rcp_f32_e32 v22, v22
	v_frexp_exp_i32_f32_e32 v3, v3
	v_frexp_exp_i32_f32_e32 v24, v23
	v_frexp_mant_f32_e32 v23, v23
	v_mul_f32_e32 v22, v23, v22
	v_sub_u32_e32 v3, v24, v3
	v_ldexp_f32 v3, v22, v3
	v_mul_f32_e32 v22, v3, v3
	v_mov_b32_e32 v23, 0xbc7a590c
	v_fmac_f32_e32 v23, 0x3b2d2a58, v22
	v_fma_f32 v23, v22, v23, v31
	v_fma_f32 v23, v22, v23, v32
	;; [unrolled: 1-line block ×6, first 2 shown]
	v_mul_f32_e32 v22, v22, v23
	v_fmac_f32_e32 v3, v3, v22
	v_sub_f32_e32 v22, 0x3fc90fdb, v3
	v_cndmask_b32_e64 v3, v3, v22, s[10:11]
	v_sub_f32_e32 v22, 0x40490fdb, v3
	v_cmp_gt_f32_e32 vcc, 0, v14
	v_cmp_gt_i32_e64 s[12:13], 0, v14
	v_cndmask_b32_e32 v3, v3, v22, vcc
	v_cndmask_b32_e64 v22, 0, v39, s[12:13]
	v_cmp_eq_f32_e64 s[12:13], 0, v15
	v_cndmask_b32_e64 v3, v3, v22, s[12:13]
	v_cmp_class_f32_e64 s[12:13], v14, s51
	v_cmp_class_f32_e64 s[30:31], v15, s51
	v_cndmask_b32_e32 v22, v40, v41, vcc
	s_and_b64 vcc, s[30:31], s[12:13]
	v_cndmask_b32_e32 v45, v3, v22, vcc
                                        ; implicit-def: $vgpr22
.LBB175_67:                             ;   in Loop: Header=BB175_4 Depth=1
	s_andn2_saveexec_b64 s[28:29], s[28:29]
	s_cbranch_execz .LBB175_69
; %bb.68:                               ;   in Loop: Header=BB175_4 Depth=1
	v_mul_f32_e32 v3, 0.5, v22
	v_mul_f32_e32 v10, v22, v3
	v_max_f32_e64 v3, |v15|, |v15|
	v_max_f32_e64 v22, |v14|, |v14|
	v_min_f32_e32 v23, v22, v3
	v_max_f32_e32 v3, v22, v3
	v_frexp_mant_f32_e32 v22, v3
	v_rcp_f32_e32 v22, v22
	v_frexp_exp_i32_f32_e32 v3, v3
	v_frexp_exp_i32_f32_e32 v24, v23
	v_frexp_mant_f32_e32 v23, v23
	v_mul_f32_e32 v22, v23, v22
	v_sub_u32_e32 v3, v24, v3
	v_ldexp_f32 v3, v22, v3
	v_mul_f32_e32 v22, v3, v3
	v_mov_b32_e32 v23, 0xbc7a590c
	v_fmac_f32_e32 v23, 0x3b2d2a58, v22
	v_fma_f32 v23, v22, v23, v31
	v_fma_f32 v23, v22, v23, v32
	;; [unrolled: 1-line block ×6, first 2 shown]
	v_mul_f32_e32 v22, v22, v23
	v_fmac_f32_e32 v3, v3, v22
	v_sub_f32_e32 v22, 0x3fc90fdb, v3
	v_cndmask_b32_e64 v3, v3, v22, s[10:11]
	v_sub_f32_e32 v22, 0x40490fdb, v3
	v_cmp_gt_f32_e32 vcc, 0, v14
	v_cmp_gt_i32_e64 s[12:13], 0, v14
	v_cndmask_b32_e32 v3, v3, v22, vcc
	v_cndmask_b32_e64 v22, 0, v39, s[12:13]
	v_cmp_eq_f32_e64 s[12:13], 0, v15
	v_cndmask_b32_e64 v3, v3, v22, s[12:13]
	v_cmp_class_f32_e64 s[12:13], v14, s51
	v_cmp_class_f32_e64 s[30:31], v15, s51
	v_cndmask_b32_e32 v22, v40, v41, vcc
	s_and_b64 vcc, s[30:31], s[12:13]
	v_cndmask_b32_e32 v45, v3, v22, vcc
.LBB175_69:                             ;   in Loop: Header=BB175_4 Depth=1
	s_or_b64 exec, exec, s[28:29]
.LBB175_70:                             ;   in Loop: Header=BB175_4 Depth=1
	s_or_b64 exec, exec, s[26:27]
.LBB175_71:                             ;   in Loop: Header=BB175_4 Depth=1
	s_andn2_saveexec_b64 s[24:25], s[24:25]
	s_cbranch_execz .LBB175_73
; %bb.72:                               ;   in Loop: Header=BB175_4 Depth=1
	v_div_scale_f32 v3, s[12:13], s56, s56, v14
	v_rcp_f32_e32 v10, v3
	v_div_scale_f32 v22, vcc, v14, s56, v14
	v_fma_f32 v23, -v3, v10, 1.0
	v_fmac_f32_e32 v10, v23, v10
	v_mul_f32_e32 v23, v22, v10
	v_fma_f32 v24, -v3, v23, v22
	v_fmac_f32_e32 v23, v24, v10
	v_fma_f32 v3, -v3, v23, v22
	v_div_scale_f32 v22, s[12:13], s56, s56, v15
	v_rcp_f32_e32 v24, v22
	v_div_fmas_f32 v3, v3, v10, v23
	v_div_fixup_f32 v3, v3, s56, v14
	v_fma_f32 v10, -v22, v24, 1.0
	v_fmac_f32_e32 v24, v10, v24
	v_div_scale_f32 v10, vcc, v15, s56, v15
	v_mul_f32_e32 v23, v10, v24
	v_fma_f32 v25, -v22, v23, v10
	v_fmac_f32_e32 v23, v25, v24
	v_fma_f32 v10, -v22, v23, v10
	v_div_fmas_f32 v10, v10, v24, v23
	v_div_fixup_f32 v10, v10, s56, v15
	v_max_f32_e64 v24, |v3|, |v10|
	v_cvt_f64_f32_e32 v[22:23], v24
	v_frexp_exp_i32_f64_e32 v22, v[22:23]
	v_sub_u32_e32 v23, 0, v22
	v_ldexp_f32 v10, |v10|, v23
	v_ldexp_f32 v3, |v3|, v23
	v_mul_f32_e32 v10, v10, v10
	v_fmac_f32_e32 v10, v3, v3
	v_sqrt_f32_e32 v3, v10
	v_cmp_neq_f32_e32 vcc, s49, v24
	v_ldexp_f32 v3, v3, v22
	v_cndmask_b32_e32 v3, v44, v3, vcc
	v_cmp_gt_f32_e32 vcc, s53, v3
	v_cndmask_b32_e32 v10, 1.0, v42, vcc
	v_mul_f32_e32 v3, v3, v10
	v_log_f32_e32 v3, v3
	v_mul_f32_e32 v10, 0x3f317217, v3
	v_fma_f32 v22, v3, s54, -v10
	v_fmac_f32_e32 v22, 0x3377d1cf, v3
	v_add_f32_e32 v10, v10, v22
	v_cmp_lt_f32_e64 s[12:13], |v3|, s49
	v_cndmask_b32_e64 v3, v3, v10, s[12:13]
	v_cndmask_b32_e32 v10, 0, v43, vcc
	v_sub_f32_e32 v3, v3, v10
	v_add_f32_e32 v10, 1.0, v3
	v_max_f32_e64 v3, |v15|, |v15|
	v_max_f32_e64 v22, |v14|, |v14|
	v_min_f32_e32 v23, v22, v3
	v_max_f32_e32 v3, v22, v3
	v_frexp_mant_f32_e32 v22, v3
	v_rcp_f32_e32 v22, v22
	v_frexp_exp_i32_f32_e32 v3, v3
	v_frexp_exp_i32_f32_e32 v24, v23
	v_frexp_mant_f32_e32 v23, v23
	v_mul_f32_e32 v22, v23, v22
	v_sub_u32_e32 v3, v24, v3
	v_ldexp_f32 v3, v22, v3
	v_mul_f32_e32 v22, v3, v3
	v_mov_b32_e32 v23, 0xbc7a590c
	v_fmac_f32_e32 v23, 0x3b2d2a58, v22
	v_fma_f32 v23, v22, v23, v31
	v_fma_f32 v23, v22, v23, v32
	;; [unrolled: 1-line block ×6, first 2 shown]
	v_mul_f32_e32 v22, v22, v23
	v_fmac_f32_e32 v3, v3, v22
	v_sub_f32_e32 v22, 0x3fc90fdb, v3
	v_cndmask_b32_e64 v3, v3, v22, s[10:11]
	v_sub_f32_e32 v22, 0x40490fdb, v3
	v_cmp_gt_f32_e32 vcc, 0, v14
	v_cmp_gt_i32_e64 s[10:11], 0, v14
	v_cndmask_b32_e32 v3, v3, v22, vcc
	v_cndmask_b32_e64 v22, 0, v39, s[10:11]
	v_cmp_eq_f32_e64 s[10:11], 0, v15
	v_cndmask_b32_e64 v3, v3, v22, s[10:11]
	v_cmp_class_f32_e64 s[10:11], v14, s51
	v_cmp_class_f32_e64 s[12:13], v15, s51
	v_cndmask_b32_e32 v22, v40, v41, vcc
	s_and_b64 vcc, s[12:13], s[10:11]
	v_cndmask_b32_e32 v45, v3, v22, vcc
.LBB175_73:                             ;   in Loop: Header=BB175_4 Depth=1
	s_or_b64 exec, exec, s[24:25]
.LBB175_74:                             ;   in Loop: Header=BB175_4 Depth=1
	s_andn2_saveexec_b64 s[10:11], s[22:23]
	s_cbranch_execz .LBB175_80
; %bb.75:                               ;   in Loop: Header=BB175_4 Depth=1
	v_cmp_nlt_f32_e64 s[12:13], |v14|, s57
	v_cmp_nlt_f32_e64 s[22:23], |v15|, s57
	s_or_b64 s[12:13], s[22:23], s[12:13]
                                        ; implicit-def: $vgpr3
	s_and_saveexec_b64 s[22:23], s[12:13]
	s_xor_b64 s[12:13], exec, s[22:23]
; %bb.76:                               ;   in Loop: Header=BB175_4 Depth=1
	v_pk_mul_f32 v[22:23], v[14:15], v[14:15]
	v_add_f32_e32 v3, v23, v22
; %bb.77:                               ;   in Loop: Header=BB175_4 Depth=1
	s_andn2_saveexec_b64 s[12:13], s[12:13]
; %bb.78:                               ;   in Loop: Header=BB175_4 Depth=1
	v_pk_mul_f32 v[22:23], v[14:15], 4.0 op_sel_hi:[1,0]
	v_pk_mul_f32 v[22:23], v[22:23], v[22:23]
	v_add_f32_e32 v3, v23, v22
	v_mul_f32_e32 v3, 0x3d800000, v3
; %bb.79:                               ;   in Loop: Header=BB175_4 Depth=1
	s_or_b64 exec, exec, s[12:13]
	v_cmp_gt_f32_e32 vcc, s53, v3
	v_cndmask_b32_e32 v10, 1.0, v42, vcc
	v_mul_f32_e32 v3, v3, v10
	v_log_f32_e32 v3, v3
	v_cndmask_b32_e32 v10, 0, v43, vcc
	v_mov_b32_e32 v45, 0x7fc00000
	v_mul_f32_e32 v14, 0x3f317217, v3
	v_fma_f32 v22, v3, s54, -v14
	v_fmac_f32_e32 v22, 0x3377d1cf, v3
	v_add_f32_e32 v14, v14, v22
	v_cmp_lt_f32_e64 vcc, |v3|, s49
	v_cndmask_b32_e32 v3, v3, v14, vcc
	v_sub_f32_e32 v10, v3, v10
.LBB175_80:                             ;   in Loop: Header=BB175_4 Depth=1
	s_or_b64 exec, exec, s[10:11]
	v_cmp_o_f32_e32 vcc, v7, v6
                                        ; implicit-def: $vgpr14
                                        ; implicit-def: $vgpr46
	s_and_saveexec_b64 s[10:11], vcc
	s_xor_b64 s[22:23], exec, s[10:11]
	s_cbranch_execz .LBB175_108
; %bb.81:                               ;   in Loop: Header=BB175_4 Depth=1
	v_cmp_lt_f32_e64 s[10:11], |v6|, |v7|
	v_cndmask_b32_e64 v3, v7, v6, s[10:11]
	v_cmp_ngt_f32_e64 s[12:13], |v3|, s44
                                        ; implicit-def: $vgpr14
                                        ; implicit-def: $vgpr46
	s_and_saveexec_b64 s[24:25], s[12:13]
	s_xor_b64 s[24:25], exec, s[24:25]
	s_cbranch_execz .LBB175_105
; %bb.82:                               ;   in Loop: Header=BB175_4 Depth=1
	v_cndmask_b32_e64 v14, v6, v7, s[10:11]
	v_and_b32_e32 v23, 0x7fffffff, v14
	v_and_b32_e32 v22, 0x7fffffff, v3
	v_cmp_neq_f32_e32 vcc, 1.0, v23
                                        ; implicit-def: $vgpr14
                                        ; implicit-def: $vgpr46
	s_and_saveexec_b64 s[12:13], vcc
	s_xor_b64 s[26:27], exec, s[12:13]
	s_cbranch_execz .LBB175_98
; %bb.83:                               ;   in Loop: Header=BB175_4 Depth=1
	v_max_f32_e32 v3, v22, v22
	v_max_f32_e32 v14, v23, v23
	v_min_f32_e32 v24, v14, v3
	v_max_f32_e32 v3, v14, v3
	v_cmp_ngt_f32_e32 vcc, s45, v24
	v_cmp_nlt_f32_e64 s[12:13], s46, v3
	s_and_b64 s[12:13], s[12:13], vcc
                                        ; implicit-def: $vgpr14
                                        ; implicit-def: $vgpr46
	s_and_saveexec_b64 s[28:29], s[12:13]
	s_xor_b64 s[28:29], exec, s[28:29]
	s_cbranch_execz .LBB175_95
; %bb.84:                               ;   in Loop: Header=BB175_4 Depth=1
	v_cmp_le_f32_e32 vcc, 1.0, v23
                                        ; implicit-def: $vgpr14
                                        ; implicit-def: $vgpr46
	s_and_saveexec_b64 s[12:13], vcc
	s_xor_b64 s[30:31], exec, s[12:13]
	s_cbranch_execz .LBB175_86
; %bb.85:                               ;   in Loop: Header=BB175_4 Depth=1
	v_pk_add_f32 v[24:25], v[22:23], s[20:21] op_sel:[1,0]
	v_mov_b32_e32 v14, v25
	v_pk_mul_f32 v[24:25], v[24:25], v[14:15]
	v_pk_fma_f32 v[22:23], v[22:23], v[22:23], v[24:25]
	v_add_f32_e32 v25, 1.0, v22
	v_add_f32_e32 v23, -1.0, v25
	v_mov_b32_e32 v24, v23
	v_pk_add_f32 v[26:27], v[22:23], v[24:25] neg_lo:[0,1] neg_hi:[0,1]
	v_add_f32_e32 v3, 1.0, v27
	v_add_f32_e32 v3, v26, v3
	v_frexp_mant_f32_e32 v14, v25
	v_cvt_f64_f32_e32 v[26:27], v25
	v_frexp_exp_i32_f64_e32 v23, v[26:27]
	v_cmp_gt_f32_e32 vcc, s47, v14
	v_subbrev_co_u32_e32 v14, vcc, 0, v23, vcc
	v_sub_u32_e32 v23, 0, v14
	v_ldexp_f32 v24, v25, v23
	v_ldexp_f32 v3, v3, v23
	v_add_f32_e32 v23, -1.0, v24
	v_add_f32_e32 v25, 1.0, v23
	v_sub_f32_e32 v25, v24, v25
	v_add_f32_e32 v26, v3, v25
	v_add_f32_e32 v25, 1.0, v24
	v_add_f32_e32 v27, -1.0, v25
	v_sub_f32_e32 v24, v24, v27
	v_add_f32_e32 v3, v3, v24
	v_add_f32_e32 v50, v25, v3
	v_rcp_f32_e32 v51, v50
	v_sub_f32_e32 v24, v50, v25
	v_add_f32_e32 v25, v23, v26
	v_sub_f32_e32 v23, v25, v23
	v_mul_f32_e32 v52, v25, v51
	v_sub_f32_e32 v23, v26, v23
	v_mul_f32_e32 v26, v50, v52
	v_sub_f32_e32 v3, v3, v24
	v_fma_f32 v46, v52, v50, -v26
	v_fmac_f32_e32 v46, v52, v3
	v_add_f32_e32 v24, v26, v46
	v_sub_f32_e32 v27, v25, v24
	v_pk_add_f32 v[48:49], v[24:25], v[26:27] neg_lo:[0,1] neg_hi:[0,1]
	v_mov_b32_e32 v47, v24
	v_pk_add_f32 v[24:25], v[48:49], v[46:47] neg_lo:[0,1] neg_hi:[0,1]
	v_add_f32_e32 v23, v23, v25
	v_add_f32_e32 v23, v24, v23
	;; [unrolled: 1-line block ×3, first 2 shown]
	v_mul_f32_e32 v53, v51, v25
	v_mul_f32_e32 v26, v50, v53
	v_fma_f32 v46, v53, v50, -v26
	v_fmac_f32_e32 v46, v53, v3
	v_add_f32_e32 v24, v26, v46
	v_sub_f32_e32 v3, v27, v25
	v_sub_f32_e32 v27, v25, v24
	v_pk_add_f32 v[48:49], v[24:25], v[26:27] neg_lo:[0,1] neg_hi:[0,1]
	v_mov_b32_e32 v47, v24
	v_add_f32_e32 v3, v23, v3
	v_pk_add_f32 v[24:25], v[48:49], v[46:47] neg_lo:[0,1] neg_hi:[0,1]
	v_add_f32_e32 v3, v3, v25
	v_add_f32_e32 v3, v24, v3
	;; [unrolled: 1-line block ×4, first 2 shown]
	v_sub_f32_e32 v24, v23, v52
	v_mul_f32_e32 v3, v51, v3
	v_sub_f32_e32 v24, v53, v24
	v_add_f32_e32 v25, v24, v3
	v_add_f32_e32 v26, v23, v25
	v_cvt_f32_i32_e32 v24, v14
	v_mul_f32_e32 v46, v26, v26
	v_mov_b32_e32 v3, 0x3ecc95a3
	v_fmac_f32_e32 v3, 0x3e9b6dac, v46
	v_sub_f32_e32 v14, v26, v23
	v_fma_f32 v3, v46, v3, v30
	v_sub_f32_e32 v14, v25, v14
	v_mul_f32_e32 v25, v26, v46
	v_pk_mul_f32 v[46:47], v[24:25], v[2:3]
	v_ldexp_f32 v27, v26, 1
	v_fma_f32 v26, v24, s48, -v46
	v_fmac_f32_e32 v26, 0xb102e308, v24
	v_pk_add_f32 v[24:25], v[46:47], v[26:27]
	v_sub_f32_e32 v3, v25, v27
	v_ldexp_f32 v14, v14, 1
	v_sub_f32_e32 v3, v47, v3
	v_add_f32_e32 v49, v14, v3
	v_mov_b32_e32 v48, v46
	v_pk_add_f32 v[46:47], v[24:25], v[46:47] neg_lo:[0,1] neg_hi:[0,1]
	v_pk_add_f32 v[50:51], v[24:25], v[48:49]
	v_mov_b32_e32 v47, v51
	v_mov_b32_e32 v27, v24
	v_pk_add_f32 v[52:53], v[26:27], v[46:47] neg_lo:[0,1] neg_hi:[0,1]
	v_pk_add_f32 v[26:27], v[26:27], v[46:47]
	v_mov_b32_e32 v14, v27
	v_pk_add_f32 v[46:47], v[14:15], v[24:25] neg_lo:[0,1] neg_hi:[0,1]
	v_mov_b32_e32 v3, v46
	v_pk_add_f32 v[54:55], v[50:51], v[2:3] neg_lo:[0,1] neg_hi:[0,1]
	v_mov_b32_e32 v26, v51
	v_mov_b32_e32 v50, v25
	;; [unrolled: 1-line block ×4, first 2 shown]
	v_pk_add_f32 v[26:27], v[26:27], v[50:51] neg_lo:[0,1] neg_hi:[0,1]
	v_mov_b32_e32 v46, v49
	v_mov_b32_e32 v47, v24
	v_pk_add_f32 v[24:25], v[46:47], v[26:27] neg_lo:[0,1] neg_hi:[0,1]
	v_mov_b32_e32 v54, v52
	v_pk_add_f32 v[26:27], v[54:55], v[24:25]
	v_mov_b32_e32 v46, v27
	v_pk_add_f32 v[46:47], v[26:27], v[46:47]
	v_pk_add_f32 v[48:49], v[14:15], v[46:47]
	v_mov_b32_e32 v27, v48
	v_pk_add_f32 v[50:51], v[26:27], v[52:53] neg_lo:[0,1] neg_hi:[0,1]
	v_mov_b32_e32 v25, v46
	v_sub_f32_e32 v3, v26, v50
	v_pk_add_f32 v[24:25], v[24:25], v[50:51] neg_lo:[0,1] neg_hi:[0,1]
	v_sub_f32_e32 v3, v52, v3
	v_add_f32_e32 v3, v24, v3
	v_add_f32_e32 v3, v3, v25
	;; [unrolled: 1-line block ×3, first 2 shown]
	v_cmp_eq_f32_e32 vcc, s49, v22
	v_cndmask_b32_e32 v3, v3, v22, vcc
	v_cmp_ngt_f32_e32 vcc, -1.0, v22
	v_cndmask_b32_e32 v3, v37, v3, vcc
	v_cmp_neq_f32_e32 vcc, -1.0, v22
	v_cndmask_b32_e32 v3, v38, v3, vcc
	v_cmp_lt_f32_e64 vcc, |v22|, s50
	v_cndmask_b32_e32 v3, v3, v22, vcc
	v_mul_f32_e32 v14, 0.5, v3
	v_max_f32_e64 v3, |v7|, |v7|
	v_max_f32_e64 v22, |v6|, |v6|
	v_min_f32_e32 v23, v22, v3
	v_max_f32_e32 v3, v22, v3
	v_frexp_mant_f32_e32 v22, v3
	v_rcp_f32_e32 v22, v22
	v_frexp_exp_i32_f32_e32 v3, v3
	v_frexp_exp_i32_f32_e32 v24, v23
	v_frexp_mant_f32_e32 v23, v23
	v_mul_f32_e32 v22, v23, v22
	v_sub_u32_e32 v3, v24, v3
	v_ldexp_f32 v3, v22, v3
	v_mul_f32_e32 v22, v3, v3
	v_mov_b32_e32 v23, 0xbc7a590c
	v_fmac_f32_e32 v23, 0x3b2d2a58, v22
	v_fma_f32 v23, v22, v23, v31
	v_fma_f32 v23, v22, v23, v32
	;; [unrolled: 1-line block ×6, first 2 shown]
	v_mul_f32_e32 v22, v22, v23
	v_fmac_f32_e32 v3, v3, v22
	v_sub_f32_e32 v22, 0x3fc90fdb, v3
	v_cndmask_b32_e64 v3, v3, v22, s[10:11]
	v_sub_f32_e32 v22, 0x40490fdb, v3
	v_cmp_gt_f32_e32 vcc, 0, v6
	v_cmp_gt_i32_e64 s[12:13], 0, v6
	v_cndmask_b32_e32 v3, v3, v22, vcc
	v_cndmask_b32_e64 v22, 0, v39, s[12:13]
	v_cmp_eq_f32_e64 s[12:13], 0, v7
	v_cndmask_b32_e64 v3, v3, v22, s[12:13]
	v_cmp_class_f32_e64 s[12:13], v6, s51
	v_cmp_class_f32_e64 s[34:35], v7, s51
	v_cndmask_b32_e32 v22, v40, v41, vcc
	s_and_b64 vcc, s[34:35], s[12:13]
	v_cndmask_b32_e32 v46, v3, v22, vcc
                                        ; implicit-def: $vgpr22_vgpr23
.LBB175_86:                             ;   in Loop: Header=BB175_4 Depth=1
	s_andn2_saveexec_b64 s[30:31], s[30:31]
	s_cbranch_execz .LBB175_94
; %bb.87:                               ;   in Loop: Header=BB175_4 Depth=1
	v_pk_mul_f32 v[24:25], v[22:23], v[22:23]
	v_add_f32_e32 v3, v25, v24
	v_cmp_ge_f32_e32 vcc, s52, v3
                                        ; implicit-def: $vgpr14
                                        ; implicit-def: $vgpr46
	s_and_saveexec_b64 s[12:13], vcc
	s_xor_b64 s[34:35], exec, s[12:13]
	s_cbranch_execz .LBB175_89
; %bb.88:                               ;   in Loop: Header=BB175_4 Depth=1
	v_cmp_gt_f32_e32 vcc, s53, v3
	v_cndmask_b32_e32 v14, 1.0, v42, vcc
	v_mul_f32_e32 v3, v3, v14
	v_log_f32_e32 v3, v3
	v_cndmask_b32_e32 v14, 0, v43, vcc
	v_cmp_gt_i32_e64 s[12:13], 0, v6
	v_cmp_class_f32_e64 s[36:37], v7, s51
	v_mul_f32_e32 v22, 0x3f317217, v3
	v_fma_f32 v23, v3, s54, -v22
	v_fmac_f32_e32 v23, 0x3377d1cf, v3
	v_add_f32_e32 v22, v22, v23
	v_cmp_lt_f32_e64 vcc, |v3|, s49
	v_cndmask_b32_e32 v3, v3, v22, vcc
	v_sub_f32_e32 v3, v3, v14
	v_mul_f32_e32 v14, 0.5, v3
	v_max_f32_e64 v3, |v7|, |v7|
	v_max_f32_e64 v22, |v6|, |v6|
	v_min_f32_e32 v23, v22, v3
	v_max_f32_e32 v3, v22, v3
	v_frexp_mant_f32_e32 v22, v3
	v_rcp_f32_e32 v22, v22
	v_frexp_exp_i32_f32_e32 v3, v3
	v_frexp_exp_i32_f32_e32 v24, v23
	v_frexp_mant_f32_e32 v23, v23
	v_mul_f32_e32 v22, v23, v22
	v_sub_u32_e32 v3, v24, v3
	v_ldexp_f32 v3, v22, v3
	v_mul_f32_e32 v22, v3, v3
	v_mov_b32_e32 v23, 0xbc7a590c
	v_fmac_f32_e32 v23, 0x3b2d2a58, v22
	v_fma_f32 v23, v22, v23, v31
	v_fma_f32 v23, v22, v23, v32
	;; [unrolled: 1-line block ×6, first 2 shown]
	v_mul_f32_e32 v22, v22, v23
	v_fmac_f32_e32 v3, v3, v22
	v_sub_f32_e32 v22, 0x3fc90fdb, v3
	v_cndmask_b32_e64 v3, v3, v22, s[10:11]
	v_sub_f32_e32 v22, 0x40490fdb, v3
	v_cmp_gt_f32_e32 vcc, 0, v6
	v_cndmask_b32_e32 v3, v3, v22, vcc
	v_cndmask_b32_e64 v22, 0, v39, s[12:13]
	v_cmp_eq_f32_e64 s[12:13], 0, v7
	v_cndmask_b32_e64 v3, v3, v22, s[12:13]
	v_cmp_class_f32_e64 s[12:13], v6, s51
	v_cndmask_b32_e32 v22, v40, v41, vcc
	s_and_b64 vcc, s[36:37], s[12:13]
	v_cndmask_b32_e32 v46, v3, v22, vcc
                                        ; implicit-def: $vgpr22_vgpr23
.LBB175_89:                             ;   in Loop: Header=BB175_4 Depth=1
	s_andn2_saveexec_b64 s[34:35], s[34:35]
	s_cbranch_execz .LBB175_93
; %bb.90:                               ;   in Loop: Header=BB175_4 Depth=1
	v_and_b32_e32 v25, 0x7fff0000, v22
	v_and_b32_e32 v24, 0x7fff0000, v23
	v_pk_add_f32 v[22:23], v[22:23], v[24:25] op_sel:[1,0] op_sel_hi:[0,1] neg_lo:[0,1] neg_hi:[0,1]
	v_and_b32_e32 v27, 0xffff0000, v23
	v_and_b32_e32 v26, 0xffff0000, v22
	v_add_f32_e32 v46, v24, v24
	v_pk_add_f32 v[50:51], v[22:23], v[26:27] neg_lo:[0,1] neg_hi:[0,1]
	v_pk_mul_f32 v[22:23], v[24:25], v[24:25]
	v_mul_f32_e32 v14, v46, v26
	v_add_f32_e32 v48, v25, v25
	v_pk_mul_f32 v[24:25], v[26:27], v[26:27]
	v_add_f32_e32 v26, v26, v26
	v_mul_f32_e32 v3, v48, v27
	v_mul_f32_e32 v47, v46, v50
	;; [unrolled: 1-line block ×4, first 2 shown]
	v_add_f32_e32 v26, v27, v27
	v_mul_f32_e32 v49, v26, v51
	v_pk_mul_f32 v[26:27], v[50:51], v[50:51]
	s_mov_b64 s[36:37], 0
.LBB175_91:                             ;   Parent Loop BB175_4 Depth=1
                                        ; =>  This Inner Loop Header: Depth=2
	v_cmp_nlt_f32_e32 vcc, v22, v23
	v_cndmask_b32_e32 v50, v22, v23, vcc
	v_cmp_nlt_f32_e64 s[12:13], v50, v14
	v_cndmask_b32_e64 v51, v50, v14, s[12:13]
	v_cndmask_b32_e32 v22, v23, v22, vcc
	s_and_b64 s[58:59], vcc, s[12:13]
	v_cmp_nlt_f32_e32 vcc, v51, v3
	v_cndmask_b32_e64 v23, v14, v50, s[12:13]
	v_cndmask_b32_e32 v50, v51, v3, vcc
	v_cmp_nlt_f32_e64 s[12:13], v50, v24
	v_cndmask_b32_e32 v14, v3, v51, vcc
	v_cndmask_b32_e64 v51, v50, v24, s[12:13]
	s_and_b64 s[60:61], vcc, s[12:13]
	v_cmp_nlt_f32_e32 vcc, v51, v25
	v_cndmask_b32_e64 v3, v24, v50, s[12:13]
	v_cndmask_b32_e32 v50, v51, v25, vcc
	v_cmp_nlt_f32_e64 s[12:13], v50, v47
	v_cndmask_b32_e32 v24, v25, v51, vcc
	v_cndmask_b32_e64 v51, v50, v47, s[12:13]
	v_cndmask_b32_e64 v25, v47, v50, s[12:13]
	s_and_b64 s[12:13], vcc, s[12:13]
	v_cmp_nlt_f32_e32 vcc, v51, v46
	v_cndmask_b32_e32 v50, v51, v46, vcc
	v_cndmask_b32_e32 v47, v46, v51, vcc
	s_and_b64 s[12:13], s[12:13], vcc
	v_cmp_nlt_f32_e32 vcc, v50, v48
	v_cndmask_b32_e32 v51, v50, v48, vcc
	v_cndmask_b32_e32 v46, v48, v50, vcc
	s_and_b64 s[12:13], s[12:13], vcc
	v_cmp_nlt_f32_e32 vcc, v51, v49
	v_cndmask_b32_e32 v50, v51, v49, vcc
	v_cndmask_b32_e32 v48, v49, v51, vcc
	s_and_b64 s[12:13], s[12:13], vcc
	v_cmp_nlt_f32_e32 vcc, v50, v26
	v_cndmask_b32_e32 v51, v50, v26, vcc
	v_cndmask_b32_e32 v49, v26, v50, vcc
	s_and_b64 s[12:13], s[12:13], vcc
	v_cmp_nlt_f32_e32 vcc, v51, v27
	s_and_b64 s[12:13], s[12:13], vcc
	s_and_b64 s[12:13], s[12:13], s[60:61]
	s_and_b64 s[12:13], s[12:13], s[58:59]
	s_and_b64 s[12:13], exec, s[12:13]
	v_cndmask_b32_e32 v26, v27, v51, vcc
	s_or_b64 s[36:37], s[12:13], s[36:37]
	v_cndmask_b32_e32 v27, v51, v27, vcc
	s_andn2_b64 exec, exec, s[36:37]
	s_cbranch_execnz .LBB175_91
; %bb.92:                               ;   in Loop: Header=BB175_4 Depth=1
	s_or_b64 exec, exec, s[36:37]
	v_add_f32_e32 v22, -1.0, v22
	v_add_f32_e32 v22, v22, v23
	v_add_f32_e32 v14, v22, v14
	;; [unrolled: 1-line block ×11, first 2 shown]
	v_add_f32_e32 v25, 1.0, v22
	v_add_f32_e32 v23, -1.0, v25
	v_mov_b32_e32 v24, v23
	v_pk_add_f32 v[26:27], v[22:23], v[24:25] neg_lo:[0,1] neg_hi:[0,1]
	v_add_f32_e32 v3, 1.0, v27
	v_add_f32_e32 v3, v26, v3
	v_frexp_mant_f32_e32 v14, v25
	v_cvt_f64_f32_e32 v[26:27], v25
	v_frexp_exp_i32_f64_e32 v23, v[26:27]
	v_cmp_gt_f32_e32 vcc, s47, v14
	v_subbrev_co_u32_e32 v14, vcc, 0, v23, vcc
	v_sub_u32_e32 v23, 0, v14
	v_ldexp_f32 v24, v25, v23
	v_ldexp_f32 v3, v3, v23
	v_add_f32_e32 v23, -1.0, v24
	v_add_f32_e32 v25, 1.0, v23
	v_sub_f32_e32 v25, v24, v25
	v_add_f32_e32 v26, v3, v25
	v_add_f32_e32 v25, 1.0, v24
	v_add_f32_e32 v27, -1.0, v25
	v_sub_f32_e32 v24, v24, v27
	v_add_f32_e32 v3, v3, v24
	v_add_f32_e32 v50, v25, v3
	v_rcp_f32_e32 v51, v50
	v_sub_f32_e32 v24, v50, v25
	v_add_f32_e32 v25, v23, v26
	v_sub_f32_e32 v23, v25, v23
	v_mul_f32_e32 v52, v25, v51
	v_sub_f32_e32 v23, v26, v23
	v_mul_f32_e32 v26, v50, v52
	v_sub_f32_e32 v3, v3, v24
	v_fma_f32 v46, v52, v50, -v26
	v_fmac_f32_e32 v46, v52, v3
	v_add_f32_e32 v24, v26, v46
	v_sub_f32_e32 v27, v25, v24
	v_pk_add_f32 v[48:49], v[24:25], v[26:27] neg_lo:[0,1] neg_hi:[0,1]
	v_mov_b32_e32 v47, v24
	v_pk_add_f32 v[24:25], v[48:49], v[46:47] neg_lo:[0,1] neg_hi:[0,1]
	v_add_f32_e32 v23, v23, v25
	v_add_f32_e32 v23, v24, v23
	;; [unrolled: 1-line block ×3, first 2 shown]
	v_mul_f32_e32 v53, v51, v25
	v_mul_f32_e32 v26, v50, v53
	v_fma_f32 v46, v53, v50, -v26
	v_fmac_f32_e32 v46, v53, v3
	v_add_f32_e32 v24, v26, v46
	v_sub_f32_e32 v3, v27, v25
	v_sub_f32_e32 v27, v25, v24
	v_pk_add_f32 v[48:49], v[24:25], v[26:27] neg_lo:[0,1] neg_hi:[0,1]
	v_mov_b32_e32 v47, v24
	v_add_f32_e32 v3, v23, v3
	v_pk_add_f32 v[24:25], v[48:49], v[46:47] neg_lo:[0,1] neg_hi:[0,1]
	v_add_f32_e32 v3, v3, v25
	v_add_f32_e32 v3, v24, v3
	;; [unrolled: 1-line block ×4, first 2 shown]
	v_sub_f32_e32 v24, v23, v52
	v_mul_f32_e32 v3, v51, v3
	v_sub_f32_e32 v24, v53, v24
	v_add_f32_e32 v25, v24, v3
	v_add_f32_e32 v26, v23, v25
	v_cvt_f32_i32_e32 v24, v14
	v_mul_f32_e32 v46, v26, v26
	v_mov_b32_e32 v3, 0x3ecc95a3
	v_fmac_f32_e32 v3, 0x3e9b6dac, v46
	v_sub_f32_e32 v14, v26, v23
	v_fma_f32 v3, v46, v3, v30
	v_sub_f32_e32 v14, v25, v14
	v_mul_f32_e32 v25, v26, v46
	v_pk_mul_f32 v[46:47], v[24:25], v[2:3]
	v_ldexp_f32 v27, v26, 1
	v_fma_f32 v26, v24, s48, -v46
	v_fmac_f32_e32 v26, 0xb102e308, v24
	v_pk_add_f32 v[24:25], v[46:47], v[26:27]
	v_sub_f32_e32 v3, v25, v27
	v_ldexp_f32 v14, v14, 1
	v_sub_f32_e32 v3, v47, v3
	v_add_f32_e32 v49, v14, v3
	v_mov_b32_e32 v48, v46
	v_pk_add_f32 v[46:47], v[24:25], v[46:47] neg_lo:[0,1] neg_hi:[0,1]
	v_pk_add_f32 v[50:51], v[24:25], v[48:49]
	v_mov_b32_e32 v47, v51
	v_mov_b32_e32 v27, v24
	v_pk_add_f32 v[52:53], v[26:27], v[46:47] neg_lo:[0,1] neg_hi:[0,1]
	v_pk_add_f32 v[26:27], v[26:27], v[46:47]
	v_mov_b32_e32 v14, v27
	v_pk_add_f32 v[46:47], v[14:15], v[24:25] neg_lo:[0,1] neg_hi:[0,1]
	v_mov_b32_e32 v3, v46
	v_pk_add_f32 v[54:55], v[50:51], v[2:3] neg_lo:[0,1] neg_hi:[0,1]
	v_mov_b32_e32 v26, v51
	v_mov_b32_e32 v50, v25
	;; [unrolled: 1-line block ×4, first 2 shown]
	v_pk_add_f32 v[26:27], v[26:27], v[50:51] neg_lo:[0,1] neg_hi:[0,1]
	v_mov_b32_e32 v46, v49
	v_mov_b32_e32 v47, v24
	v_pk_add_f32 v[24:25], v[46:47], v[26:27] neg_lo:[0,1] neg_hi:[0,1]
	v_mov_b32_e32 v54, v52
	v_pk_add_f32 v[26:27], v[54:55], v[24:25]
	v_mov_b32_e32 v46, v27
	v_pk_add_f32 v[46:47], v[26:27], v[46:47]
	v_pk_add_f32 v[48:49], v[14:15], v[46:47]
	v_mov_b32_e32 v27, v48
	v_pk_add_f32 v[50:51], v[26:27], v[52:53] neg_lo:[0,1] neg_hi:[0,1]
	v_mov_b32_e32 v25, v46
	v_sub_f32_e32 v3, v26, v50
	v_pk_add_f32 v[24:25], v[24:25], v[50:51] neg_lo:[0,1] neg_hi:[0,1]
	v_sub_f32_e32 v3, v52, v3
	v_add_f32_e32 v3, v24, v3
	v_add_f32_e32 v3, v3, v25
	;; [unrolled: 1-line block ×3, first 2 shown]
	v_cmp_eq_f32_e32 vcc, s49, v22
	v_cndmask_b32_e32 v3, v3, v22, vcc
	v_cmp_ngt_f32_e32 vcc, -1.0, v22
	v_cndmask_b32_e32 v3, v37, v3, vcc
	v_cmp_neq_f32_e32 vcc, -1.0, v22
	v_cndmask_b32_e32 v3, v38, v3, vcc
	v_cmp_lt_f32_e64 vcc, |v22|, s50
	v_cndmask_b32_e32 v3, v3, v22, vcc
	v_mul_f32_e32 v14, 0.5, v3
	v_max_f32_e64 v3, |v7|, |v7|
	v_max_f32_e64 v22, |v6|, |v6|
	v_min_f32_e32 v23, v22, v3
	v_max_f32_e32 v3, v22, v3
	v_frexp_mant_f32_e32 v22, v3
	v_rcp_f32_e32 v22, v22
	v_frexp_exp_i32_f32_e32 v3, v3
	v_frexp_exp_i32_f32_e32 v24, v23
	v_frexp_mant_f32_e32 v23, v23
	v_mul_f32_e32 v22, v23, v22
	v_sub_u32_e32 v3, v24, v3
	v_ldexp_f32 v3, v22, v3
	v_mul_f32_e32 v22, v3, v3
	v_mov_b32_e32 v23, 0xbc7a590c
	v_fmac_f32_e32 v23, 0x3b2d2a58, v22
	v_fma_f32 v23, v22, v23, v31
	v_fma_f32 v23, v22, v23, v32
	;; [unrolled: 1-line block ×6, first 2 shown]
	v_mul_f32_e32 v22, v22, v23
	v_fmac_f32_e32 v3, v3, v22
	v_sub_f32_e32 v22, 0x3fc90fdb, v3
	v_cndmask_b32_e64 v3, v3, v22, s[10:11]
	v_sub_f32_e32 v22, 0x40490fdb, v3
	v_cmp_gt_f32_e32 vcc, 0, v6
	v_cmp_gt_i32_e64 s[12:13], 0, v6
	v_cndmask_b32_e32 v3, v3, v22, vcc
	v_cndmask_b32_e64 v22, 0, v39, s[12:13]
	v_cmp_eq_f32_e64 s[12:13], 0, v7
	v_cndmask_b32_e64 v3, v3, v22, s[12:13]
	v_cmp_class_f32_e64 s[12:13], v6, s51
	v_cmp_class_f32_e64 s[36:37], v7, s51
	v_cndmask_b32_e32 v22, v40, v41, vcc
	s_and_b64 vcc, s[36:37], s[12:13]
	v_cndmask_b32_e32 v46, v3, v22, vcc
.LBB175_93:                             ;   in Loop: Header=BB175_4 Depth=1
	s_or_b64 exec, exec, s[34:35]
.LBB175_94:                             ;   in Loop: Header=BB175_4 Depth=1
	s_or_b64 exec, exec, s[30:31]
.LBB175_95:                             ;   in Loop: Header=BB175_4 Depth=1
	s_andn2_saveexec_b64 s[28:29], s[28:29]
	s_cbranch_execz .LBB175_97
; %bb.96:                               ;   in Loop: Header=BB175_4 Depth=1
	v_max_f32_e64 v3, |v7|, |v7|
	v_max_f32_e64 v24, |v6|, |v6|
	v_max_f32_e32 v25, v24, v3
	v_cvt_f64_f32_e32 v[22:23], v25
	v_frexp_exp_i32_f64_e32 v14, v[22:23]
	v_sub_u32_e32 v22, 0, v14
	v_ldexp_f32 v23, |v6|, v22
	v_ldexp_f32 v22, |v7|, v22
	v_mul_f32_e32 v22, v22, v22
	v_fmac_f32_e32 v22, v23, v23
	v_sqrt_f32_e32 v22, v22
	v_cmp_neq_f32_e32 vcc, s49, v25
	v_min_f32_e32 v3, v24, v3
	v_frexp_exp_i32_f32_e32 v24, v3
	v_ldexp_f32 v14, v22, v14
	v_cndmask_b32_e32 v14, v44, v14, vcc
	v_cmp_gt_f32_e32 vcc, s53, v14
	v_cndmask_b32_e32 v22, 1.0, v42, vcc
	v_mul_f32_e32 v14, v14, v22
	v_log_f32_e32 v14, v14
	v_cndmask_b32_e32 v22, 0, v43, vcc
	v_frexp_mant_f32_e32 v3, v3
	v_cmp_gt_i32_e64 s[12:13], 0, v6
	v_mul_f32_e32 v23, 0x3f317217, v14
	v_fma_f32 v26, v14, s54, -v23
	v_fmac_f32_e32 v26, 0x3377d1cf, v14
	v_add_f32_e32 v23, v23, v26
	v_cmp_lt_f32_e64 vcc, |v14|, s49
	v_cndmask_b32_e32 v14, v14, v23, vcc
	v_sub_f32_e32 v14, v14, v22
	v_frexp_mant_f32_e32 v22, v25
	v_rcp_f32_e32 v22, v22
	v_frexp_exp_i32_f32_e32 v23, v25
	v_cmp_gt_f32_e32 vcc, 0, v6
	v_cmp_class_f32_e64 s[30:31], v7, s51
	v_mul_f32_e32 v3, v3, v22
	v_sub_u32_e32 v22, v24, v23
	v_ldexp_f32 v3, v3, v22
	v_mul_f32_e32 v22, v3, v3
	v_mov_b32_e32 v23, 0xbc7a590c
	v_fmac_f32_e32 v23, 0x3b2d2a58, v22
	v_fma_f32 v23, v22, v23, v31
	v_fma_f32 v23, v22, v23, v32
	;; [unrolled: 1-line block ×6, first 2 shown]
	v_mul_f32_e32 v22, v22, v23
	v_fmac_f32_e32 v3, v3, v22
	v_sub_f32_e32 v22, 0x3fc90fdb, v3
	v_cndmask_b32_e64 v3, v3, v22, s[10:11]
	v_sub_f32_e32 v22, 0x40490fdb, v3
	v_cndmask_b32_e32 v3, v3, v22, vcc
	v_cndmask_b32_e64 v22, 0, v39, s[12:13]
	v_cmp_eq_f32_e64 s[12:13], 0, v7
	v_cndmask_b32_e64 v3, v3, v22, s[12:13]
	v_cmp_class_f32_e64 s[12:13], v6, s51
	v_cndmask_b32_e32 v22, v40, v41, vcc
	s_and_b64 vcc, s[30:31], s[12:13]
	v_cndmask_b32_e32 v46, v3, v22, vcc
.LBB175_97:                             ;   in Loop: Header=BB175_4 Depth=1
	s_or_b64 exec, exec, s[28:29]
                                        ; implicit-def: $vgpr22
.LBB175_98:                             ;   in Loop: Header=BB175_4 Depth=1
	s_andn2_saveexec_b64 s[26:27], s[26:27]
	s_cbranch_execz .LBB175_104
; %bb.99:                               ;   in Loop: Header=BB175_4 Depth=1
	v_cmp_ngt_f32_e32 vcc, s55, v22
                                        ; implicit-def: $vgpr14
                                        ; implicit-def: $vgpr46
	s_and_saveexec_b64 s[12:13], vcc
	s_xor_b64 s[28:29], exec, s[12:13]
	s_cbranch_execz .LBB175_101
; %bb.100:                              ;   in Loop: Header=BB175_4 Depth=1
	v_pk_mul_f32 v[22:23], v[22:23], v[22:23]
	v_add_f32_e32 v25, 1.0, v22
	v_add_f32_e32 v23, -1.0, v25
	v_mov_b32_e32 v24, v23
	v_pk_add_f32 v[26:27], v[22:23], v[24:25] neg_lo:[0,1] neg_hi:[0,1]
	v_add_f32_e32 v3, 1.0, v27
	v_add_f32_e32 v3, v26, v3
	v_frexp_mant_f32_e32 v14, v25
	v_cvt_f64_f32_e32 v[26:27], v25
	v_frexp_exp_i32_f64_e32 v23, v[26:27]
	v_cmp_gt_f32_e32 vcc, s47, v14
	v_subbrev_co_u32_e32 v14, vcc, 0, v23, vcc
	v_sub_u32_e32 v23, 0, v14
	v_ldexp_f32 v24, v25, v23
	v_ldexp_f32 v3, v3, v23
	v_add_f32_e32 v23, -1.0, v24
	v_add_f32_e32 v25, 1.0, v23
	v_sub_f32_e32 v25, v24, v25
	v_add_f32_e32 v26, v3, v25
	v_add_f32_e32 v25, 1.0, v24
	v_add_f32_e32 v27, -1.0, v25
	v_sub_f32_e32 v24, v24, v27
	v_add_f32_e32 v3, v3, v24
	v_add_f32_e32 v50, v25, v3
	v_rcp_f32_e32 v51, v50
	v_sub_f32_e32 v24, v25, v50
	v_add_f32_e32 v25, v23, v26
	v_sub_f32_e32 v23, v23, v25
	v_mul_f32_e32 v52, v25, v51
	v_add_f32_e32 v23, v26, v23
	v_mul_f32_e32 v26, v50, v52
	v_add_f32_e32 v3, v3, v24
	v_fma_f32 v46, v52, v50, -v26
	v_fmac_f32_e32 v46, v52, v3
	v_add_f32_e32 v24, v26, v46
	v_sub_f32_e32 v27, v25, v24
	v_pk_add_f32 v[48:49], v[24:25], v[26:27] neg_lo:[0,1] neg_hi:[0,1]
	v_mov_b32_e32 v47, v24
	v_pk_add_f32 v[24:25], v[48:49], v[46:47] neg_lo:[0,1] neg_hi:[0,1]
	v_add_f32_e32 v23, v23, v25
	v_add_f32_e32 v23, v24, v23
	;; [unrolled: 1-line block ×3, first 2 shown]
	v_mul_f32_e32 v53, v51, v25
	v_mul_f32_e32 v26, v50, v53
	v_fma_f32 v46, v53, v50, -v26
	v_fmac_f32_e32 v46, v53, v3
	v_add_f32_e32 v24, v26, v46
	v_sub_f32_e32 v3, v27, v25
	v_sub_f32_e32 v27, v25, v24
	v_pk_add_f32 v[48:49], v[24:25], v[26:27] neg_lo:[0,1] neg_hi:[0,1]
	v_mov_b32_e32 v47, v24
	v_add_f32_e32 v3, v23, v3
	v_pk_add_f32 v[24:25], v[48:49], v[46:47] neg_lo:[0,1] neg_hi:[0,1]
	v_add_f32_e32 v3, v3, v25
	v_add_f32_e32 v3, v24, v3
	;; [unrolled: 1-line block ×4, first 2 shown]
	v_sub_f32_e32 v24, v23, v52
	v_mul_f32_e32 v3, v51, v3
	v_sub_f32_e32 v24, v53, v24
	v_add_f32_e32 v25, v24, v3
	v_add_f32_e32 v26, v23, v25
	v_cvt_f32_i32_e32 v24, v14
	v_mul_f32_e32 v46, v26, v26
	v_mov_b32_e32 v3, 0x3ecc95a3
	v_fmac_f32_e32 v3, 0x3e9b6dac, v46
	v_sub_f32_e32 v14, v26, v23
	v_fma_f32 v3, v46, v3, v30
	v_sub_f32_e32 v14, v25, v14
	v_mul_f32_e32 v25, v26, v46
	v_pk_mul_f32 v[46:47], v[24:25], v[2:3]
	v_ldexp_f32 v27, v26, 1
	v_fma_f32 v26, v24, s48, -v46
	v_fmac_f32_e32 v26, 0xb102e308, v24
	v_pk_add_f32 v[24:25], v[46:47], v[26:27]
	v_sub_f32_e32 v3, v25, v27
	v_ldexp_f32 v14, v14, 1
	v_sub_f32_e32 v3, v47, v3
	v_add_f32_e32 v49, v14, v3
	v_mov_b32_e32 v48, v46
	v_pk_add_f32 v[46:47], v[24:25], v[46:47] neg_lo:[0,1] neg_hi:[0,1]
	v_pk_add_f32 v[50:51], v[24:25], v[48:49]
	v_mov_b32_e32 v47, v51
	v_mov_b32_e32 v27, v24
	v_pk_add_f32 v[52:53], v[26:27], v[46:47] neg_lo:[0,1] neg_hi:[0,1]
	v_pk_add_f32 v[26:27], v[26:27], v[46:47]
	v_mov_b32_e32 v14, v27
	v_pk_add_f32 v[46:47], v[14:15], v[24:25] neg_lo:[0,1] neg_hi:[0,1]
	v_mov_b32_e32 v3, v46
	v_pk_add_f32 v[54:55], v[50:51], v[2:3] neg_lo:[0,1] neg_hi:[0,1]
	v_mov_b32_e32 v26, v51
	v_mov_b32_e32 v50, v25
	;; [unrolled: 1-line block ×4, first 2 shown]
	v_pk_add_f32 v[26:27], v[26:27], v[50:51] neg_lo:[0,1] neg_hi:[0,1]
	v_mov_b32_e32 v46, v49
	v_mov_b32_e32 v47, v24
	v_pk_add_f32 v[24:25], v[46:47], v[26:27] neg_lo:[0,1] neg_hi:[0,1]
	v_mov_b32_e32 v54, v52
	v_pk_add_f32 v[26:27], v[54:55], v[24:25]
	v_mov_b32_e32 v46, v27
	v_pk_add_f32 v[46:47], v[26:27], v[46:47]
	v_pk_add_f32 v[48:49], v[14:15], v[46:47]
	v_mov_b32_e32 v27, v48
	v_pk_add_f32 v[50:51], v[26:27], v[52:53] neg_lo:[0,1] neg_hi:[0,1]
	v_mov_b32_e32 v25, v46
	v_sub_f32_e32 v3, v26, v50
	v_pk_add_f32 v[24:25], v[24:25], v[50:51] neg_lo:[0,1] neg_hi:[0,1]
	v_sub_f32_e32 v3, v52, v3
	v_add_f32_e32 v3, v24, v3
	v_add_f32_e32 v3, v3, v25
	v_cmp_eq_f32_e32 vcc, s49, v22
	v_cmp_lt_f32_e64 s[12:13], |v22|, s50
	v_add_f32_e32 v3, v48, v3
	s_or_b64 vcc, vcc, s[12:13]
	v_cndmask_b32_e32 v3, v3, v22, vcc
	v_mul_f32_e32 v14, 0.5, v3
	v_max_f32_e64 v3, |v7|, |v7|
	v_max_f32_e64 v22, |v6|, |v6|
	v_min_f32_e32 v23, v22, v3
	v_max_f32_e32 v3, v22, v3
	v_frexp_mant_f32_e32 v22, v3
	v_rcp_f32_e32 v22, v22
	v_frexp_exp_i32_f32_e32 v3, v3
	v_frexp_exp_i32_f32_e32 v24, v23
	v_frexp_mant_f32_e32 v23, v23
	v_mul_f32_e32 v22, v23, v22
	v_sub_u32_e32 v3, v24, v3
	v_ldexp_f32 v3, v22, v3
	v_mul_f32_e32 v22, v3, v3
	v_mov_b32_e32 v23, 0xbc7a590c
	v_fmac_f32_e32 v23, 0x3b2d2a58, v22
	v_fma_f32 v23, v22, v23, v31
	v_fma_f32 v23, v22, v23, v32
	;; [unrolled: 1-line block ×6, first 2 shown]
	v_mul_f32_e32 v22, v22, v23
	v_fmac_f32_e32 v3, v3, v22
	v_sub_f32_e32 v22, 0x3fc90fdb, v3
	v_cndmask_b32_e64 v3, v3, v22, s[10:11]
	v_sub_f32_e32 v22, 0x40490fdb, v3
	v_cmp_gt_f32_e32 vcc, 0, v6
	v_cmp_gt_i32_e64 s[12:13], 0, v6
	v_cndmask_b32_e32 v3, v3, v22, vcc
	v_cndmask_b32_e64 v22, 0, v39, s[12:13]
	v_cmp_eq_f32_e64 s[12:13], 0, v7
	v_cndmask_b32_e64 v3, v3, v22, s[12:13]
	v_cmp_class_f32_e64 s[12:13], v6, s51
	v_cmp_class_f32_e64 s[30:31], v7, s51
	v_cndmask_b32_e32 v22, v40, v41, vcc
	s_and_b64 vcc, s[30:31], s[12:13]
	v_cndmask_b32_e32 v46, v3, v22, vcc
                                        ; implicit-def: $vgpr22
.LBB175_101:                            ;   in Loop: Header=BB175_4 Depth=1
	s_andn2_saveexec_b64 s[28:29], s[28:29]
	s_cbranch_execz .LBB175_103
; %bb.102:                              ;   in Loop: Header=BB175_4 Depth=1
	v_mul_f32_e32 v3, 0.5, v22
	v_mul_f32_e32 v14, v22, v3
	v_max_f32_e64 v3, |v7|, |v7|
	v_max_f32_e64 v22, |v6|, |v6|
	v_min_f32_e32 v23, v22, v3
	v_max_f32_e32 v3, v22, v3
	v_frexp_mant_f32_e32 v22, v3
	v_rcp_f32_e32 v22, v22
	v_frexp_exp_i32_f32_e32 v3, v3
	v_frexp_exp_i32_f32_e32 v24, v23
	v_frexp_mant_f32_e32 v23, v23
	v_mul_f32_e32 v22, v23, v22
	v_sub_u32_e32 v3, v24, v3
	v_ldexp_f32 v3, v22, v3
	v_mul_f32_e32 v22, v3, v3
	v_mov_b32_e32 v23, 0xbc7a590c
	v_fmac_f32_e32 v23, 0x3b2d2a58, v22
	v_fma_f32 v23, v22, v23, v31
	v_fma_f32 v23, v22, v23, v32
	;; [unrolled: 1-line block ×6, first 2 shown]
	v_mul_f32_e32 v22, v22, v23
	v_fmac_f32_e32 v3, v3, v22
	v_sub_f32_e32 v22, 0x3fc90fdb, v3
	v_cndmask_b32_e64 v3, v3, v22, s[10:11]
	v_sub_f32_e32 v22, 0x40490fdb, v3
	v_cmp_gt_f32_e32 vcc, 0, v6
	v_cmp_gt_i32_e64 s[12:13], 0, v6
	v_cndmask_b32_e32 v3, v3, v22, vcc
	v_cndmask_b32_e64 v22, 0, v39, s[12:13]
	v_cmp_eq_f32_e64 s[12:13], 0, v7
	v_cndmask_b32_e64 v3, v3, v22, s[12:13]
	v_cmp_class_f32_e64 s[12:13], v6, s51
	v_cmp_class_f32_e64 s[30:31], v7, s51
	v_cndmask_b32_e32 v22, v40, v41, vcc
	s_and_b64 vcc, s[30:31], s[12:13]
	v_cndmask_b32_e32 v46, v3, v22, vcc
.LBB175_103:                            ;   in Loop: Header=BB175_4 Depth=1
	s_or_b64 exec, exec, s[28:29]
.LBB175_104:                            ;   in Loop: Header=BB175_4 Depth=1
	s_or_b64 exec, exec, s[26:27]
.LBB175_105:                            ;   in Loop: Header=BB175_4 Depth=1
	s_andn2_saveexec_b64 s[24:25], s[24:25]
	s_cbranch_execz .LBB175_107
; %bb.106:                              ;   in Loop: Header=BB175_4 Depth=1
	v_div_scale_f32 v3, s[12:13], s56, s56, v6
	v_rcp_f32_e32 v14, v3
	v_div_scale_f32 v22, vcc, v6, s56, v6
	v_fma_f32 v23, -v3, v14, 1.0
	v_fmac_f32_e32 v14, v23, v14
	v_mul_f32_e32 v23, v22, v14
	v_fma_f32 v24, -v3, v23, v22
	v_fmac_f32_e32 v23, v24, v14
	v_fma_f32 v3, -v3, v23, v22
	v_div_scale_f32 v22, s[12:13], s56, s56, v7
	v_rcp_f32_e32 v24, v22
	v_div_fmas_f32 v3, v3, v14, v23
	v_div_fixup_f32 v3, v3, s56, v6
	v_fma_f32 v14, -v22, v24, 1.0
	v_fmac_f32_e32 v24, v14, v24
	v_div_scale_f32 v14, vcc, v7, s56, v7
	v_mul_f32_e32 v23, v14, v24
	v_fma_f32 v25, -v22, v23, v14
	v_fmac_f32_e32 v23, v25, v24
	v_fma_f32 v14, -v22, v23, v14
	v_div_fmas_f32 v14, v14, v24, v23
	v_div_fixup_f32 v14, v14, s56, v7
	v_max_f32_e64 v24, |v3|, |v14|
	v_cvt_f64_f32_e32 v[22:23], v24
	v_frexp_exp_i32_f64_e32 v22, v[22:23]
	v_sub_u32_e32 v23, 0, v22
	v_ldexp_f32 v14, |v14|, v23
	v_ldexp_f32 v3, |v3|, v23
	v_mul_f32_e32 v14, v14, v14
	v_fmac_f32_e32 v14, v3, v3
	v_sqrt_f32_e32 v3, v14
	v_cmp_neq_f32_e32 vcc, s49, v24
	v_ldexp_f32 v3, v3, v22
	v_cndmask_b32_e32 v3, v44, v3, vcc
	v_cmp_gt_f32_e32 vcc, s53, v3
	v_cndmask_b32_e32 v14, 1.0, v42, vcc
	v_mul_f32_e32 v3, v3, v14
	v_log_f32_e32 v3, v3
	v_mul_f32_e32 v14, 0x3f317217, v3
	v_fma_f32 v22, v3, s54, -v14
	v_fmac_f32_e32 v22, 0x3377d1cf, v3
	v_add_f32_e32 v14, v14, v22
	v_cmp_lt_f32_e64 s[12:13], |v3|, s49
	v_cndmask_b32_e64 v3, v3, v14, s[12:13]
	v_cndmask_b32_e32 v14, 0, v43, vcc
	v_sub_f32_e32 v3, v3, v14
	v_add_f32_e32 v14, 1.0, v3
	v_max_f32_e64 v3, |v7|, |v7|
	v_max_f32_e64 v22, |v6|, |v6|
	v_min_f32_e32 v23, v22, v3
	v_max_f32_e32 v3, v22, v3
	v_frexp_mant_f32_e32 v22, v3
	v_rcp_f32_e32 v22, v22
	v_frexp_exp_i32_f32_e32 v3, v3
	v_frexp_exp_i32_f32_e32 v24, v23
	v_frexp_mant_f32_e32 v23, v23
	v_mul_f32_e32 v22, v23, v22
	v_sub_u32_e32 v3, v24, v3
	v_ldexp_f32 v3, v22, v3
	v_mul_f32_e32 v22, v3, v3
	v_mov_b32_e32 v23, 0xbc7a590c
	v_fmac_f32_e32 v23, 0x3b2d2a58, v22
	v_fma_f32 v23, v22, v23, v31
	v_fma_f32 v23, v22, v23, v32
	;; [unrolled: 1-line block ×6, first 2 shown]
	v_mul_f32_e32 v22, v22, v23
	v_fmac_f32_e32 v3, v3, v22
	v_sub_f32_e32 v22, 0x3fc90fdb, v3
	v_cndmask_b32_e64 v3, v3, v22, s[10:11]
	v_sub_f32_e32 v22, 0x40490fdb, v3
	v_cmp_gt_f32_e32 vcc, 0, v6
	v_cmp_gt_i32_e64 s[10:11], 0, v6
	v_cndmask_b32_e32 v3, v3, v22, vcc
	v_cndmask_b32_e64 v22, 0, v39, s[10:11]
	v_cmp_eq_f32_e64 s[10:11], 0, v7
	v_cndmask_b32_e64 v3, v3, v22, s[10:11]
	v_cmp_class_f32_e64 s[10:11], v6, s51
	v_cmp_class_f32_e64 s[12:13], v7, s51
	v_cndmask_b32_e32 v22, v40, v41, vcc
	s_and_b64 vcc, s[12:13], s[10:11]
	v_cndmask_b32_e32 v46, v3, v22, vcc
.LBB175_107:                            ;   in Loop: Header=BB175_4 Depth=1
	s_or_b64 exec, exec, s[24:25]
.LBB175_108:                            ;   in Loop: Header=BB175_4 Depth=1
	s_andn2_saveexec_b64 s[10:11], s[22:23]
	s_cbranch_execz .LBB175_114
; %bb.109:                              ;   in Loop: Header=BB175_4 Depth=1
	v_cmp_nlt_f32_e64 s[12:13], |v6|, s57
	v_cmp_nlt_f32_e64 s[22:23], |v7|, s57
	s_or_b64 s[12:13], s[22:23], s[12:13]
                                        ; implicit-def: $vgpr3
	s_and_saveexec_b64 s[22:23], s[12:13]
	s_xor_b64 s[12:13], exec, s[22:23]
; %bb.110:                              ;   in Loop: Header=BB175_4 Depth=1
	v_pk_mul_f32 v[22:23], v[6:7], v[6:7]
	v_add_f32_e32 v3, v23, v22
; %bb.111:                              ;   in Loop: Header=BB175_4 Depth=1
	s_andn2_saveexec_b64 s[12:13], s[12:13]
; %bb.112:                              ;   in Loop: Header=BB175_4 Depth=1
	v_pk_mul_f32 v[22:23], v[6:7], 4.0 op_sel_hi:[1,0]
	v_pk_mul_f32 v[22:23], v[22:23], v[22:23]
	v_add_f32_e32 v3, v23, v22
	v_mul_f32_e32 v3, 0x3d800000, v3
; %bb.113:                              ;   in Loop: Header=BB175_4 Depth=1
	s_or_b64 exec, exec, s[12:13]
	v_cmp_gt_f32_e32 vcc, s53, v3
	v_cndmask_b32_e32 v6, 1.0, v42, vcc
	v_mul_f32_e32 v3, v3, v6
	v_log_f32_e32 v3, v3
	v_cndmask_b32_e32 v6, 0, v43, vcc
	v_mov_b32_e32 v46, 0x7fc00000
	v_mul_f32_e32 v14, 0x3f317217, v3
	v_fma_f32 v22, v3, s54, -v14
	v_fmac_f32_e32 v22, 0x3377d1cf, v3
	v_add_f32_e32 v14, v14, v22
	v_cmp_lt_f32_e64 vcc, |v3|, s49
	v_cndmask_b32_e32 v3, v3, v14, vcc
	v_sub_f32_e32 v14, v3, v6
.LBB175_114:                            ;   in Loop: Header=BB175_4 Depth=1
	s_or_b64 exec, exec, s[10:11]
	v_cmp_o_f32_e32 vcc, v19, v18
                                        ; implicit-def: $vgpr6
                                        ; implicit-def: $vgpr3
	s_and_saveexec_b64 s[10:11], vcc
	s_xor_b64 s[22:23], exec, s[10:11]
	s_cbranch_execnz .LBB175_120
; %bb.115:                              ;   in Loop: Header=BB175_4 Depth=1
	s_andn2_saveexec_b64 s[10:11], s[22:23]
	s_cbranch_execnz .LBB175_147
.LBB175_116:                            ;   in Loop: Header=BB175_4 Depth=1
	s_or_b64 exec, exec, s[10:11]
	s_and_saveexec_b64 s[10:11], s[0:1]
	s_xor_b64 s[0:1], exec, s[10:11]
	s_cbranch_execnz .LBB175_152
.LBB175_117:                            ;   in Loop: Header=BB175_4 Depth=1
	s_or_b64 exec, exec, s[0:1]
	s_and_saveexec_b64 s[0:1], s[2:3]
	s_cbranch_execnz .LBB175_153
.LBB175_118:                            ;   in Loop: Header=BB175_4 Depth=1
	s_or_b64 exec, exec, s[0:1]
	s_and_saveexec_b64 s[0:1], s[6:7]
	s_cbranch_execnz .LBB175_154
.LBB175_119:                            ;   in Loop: Header=BB175_4 Depth=1
	s_or_b64 exec, exec, s[0:1]
	s_and_saveexec_b64 s[0:1], s[8:9]
	s_cbranch_execz .LBB175_3
	s_branch .LBB175_155
.LBB175_120:                            ;   in Loop: Header=BB175_4 Depth=1
	v_cmp_lt_f32_e64 s[10:11], |v18|, |v19|
	v_cndmask_b32_e64 v22, v19, v18, s[10:11]
	v_cmp_ngt_f32_e64 s[12:13], |v22|, s44
                                        ; implicit-def: $vgpr6
                                        ; implicit-def: $vgpr3
	s_and_saveexec_b64 s[24:25], s[12:13]
	s_xor_b64 s[24:25], exec, s[24:25]
	s_cbranch_execz .LBB175_144
; %bb.121:                              ;   in Loop: Header=BB175_4 Depth=1
	v_cndmask_b32_e64 v3, v18, v19, s[10:11]
	v_and_b32_e32 v23, 0x7fffffff, v3
	v_and_b32_e32 v22, 0x7fffffff, v22
	v_cmp_neq_f32_e32 vcc, 1.0, v23
                                        ; implicit-def: $vgpr6
                                        ; implicit-def: $vgpr3
	s_and_saveexec_b64 s[12:13], vcc
	s_xor_b64 s[26:27], exec, s[12:13]
	s_cbranch_execz .LBB175_137
; %bb.122:                              ;   in Loop: Header=BB175_4 Depth=1
	v_max_f32_e32 v3, v22, v22
	v_max_f32_e32 v6, v23, v23
	v_min_f32_e32 v24, v6, v3
	v_max_f32_e32 v3, v6, v3
	v_cmp_ngt_f32_e32 vcc, s45, v24
	v_cmp_nlt_f32_e64 s[12:13], s46, v3
	s_and_b64 s[12:13], s[12:13], vcc
                                        ; implicit-def: $vgpr6
                                        ; implicit-def: $vgpr3
	s_and_saveexec_b64 s[28:29], s[12:13]
	s_xor_b64 s[28:29], exec, s[28:29]
	s_cbranch_execz .LBB175_134
; %bb.123:                              ;   in Loop: Header=BB175_4 Depth=1
	v_cmp_le_f32_e32 vcc, 1.0, v23
                                        ; implicit-def: $vgpr6
                                        ; implicit-def: $vgpr3
	s_and_saveexec_b64 s[12:13], vcc
	s_xor_b64 s[30:31], exec, s[12:13]
	s_cbranch_execz .LBB175_125
; %bb.124:                              ;   in Loop: Header=BB175_4 Depth=1
	v_pk_add_f32 v[24:25], v[22:23], s[20:21] op_sel:[1,0]
	v_mov_b32_e32 v6, v25
	v_pk_mul_f32 v[24:25], v[24:25], v[6:7]
	v_pk_fma_f32 v[22:23], v[22:23], v[22:23], v[24:25]
	v_add_f32_e32 v25, 1.0, v22
	v_add_f32_e32 v23, -1.0, v25
	v_mov_b32_e32 v24, v23
	v_pk_add_f32 v[26:27], v[22:23], v[24:25] neg_lo:[0,1] neg_hi:[0,1]
	v_add_f32_e32 v3, 1.0, v27
	v_add_f32_e32 v3, v26, v3
	v_frexp_mant_f32_e32 v6, v25
	v_cvt_f64_f32_e32 v[26:27], v25
	v_frexp_exp_i32_f64_e32 v23, v[26:27]
	v_cmp_gt_f32_e32 vcc, s47, v6
	v_subbrev_co_u32_e32 v6, vcc, 0, v23, vcc
	v_sub_u32_e32 v23, 0, v6
	v_ldexp_f32 v24, v25, v23
	v_ldexp_f32 v3, v3, v23
	v_add_f32_e32 v23, -1.0, v24
	v_add_f32_e32 v25, 1.0, v23
	v_sub_f32_e32 v25, v24, v25
	v_add_f32_e32 v26, v3, v25
	v_add_f32_e32 v25, 1.0, v24
	v_add_f32_e32 v27, -1.0, v25
	v_sub_f32_e32 v24, v24, v27
	v_add_f32_e32 v3, v3, v24
	v_add_f32_e32 v47, v25, v3
	v_rcp_f32_e32 v52, v47
	v_sub_f32_e32 v24, v47, v25
	v_add_f32_e32 v25, v23, v26
	v_sub_f32_e32 v23, v25, v23
	v_mul_f32_e32 v53, v25, v52
	v_sub_f32_e32 v23, v26, v23
	v_mul_f32_e32 v26, v47, v53
	v_sub_f32_e32 v3, v3, v24
	v_fma_f32 v48, v53, v47, -v26
	v_fmac_f32_e32 v48, v53, v3
	v_add_f32_e32 v24, v26, v48
	v_sub_f32_e32 v27, v25, v24
	v_pk_add_f32 v[50:51], v[24:25], v[26:27] neg_lo:[0,1] neg_hi:[0,1]
	v_mov_b32_e32 v49, v24
	v_pk_add_f32 v[24:25], v[50:51], v[48:49] neg_lo:[0,1] neg_hi:[0,1]
	v_add_f32_e32 v23, v23, v25
	v_add_f32_e32 v23, v24, v23
	v_add_f32_e32 v25, v27, v23
	v_mul_f32_e32 v54, v52, v25
	v_mul_f32_e32 v26, v47, v54
	v_fma_f32 v48, v54, v47, -v26
	v_fmac_f32_e32 v48, v54, v3
	v_add_f32_e32 v24, v26, v48
	v_sub_f32_e32 v3, v27, v25
	v_sub_f32_e32 v27, v25, v24
	v_pk_add_f32 v[50:51], v[24:25], v[26:27] neg_lo:[0,1] neg_hi:[0,1]
	v_mov_b32_e32 v49, v24
	v_add_f32_e32 v3, v23, v3
	v_pk_add_f32 v[24:25], v[50:51], v[48:49] neg_lo:[0,1] neg_hi:[0,1]
	v_add_f32_e32 v3, v3, v25
	v_add_f32_e32 v3, v24, v3
	;; [unrolled: 1-line block ×4, first 2 shown]
	v_sub_f32_e32 v24, v23, v53
	v_mul_f32_e32 v3, v52, v3
	v_sub_f32_e32 v24, v54, v24
	v_add_f32_e32 v25, v24, v3
	v_add_f32_e32 v26, v23, v25
	v_cvt_f32_i32_e32 v24, v6
	v_mul_f32_e32 v47, v26, v26
	v_mov_b32_e32 v3, 0x3ecc95a3
	v_fmac_f32_e32 v3, 0x3e9b6dac, v47
	v_sub_f32_e32 v6, v26, v23
	v_fma_f32 v3, v47, v3, v30
	v_sub_f32_e32 v6, v25, v6
	v_mul_f32_e32 v25, v26, v47
	v_pk_mul_f32 v[48:49], v[24:25], v[2:3]
	v_ldexp_f32 v27, v26, 1
	v_fma_f32 v26, v24, s48, -v48
	v_fmac_f32_e32 v26, 0xb102e308, v24
	v_pk_add_f32 v[24:25], v[48:49], v[26:27]
	v_sub_f32_e32 v3, v25, v27
	v_ldexp_f32 v6, v6, 1
	v_sub_f32_e32 v3, v49, v3
	v_add_f32_e32 v51, v6, v3
	v_mov_b32_e32 v50, v48
	v_pk_add_f32 v[48:49], v[24:25], v[48:49] neg_lo:[0,1] neg_hi:[0,1]
	v_pk_add_f32 v[52:53], v[24:25], v[50:51]
	v_mov_b32_e32 v49, v53
	v_mov_b32_e32 v27, v24
	v_pk_add_f32 v[54:55], v[26:27], v[48:49] neg_lo:[0,1] neg_hi:[0,1]
	v_pk_add_f32 v[26:27], v[26:27], v[48:49]
	v_mov_b32_e32 v6, v27
	v_pk_add_f32 v[48:49], v[6:7], v[24:25] neg_lo:[0,1] neg_hi:[0,1]
	v_mov_b32_e32 v3, v48
	v_pk_add_f32 v[56:57], v[52:53], v[2:3] neg_lo:[0,1] neg_hi:[0,1]
	v_mov_b32_e32 v26, v53
	v_mov_b32_e32 v52, v25
	;; [unrolled: 1-line block ×4, first 2 shown]
	v_pk_add_f32 v[26:27], v[26:27], v[52:53] neg_lo:[0,1] neg_hi:[0,1]
	v_mov_b32_e32 v48, v51
	v_mov_b32_e32 v49, v24
	v_pk_add_f32 v[24:25], v[48:49], v[26:27] neg_lo:[0,1] neg_hi:[0,1]
	v_mov_b32_e32 v56, v54
	v_pk_add_f32 v[26:27], v[56:57], v[24:25]
	v_mov_b32_e32 v48, v27
	v_pk_add_f32 v[48:49], v[26:27], v[48:49]
	v_pk_add_f32 v[50:51], v[6:7], v[48:49]
	v_mov_b32_e32 v27, v50
	v_pk_add_f32 v[52:53], v[26:27], v[54:55] neg_lo:[0,1] neg_hi:[0,1]
	v_mov_b32_e32 v25, v48
	v_sub_f32_e32 v3, v26, v52
	v_pk_add_f32 v[24:25], v[24:25], v[52:53] neg_lo:[0,1] neg_hi:[0,1]
	v_sub_f32_e32 v3, v54, v3
	v_add_f32_e32 v3, v24, v3
	v_add_f32_e32 v3, v3, v25
	;; [unrolled: 1-line block ×3, first 2 shown]
	v_cmp_eq_f32_e32 vcc, s49, v22
	v_cndmask_b32_e32 v3, v3, v22, vcc
	v_cmp_ngt_f32_e32 vcc, -1.0, v22
	v_cndmask_b32_e32 v3, v37, v3, vcc
	v_cmp_neq_f32_e32 vcc, -1.0, v22
	v_cndmask_b32_e32 v3, v38, v3, vcc
	v_cmp_lt_f32_e64 vcc, |v22|, s50
	v_cndmask_b32_e32 v3, v3, v22, vcc
	v_mul_f32_e32 v6, 0.5, v3
	v_max_f32_e64 v3, |v19|, |v19|
	v_max_f32_e64 v22, |v18|, |v18|
	v_min_f32_e32 v23, v22, v3
	v_max_f32_e32 v3, v22, v3
	v_frexp_mant_f32_e32 v22, v3
	v_rcp_f32_e32 v22, v22
	v_frexp_exp_i32_f32_e32 v3, v3
	v_frexp_exp_i32_f32_e32 v24, v23
	v_frexp_mant_f32_e32 v23, v23
	v_mul_f32_e32 v22, v23, v22
	v_sub_u32_e32 v3, v24, v3
	v_ldexp_f32 v3, v22, v3
	v_mul_f32_e32 v22, v3, v3
	v_mov_b32_e32 v23, 0xbc7a590c
	v_fmac_f32_e32 v23, 0x3b2d2a58, v22
	v_fma_f32 v23, v22, v23, v31
	v_fma_f32 v23, v22, v23, v32
	;; [unrolled: 1-line block ×6, first 2 shown]
	v_mul_f32_e32 v22, v22, v23
	v_fmac_f32_e32 v3, v3, v22
	v_sub_f32_e32 v22, 0x3fc90fdb, v3
	v_cndmask_b32_e64 v3, v3, v22, s[10:11]
	v_sub_f32_e32 v22, 0x40490fdb, v3
	v_cmp_gt_f32_e32 vcc, 0, v18
	v_cmp_gt_i32_e64 s[12:13], 0, v18
	v_cndmask_b32_e32 v3, v3, v22, vcc
	v_cndmask_b32_e64 v22, 0, v39, s[12:13]
	v_cmp_eq_f32_e64 s[12:13], 0, v19
	v_cndmask_b32_e64 v3, v3, v22, s[12:13]
	v_cmp_class_f32_e64 s[12:13], v18, s51
	v_cmp_class_f32_e64 s[34:35], v19, s51
	v_cndmask_b32_e32 v22, v40, v41, vcc
	s_and_b64 vcc, s[34:35], s[12:13]
	v_cndmask_b32_e32 v3, v3, v22, vcc
                                        ; implicit-def: $vgpr22_vgpr23
.LBB175_125:                            ;   in Loop: Header=BB175_4 Depth=1
	s_andn2_saveexec_b64 s[30:31], s[30:31]
	s_cbranch_execz .LBB175_133
; %bb.126:                              ;   in Loop: Header=BB175_4 Depth=1
	v_pk_mul_f32 v[24:25], v[22:23], v[22:23]
	v_add_f32_e32 v24, v25, v24
	v_cmp_ge_f32_e32 vcc, s52, v24
                                        ; implicit-def: $vgpr6
                                        ; implicit-def: $vgpr3
	s_and_saveexec_b64 s[12:13], vcc
	s_xor_b64 s[34:35], exec, s[12:13]
	s_cbranch_execz .LBB175_128
; %bb.127:                              ;   in Loop: Header=BB175_4 Depth=1
	v_cmp_gt_f32_e32 vcc, s53, v24
	v_cndmask_b32_e32 v3, 1.0, v42, vcc
	v_mul_f32_e32 v3, v24, v3
	v_log_f32_e32 v3, v3
	v_cndmask_b32_e32 v6, 0, v43, vcc
	v_cmp_gt_i32_e64 s[12:13], 0, v18
	v_cmp_class_f32_e64 s[36:37], v19, s51
	v_mul_f32_e32 v22, 0x3f317217, v3
	v_fma_f32 v23, v3, s54, -v22
	v_fmac_f32_e32 v23, 0x3377d1cf, v3
	v_add_f32_e32 v22, v22, v23
	v_cmp_lt_f32_e64 vcc, |v3|, s49
	v_cndmask_b32_e32 v3, v3, v22, vcc
	v_sub_f32_e32 v3, v3, v6
	v_mul_f32_e32 v6, 0.5, v3
	v_max_f32_e64 v3, |v19|, |v19|
	v_max_f32_e64 v22, |v18|, |v18|
	v_min_f32_e32 v23, v22, v3
	v_max_f32_e32 v3, v22, v3
	v_frexp_mant_f32_e32 v22, v3
	v_rcp_f32_e32 v22, v22
	v_frexp_exp_i32_f32_e32 v3, v3
	v_frexp_exp_i32_f32_e32 v24, v23
	v_frexp_mant_f32_e32 v23, v23
	v_mul_f32_e32 v22, v23, v22
	v_sub_u32_e32 v3, v24, v3
	v_ldexp_f32 v3, v22, v3
	v_mul_f32_e32 v22, v3, v3
	v_mov_b32_e32 v23, 0xbc7a590c
	v_fmac_f32_e32 v23, 0x3b2d2a58, v22
	v_fma_f32 v23, v22, v23, v31
	v_fma_f32 v23, v22, v23, v32
	;; [unrolled: 1-line block ×6, first 2 shown]
	v_mul_f32_e32 v22, v22, v23
	v_fmac_f32_e32 v3, v3, v22
	v_sub_f32_e32 v22, 0x3fc90fdb, v3
	v_cndmask_b32_e64 v3, v3, v22, s[10:11]
	v_sub_f32_e32 v22, 0x40490fdb, v3
	v_cmp_gt_f32_e32 vcc, 0, v18
	v_cndmask_b32_e32 v3, v3, v22, vcc
	v_cndmask_b32_e64 v22, 0, v39, s[12:13]
	v_cmp_eq_f32_e64 s[12:13], 0, v19
	v_cndmask_b32_e64 v3, v3, v22, s[12:13]
	v_cmp_class_f32_e64 s[12:13], v18, s51
	v_cndmask_b32_e32 v22, v40, v41, vcc
	s_and_b64 vcc, s[36:37], s[12:13]
	v_cndmask_b32_e32 v3, v3, v22, vcc
                                        ; implicit-def: $vgpr22_vgpr23
.LBB175_128:                            ;   in Loop: Header=BB175_4 Depth=1
	s_andn2_saveexec_b64 s[34:35], s[34:35]
	s_cbranch_execz .LBB175_132
; %bb.129:                              ;   in Loop: Header=BB175_4 Depth=1
	v_and_b32_e32 v25, 0x7fff0000, v22
	v_and_b32_e32 v24, 0x7fff0000, v23
	v_pk_add_f32 v[22:23], v[22:23], v[24:25] op_sel:[1,0] op_sel_hi:[0,1] neg_lo:[0,1] neg_hi:[0,1]
	v_and_b32_e32 v27, 0xffff0000, v23
	v_and_b32_e32 v26, 0xffff0000, v22
	v_add_f32_e32 v47, v24, v24
	v_pk_add_f32 v[52:53], v[22:23], v[26:27] neg_lo:[0,1] neg_hi:[0,1]
	v_pk_mul_f32 v[22:23], v[24:25], v[24:25]
	v_mul_f32_e32 v6, v47, v26
	v_add_f32_e32 v49, v25, v25
	v_pk_mul_f32 v[24:25], v[26:27], v[26:27]
	v_add_f32_e32 v26, v26, v26
	v_mul_f32_e32 v3, v49, v27
	v_mul_f32_e32 v48, v47, v52
	;; [unrolled: 1-line block ×4, first 2 shown]
	v_add_f32_e32 v26, v27, v27
	v_mul_f32_e32 v50, v26, v53
	v_pk_mul_f32 v[26:27], v[52:53], v[52:53]
	s_mov_b64 s[36:37], 0
.LBB175_130:                            ;   Parent Loop BB175_4 Depth=1
                                        ; =>  This Inner Loop Header: Depth=2
	v_cmp_nlt_f32_e32 vcc, v22, v23
	v_cndmask_b32_e32 v51, v22, v23, vcc
	v_cmp_nlt_f32_e64 s[12:13], v51, v6
	v_cndmask_b32_e64 v52, v51, v6, s[12:13]
	v_cndmask_b32_e32 v22, v23, v22, vcc
	s_and_b64 s[58:59], vcc, s[12:13]
	v_cmp_nlt_f32_e32 vcc, v52, v3
	v_cndmask_b32_e64 v23, v6, v51, s[12:13]
	v_cndmask_b32_e32 v51, v52, v3, vcc
	v_cmp_nlt_f32_e64 s[12:13], v51, v24
	v_cndmask_b32_e32 v6, v3, v52, vcc
	v_cndmask_b32_e64 v52, v51, v24, s[12:13]
	s_and_b64 s[60:61], vcc, s[12:13]
	v_cmp_nlt_f32_e32 vcc, v52, v25
	v_cndmask_b32_e64 v3, v24, v51, s[12:13]
	v_cndmask_b32_e32 v51, v52, v25, vcc
	v_cmp_nlt_f32_e64 s[12:13], v51, v48
	v_cndmask_b32_e32 v24, v25, v52, vcc
	v_cndmask_b32_e64 v52, v51, v48, s[12:13]
	v_cndmask_b32_e64 v25, v48, v51, s[12:13]
	s_and_b64 s[12:13], vcc, s[12:13]
	v_cmp_nlt_f32_e32 vcc, v52, v47
	v_cndmask_b32_e32 v51, v52, v47, vcc
	v_cndmask_b32_e32 v48, v47, v52, vcc
	s_and_b64 s[12:13], s[12:13], vcc
	v_cmp_nlt_f32_e32 vcc, v51, v49
	v_cndmask_b32_e32 v52, v51, v49, vcc
	v_cndmask_b32_e32 v47, v49, v51, vcc
	s_and_b64 s[12:13], s[12:13], vcc
	v_cmp_nlt_f32_e32 vcc, v52, v50
	v_cndmask_b32_e32 v51, v52, v50, vcc
	v_cndmask_b32_e32 v49, v50, v52, vcc
	s_and_b64 s[12:13], s[12:13], vcc
	v_cmp_nlt_f32_e32 vcc, v51, v26
	v_cndmask_b32_e32 v52, v51, v26, vcc
	v_cndmask_b32_e32 v50, v26, v51, vcc
	s_and_b64 s[12:13], s[12:13], vcc
	v_cmp_nlt_f32_e32 vcc, v52, v27
	s_and_b64 s[12:13], s[12:13], vcc
	s_and_b64 s[12:13], s[12:13], s[60:61]
	s_and_b64 s[12:13], s[12:13], s[58:59]
	s_and_b64 s[12:13], exec, s[12:13]
	v_cndmask_b32_e32 v26, v27, v52, vcc
	s_or_b64 s[36:37], s[12:13], s[36:37]
	v_cndmask_b32_e32 v27, v52, v27, vcc
	s_andn2_b64 exec, exec, s[36:37]
	s_cbranch_execnz .LBB175_130
; %bb.131:                              ;   in Loop: Header=BB175_4 Depth=1
	s_or_b64 exec, exec, s[36:37]
	v_add_f32_e32 v22, -1.0, v22
	v_add_f32_e32 v22, v22, v23
	v_add_f32_e32 v6, v22, v6
	;; [unrolled: 1-line block ×11, first 2 shown]
	v_add_f32_e32 v25, 1.0, v22
	v_add_f32_e32 v23, -1.0, v25
	v_mov_b32_e32 v24, v23
	v_pk_add_f32 v[26:27], v[22:23], v[24:25] neg_lo:[0,1] neg_hi:[0,1]
	v_add_f32_e32 v3, 1.0, v27
	v_add_f32_e32 v3, v26, v3
	v_frexp_mant_f32_e32 v6, v25
	v_cvt_f64_f32_e32 v[26:27], v25
	v_frexp_exp_i32_f64_e32 v23, v[26:27]
	v_cmp_gt_f32_e32 vcc, s47, v6
	v_subbrev_co_u32_e32 v6, vcc, 0, v23, vcc
	v_sub_u32_e32 v23, 0, v6
	v_ldexp_f32 v24, v25, v23
	v_ldexp_f32 v3, v3, v23
	v_add_f32_e32 v23, -1.0, v24
	v_add_f32_e32 v25, 1.0, v23
	v_sub_f32_e32 v25, v24, v25
	v_add_f32_e32 v26, v3, v25
	v_add_f32_e32 v25, 1.0, v24
	v_add_f32_e32 v27, -1.0, v25
	v_sub_f32_e32 v24, v24, v27
	v_add_f32_e32 v3, v3, v24
	v_add_f32_e32 v47, v25, v3
	v_rcp_f32_e32 v52, v47
	v_sub_f32_e32 v24, v47, v25
	v_add_f32_e32 v25, v23, v26
	v_sub_f32_e32 v23, v25, v23
	v_mul_f32_e32 v53, v25, v52
	v_sub_f32_e32 v23, v26, v23
	v_mul_f32_e32 v26, v47, v53
	v_sub_f32_e32 v3, v3, v24
	v_fma_f32 v48, v53, v47, -v26
	v_fmac_f32_e32 v48, v53, v3
	v_add_f32_e32 v24, v26, v48
	v_sub_f32_e32 v27, v25, v24
	v_pk_add_f32 v[50:51], v[24:25], v[26:27] neg_lo:[0,1] neg_hi:[0,1]
	v_mov_b32_e32 v49, v24
	v_pk_add_f32 v[24:25], v[50:51], v[48:49] neg_lo:[0,1] neg_hi:[0,1]
	v_add_f32_e32 v23, v23, v25
	v_add_f32_e32 v23, v24, v23
	;; [unrolled: 1-line block ×3, first 2 shown]
	v_mul_f32_e32 v54, v52, v25
	v_mul_f32_e32 v26, v47, v54
	v_fma_f32 v48, v54, v47, -v26
	v_fmac_f32_e32 v48, v54, v3
	v_add_f32_e32 v24, v26, v48
	v_sub_f32_e32 v3, v27, v25
	v_sub_f32_e32 v27, v25, v24
	v_pk_add_f32 v[50:51], v[24:25], v[26:27] neg_lo:[0,1] neg_hi:[0,1]
	v_mov_b32_e32 v49, v24
	v_add_f32_e32 v3, v23, v3
	v_pk_add_f32 v[24:25], v[50:51], v[48:49] neg_lo:[0,1] neg_hi:[0,1]
	v_add_f32_e32 v3, v3, v25
	v_add_f32_e32 v3, v24, v3
	;; [unrolled: 1-line block ×4, first 2 shown]
	v_sub_f32_e32 v24, v23, v53
	v_mul_f32_e32 v3, v52, v3
	v_sub_f32_e32 v24, v54, v24
	v_add_f32_e32 v25, v24, v3
	v_add_f32_e32 v26, v23, v25
	v_cvt_f32_i32_e32 v24, v6
	v_mul_f32_e32 v47, v26, v26
	v_mov_b32_e32 v3, 0x3ecc95a3
	v_fmac_f32_e32 v3, 0x3e9b6dac, v47
	v_sub_f32_e32 v6, v26, v23
	v_fma_f32 v3, v47, v3, v30
	v_sub_f32_e32 v6, v25, v6
	v_mul_f32_e32 v25, v26, v47
	v_pk_mul_f32 v[48:49], v[24:25], v[2:3]
	v_ldexp_f32 v27, v26, 1
	v_fma_f32 v26, v24, s48, -v48
	v_fmac_f32_e32 v26, 0xb102e308, v24
	v_pk_add_f32 v[24:25], v[48:49], v[26:27]
	v_sub_f32_e32 v3, v25, v27
	v_ldexp_f32 v6, v6, 1
	v_sub_f32_e32 v3, v49, v3
	v_add_f32_e32 v51, v6, v3
	v_mov_b32_e32 v50, v48
	v_pk_add_f32 v[48:49], v[24:25], v[48:49] neg_lo:[0,1] neg_hi:[0,1]
	v_pk_add_f32 v[52:53], v[24:25], v[50:51]
	v_mov_b32_e32 v49, v53
	v_mov_b32_e32 v27, v24
	v_pk_add_f32 v[54:55], v[26:27], v[48:49] neg_lo:[0,1] neg_hi:[0,1]
	v_pk_add_f32 v[26:27], v[26:27], v[48:49]
	v_mov_b32_e32 v6, v27
	v_pk_add_f32 v[48:49], v[6:7], v[24:25] neg_lo:[0,1] neg_hi:[0,1]
	v_mov_b32_e32 v3, v48
	v_pk_add_f32 v[56:57], v[52:53], v[2:3] neg_lo:[0,1] neg_hi:[0,1]
	v_mov_b32_e32 v26, v53
	v_mov_b32_e32 v52, v25
	;; [unrolled: 1-line block ×4, first 2 shown]
	v_pk_add_f32 v[26:27], v[26:27], v[52:53] neg_lo:[0,1] neg_hi:[0,1]
	v_mov_b32_e32 v48, v51
	v_mov_b32_e32 v49, v24
	v_pk_add_f32 v[24:25], v[48:49], v[26:27] neg_lo:[0,1] neg_hi:[0,1]
	v_mov_b32_e32 v56, v54
	v_pk_add_f32 v[26:27], v[56:57], v[24:25]
	v_mov_b32_e32 v48, v27
	v_pk_add_f32 v[48:49], v[26:27], v[48:49]
	v_pk_add_f32 v[50:51], v[6:7], v[48:49]
	v_mov_b32_e32 v27, v50
	v_pk_add_f32 v[52:53], v[26:27], v[54:55] neg_lo:[0,1] neg_hi:[0,1]
	v_mov_b32_e32 v25, v48
	v_sub_f32_e32 v3, v26, v52
	v_pk_add_f32 v[24:25], v[24:25], v[52:53] neg_lo:[0,1] neg_hi:[0,1]
	v_sub_f32_e32 v3, v54, v3
	v_add_f32_e32 v3, v24, v3
	v_add_f32_e32 v3, v3, v25
	;; [unrolled: 1-line block ×3, first 2 shown]
	v_cmp_eq_f32_e32 vcc, s49, v22
	v_cndmask_b32_e32 v3, v3, v22, vcc
	v_cmp_ngt_f32_e32 vcc, -1.0, v22
	v_cndmask_b32_e32 v3, v37, v3, vcc
	v_cmp_neq_f32_e32 vcc, -1.0, v22
	v_cndmask_b32_e32 v3, v38, v3, vcc
	v_cmp_lt_f32_e64 vcc, |v22|, s50
	v_cndmask_b32_e32 v3, v3, v22, vcc
	v_mul_f32_e32 v6, 0.5, v3
	v_max_f32_e64 v3, |v19|, |v19|
	v_max_f32_e64 v22, |v18|, |v18|
	v_min_f32_e32 v23, v22, v3
	v_max_f32_e32 v3, v22, v3
	v_frexp_mant_f32_e32 v22, v3
	v_rcp_f32_e32 v22, v22
	v_frexp_exp_i32_f32_e32 v3, v3
	v_frexp_exp_i32_f32_e32 v24, v23
	v_frexp_mant_f32_e32 v23, v23
	v_mul_f32_e32 v22, v23, v22
	v_sub_u32_e32 v3, v24, v3
	v_ldexp_f32 v3, v22, v3
	v_mul_f32_e32 v22, v3, v3
	v_mov_b32_e32 v23, 0xbc7a590c
	v_fmac_f32_e32 v23, 0x3b2d2a58, v22
	v_fma_f32 v23, v22, v23, v31
	v_fma_f32 v23, v22, v23, v32
	;; [unrolled: 1-line block ×6, first 2 shown]
	v_mul_f32_e32 v22, v22, v23
	v_fmac_f32_e32 v3, v3, v22
	v_sub_f32_e32 v22, 0x3fc90fdb, v3
	v_cndmask_b32_e64 v3, v3, v22, s[10:11]
	v_sub_f32_e32 v22, 0x40490fdb, v3
	v_cmp_gt_f32_e32 vcc, 0, v18
	v_cmp_gt_i32_e64 s[12:13], 0, v18
	v_cndmask_b32_e32 v3, v3, v22, vcc
	v_cndmask_b32_e64 v22, 0, v39, s[12:13]
	v_cmp_eq_f32_e64 s[12:13], 0, v19
	v_cndmask_b32_e64 v3, v3, v22, s[12:13]
	v_cmp_class_f32_e64 s[12:13], v18, s51
	v_cmp_class_f32_e64 s[36:37], v19, s51
	v_cndmask_b32_e32 v22, v40, v41, vcc
	s_and_b64 vcc, s[36:37], s[12:13]
	v_cndmask_b32_e32 v3, v3, v22, vcc
.LBB175_132:                            ;   in Loop: Header=BB175_4 Depth=1
	s_or_b64 exec, exec, s[34:35]
.LBB175_133:                            ;   in Loop: Header=BB175_4 Depth=1
	s_or_b64 exec, exec, s[30:31]
.LBB175_134:                            ;   in Loop: Header=BB175_4 Depth=1
	s_andn2_saveexec_b64 s[28:29], s[28:29]
	s_cbranch_execz .LBB175_136
; %bb.135:                              ;   in Loop: Header=BB175_4 Depth=1
	v_max_f32_e64 v3, |v19|, |v19|
	v_max_f32_e64 v24, |v18|, |v18|
	v_max_f32_e32 v25, v24, v3
	v_cvt_f64_f32_e32 v[22:23], v25
	v_frexp_exp_i32_f64_e32 v6, v[22:23]
	v_sub_u32_e32 v22, 0, v6
	v_ldexp_f32 v23, |v18|, v22
	v_ldexp_f32 v22, |v19|, v22
	v_mul_f32_e32 v22, v22, v22
	v_fmac_f32_e32 v22, v23, v23
	v_sqrt_f32_e32 v22, v22
	v_cmp_neq_f32_e32 vcc, s49, v25
	v_min_f32_e32 v3, v24, v3
	v_frexp_exp_i32_f32_e32 v24, v3
	v_ldexp_f32 v6, v22, v6
	v_cndmask_b32_e32 v6, v44, v6, vcc
	v_cmp_gt_f32_e32 vcc, s53, v6
	v_cndmask_b32_e32 v22, 1.0, v42, vcc
	v_mul_f32_e32 v6, v6, v22
	v_log_f32_e32 v6, v6
	v_cndmask_b32_e32 v22, 0, v43, vcc
	v_frexp_mant_f32_e32 v3, v3
	v_cmp_gt_i32_e64 s[12:13], 0, v18
	v_mul_f32_e32 v23, 0x3f317217, v6
	v_fma_f32 v26, v6, s54, -v23
	v_fmac_f32_e32 v26, 0x3377d1cf, v6
	v_add_f32_e32 v23, v23, v26
	v_cmp_lt_f32_e64 vcc, |v6|, s49
	v_cndmask_b32_e32 v6, v6, v23, vcc
	v_sub_f32_e32 v6, v6, v22
	v_frexp_mant_f32_e32 v22, v25
	v_rcp_f32_e32 v22, v22
	v_frexp_exp_i32_f32_e32 v23, v25
	v_cmp_gt_f32_e32 vcc, 0, v18
	v_cmp_class_f32_e64 s[30:31], v19, s51
	v_mul_f32_e32 v3, v3, v22
	v_sub_u32_e32 v22, v24, v23
	v_ldexp_f32 v3, v3, v22
	v_mul_f32_e32 v22, v3, v3
	v_mov_b32_e32 v23, 0xbc7a590c
	v_fmac_f32_e32 v23, 0x3b2d2a58, v22
	v_fma_f32 v23, v22, v23, v31
	v_fma_f32 v23, v22, v23, v32
	;; [unrolled: 1-line block ×6, first 2 shown]
	v_mul_f32_e32 v22, v22, v23
	v_fmac_f32_e32 v3, v3, v22
	v_sub_f32_e32 v22, 0x3fc90fdb, v3
	v_cndmask_b32_e64 v3, v3, v22, s[10:11]
	v_sub_f32_e32 v22, 0x40490fdb, v3
	v_cndmask_b32_e32 v3, v3, v22, vcc
	v_cndmask_b32_e64 v22, 0, v39, s[12:13]
	v_cmp_eq_f32_e64 s[12:13], 0, v19
	v_cndmask_b32_e64 v3, v3, v22, s[12:13]
	v_cmp_class_f32_e64 s[12:13], v18, s51
	v_cndmask_b32_e32 v22, v40, v41, vcc
	s_and_b64 vcc, s[30:31], s[12:13]
	v_cndmask_b32_e32 v3, v3, v22, vcc
.LBB175_136:                            ;   in Loop: Header=BB175_4 Depth=1
	s_or_b64 exec, exec, s[28:29]
                                        ; implicit-def: $vgpr22
.LBB175_137:                            ;   in Loop: Header=BB175_4 Depth=1
	s_andn2_saveexec_b64 s[26:27], s[26:27]
	s_cbranch_execz .LBB175_143
; %bb.138:                              ;   in Loop: Header=BB175_4 Depth=1
	v_cmp_ngt_f32_e32 vcc, s55, v22
                                        ; implicit-def: $vgpr6
                                        ; implicit-def: $vgpr3
	s_and_saveexec_b64 s[12:13], vcc
	s_xor_b64 s[28:29], exec, s[12:13]
	s_cbranch_execz .LBB175_140
; %bb.139:                              ;   in Loop: Header=BB175_4 Depth=1
	v_pk_mul_f32 v[22:23], v[22:23], v[22:23]
	v_add_f32_e32 v25, 1.0, v22
	v_add_f32_e32 v23, -1.0, v25
	v_mov_b32_e32 v24, v23
	v_pk_add_f32 v[26:27], v[22:23], v[24:25] neg_lo:[0,1] neg_hi:[0,1]
	v_add_f32_e32 v3, 1.0, v27
	v_add_f32_e32 v3, v26, v3
	v_frexp_mant_f32_e32 v6, v25
	v_cvt_f64_f32_e32 v[26:27], v25
	v_frexp_exp_i32_f64_e32 v23, v[26:27]
	v_cmp_gt_f32_e32 vcc, s47, v6
	v_subbrev_co_u32_e32 v6, vcc, 0, v23, vcc
	v_sub_u32_e32 v23, 0, v6
	v_ldexp_f32 v24, v25, v23
	v_ldexp_f32 v3, v3, v23
	v_add_f32_e32 v23, -1.0, v24
	v_add_f32_e32 v25, 1.0, v23
	v_sub_f32_e32 v25, v24, v25
	v_add_f32_e32 v26, v3, v25
	v_add_f32_e32 v25, 1.0, v24
	v_add_f32_e32 v27, -1.0, v25
	v_sub_f32_e32 v24, v24, v27
	v_add_f32_e32 v3, v3, v24
	v_add_f32_e32 v47, v25, v3
	v_rcp_f32_e32 v52, v47
	v_sub_f32_e32 v24, v25, v47
	v_add_f32_e32 v25, v23, v26
	v_sub_f32_e32 v23, v23, v25
	v_mul_f32_e32 v53, v25, v52
	v_add_f32_e32 v23, v26, v23
	v_mul_f32_e32 v26, v47, v53
	v_add_f32_e32 v3, v3, v24
	v_fma_f32 v48, v53, v47, -v26
	v_fmac_f32_e32 v48, v53, v3
	v_add_f32_e32 v24, v26, v48
	v_sub_f32_e32 v27, v25, v24
	v_pk_add_f32 v[50:51], v[24:25], v[26:27] neg_lo:[0,1] neg_hi:[0,1]
	v_mov_b32_e32 v49, v24
	v_pk_add_f32 v[24:25], v[50:51], v[48:49] neg_lo:[0,1] neg_hi:[0,1]
	v_add_f32_e32 v23, v23, v25
	v_add_f32_e32 v23, v24, v23
	;; [unrolled: 1-line block ×3, first 2 shown]
	v_mul_f32_e32 v54, v52, v25
	v_mul_f32_e32 v26, v47, v54
	v_fma_f32 v48, v54, v47, -v26
	v_fmac_f32_e32 v48, v54, v3
	v_add_f32_e32 v24, v26, v48
	v_sub_f32_e32 v3, v27, v25
	v_sub_f32_e32 v27, v25, v24
	v_pk_add_f32 v[50:51], v[24:25], v[26:27] neg_lo:[0,1] neg_hi:[0,1]
	v_mov_b32_e32 v49, v24
	v_add_f32_e32 v3, v23, v3
	v_pk_add_f32 v[24:25], v[50:51], v[48:49] neg_lo:[0,1] neg_hi:[0,1]
	v_add_f32_e32 v3, v3, v25
	v_add_f32_e32 v3, v24, v3
	;; [unrolled: 1-line block ×4, first 2 shown]
	v_sub_f32_e32 v24, v23, v53
	v_mul_f32_e32 v3, v52, v3
	v_sub_f32_e32 v24, v54, v24
	v_add_f32_e32 v25, v24, v3
	v_add_f32_e32 v26, v23, v25
	v_cvt_f32_i32_e32 v24, v6
	v_mul_f32_e32 v47, v26, v26
	v_mov_b32_e32 v3, 0x3ecc95a3
	v_fmac_f32_e32 v3, 0x3e9b6dac, v47
	v_sub_f32_e32 v6, v26, v23
	v_fma_f32 v3, v47, v3, v30
	v_sub_f32_e32 v6, v25, v6
	v_mul_f32_e32 v25, v26, v47
	v_pk_mul_f32 v[48:49], v[24:25], v[2:3]
	v_ldexp_f32 v27, v26, 1
	v_fma_f32 v26, v24, s48, -v48
	v_fmac_f32_e32 v26, 0xb102e308, v24
	v_pk_add_f32 v[24:25], v[48:49], v[26:27]
	v_sub_f32_e32 v3, v25, v27
	v_ldexp_f32 v6, v6, 1
	v_sub_f32_e32 v3, v49, v3
	v_add_f32_e32 v51, v6, v3
	v_mov_b32_e32 v50, v48
	v_pk_add_f32 v[48:49], v[24:25], v[48:49] neg_lo:[0,1] neg_hi:[0,1]
	v_pk_add_f32 v[52:53], v[24:25], v[50:51]
	v_mov_b32_e32 v49, v53
	v_mov_b32_e32 v27, v24
	v_pk_add_f32 v[54:55], v[26:27], v[48:49] neg_lo:[0,1] neg_hi:[0,1]
	v_pk_add_f32 v[26:27], v[26:27], v[48:49]
	v_mov_b32_e32 v6, v27
	v_pk_add_f32 v[48:49], v[6:7], v[24:25] neg_lo:[0,1] neg_hi:[0,1]
	v_mov_b32_e32 v3, v48
	v_pk_add_f32 v[56:57], v[52:53], v[2:3] neg_lo:[0,1] neg_hi:[0,1]
	v_mov_b32_e32 v26, v53
	v_mov_b32_e32 v52, v25
	;; [unrolled: 1-line block ×4, first 2 shown]
	v_pk_add_f32 v[26:27], v[26:27], v[52:53] neg_lo:[0,1] neg_hi:[0,1]
	v_mov_b32_e32 v48, v51
	v_mov_b32_e32 v49, v24
	v_pk_add_f32 v[24:25], v[48:49], v[26:27] neg_lo:[0,1] neg_hi:[0,1]
	v_mov_b32_e32 v56, v54
	v_pk_add_f32 v[26:27], v[56:57], v[24:25]
	v_mov_b32_e32 v48, v27
	v_pk_add_f32 v[48:49], v[26:27], v[48:49]
	v_pk_add_f32 v[50:51], v[6:7], v[48:49]
	v_mov_b32_e32 v27, v50
	v_pk_add_f32 v[52:53], v[26:27], v[54:55] neg_lo:[0,1] neg_hi:[0,1]
	v_mov_b32_e32 v25, v48
	v_sub_f32_e32 v3, v26, v52
	v_pk_add_f32 v[24:25], v[24:25], v[52:53] neg_lo:[0,1] neg_hi:[0,1]
	v_sub_f32_e32 v3, v54, v3
	v_add_f32_e32 v3, v24, v3
	v_add_f32_e32 v3, v3, v25
	v_cmp_eq_f32_e32 vcc, s49, v22
	v_cmp_lt_f32_e64 s[12:13], |v22|, s50
	v_add_f32_e32 v3, v50, v3
	s_or_b64 vcc, vcc, s[12:13]
	v_cndmask_b32_e32 v3, v3, v22, vcc
	v_mul_f32_e32 v6, 0.5, v3
	v_max_f32_e64 v3, |v19|, |v19|
	v_max_f32_e64 v22, |v18|, |v18|
	v_min_f32_e32 v23, v22, v3
	v_max_f32_e32 v3, v22, v3
	v_frexp_mant_f32_e32 v22, v3
	v_rcp_f32_e32 v22, v22
	v_frexp_exp_i32_f32_e32 v3, v3
	v_frexp_exp_i32_f32_e32 v24, v23
	v_frexp_mant_f32_e32 v23, v23
	v_mul_f32_e32 v22, v23, v22
	v_sub_u32_e32 v3, v24, v3
	v_ldexp_f32 v3, v22, v3
	v_mul_f32_e32 v22, v3, v3
	v_mov_b32_e32 v23, 0xbc7a590c
	v_fmac_f32_e32 v23, 0x3b2d2a58, v22
	v_fma_f32 v23, v22, v23, v31
	v_fma_f32 v23, v22, v23, v32
	;; [unrolled: 1-line block ×6, first 2 shown]
	v_mul_f32_e32 v22, v22, v23
	v_fmac_f32_e32 v3, v3, v22
	v_sub_f32_e32 v22, 0x3fc90fdb, v3
	v_cndmask_b32_e64 v3, v3, v22, s[10:11]
	v_sub_f32_e32 v22, 0x40490fdb, v3
	v_cmp_gt_f32_e32 vcc, 0, v18
	v_cmp_gt_i32_e64 s[12:13], 0, v18
	v_cndmask_b32_e32 v3, v3, v22, vcc
	v_cndmask_b32_e64 v22, 0, v39, s[12:13]
	v_cmp_eq_f32_e64 s[12:13], 0, v19
	v_cndmask_b32_e64 v3, v3, v22, s[12:13]
	v_cmp_class_f32_e64 s[12:13], v18, s51
	v_cmp_class_f32_e64 s[30:31], v19, s51
	v_cndmask_b32_e32 v22, v40, v41, vcc
	s_and_b64 vcc, s[30:31], s[12:13]
	v_cndmask_b32_e32 v3, v3, v22, vcc
                                        ; implicit-def: $vgpr22
.LBB175_140:                            ;   in Loop: Header=BB175_4 Depth=1
	s_andn2_saveexec_b64 s[28:29], s[28:29]
	s_cbranch_execz .LBB175_142
; %bb.141:                              ;   in Loop: Header=BB175_4 Depth=1
	v_mul_f32_e32 v3, 0.5, v22
	v_mul_f32_e32 v6, v22, v3
	v_max_f32_e64 v3, |v19|, |v19|
	v_max_f32_e64 v22, |v18|, |v18|
	v_min_f32_e32 v23, v22, v3
	v_max_f32_e32 v3, v22, v3
	v_frexp_mant_f32_e32 v22, v3
	v_rcp_f32_e32 v22, v22
	v_frexp_exp_i32_f32_e32 v3, v3
	v_frexp_exp_i32_f32_e32 v24, v23
	v_frexp_mant_f32_e32 v23, v23
	v_mul_f32_e32 v22, v23, v22
	v_sub_u32_e32 v3, v24, v3
	v_ldexp_f32 v3, v22, v3
	v_mul_f32_e32 v22, v3, v3
	v_mov_b32_e32 v23, 0xbc7a590c
	v_fmac_f32_e32 v23, 0x3b2d2a58, v22
	v_fma_f32 v23, v22, v23, v31
	v_fma_f32 v23, v22, v23, v32
	;; [unrolled: 1-line block ×6, first 2 shown]
	v_mul_f32_e32 v22, v22, v23
	v_fmac_f32_e32 v3, v3, v22
	v_sub_f32_e32 v22, 0x3fc90fdb, v3
	v_cndmask_b32_e64 v3, v3, v22, s[10:11]
	v_sub_f32_e32 v22, 0x40490fdb, v3
	v_cmp_gt_f32_e32 vcc, 0, v18
	v_cmp_gt_i32_e64 s[12:13], 0, v18
	v_cndmask_b32_e32 v3, v3, v22, vcc
	v_cndmask_b32_e64 v22, 0, v39, s[12:13]
	v_cmp_eq_f32_e64 s[12:13], 0, v19
	v_cndmask_b32_e64 v3, v3, v22, s[12:13]
	v_cmp_class_f32_e64 s[12:13], v18, s51
	v_cmp_class_f32_e64 s[30:31], v19, s51
	v_cndmask_b32_e32 v22, v40, v41, vcc
	s_and_b64 vcc, s[30:31], s[12:13]
	v_cndmask_b32_e32 v3, v3, v22, vcc
.LBB175_142:                            ;   in Loop: Header=BB175_4 Depth=1
	s_or_b64 exec, exec, s[28:29]
.LBB175_143:                            ;   in Loop: Header=BB175_4 Depth=1
	s_or_b64 exec, exec, s[26:27]
.LBB175_144:                            ;   in Loop: Header=BB175_4 Depth=1
	s_andn2_saveexec_b64 s[24:25], s[24:25]
	s_cbranch_execz .LBB175_146
; %bb.145:                              ;   in Loop: Header=BB175_4 Depth=1
	v_div_scale_f32 v3, s[12:13], s56, s56, v18
	v_rcp_f32_e32 v6, v3
	v_div_scale_f32 v22, vcc, v18, s56, v18
	v_fma_f32 v23, -v3, v6, 1.0
	v_fmac_f32_e32 v6, v23, v6
	v_mul_f32_e32 v23, v22, v6
	v_fma_f32 v24, -v3, v23, v22
	v_fmac_f32_e32 v23, v24, v6
	v_fma_f32 v3, -v3, v23, v22
	v_div_scale_f32 v22, s[12:13], s56, s56, v19
	v_rcp_f32_e32 v24, v22
	v_div_fmas_f32 v3, v3, v6, v23
	v_div_fixup_f32 v3, v3, s56, v18
	v_fma_f32 v6, -v22, v24, 1.0
	v_fmac_f32_e32 v24, v6, v24
	v_div_scale_f32 v6, vcc, v19, s56, v19
	v_mul_f32_e32 v23, v6, v24
	v_fma_f32 v25, -v22, v23, v6
	v_fmac_f32_e32 v23, v25, v24
	v_fma_f32 v6, -v22, v23, v6
	v_div_fmas_f32 v6, v6, v24, v23
	v_div_fixup_f32 v6, v6, s56, v19
	v_max_f32_e64 v24, |v3|, |v6|
	v_cvt_f64_f32_e32 v[22:23], v24
	v_frexp_exp_i32_f64_e32 v22, v[22:23]
	v_sub_u32_e32 v23, 0, v22
	v_ldexp_f32 v6, |v6|, v23
	v_ldexp_f32 v3, |v3|, v23
	v_mul_f32_e32 v6, v6, v6
	v_fmac_f32_e32 v6, v3, v3
	v_sqrt_f32_e32 v3, v6
	v_cmp_neq_f32_e32 vcc, s49, v24
	v_ldexp_f32 v3, v3, v22
	v_cndmask_b32_e32 v3, v44, v3, vcc
	v_cmp_gt_f32_e32 vcc, s53, v3
	v_cndmask_b32_e32 v6, 1.0, v42, vcc
	v_mul_f32_e32 v3, v3, v6
	v_log_f32_e32 v3, v3
	v_mul_f32_e32 v6, 0x3f317217, v3
	v_fma_f32 v22, v3, s54, -v6
	v_fmac_f32_e32 v22, 0x3377d1cf, v3
	v_add_f32_e32 v6, v6, v22
	v_cmp_lt_f32_e64 s[12:13], |v3|, s49
	v_cndmask_b32_e64 v3, v3, v6, s[12:13]
	v_cndmask_b32_e32 v6, 0, v43, vcc
	v_sub_f32_e32 v3, v3, v6
	v_add_f32_e32 v6, 1.0, v3
	v_max_f32_e64 v3, |v19|, |v19|
	v_max_f32_e64 v22, |v18|, |v18|
	v_min_f32_e32 v23, v22, v3
	v_max_f32_e32 v3, v22, v3
	v_frexp_mant_f32_e32 v22, v3
	v_rcp_f32_e32 v22, v22
	v_frexp_exp_i32_f32_e32 v3, v3
	v_frexp_exp_i32_f32_e32 v24, v23
	v_frexp_mant_f32_e32 v23, v23
	v_mul_f32_e32 v22, v23, v22
	v_sub_u32_e32 v3, v24, v3
	v_ldexp_f32 v3, v22, v3
	v_mul_f32_e32 v22, v3, v3
	v_mov_b32_e32 v23, 0xbc7a590c
	v_fmac_f32_e32 v23, 0x3b2d2a58, v22
	v_fma_f32 v23, v22, v23, v31
	v_fma_f32 v23, v22, v23, v32
	;; [unrolled: 1-line block ×6, first 2 shown]
	v_mul_f32_e32 v22, v22, v23
	v_fmac_f32_e32 v3, v3, v22
	v_sub_f32_e32 v22, 0x3fc90fdb, v3
	v_cndmask_b32_e64 v3, v3, v22, s[10:11]
	v_sub_f32_e32 v22, 0x40490fdb, v3
	v_cmp_gt_f32_e32 vcc, 0, v18
	v_cmp_gt_i32_e64 s[10:11], 0, v18
	v_cndmask_b32_e32 v3, v3, v22, vcc
	v_cndmask_b32_e64 v22, 0, v39, s[10:11]
	v_cmp_eq_f32_e64 s[10:11], 0, v19
	v_cndmask_b32_e64 v3, v3, v22, s[10:11]
	v_cmp_class_f32_e64 s[10:11], v18, s51
	v_cmp_class_f32_e64 s[12:13], v19, s51
	v_cndmask_b32_e32 v22, v40, v41, vcc
	s_and_b64 vcc, s[12:13], s[10:11]
	v_cndmask_b32_e32 v3, v3, v22, vcc
.LBB175_146:                            ;   in Loop: Header=BB175_4 Depth=1
	s_or_b64 exec, exec, s[24:25]
	s_andn2_saveexec_b64 s[10:11], s[22:23]
	s_cbranch_execz .LBB175_116
.LBB175_147:                            ;   in Loop: Header=BB175_4 Depth=1
	v_cmp_nlt_f32_e64 s[12:13], |v18|, s57
	v_cmp_nlt_f32_e64 s[22:23], |v19|, s57
	s_or_b64 s[12:13], s[22:23], s[12:13]
                                        ; implicit-def: $vgpr3
	s_and_saveexec_b64 s[22:23], s[12:13]
	s_xor_b64 s[12:13], exec, s[22:23]
; %bb.148:                              ;   in Loop: Header=BB175_4 Depth=1
	v_pk_mul_f32 v[22:23], v[18:19], v[18:19]
	v_add_f32_e32 v3, v23, v22
; %bb.149:                              ;   in Loop: Header=BB175_4 Depth=1
	s_andn2_saveexec_b64 s[12:13], s[12:13]
; %bb.150:                              ;   in Loop: Header=BB175_4 Depth=1
	v_pk_mul_f32 v[22:23], v[18:19], 4.0 op_sel_hi:[1,0]
	v_pk_mul_f32 v[22:23], v[22:23], v[22:23]
	v_add_f32_e32 v3, v23, v22
	v_mul_f32_e32 v3, 0x3d800000, v3
; %bb.151:                              ;   in Loop: Header=BB175_4 Depth=1
	s_or_b64 exec, exec, s[12:13]
	v_cmp_gt_f32_e32 vcc, s53, v3
	v_cndmask_b32_e32 v6, 1.0, v42, vcc
	v_mul_f32_e32 v3, v3, v6
	v_log_f32_e32 v3, v3
	v_cndmask_b32_e32 v6, 0, v43, vcc
	v_mul_f32_e32 v18, 0x3f317217, v3
	v_fma_f32 v22, v3, s54, -v18
	v_fmac_f32_e32 v22, 0x3377d1cf, v3
	v_add_f32_e32 v18, v18, v22
	v_cmp_lt_f32_e64 vcc, |v3|, s49
	v_cndmask_b32_e32 v3, v3, v18, vcc
	v_sub_f32_e32 v6, v3, v6
	v_mov_b32_e32 v3, 0x7fc00000
	s_or_b64 exec, exec, s[10:11]
	s_and_saveexec_b64 s[10:11], s[0:1]
	s_xor_b64 s[0:1], exec, s[10:11]
	s_cbranch_execz .LBB175_117
.LBB175_152:                            ;   in Loop: Header=BB175_4 Depth=1
	v_bfi_b32 v21, s43, v21, v11
	v_mov_b32_e32 v11, s38
	v_add_co_u32_e32 v4, vcc, s33, v4
	v_addc_co_u32_e32 v5, vcc, v11, v5, vcc
	global_store_dwordx2 v[4:5], v[20:21], off
	s_or_b64 exec, exec, s[0:1]
	s_and_saveexec_b64 s[0:1], s[2:3]
	s_cbranch_execz .LBB175_118
.LBB175_153:                            ;   in Loop: Header=BB175_4 Depth=1
	v_mov_b32_e32 v5, s38
	v_add_co_u32_e32 v4, vcc, s33, v8
	v_bfi_b32 v11, s43, v45, v15
	v_addc_co_u32_e32 v5, vcc, v5, v9, vcc
	global_store_dwordx2 v[4:5], v[10:11], off
	s_or_b64 exec, exec, s[0:1]
	s_and_saveexec_b64 s[0:1], s[6:7]
	s_cbranch_execz .LBB175_119
.LBB175_154:                            ;   in Loop: Header=BB175_4 Depth=1
	v_mov_b32_e32 v5, s38
	v_add_co_u32_e32 v4, vcc, s33, v12
	v_bfi_b32 v15, s43, v46, v7
	v_addc_co_u32_e32 v5, vcc, v5, v13, vcc
	global_store_dwordx2 v[4:5], v[14:15], off
	s_or_b64 exec, exec, s[0:1]
	s_and_saveexec_b64 s[0:1], s[8:9]
	s_cbranch_execz .LBB175_3
.LBB175_155:                            ;   in Loop: Header=BB175_4 Depth=1
	v_bfi_b32 v7, s43, v3, v19
	v_mov_b32_e32 v3, s38
	v_add_co_u32_e32 v4, vcc, s33, v16
	v_addc_co_u32_e32 v5, vcc, v3, v17, vcc
	global_store_dwordx2 v[4:5], v[6:7], off
	s_branch .LBB175_3
.LBB175_156:
	s_cbranch_execz .LBB175_158
	s_branch .LBB175_297
.LBB175_157:
.LBB175_158:
	v_mov_b32_e32 v3, 0
	v_lshlrev_b32_e32 v2, 2, v0
	s_mov_b32 s26, 0
	v_cmp_gt_i64_e32 vcc, s[14:15], v[2:3]
	s_and_saveexec_b64 s[0:1], vcc
	s_cbranch_execz .LBB175_297
; %bb.159:
	s_load_dword s0, s[4:5], 0xd3c
	s_mov_b32 s6, -1.0
	v_mov_b32_e32 v1, v3
	s_mov_b64 s[4:5], 0
	v_mov_b32_e32 v26, s38
	s_brev_b32 s27, -2
	s_waitcnt lgkmcnt(0)
	s_and_b32 s28, s0, 0xffff
	s_mov_b32 s29, 0x77f684df
	s_mov_b32 s7, 1.0
	s_mov_b32 s30, 0x358637bd
	s_mov_b32 s31, 0x49742400
	;; [unrolled: 1-line block ×3, first 2 shown]
	v_mov_b32_e32 v27, 0x3f2aaada
	s_mov_b32 s35, 0x3f317218
	s_mov_b32 s36, 0x7f800000
	;; [unrolled: 1-line block ×3, first 2 shown]
	v_mov_b32_e32 v28, 0x3d29fb3f
	v_mov_b32_e32 v29, 0xbd97d4d7
	;; [unrolled: 1-line block ×6, first 2 shown]
	s_movk_i32 s38, 0x204
	s_mov_b32 s39, 0x3f333333
	s_mov_b32 s40, 0x800000
	s_mov_b32 s41, 0x3f317217
	s_mov_b32 s42, 0x1fec1e4a
	s_mov_b32 s43, 0x402df854
	s_brev_b32 s44, 4
	s_mov_b64 s[8:9], 0xffff
	v_mov_b32_e32 v18, 0x3f317218
	v_mov_b32_e32 v34, 0x7fc00000
	;; [unrolled: 1-line block ×9, first 2 shown]
	s_branch .LBB175_162
.LBB175_160:                            ;   in Loop: Header=BB175_162 Depth=1
	s_or_b64 exec, exec, s[2:3]
	v_cmp_gt_f32_e32 vcc, s40, v2
	v_cndmask_b32_e32 v4, 1.0, v39, vcc
	v_mul_f32_e32 v2, v2, v4
	v_log_f32_e32 v2, v2
	v_cndmask_b32_e32 v4, 0, v40, vcc
	v_mul_f32_e32 v13, 0x3f317217, v2
	v_fma_f32 v15, v2, s41, -v13
	v_fmac_f32_e32 v15, 0x3377d1cf, v2
	v_add_f32_e32 v13, v13, v15
	v_cmp_lt_f32_e64 vcc, |v2|, s36
	v_cndmask_b32_e32 v2, v2, v13, vcc
	v_sub_f32_e32 v16, v2, v4
	v_mov_b32_e32 v2, 0x7fc00000
.LBB175_161:                            ;   in Loop: Header=BB175_162 Depth=1
	s_or_b64 exec, exec, s[0:1]
	v_bfi_b32 v17, s27, v2, v5
	v_mov_b32_e32 v2, s26
	v_add_co_u32_e32 v0, vcc, s28, v0
	v_addc_co_u32_e32 v1, vcc, v1, v2, vcc
	v_bfi_b32 v15, s27, v8, v3
	v_lshlrev_b64 v[2:3], 2, v[0:1]
	v_cmp_le_i64_e32 vcc, s[14:15], v[2:3]
	v_cmp_lt_u64_e64 s[0:1], s[8:9], v[2:3]
	s_or_b64 s[0:1], vcc, s[0:1]
	s_and_b64 s[0:1], exec, s[0:1]
	v_bfi_b32 v13, s27, v6, v9
	v_bfi_b32 v11, s27, v11, v7
	s_or_b64 s[4:5], s[0:1], s[4:5]
	global_store_dwordx4 v[20:21], v[10:13], off
	global_store_dwordx4 v[20:21], v[14:17], off offset:16
	s_andn2_b64 exec, exec, s[4:5]
	s_cbranch_execz .LBB175_297
.LBB175_162:                            ; =>This Loop Header: Depth=1
                                        ;     Child Loop BB175_173 Depth 2
                                        ;     Child Loop BB175_207 Depth 2
	;; [unrolled: 1-line block ×4, first 2 shown]
	v_lshlrev_b64 v[2:3], 5, v[0:1]
	v_add_co_u32_e32 v20, vcc, s33, v2
	v_addc_co_u32_e32 v21, vcc, v26, v3, vcc
	global_load_dwordx4 v[6:9], v[20:21], off
	global_load_dwordx4 v[2:5], v[20:21], off offset:16
                                        ; implicit-def: $vgpr10
                                        ; implicit-def: $vgpr11
	s_waitcnt vmcnt(1)
	v_cmp_o_f32_e32 vcc, v7, v6
	s_and_saveexec_b64 s[0:1], vcc
	s_xor_b64 s[10:11], exec, s[0:1]
	s_cbranch_execz .LBB175_190
; %bb.163:                              ;   in Loop: Header=BB175_162 Depth=1
	v_cmp_lt_f32_e64 s[0:1], |v6|, |v7|
	v_cndmask_b32_e64 v12, v7, v6, s[0:1]
	v_cmp_ngt_f32_e64 s[2:3], |v12|, s29
                                        ; implicit-def: $vgpr10
                                        ; implicit-def: $vgpr11
	s_and_saveexec_b64 s[12:13], s[2:3]
	s_xor_b64 s[12:13], exec, s[12:13]
	s_cbranch_execz .LBB175_187
; %bb.164:                              ;   in Loop: Header=BB175_162 Depth=1
	v_cndmask_b32_e64 v10, v6, v7, s[0:1]
	v_and_b32_e32 v13, 0x7fffffff, v10
	v_and_b32_e32 v12, 0x7fffffff, v12
	v_cmp_neq_f32_e32 vcc, 1.0, v13
                                        ; implicit-def: $vgpr10
                                        ; implicit-def: $vgpr11
	s_and_saveexec_b64 s[2:3], vcc
	s_xor_b64 s[16:17], exec, s[2:3]
	s_cbranch_execz .LBB175_180
; %bb.165:                              ;   in Loop: Header=BB175_162 Depth=1
	v_max_f32_e32 v10, v12, v12
	v_max_f32_e32 v11, v13, v13
	v_min_f32_e32 v14, v11, v10
	v_max_f32_e32 v10, v11, v10
	v_cmp_ngt_f32_e32 vcc, s30, v14
	v_cmp_nlt_f32_e64 s[2:3], s31, v10
	s_and_b64 s[2:3], s[2:3], vcc
                                        ; implicit-def: $vgpr10
                                        ; implicit-def: $vgpr11
	s_and_saveexec_b64 s[18:19], s[2:3]
	s_xor_b64 s[18:19], exec, s[18:19]
	s_cbranch_execz .LBB175_177
; %bb.166:                              ;   in Loop: Header=BB175_162 Depth=1
	v_cmp_le_f32_e32 vcc, 1.0, v13
                                        ; implicit-def: $vgpr10
                                        ; implicit-def: $vgpr11
	s_and_saveexec_b64 s[2:3], vcc
	s_xor_b64 s[20:21], exec, s[2:3]
	s_cbranch_execz .LBB175_168
; %bb.167:                              ;   in Loop: Header=BB175_162 Depth=1
	v_pk_add_f32 v[10:11], v[12:13], s[6:7] op_sel:[1,0]
	v_mov_b32_e32 v14, v11
	v_pk_mul_f32 v[10:11], v[10:11], v[14:15]
	v_pk_fma_f32 v[10:11], v[12:13], v[12:13], v[10:11]
	v_add_f32_e32 v13, 1.0, v10
	v_add_f32_e32 v11, -1.0, v13
	v_mov_b32_e32 v12, v11
	v_pk_add_f32 v[14:15], v[10:11], v[12:13] neg_lo:[0,1] neg_hi:[0,1]
	v_add_f32_e32 v11, 1.0, v15
	v_add_f32_e32 v11, v14, v11
	v_frexp_mant_f32_e32 v12, v13
	v_cvt_f64_f32_e32 v[14:15], v13
	v_frexp_exp_i32_f64_e32 v14, v[14:15]
	v_cmp_gt_f32_e32 vcc, s34, v12
	v_subbrev_co_u32_e32 v24, vcc, 0, v14, vcc
	v_sub_u32_e32 v12, 0, v24
	v_ldexp_f32 v13, v13, v12
	v_ldexp_f32 v11, v11, v12
	v_add_f32_e32 v12, -1.0, v13
	v_add_f32_e32 v15, 1.0, v13
	v_add_f32_e32 v14, 1.0, v12
	v_add_f32_e32 v16, -1.0, v15
	v_sub_f32_e32 v14, v13, v14
	v_sub_f32_e32 v13, v13, v16
	v_add_f32_e32 v14, v11, v14
	v_add_f32_e32 v11, v11, v13
	;; [unrolled: 1-line block ×3, first 2 shown]
	v_rcp_f32_e32 v25, v19
	v_sub_f32_e32 v13, v19, v15
	v_sub_f32_e32 v11, v11, v13
	v_add_f32_e32 v13, v12, v14
	v_sub_f32_e32 v12, v13, v12
	v_mul_f32_e32 v43, v13, v25
	v_sub_f32_e32 v42, v14, v12
	v_mul_f32_e32 v14, v19, v43
	v_fma_f32 v16, v43, v19, -v14
	v_fmac_f32_e32 v16, v43, v11
	v_add_f32_e32 v12, v14, v16
	v_sub_f32_e32 v15, v13, v12
	v_pk_add_f32 v[22:23], v[12:13], v[14:15] neg_lo:[0,1] neg_hi:[0,1]
	v_mov_b32_e32 v17, v12
	v_pk_add_f32 v[12:13], v[22:23], v[16:17] neg_lo:[0,1] neg_hi:[0,1]
	v_add_f32_e32 v13, v42, v13
	v_add_f32_e32 v12, v12, v13
	;; [unrolled: 1-line block ×3, first 2 shown]
	v_mul_f32_e32 v42, v25, v13
	v_mul_f32_e32 v14, v19, v42
	v_fma_f32 v16, v42, v19, -v14
	v_fmac_f32_e32 v16, v42, v11
	v_sub_f32_e32 v11, v15, v13
	v_add_f32_e32 v11, v12, v11
	v_add_f32_e32 v12, v14, v16
	v_sub_f32_e32 v15, v13, v12
	v_pk_add_f32 v[22:23], v[12:13], v[14:15] neg_lo:[0,1] neg_hi:[0,1]
	v_mov_b32_e32 v17, v12
	v_pk_add_f32 v[12:13], v[22:23], v[16:17] neg_lo:[0,1] neg_hi:[0,1]
	v_add_f32_e32 v11, v11, v13
	v_add_f32_e32 v11, v12, v11
	;; [unrolled: 1-line block ×4, first 2 shown]
	v_sub_f32_e32 v12, v13, v43
	v_mul_f32_e32 v11, v25, v11
	v_sub_f32_e32 v12, v42, v12
	v_add_f32_e32 v11, v12, v11
	v_add_f32_e32 v14, v13, v11
	v_mul_f32_e32 v16, v14, v14
	v_mov_b32_e32 v12, 0x3ecc95a3
	v_fmac_f32_e32 v12, 0x3e9b6dac, v16
	v_fma_f32 v19, v16, v12, v27
	v_cvt_f32_i32_e32 v12, v24
	v_sub_f32_e32 v13, v14, v13
	v_sub_f32_e32 v11, v11, v13
	v_mul_f32_e32 v13, v14, v16
	v_pk_mul_f32 v[16:17], v[12:13], v[18:19]
	v_ldexp_f32 v15, v14, 1
	v_fma_f32 v14, v12, s35, -v16
	v_fmac_f32_e32 v14, 0xb102e308, v12
	v_pk_add_f32 v[12:13], v[16:17], v[14:15]
	v_sub_f32_e32 v15, v13, v15
	v_ldexp_f32 v11, v11, 1
	v_sub_f32_e32 v15, v17, v15
	v_add_f32_e32 v23, v11, v15
	v_mov_b32_e32 v22, v16
	v_pk_add_f32 v[16:17], v[12:13], v[16:17] neg_lo:[0,1] neg_hi:[0,1]
	v_pk_add_f32 v[24:25], v[12:13], v[22:23]
	v_mov_b32_e32 v17, v25
	v_mov_b32_e32 v15, v12
	v_pk_add_f32 v[42:43], v[14:15], v[16:17] neg_lo:[0,1] neg_hi:[0,1]
	v_pk_add_f32 v[14:15], v[14:15], v[16:17]
	v_mov_b32_e32 v16, v15
	v_pk_add_f32 v[44:45], v[16:17], v[12:13] neg_lo:[0,1] neg_hi:[0,1]
	v_mov_b32_e32 v11, v44
	v_pk_add_f32 v[46:47], v[24:25], v[10:11] neg_lo:[0,1] neg_hi:[0,1]
	v_mov_b32_e32 v14, v25
	v_mov_b32_e32 v24, v13
	v_mov_b32_e32 v25, v44
	v_mov_b32_e32 v43, v15
	v_pk_add_f32 v[14:15], v[14:15], v[24:25] neg_lo:[0,1] neg_hi:[0,1]
	v_mov_b32_e32 v22, v23
	v_mov_b32_e32 v23, v12
	v_pk_add_f32 v[12:13], v[22:23], v[14:15] neg_lo:[0,1] neg_hi:[0,1]
	v_mov_b32_e32 v46, v42
	v_pk_add_f32 v[14:15], v[46:47], v[12:13]
	v_mov_b32_e32 v22, v15
	v_pk_add_f32 v[22:23], v[14:15], v[22:23]
	v_pk_add_f32 v[16:17], v[16:17], v[22:23]
	v_mov_b32_e32 v15, v16
	v_pk_add_f32 v[24:25], v[14:15], v[42:43] neg_lo:[0,1] neg_hi:[0,1]
	v_mov_b32_e32 v13, v22
	v_sub_f32_e32 v11, v14, v24
	v_pk_add_f32 v[12:13], v[12:13], v[24:25] neg_lo:[0,1] neg_hi:[0,1]
	v_sub_f32_e32 v11, v42, v11
	v_add_f32_e32 v11, v12, v11
	v_add_f32_e32 v11, v11, v13
	;; [unrolled: 1-line block ×3, first 2 shown]
	v_cmp_eq_f32_e32 vcc, s36, v10
	v_cndmask_b32_e32 v11, v11, v10, vcc
	v_cmp_ngt_f32_e32 vcc, -1.0, v10
	v_cndmask_b32_e32 v11, v34, v11, vcc
	v_cmp_neq_f32_e32 vcc, -1.0, v10
	v_cndmask_b32_e32 v11, v35, v11, vcc
	v_cmp_lt_f32_e64 vcc, |v10|, s37
	v_cndmask_b32_e32 v10, v11, v10, vcc
	v_max_f32_e64 v11, |v7|, |v7|
	v_max_f32_e64 v12, |v6|, |v6|
	v_min_f32_e32 v13, v12, v11
	v_max_f32_e32 v11, v12, v11
	v_frexp_mant_f32_e32 v12, v11
	v_rcp_f32_e32 v12, v12
	v_frexp_exp_i32_f32_e32 v11, v11
	v_frexp_exp_i32_f32_e32 v14, v13
	v_frexp_mant_f32_e32 v13, v13
	v_mul_f32_e32 v12, v13, v12
	v_sub_u32_e32 v11, v14, v11
	v_ldexp_f32 v11, v12, v11
	v_mul_f32_e32 v12, v11, v11
	v_mov_b32_e32 v13, 0xbc7a590c
	v_fmac_f32_e32 v13, 0x3b2d2a58, v12
	v_fma_f32 v13, v12, v13, v28
	v_fma_f32 v13, v12, v13, v29
	;; [unrolled: 1-line block ×6, first 2 shown]
	v_mul_f32_e32 v12, v12, v13
	v_fmac_f32_e32 v11, v11, v12
	v_sub_f32_e32 v12, 0x3fc90fdb, v11
	v_cndmask_b32_e64 v11, v11, v12, s[0:1]
	v_sub_f32_e32 v12, 0x40490fdb, v11
	v_cmp_gt_f32_e32 vcc, 0, v6
	v_cmp_gt_i32_e64 s[2:3], 0, v6
	v_cndmask_b32_e32 v11, v11, v12, vcc
	v_cndmask_b32_e64 v12, 0, v36, s[2:3]
	v_cmp_eq_f32_e64 s[2:3], 0, v7
	v_cndmask_b32_e64 v11, v11, v12, s[2:3]
	v_cmp_class_f32_e64 s[2:3], v6, s38
	v_cmp_class_f32_e64 s[22:23], v7, s38
	v_cndmask_b32_e32 v12, v37, v38, vcc
	s_and_b64 vcc, s[2:3], s[22:23]
	v_mul_f32_e32 v10, 0.5, v10
	v_cndmask_b32_e32 v11, v11, v12, vcc
                                        ; implicit-def: $vgpr12_vgpr13
.LBB175_168:                            ;   in Loop: Header=BB175_162 Depth=1
	s_andn2_saveexec_b64 s[20:21], s[20:21]
	s_cbranch_execz .LBB175_176
; %bb.169:                              ;   in Loop: Header=BB175_162 Depth=1
	v_pk_mul_f32 v[10:11], v[12:13], v[12:13]
	v_add_f32_e32 v14, v11, v10
	v_cmp_ge_f32_e32 vcc, s39, v14
                                        ; implicit-def: $vgpr10
                                        ; implicit-def: $vgpr11
	s_and_saveexec_b64 s[2:3], vcc
	s_xor_b64 s[22:23], exec, s[2:3]
	s_cbranch_execz .LBB175_171
; %bb.170:                              ;   in Loop: Header=BB175_162 Depth=1
	v_cmp_gt_f32_e32 vcc, s40, v14
	v_cndmask_b32_e32 v10, 1.0, v39, vcc
	v_mul_f32_e32 v10, v14, v10
	v_log_f32_e32 v10, v10
	v_cndmask_b32_e32 v11, 0, v40, vcc
	v_cmp_gt_i32_e64 s[2:3], 0, v6
	v_cmp_class_f32_e64 s[24:25], v7, s38
	v_mul_f32_e32 v12, 0x3f317217, v10
	v_fma_f32 v13, v10, s41, -v12
	v_fmac_f32_e32 v13, 0x3377d1cf, v10
	v_add_f32_e32 v12, v12, v13
	v_cmp_lt_f32_e64 vcc, |v10|, s36
	v_cndmask_b32_e32 v10, v10, v12, vcc
	v_sub_f32_e32 v10, v10, v11
	v_max_f32_e64 v11, |v7|, |v7|
	v_max_f32_e64 v12, |v6|, |v6|
	v_min_f32_e32 v13, v12, v11
	v_max_f32_e32 v11, v12, v11
	v_frexp_mant_f32_e32 v12, v11
	v_rcp_f32_e32 v12, v12
	v_frexp_exp_i32_f32_e32 v11, v11
	v_frexp_exp_i32_f32_e32 v14, v13
	v_frexp_mant_f32_e32 v13, v13
	v_mul_f32_e32 v12, v13, v12
	v_sub_u32_e32 v11, v14, v11
	v_ldexp_f32 v11, v12, v11
	v_mul_f32_e32 v12, v11, v11
	v_mov_b32_e32 v13, 0xbc7a590c
	v_fmac_f32_e32 v13, 0x3b2d2a58, v12
	v_fma_f32 v13, v12, v13, v28
	v_fma_f32 v13, v12, v13, v29
	;; [unrolled: 1-line block ×6, first 2 shown]
	v_mul_f32_e32 v12, v12, v13
	v_fmac_f32_e32 v11, v11, v12
	v_sub_f32_e32 v12, 0x3fc90fdb, v11
	v_cndmask_b32_e64 v11, v11, v12, s[0:1]
	v_sub_f32_e32 v12, 0x40490fdb, v11
	v_cmp_gt_f32_e32 vcc, 0, v6
	v_cndmask_b32_e32 v11, v11, v12, vcc
	v_cndmask_b32_e64 v12, 0, v36, s[2:3]
	v_cmp_eq_f32_e64 s[2:3], 0, v7
	v_cndmask_b32_e64 v11, v11, v12, s[2:3]
	v_cmp_class_f32_e64 s[2:3], v6, s38
	v_cndmask_b32_e32 v12, v37, v38, vcc
	s_and_b64 vcc, s[2:3], s[24:25]
	v_mul_f32_e32 v10, 0.5, v10
	v_cndmask_b32_e32 v11, v11, v12, vcc
                                        ; implicit-def: $vgpr12_vgpr13
.LBB175_171:                            ;   in Loop: Header=BB175_162 Depth=1
	s_andn2_saveexec_b64 s[22:23], s[22:23]
	s_cbranch_execz .LBB175_175
; %bb.172:                              ;   in Loop: Header=BB175_162 Depth=1
	v_and_b32_e32 v15, 0x7fff0000, v12
	v_and_b32_e32 v14, 0x7fff0000, v13
	v_pk_add_f32 v[10:11], v[12:13], v[14:15] op_sel:[1,0] op_sel_hi:[0,1] neg_lo:[0,1] neg_hi:[0,1]
	v_and_b32_e32 v25, 0xffff0000, v11
	v_and_b32_e32 v24, 0xffff0000, v10
	v_pk_add_f32 v[42:43], v[10:11], v[24:25] neg_lo:[0,1] neg_hi:[0,1]
	v_pk_mul_f32 v[10:11], v[14:15], v[14:15]
	v_add_f32_e32 v14, v14, v14
	v_mul_f32_e32 v17, v14, v24
	v_mul_f32_e32 v22, v14, v42
	v_add_f32_e32 v14, v24, v24
	v_add_f32_e32 v15, v15, v15
	v_mul_f32_e32 v23, v14, v42
	v_add_f32_e32 v14, v25, v25
	v_mul_f32_e32 v16, v15, v25
	v_pk_mul_f32 v[12:13], v[24:25], v[24:25]
	v_mul_f32_e32 v19, v15, v43
	v_mul_f32_e32 v24, v14, v43
	v_pk_mul_f32 v[14:15], v[42:43], v[42:43]
	s_mov_b64 s[24:25], 0
.LBB175_173:                            ;   Parent Loop BB175_162 Depth=1
                                        ; =>  This Inner Loop Header: Depth=2
	v_cmp_nlt_f32_e32 vcc, v10, v11
	v_cndmask_b32_e32 v25, v10, v11, vcc
	v_cmp_nlt_f32_e64 s[2:3], v25, v17
	v_cndmask_b32_e64 v42, v25, v17, s[2:3]
	v_cndmask_b32_e32 v10, v11, v10, vcc
	s_and_b64 s[46:47], vcc, s[2:3]
	v_cmp_nlt_f32_e32 vcc, v42, v16
	v_cndmask_b32_e64 v11, v17, v25, s[2:3]
	v_cndmask_b32_e32 v25, v42, v16, vcc
	v_cmp_nlt_f32_e64 s[2:3], v25, v12
	v_cndmask_b32_e32 v17, v16, v42, vcc
	v_cndmask_b32_e64 v42, v25, v12, s[2:3]
	s_and_b64 s[48:49], vcc, s[2:3]
	v_cmp_nlt_f32_e32 vcc, v42, v13
	v_cndmask_b32_e64 v16, v12, v25, s[2:3]
	v_cndmask_b32_e32 v25, v42, v13, vcc
	v_cmp_nlt_f32_e64 s[2:3], v25, v22
	v_cndmask_b32_e32 v12, v13, v42, vcc
	v_cndmask_b32_e64 v42, v25, v22, s[2:3]
	v_cndmask_b32_e64 v13, v22, v25, s[2:3]
	s_and_b64 s[2:3], vcc, s[2:3]
	v_cmp_nlt_f32_e32 vcc, v42, v19
	v_cndmask_b32_e32 v25, v42, v19, vcc
	v_cndmask_b32_e32 v22, v19, v42, vcc
	s_and_b64 s[2:3], s[2:3], vcc
	v_cmp_nlt_f32_e32 vcc, v25, v23
	v_cndmask_b32_e32 v42, v25, v23, vcc
	v_cndmask_b32_e32 v19, v23, v25, vcc
	s_and_b64 s[2:3], s[2:3], vcc
	;; [unrolled: 4-line block ×4, first 2 shown]
	v_cmp_nlt_f32_e32 vcc, v42, v15
	s_and_b64 s[2:3], s[2:3], vcc
	s_and_b64 s[2:3], s[2:3], s[48:49]
	s_and_b64 s[2:3], s[2:3], s[46:47]
	s_and_b64 s[2:3], exec, s[2:3]
	v_cndmask_b32_e32 v14, v15, v42, vcc
	s_or_b64 s[24:25], s[2:3], s[24:25]
	v_cndmask_b32_e32 v15, v42, v15, vcc
	s_andn2_b64 exec, exec, s[24:25]
	s_cbranch_execnz .LBB175_173
; %bb.174:                              ;   in Loop: Header=BB175_162 Depth=1
	s_or_b64 exec, exec, s[24:25]
	v_add_f32_e32 v10, -1.0, v10
	v_add_f32_e32 v10, v10, v11
	v_add_f32_e32 v10, v10, v17
	;; [unrolled: 1-line block ×11, first 2 shown]
	v_add_f32_e32 v13, 1.0, v10
	v_add_f32_e32 v11, -1.0, v13
	v_mov_b32_e32 v12, v11
	v_pk_add_f32 v[14:15], v[10:11], v[12:13] neg_lo:[0,1] neg_hi:[0,1]
	v_add_f32_e32 v11, 1.0, v15
	v_add_f32_e32 v11, v14, v11
	v_frexp_mant_f32_e32 v12, v13
	v_cvt_f64_f32_e32 v[14:15], v13
	v_frexp_exp_i32_f64_e32 v14, v[14:15]
	v_cmp_gt_f32_e32 vcc, s34, v12
	v_subbrev_co_u32_e32 v24, vcc, 0, v14, vcc
	v_sub_u32_e32 v12, 0, v24
	v_ldexp_f32 v13, v13, v12
	v_ldexp_f32 v11, v11, v12
	v_add_f32_e32 v12, -1.0, v13
	v_add_f32_e32 v15, 1.0, v13
	v_add_f32_e32 v14, 1.0, v12
	v_add_f32_e32 v16, -1.0, v15
	v_sub_f32_e32 v14, v13, v14
	v_sub_f32_e32 v13, v13, v16
	v_add_f32_e32 v14, v11, v14
	v_add_f32_e32 v11, v11, v13
	;; [unrolled: 1-line block ×3, first 2 shown]
	v_rcp_f32_e32 v25, v19
	v_sub_f32_e32 v13, v19, v15
	v_sub_f32_e32 v11, v11, v13
	v_add_f32_e32 v13, v12, v14
	v_sub_f32_e32 v12, v13, v12
	v_mul_f32_e32 v43, v13, v25
	v_sub_f32_e32 v42, v14, v12
	v_mul_f32_e32 v14, v19, v43
	v_fma_f32 v16, v43, v19, -v14
	v_fmac_f32_e32 v16, v43, v11
	v_add_f32_e32 v12, v14, v16
	v_sub_f32_e32 v15, v13, v12
	v_pk_add_f32 v[22:23], v[12:13], v[14:15] neg_lo:[0,1] neg_hi:[0,1]
	v_mov_b32_e32 v17, v12
	v_pk_add_f32 v[12:13], v[22:23], v[16:17] neg_lo:[0,1] neg_hi:[0,1]
	v_add_f32_e32 v13, v42, v13
	v_add_f32_e32 v12, v12, v13
	;; [unrolled: 1-line block ×3, first 2 shown]
	v_mul_f32_e32 v42, v25, v13
	v_mul_f32_e32 v14, v19, v42
	v_fma_f32 v16, v42, v19, -v14
	v_fmac_f32_e32 v16, v42, v11
	v_sub_f32_e32 v11, v15, v13
	v_add_f32_e32 v11, v12, v11
	v_add_f32_e32 v12, v14, v16
	v_sub_f32_e32 v15, v13, v12
	v_pk_add_f32 v[22:23], v[12:13], v[14:15] neg_lo:[0,1] neg_hi:[0,1]
	v_mov_b32_e32 v17, v12
	v_pk_add_f32 v[12:13], v[22:23], v[16:17] neg_lo:[0,1] neg_hi:[0,1]
	v_add_f32_e32 v11, v11, v13
	v_add_f32_e32 v11, v12, v11
	;; [unrolled: 1-line block ×4, first 2 shown]
	v_sub_f32_e32 v12, v13, v43
	v_mul_f32_e32 v11, v25, v11
	v_sub_f32_e32 v12, v42, v12
	v_add_f32_e32 v11, v12, v11
	v_add_f32_e32 v14, v13, v11
	v_mul_f32_e32 v16, v14, v14
	v_mov_b32_e32 v12, 0x3ecc95a3
	v_fmac_f32_e32 v12, 0x3e9b6dac, v16
	v_fma_f32 v19, v16, v12, v27
	v_cvt_f32_i32_e32 v12, v24
	v_sub_f32_e32 v13, v14, v13
	v_sub_f32_e32 v11, v11, v13
	v_mul_f32_e32 v13, v14, v16
	v_pk_mul_f32 v[16:17], v[12:13], v[18:19]
	v_ldexp_f32 v15, v14, 1
	v_fma_f32 v14, v12, s35, -v16
	v_fmac_f32_e32 v14, 0xb102e308, v12
	v_pk_add_f32 v[12:13], v[16:17], v[14:15]
	v_sub_f32_e32 v15, v13, v15
	v_ldexp_f32 v11, v11, 1
	v_sub_f32_e32 v15, v17, v15
	v_add_f32_e32 v23, v11, v15
	v_mov_b32_e32 v22, v16
	v_pk_add_f32 v[16:17], v[12:13], v[16:17] neg_lo:[0,1] neg_hi:[0,1]
	v_pk_add_f32 v[24:25], v[12:13], v[22:23]
	v_mov_b32_e32 v17, v25
	v_mov_b32_e32 v15, v12
	v_pk_add_f32 v[42:43], v[14:15], v[16:17] neg_lo:[0,1] neg_hi:[0,1]
	v_pk_add_f32 v[14:15], v[14:15], v[16:17]
	v_mov_b32_e32 v16, v15
	v_pk_add_f32 v[44:45], v[16:17], v[12:13] neg_lo:[0,1] neg_hi:[0,1]
	v_mov_b32_e32 v11, v44
	v_pk_add_f32 v[46:47], v[24:25], v[10:11] neg_lo:[0,1] neg_hi:[0,1]
	v_mov_b32_e32 v14, v25
	v_mov_b32_e32 v24, v13
	;; [unrolled: 1-line block ×4, first 2 shown]
	v_pk_add_f32 v[14:15], v[14:15], v[24:25] neg_lo:[0,1] neg_hi:[0,1]
	v_mov_b32_e32 v22, v23
	v_mov_b32_e32 v23, v12
	v_pk_add_f32 v[12:13], v[22:23], v[14:15] neg_lo:[0,1] neg_hi:[0,1]
	v_mov_b32_e32 v46, v42
	v_pk_add_f32 v[14:15], v[46:47], v[12:13]
	v_mov_b32_e32 v22, v15
	v_pk_add_f32 v[22:23], v[14:15], v[22:23]
	v_pk_add_f32 v[16:17], v[16:17], v[22:23]
	v_mov_b32_e32 v15, v16
	v_pk_add_f32 v[24:25], v[14:15], v[42:43] neg_lo:[0,1] neg_hi:[0,1]
	v_mov_b32_e32 v13, v22
	v_sub_f32_e32 v11, v14, v24
	v_pk_add_f32 v[12:13], v[12:13], v[24:25] neg_lo:[0,1] neg_hi:[0,1]
	v_sub_f32_e32 v11, v42, v11
	v_add_f32_e32 v11, v12, v11
	v_add_f32_e32 v11, v11, v13
	;; [unrolled: 1-line block ×3, first 2 shown]
	v_cmp_eq_f32_e32 vcc, s36, v10
	v_cndmask_b32_e32 v11, v11, v10, vcc
	v_cmp_ngt_f32_e32 vcc, -1.0, v10
	v_cndmask_b32_e32 v11, v34, v11, vcc
	v_cmp_neq_f32_e32 vcc, -1.0, v10
	v_cndmask_b32_e32 v11, v35, v11, vcc
	v_cmp_lt_f32_e64 vcc, |v10|, s37
	v_cndmask_b32_e32 v10, v11, v10, vcc
	v_max_f32_e64 v11, |v7|, |v7|
	v_max_f32_e64 v12, |v6|, |v6|
	v_min_f32_e32 v13, v12, v11
	v_max_f32_e32 v11, v12, v11
	v_frexp_mant_f32_e32 v12, v11
	v_rcp_f32_e32 v12, v12
	v_frexp_exp_i32_f32_e32 v11, v11
	v_frexp_exp_i32_f32_e32 v14, v13
	v_frexp_mant_f32_e32 v13, v13
	v_mul_f32_e32 v12, v13, v12
	v_sub_u32_e32 v11, v14, v11
	v_ldexp_f32 v11, v12, v11
	v_mul_f32_e32 v12, v11, v11
	v_mov_b32_e32 v13, 0xbc7a590c
	v_fmac_f32_e32 v13, 0x3b2d2a58, v12
	v_fma_f32 v13, v12, v13, v28
	v_fma_f32 v13, v12, v13, v29
	;; [unrolled: 1-line block ×6, first 2 shown]
	v_mul_f32_e32 v12, v12, v13
	v_fmac_f32_e32 v11, v11, v12
	v_sub_f32_e32 v12, 0x3fc90fdb, v11
	v_cndmask_b32_e64 v11, v11, v12, s[0:1]
	v_sub_f32_e32 v12, 0x40490fdb, v11
	v_cmp_gt_f32_e32 vcc, 0, v6
	v_cmp_gt_i32_e64 s[2:3], 0, v6
	v_cndmask_b32_e32 v11, v11, v12, vcc
	v_cndmask_b32_e64 v12, 0, v36, s[2:3]
	v_cmp_eq_f32_e64 s[2:3], 0, v7
	v_cndmask_b32_e64 v11, v11, v12, s[2:3]
	v_cmp_class_f32_e64 s[2:3], v6, s38
	v_cmp_class_f32_e64 s[24:25], v7, s38
	v_cndmask_b32_e32 v12, v37, v38, vcc
	s_and_b64 vcc, s[2:3], s[24:25]
	v_mul_f32_e32 v10, 0.5, v10
	v_cndmask_b32_e32 v11, v11, v12, vcc
.LBB175_175:                            ;   in Loop: Header=BB175_162 Depth=1
	s_or_b64 exec, exec, s[22:23]
.LBB175_176:                            ;   in Loop: Header=BB175_162 Depth=1
	s_or_b64 exec, exec, s[20:21]
.LBB175_177:                            ;   in Loop: Header=BB175_162 Depth=1
	s_andn2_saveexec_b64 s[18:19], s[18:19]
	s_cbranch_execz .LBB175_179
; %bb.178:                              ;   in Loop: Header=BB175_162 Depth=1
	v_max_f32_e64 v12, |v7|, |v7|
	v_max_f32_e64 v13, |v6|, |v6|
	v_max_f32_e32 v14, v13, v12
	v_cvt_f64_f32_e32 v[10:11], v14
	v_frexp_exp_i32_f64_e32 v10, v[10:11]
	v_sub_u32_e32 v11, 0, v10
	v_ldexp_f32 v15, |v6|, v11
	v_ldexp_f32 v11, |v7|, v11
	v_mul_f32_e32 v11, v11, v11
	v_fmac_f32_e32 v11, v15, v15
	v_sqrt_f32_e32 v11, v11
	v_cmp_neq_f32_e32 vcc, s36, v14
	v_cmp_gt_i32_e64 s[2:3], 0, v6
	v_cmp_class_f32_e64 s[20:21], v7, s38
	v_ldexp_f32 v10, v11, v10
	v_cndmask_b32_e32 v10, v41, v10, vcc
	v_cmp_gt_f32_e32 vcc, s40, v10
	v_cndmask_b32_e32 v11, 1.0, v39, vcc
	v_mul_f32_e32 v10, v10, v11
	v_log_f32_e32 v10, v10
	v_cndmask_b32_e32 v11, 0, v40, vcc
	v_mul_f32_e32 v15, 0x3f317217, v10
	v_fma_f32 v16, v10, s41, -v15
	v_fmac_f32_e32 v16, 0x3377d1cf, v10
	v_add_f32_e32 v15, v15, v16
	v_cmp_lt_f32_e64 vcc, |v10|, s36
	v_cndmask_b32_e32 v10, v10, v15, vcc
	v_sub_f32_e32 v10, v10, v11
	v_min_f32_e32 v11, v13, v12
	v_frexp_mant_f32_e32 v12, v14
	v_rcp_f32_e32 v12, v12
	v_frexp_exp_i32_f32_e32 v13, v14
	v_frexp_exp_i32_f32_e32 v14, v11
	v_frexp_mant_f32_e32 v11, v11
	v_mul_f32_e32 v11, v11, v12
	v_sub_u32_e32 v12, v14, v13
	v_ldexp_f32 v11, v11, v12
	v_mul_f32_e32 v12, v11, v11
	v_mov_b32_e32 v13, 0xbc7a590c
	v_fmac_f32_e32 v13, 0x3b2d2a58, v12
	v_fma_f32 v13, v12, v13, v28
	v_fma_f32 v13, v12, v13, v29
	;; [unrolled: 1-line block ×6, first 2 shown]
	v_mul_f32_e32 v12, v12, v13
	v_fmac_f32_e32 v11, v11, v12
	v_sub_f32_e32 v12, 0x3fc90fdb, v11
	v_cndmask_b32_e64 v11, v11, v12, s[0:1]
	v_sub_f32_e32 v12, 0x40490fdb, v11
	v_cmp_gt_f32_e32 vcc, 0, v6
	v_cndmask_b32_e32 v11, v11, v12, vcc
	v_cndmask_b32_e64 v12, 0, v36, s[2:3]
	v_cmp_eq_f32_e64 s[2:3], 0, v7
	v_cndmask_b32_e64 v11, v11, v12, s[2:3]
	v_cmp_class_f32_e64 s[2:3], v6, s38
	v_cndmask_b32_e32 v12, v37, v38, vcc
	s_and_b64 vcc, s[2:3], s[20:21]
	v_cndmask_b32_e32 v11, v11, v12, vcc
.LBB175_179:                            ;   in Loop: Header=BB175_162 Depth=1
	s_or_b64 exec, exec, s[18:19]
                                        ; implicit-def: $vgpr12
.LBB175_180:                            ;   in Loop: Header=BB175_162 Depth=1
	s_andn2_saveexec_b64 s[16:17], s[16:17]
	s_cbranch_execz .LBB175_186
; %bb.181:                              ;   in Loop: Header=BB175_162 Depth=1
	v_cmp_ngt_f32_e32 vcc, s42, v12
                                        ; implicit-def: $vgpr10
                                        ; implicit-def: $vgpr11
	s_and_saveexec_b64 s[2:3], vcc
	s_xor_b64 s[18:19], exec, s[2:3]
	s_cbranch_execz .LBB175_183
; %bb.182:                              ;   in Loop: Header=BB175_162 Depth=1
	v_pk_mul_f32 v[10:11], v[12:13], v[12:13]
	v_add_f32_e32 v13, 1.0, v10
	v_add_f32_e32 v11, -1.0, v13
	v_mov_b32_e32 v12, v11
	v_pk_add_f32 v[14:15], v[10:11], v[12:13] neg_lo:[0,1] neg_hi:[0,1]
	v_add_f32_e32 v11, 1.0, v15
	v_add_f32_e32 v11, v14, v11
	v_frexp_mant_f32_e32 v12, v13
	v_cvt_f64_f32_e32 v[14:15], v13
	v_frexp_exp_i32_f64_e32 v14, v[14:15]
	v_cmp_gt_f32_e32 vcc, s34, v12
	v_subbrev_co_u32_e32 v24, vcc, 0, v14, vcc
	v_sub_u32_e32 v12, 0, v24
	v_ldexp_f32 v13, v13, v12
	v_ldexp_f32 v11, v11, v12
	v_add_f32_e32 v12, -1.0, v13
	v_add_f32_e32 v15, 1.0, v13
	v_add_f32_e32 v14, 1.0, v12
	v_add_f32_e32 v16, -1.0, v15
	v_sub_f32_e32 v14, v13, v14
	v_sub_f32_e32 v13, v13, v16
	v_add_f32_e32 v14, v11, v14
	v_add_f32_e32 v11, v11, v13
	;; [unrolled: 1-line block ×3, first 2 shown]
	v_rcp_f32_e32 v25, v19
	v_sub_f32_e32 v13, v15, v19
	v_add_f32_e32 v11, v11, v13
	v_add_f32_e32 v13, v12, v14
	v_sub_f32_e32 v12, v12, v13
	v_mul_f32_e32 v43, v13, v25
	v_add_f32_e32 v42, v14, v12
	v_mul_f32_e32 v14, v19, v43
	v_fma_f32 v16, v43, v19, -v14
	v_fmac_f32_e32 v16, v43, v11
	v_add_f32_e32 v12, v14, v16
	v_sub_f32_e32 v15, v13, v12
	v_pk_add_f32 v[22:23], v[12:13], v[14:15] neg_lo:[0,1] neg_hi:[0,1]
	v_mov_b32_e32 v17, v12
	v_pk_add_f32 v[12:13], v[22:23], v[16:17] neg_lo:[0,1] neg_hi:[0,1]
	v_add_f32_e32 v13, v42, v13
	v_add_f32_e32 v12, v12, v13
	;; [unrolled: 1-line block ×3, first 2 shown]
	v_mul_f32_e32 v42, v25, v13
	v_mul_f32_e32 v14, v19, v42
	v_fma_f32 v16, v42, v19, -v14
	v_fmac_f32_e32 v16, v42, v11
	v_sub_f32_e32 v11, v15, v13
	v_add_f32_e32 v11, v12, v11
	v_add_f32_e32 v12, v14, v16
	v_sub_f32_e32 v15, v13, v12
	v_pk_add_f32 v[22:23], v[12:13], v[14:15] neg_lo:[0,1] neg_hi:[0,1]
	v_mov_b32_e32 v17, v12
	v_pk_add_f32 v[12:13], v[22:23], v[16:17] neg_lo:[0,1] neg_hi:[0,1]
	v_add_f32_e32 v11, v11, v13
	v_add_f32_e32 v11, v12, v11
	v_add_f32_e32 v13, v43, v42
	v_add_f32_e32 v11, v15, v11
	v_sub_f32_e32 v12, v13, v43
	v_mul_f32_e32 v11, v25, v11
	v_sub_f32_e32 v12, v42, v12
	v_add_f32_e32 v11, v12, v11
	v_add_f32_e32 v14, v13, v11
	v_mul_f32_e32 v16, v14, v14
	v_mov_b32_e32 v12, 0x3ecc95a3
	v_fmac_f32_e32 v12, 0x3e9b6dac, v16
	v_fma_f32 v19, v16, v12, v27
	v_cvt_f32_i32_e32 v12, v24
	v_sub_f32_e32 v13, v14, v13
	v_sub_f32_e32 v11, v11, v13
	v_mul_f32_e32 v13, v14, v16
	v_pk_mul_f32 v[16:17], v[12:13], v[18:19]
	v_ldexp_f32 v15, v14, 1
	v_fma_f32 v14, v12, s35, -v16
	v_fmac_f32_e32 v14, 0xb102e308, v12
	v_pk_add_f32 v[12:13], v[16:17], v[14:15]
	v_sub_f32_e32 v15, v13, v15
	v_ldexp_f32 v11, v11, 1
	v_sub_f32_e32 v15, v17, v15
	v_add_f32_e32 v23, v11, v15
	v_mov_b32_e32 v22, v16
	v_pk_add_f32 v[16:17], v[12:13], v[16:17] neg_lo:[0,1] neg_hi:[0,1]
	v_pk_add_f32 v[24:25], v[12:13], v[22:23]
	v_mov_b32_e32 v17, v25
	v_mov_b32_e32 v15, v12
	v_pk_add_f32 v[42:43], v[14:15], v[16:17] neg_lo:[0,1] neg_hi:[0,1]
	v_pk_add_f32 v[14:15], v[14:15], v[16:17]
	v_mov_b32_e32 v16, v15
	v_pk_add_f32 v[44:45], v[16:17], v[12:13] neg_lo:[0,1] neg_hi:[0,1]
	v_mov_b32_e32 v11, v44
	v_pk_add_f32 v[46:47], v[24:25], v[10:11] neg_lo:[0,1] neg_hi:[0,1]
	v_mov_b32_e32 v14, v25
	v_mov_b32_e32 v24, v13
	;; [unrolled: 1-line block ×4, first 2 shown]
	v_pk_add_f32 v[14:15], v[14:15], v[24:25] neg_lo:[0,1] neg_hi:[0,1]
	v_mov_b32_e32 v22, v23
	v_mov_b32_e32 v23, v12
	v_pk_add_f32 v[12:13], v[22:23], v[14:15] neg_lo:[0,1] neg_hi:[0,1]
	v_mov_b32_e32 v46, v42
	v_pk_add_f32 v[14:15], v[46:47], v[12:13]
	v_mov_b32_e32 v22, v15
	v_pk_add_f32 v[22:23], v[14:15], v[22:23]
	v_pk_add_f32 v[16:17], v[16:17], v[22:23]
	v_mov_b32_e32 v15, v16
	v_pk_add_f32 v[24:25], v[14:15], v[42:43] neg_lo:[0,1] neg_hi:[0,1]
	v_mov_b32_e32 v13, v22
	v_sub_f32_e32 v11, v14, v24
	v_pk_add_f32 v[12:13], v[12:13], v[24:25] neg_lo:[0,1] neg_hi:[0,1]
	v_sub_f32_e32 v11, v42, v11
	v_add_f32_e32 v11, v12, v11
	v_add_f32_e32 v11, v11, v13
	v_cmp_eq_f32_e32 vcc, s36, v10
	v_cmp_lt_f32_e64 s[2:3], |v10|, s37
	v_add_f32_e32 v11, v16, v11
	s_or_b64 vcc, vcc, s[2:3]
	v_cndmask_b32_e32 v10, v11, v10, vcc
	v_max_f32_e64 v11, |v7|, |v7|
	v_max_f32_e64 v12, |v6|, |v6|
	v_min_f32_e32 v13, v12, v11
	v_max_f32_e32 v11, v12, v11
	v_frexp_mant_f32_e32 v12, v11
	v_rcp_f32_e32 v12, v12
	v_frexp_exp_i32_f32_e32 v11, v11
	v_frexp_exp_i32_f32_e32 v14, v13
	v_frexp_mant_f32_e32 v13, v13
	v_mul_f32_e32 v12, v13, v12
	v_sub_u32_e32 v11, v14, v11
	v_ldexp_f32 v11, v12, v11
	v_mul_f32_e32 v12, v11, v11
	v_mov_b32_e32 v13, 0xbc7a590c
	v_fmac_f32_e32 v13, 0x3b2d2a58, v12
	v_fma_f32 v13, v12, v13, v28
	v_fma_f32 v13, v12, v13, v29
	;; [unrolled: 1-line block ×6, first 2 shown]
	v_mul_f32_e32 v12, v12, v13
	v_fmac_f32_e32 v11, v11, v12
	v_sub_f32_e32 v12, 0x3fc90fdb, v11
	v_cndmask_b32_e64 v11, v11, v12, s[0:1]
	v_sub_f32_e32 v12, 0x40490fdb, v11
	v_cmp_gt_f32_e32 vcc, 0, v6
	v_cmp_gt_i32_e64 s[2:3], 0, v6
	v_cndmask_b32_e32 v11, v11, v12, vcc
	v_cndmask_b32_e64 v12, 0, v36, s[2:3]
	v_cmp_eq_f32_e64 s[2:3], 0, v7
	v_cndmask_b32_e64 v11, v11, v12, s[2:3]
	v_cmp_class_f32_e64 s[2:3], v6, s38
	v_cmp_class_f32_e64 s[20:21], v7, s38
	v_cndmask_b32_e32 v12, v37, v38, vcc
	s_and_b64 vcc, s[2:3], s[20:21]
	v_mul_f32_e32 v10, 0.5, v10
	v_cndmask_b32_e32 v11, v11, v12, vcc
                                        ; implicit-def: $vgpr12
.LBB175_183:                            ;   in Loop: Header=BB175_162 Depth=1
	s_andn2_saveexec_b64 s[18:19], s[18:19]
	s_cbranch_execz .LBB175_185
; %bb.184:                              ;   in Loop: Header=BB175_162 Depth=1
	v_mul_f32_e32 v10, 0.5, v12
	v_mul_f32_e32 v10, v12, v10
	v_max_f32_e64 v11, |v7|, |v7|
	v_max_f32_e64 v12, |v6|, |v6|
	v_min_f32_e32 v13, v12, v11
	v_max_f32_e32 v11, v12, v11
	v_frexp_mant_f32_e32 v12, v11
	v_rcp_f32_e32 v12, v12
	v_frexp_exp_i32_f32_e32 v11, v11
	v_frexp_exp_i32_f32_e32 v14, v13
	v_frexp_mant_f32_e32 v13, v13
	v_mul_f32_e32 v12, v13, v12
	v_sub_u32_e32 v11, v14, v11
	v_ldexp_f32 v11, v12, v11
	v_mul_f32_e32 v12, v11, v11
	v_mov_b32_e32 v13, 0xbc7a590c
	v_fmac_f32_e32 v13, 0x3b2d2a58, v12
	v_fma_f32 v13, v12, v13, v28
	v_fma_f32 v13, v12, v13, v29
	;; [unrolled: 1-line block ×6, first 2 shown]
	v_mul_f32_e32 v12, v12, v13
	v_fmac_f32_e32 v11, v11, v12
	v_sub_f32_e32 v12, 0x3fc90fdb, v11
	v_cndmask_b32_e64 v11, v11, v12, s[0:1]
	v_sub_f32_e32 v12, 0x40490fdb, v11
	v_cmp_gt_f32_e32 vcc, 0, v6
	v_cmp_gt_i32_e64 s[2:3], 0, v6
	v_cndmask_b32_e32 v11, v11, v12, vcc
	v_cndmask_b32_e64 v12, 0, v36, s[2:3]
	v_cmp_eq_f32_e64 s[2:3], 0, v7
	v_cndmask_b32_e64 v11, v11, v12, s[2:3]
	v_cmp_class_f32_e64 s[2:3], v6, s38
	v_cmp_class_f32_e64 s[20:21], v7, s38
	v_cndmask_b32_e32 v12, v37, v38, vcc
	s_and_b64 vcc, s[2:3], s[20:21]
	v_cndmask_b32_e32 v11, v11, v12, vcc
.LBB175_185:                            ;   in Loop: Header=BB175_162 Depth=1
	s_or_b64 exec, exec, s[18:19]
.LBB175_186:                            ;   in Loop: Header=BB175_162 Depth=1
	s_or_b64 exec, exec, s[16:17]
.LBB175_187:                            ;   in Loop: Header=BB175_162 Depth=1
	s_andn2_saveexec_b64 s[12:13], s[12:13]
	s_cbranch_execz .LBB175_189
; %bb.188:                              ;   in Loop: Header=BB175_162 Depth=1
	v_div_scale_f32 v10, s[2:3], s43, s43, v6
	v_rcp_f32_e32 v11, v10
	v_div_scale_f32 v12, vcc, v6, s43, v6
	v_fma_f32 v13, -v10, v11, 1.0
	v_fmac_f32_e32 v11, v13, v11
	v_mul_f32_e32 v13, v12, v11
	v_fma_f32 v14, -v10, v13, v12
	v_fmac_f32_e32 v13, v14, v11
	v_fma_f32 v10, -v10, v13, v12
	v_div_scale_f32 v12, s[2:3], s43, s43, v7
	v_rcp_f32_e32 v14, v12
	v_div_fmas_f32 v10, v10, v11, v13
	v_div_fixup_f32 v13, v10, s43, v6
	v_fma_f32 v10, -v12, v14, 1.0
	v_fmac_f32_e32 v14, v10, v14
	v_div_scale_f32 v10, vcc, v7, s43, v7
	v_mul_f32_e32 v11, v10, v14
	v_fma_f32 v15, -v12, v11, v10
	v_fmac_f32_e32 v11, v15, v14
	v_fma_f32 v10, -v12, v11, v10
	v_div_fmas_f32 v10, v10, v14, v11
	v_div_fixup_f32 v12, v10, s43, v7
	v_max_f32_e64 v14, |v13|, |v12|
	v_cvt_f64_f32_e32 v[10:11], v14
	v_frexp_exp_i32_f64_e32 v10, v[10:11]
	v_sub_u32_e32 v11, 0, v10
	v_ldexp_f32 v13, |v13|, v11
	v_ldexp_f32 v11, |v12|, v11
	v_mul_f32_e32 v11, v11, v11
	v_fmac_f32_e32 v11, v13, v13
	v_sqrt_f32_e32 v11, v11
	v_cmp_neq_f32_e32 vcc, s36, v14
	v_ldexp_f32 v10, v11, v10
	v_cndmask_b32_e32 v10, v41, v10, vcc
	v_cmp_gt_f32_e32 vcc, s40, v10
	v_cndmask_b32_e32 v11, 1.0, v39, vcc
	v_mul_f32_e32 v10, v10, v11
	v_log_f32_e32 v10, v10
	v_mul_f32_e32 v11, 0x3f317217, v10
	v_fma_f32 v12, v10, s41, -v11
	v_fmac_f32_e32 v12, 0x3377d1cf, v10
	v_add_f32_e32 v11, v11, v12
	v_cmp_lt_f32_e64 s[2:3], |v10|, s36
	v_cndmask_b32_e64 v10, v10, v11, s[2:3]
	v_cndmask_b32_e32 v11, 0, v40, vcc
	v_sub_f32_e32 v10, v10, v11
	v_max_f32_e64 v11, |v7|, |v7|
	v_max_f32_e64 v12, |v6|, |v6|
	v_min_f32_e32 v13, v12, v11
	v_max_f32_e32 v11, v12, v11
	v_frexp_mant_f32_e32 v12, v11
	v_rcp_f32_e32 v12, v12
	v_frexp_exp_i32_f32_e32 v11, v11
	v_frexp_exp_i32_f32_e32 v14, v13
	v_frexp_mant_f32_e32 v13, v13
	v_mul_f32_e32 v12, v13, v12
	v_sub_u32_e32 v11, v14, v11
	v_ldexp_f32 v11, v12, v11
	v_mul_f32_e32 v12, v11, v11
	v_mov_b32_e32 v13, 0xbc7a590c
	v_fmac_f32_e32 v13, 0x3b2d2a58, v12
	v_fma_f32 v13, v12, v13, v28
	v_fma_f32 v13, v12, v13, v29
	;; [unrolled: 1-line block ×6, first 2 shown]
	v_mul_f32_e32 v12, v12, v13
	v_fmac_f32_e32 v11, v11, v12
	v_sub_f32_e32 v12, 0x3fc90fdb, v11
	v_cndmask_b32_e64 v11, v11, v12, s[0:1]
	v_sub_f32_e32 v12, 0x40490fdb, v11
	v_cmp_gt_f32_e32 vcc, 0, v6
	v_cmp_gt_i32_e64 s[0:1], 0, v6
	v_cndmask_b32_e32 v11, v11, v12, vcc
	v_cndmask_b32_e64 v12, 0, v36, s[0:1]
	v_cmp_eq_f32_e64 s[0:1], 0, v7
	v_cndmask_b32_e64 v11, v11, v12, s[0:1]
	v_cmp_class_f32_e64 s[0:1], v6, s38
	v_cmp_class_f32_e64 s[2:3], v7, s38
	v_cndmask_b32_e32 v12, v37, v38, vcc
	s_and_b64 vcc, s[0:1], s[2:3]
	v_add_f32_e32 v10, 1.0, v10
	v_cndmask_b32_e32 v11, v11, v12, vcc
.LBB175_189:                            ;   in Loop: Header=BB175_162 Depth=1
	s_or_b64 exec, exec, s[12:13]
.LBB175_190:                            ;   in Loop: Header=BB175_162 Depth=1
	s_andn2_saveexec_b64 s[0:1], s[10:11]
	s_cbranch_execz .LBB175_196
; %bb.191:                              ;   in Loop: Header=BB175_162 Depth=1
	v_cmp_nlt_f32_e64 s[2:3], |v6|, s44
	v_cmp_nlt_f32_e64 s[10:11], |v7|, s44
	s_or_b64 s[2:3], s[2:3], s[10:11]
                                        ; implicit-def: $vgpr10
	s_and_saveexec_b64 s[10:11], s[2:3]
	s_xor_b64 s[2:3], exec, s[10:11]
; %bb.192:                              ;   in Loop: Header=BB175_162 Depth=1
	v_pk_mul_f32 v[10:11], v[6:7], v[6:7]
	v_add_f32_e32 v10, v10, v11
; %bb.193:                              ;   in Loop: Header=BB175_162 Depth=1
	s_andn2_saveexec_b64 s[2:3], s[2:3]
; %bb.194:                              ;   in Loop: Header=BB175_162 Depth=1
	v_pk_mul_f32 v[10:11], v[6:7], 4.0 op_sel_hi:[1,0]
	v_pk_mul_f32 v[10:11], v[10:11], v[10:11]
	v_add_f32_e32 v6, v10, v11
	v_mul_f32_e32 v10, 0x3d800000, v6
; %bb.195:                              ;   in Loop: Header=BB175_162 Depth=1
	s_or_b64 exec, exec, s[2:3]
	v_cmp_gt_f32_e32 vcc, s40, v10
	v_cndmask_b32_e32 v6, 1.0, v39, vcc
	v_mul_f32_e32 v6, v10, v6
	v_log_f32_e32 v6, v6
	v_cndmask_b32_e32 v10, 0, v40, vcc
	v_mul_f32_e32 v11, 0x3f317217, v6
	v_fma_f32 v12, v6, s41, -v11
	v_fmac_f32_e32 v12, 0x3377d1cf, v6
	v_add_f32_e32 v11, v11, v12
	v_cmp_lt_f32_e64 vcc, |v6|, s36
	v_cndmask_b32_e32 v6, v6, v11, vcc
	v_sub_f32_e32 v10, v6, v10
	v_mov_b32_e32 v11, 0x7fc00000
.LBB175_196:                            ;   in Loop: Header=BB175_162 Depth=1
	s_or_b64 exec, exec, s[0:1]
	v_cmp_o_f32_e32 vcc, v9, v8
                                        ; implicit-def: $vgpr6
	s_and_saveexec_b64 s[0:1], vcc
	s_xor_b64 s[10:11], exec, s[0:1]
	s_cbranch_execz .LBB175_224
; %bb.197:                              ;   in Loop: Header=BB175_162 Depth=1
	v_cmp_lt_f32_e64 s[0:1], |v8|, |v9|
	v_cndmask_b32_e64 v12, v9, v8, s[0:1]
	v_cmp_ngt_f32_e64 s[2:3], |v12|, s29
                                        ; implicit-def: $vgpr6
	s_and_saveexec_b64 s[12:13], s[2:3]
	s_xor_b64 s[12:13], exec, s[12:13]
	s_cbranch_execz .LBB175_221
; %bb.198:                              ;   in Loop: Header=BB175_162 Depth=1
	v_cndmask_b32_e64 v6, v8, v9, s[0:1]
	v_and_b32_e32 v15, 0x7fffffff, v6
	v_and_b32_e32 v14, 0x7fffffff, v12
	v_cmp_neq_f32_e32 vcc, 1.0, v15
                                        ; implicit-def: $vgpr6
	s_and_saveexec_b64 s[2:3], vcc
	s_xor_b64 s[16:17], exec, s[2:3]
	s_cbranch_execz .LBB175_214
; %bb.199:                              ;   in Loop: Header=BB175_162 Depth=1
	v_max_f32_e32 v6, v14, v14
	v_max_f32_e32 v12, v15, v15
	v_min_f32_e32 v13, v12, v6
	v_max_f32_e32 v6, v12, v6
	v_cmp_ngt_f32_e32 vcc, s30, v13
	v_cmp_nlt_f32_e64 s[2:3], s31, v6
	s_and_b64 s[2:3], s[2:3], vcc
                                        ; implicit-def: $vgpr6
	s_and_saveexec_b64 s[18:19], s[2:3]
	s_xor_b64 s[18:19], exec, s[18:19]
	s_cbranch_execz .LBB175_211
; %bb.200:                              ;   in Loop: Header=BB175_162 Depth=1
	v_cmp_le_f32_e32 vcc, 1.0, v15
                                        ; implicit-def: $vgpr6
	s_and_saveexec_b64 s[2:3], vcc
	s_xor_b64 s[20:21], exec, s[2:3]
	s_cbranch_execz .LBB175_202
; %bb.201:                              ;   in Loop: Header=BB175_162 Depth=1
	v_pk_add_f32 v[12:13], v[14:15], s[6:7] op_sel:[1,0]
	v_mov_b32_e32 v6, v13
	v_pk_mul_f32 v[12:13], v[12:13], v[6:7]
	v_pk_fma_f32 v[12:13], v[14:15], v[14:15], v[12:13]
	v_add_f32_e32 v15, 1.0, v12
	v_add_f32_e32 v13, -1.0, v15
	v_mov_b32_e32 v14, v13
	v_pk_add_f32 v[16:17], v[12:13], v[14:15] neg_lo:[0,1] neg_hi:[0,1]
	v_add_f32_e32 v6, 1.0, v17
	v_add_f32_e32 v6, v16, v6
	v_frexp_mant_f32_e32 v13, v15
	v_cvt_f64_f32_e32 v[16:17], v15
	v_frexp_exp_i32_f64_e32 v14, v[16:17]
	v_cmp_gt_f32_e32 vcc, s34, v13
	v_subbrev_co_u32_e32 v13, vcc, 0, v14, vcc
	v_sub_u32_e32 v14, 0, v13
	v_ldexp_f32 v15, v15, v14
	v_ldexp_f32 v6, v6, v14
	v_add_f32_e32 v14, -1.0, v15
	v_add_f32_e32 v17, 1.0, v15
	v_add_f32_e32 v16, 1.0, v14
	v_add_f32_e32 v19, -1.0, v17
	v_sub_f32_e32 v16, v15, v16
	v_sub_f32_e32 v15, v15, v19
	v_add_f32_e32 v16, v6, v16
	v_add_f32_e32 v6, v6, v15
	;; [unrolled: 1-line block ×3, first 2 shown]
	v_rcp_f32_e32 v42, v19
	v_sub_f32_e32 v15, v19, v17
	v_sub_f32_e32 v6, v6, v15
	v_add_f32_e32 v15, v14, v16
	v_sub_f32_e32 v14, v15, v14
	v_mul_f32_e32 v44, v15, v42
	v_sub_f32_e32 v43, v16, v14
	v_mul_f32_e32 v16, v19, v44
	v_fma_f32 v22, v44, v19, -v16
	v_fmac_f32_e32 v22, v44, v6
	v_add_f32_e32 v14, v16, v22
	v_sub_f32_e32 v17, v15, v14
	v_pk_add_f32 v[24:25], v[14:15], v[16:17] neg_lo:[0,1] neg_hi:[0,1]
	v_mov_b32_e32 v23, v14
	v_pk_add_f32 v[14:15], v[24:25], v[22:23] neg_lo:[0,1] neg_hi:[0,1]
	v_add_f32_e32 v15, v43, v15
	v_add_f32_e32 v14, v14, v15
	;; [unrolled: 1-line block ×3, first 2 shown]
	v_mul_f32_e32 v43, v42, v15
	v_mul_f32_e32 v16, v19, v43
	v_fma_f32 v22, v43, v19, -v16
	v_fmac_f32_e32 v22, v43, v6
	v_sub_f32_e32 v6, v17, v15
	v_add_f32_e32 v6, v14, v6
	v_add_f32_e32 v14, v16, v22
	v_sub_f32_e32 v17, v15, v14
	v_pk_add_f32 v[24:25], v[14:15], v[16:17] neg_lo:[0,1] neg_hi:[0,1]
	v_mov_b32_e32 v23, v14
	v_pk_add_f32 v[14:15], v[24:25], v[22:23] neg_lo:[0,1] neg_hi:[0,1]
	v_add_f32_e32 v6, v6, v15
	v_add_f32_e32 v6, v14, v6
	;; [unrolled: 1-line block ×4, first 2 shown]
	v_sub_f32_e32 v14, v15, v44
	v_mul_f32_e32 v6, v42, v6
	v_sub_f32_e32 v14, v43, v14
	v_add_f32_e32 v6, v14, v6
	v_add_f32_e32 v16, v15, v6
	v_mul_f32_e32 v22, v16, v16
	v_mov_b32_e32 v14, 0x3ecc95a3
	v_fmac_f32_e32 v14, 0x3e9b6dac, v22
	v_fma_f32 v19, v22, v14, v27
	v_cvt_f32_i32_e32 v14, v13
	v_sub_f32_e32 v13, v16, v15
	v_mul_f32_e32 v15, v16, v22
	v_ldexp_f32 v17, v16, 1
	v_pk_mul_f32 v[22:23], v[14:15], v[18:19]
	v_fma_f32 v16, v14, s35, -v22
	v_fmac_f32_e32 v16, 0xb102e308, v14
	v_pk_add_f32 v[14:15], v[22:23], v[16:17]
	v_sub_f32_e32 v6, v6, v13
	v_sub_f32_e32 v13, v15, v17
	v_ldexp_f32 v6, v6, 1
	v_sub_f32_e32 v13, v23, v13
	v_add_f32_e32 v25, v6, v13
	v_mov_b32_e32 v24, v22
	v_pk_add_f32 v[22:23], v[14:15], v[22:23] neg_lo:[0,1] neg_hi:[0,1]
	v_pk_add_f32 v[42:43], v[14:15], v[24:25]
	v_mov_b32_e32 v23, v43
	v_mov_b32_e32 v17, v14
	v_pk_add_f32 v[44:45], v[16:17], v[22:23] neg_lo:[0,1] neg_hi:[0,1]
	v_pk_add_f32 v[16:17], v[16:17], v[22:23]
	v_mov_b32_e32 v6, v17
	v_pk_add_f32 v[22:23], v[6:7], v[14:15] neg_lo:[0,1] neg_hi:[0,1]
	v_mov_b32_e32 v13, v22
	v_pk_add_f32 v[46:47], v[42:43], v[12:13] neg_lo:[0,1] neg_hi:[0,1]
	v_mov_b32_e32 v16, v43
	v_mov_b32_e32 v42, v15
	;; [unrolled: 1-line block ×4, first 2 shown]
	v_pk_add_f32 v[16:17], v[16:17], v[42:43] neg_lo:[0,1] neg_hi:[0,1]
	v_mov_b32_e32 v22, v25
	v_mov_b32_e32 v23, v14
	v_pk_add_f32 v[14:15], v[22:23], v[16:17] neg_lo:[0,1] neg_hi:[0,1]
	v_mov_b32_e32 v46, v44
	v_pk_add_f32 v[16:17], v[46:47], v[14:15]
	v_mov_b32_e32 v22, v17
	v_pk_add_f32 v[22:23], v[16:17], v[22:23]
	v_pk_add_f32 v[24:25], v[6:7], v[22:23]
	v_mov_b32_e32 v17, v24
	v_pk_add_f32 v[42:43], v[16:17], v[44:45] neg_lo:[0,1] neg_hi:[0,1]
	v_mov_b32_e32 v15, v22
	v_sub_f32_e32 v6, v16, v42
	v_pk_add_f32 v[14:15], v[14:15], v[42:43] neg_lo:[0,1] neg_hi:[0,1]
	v_sub_f32_e32 v6, v44, v6
	v_add_f32_e32 v6, v14, v6
	v_add_f32_e32 v6, v6, v15
	;; [unrolled: 1-line block ×3, first 2 shown]
	v_cmp_eq_f32_e32 vcc, s36, v12
	v_cndmask_b32_e32 v6, v6, v12, vcc
	v_cmp_ngt_f32_e32 vcc, -1.0, v12
	v_cndmask_b32_e32 v6, v34, v6, vcc
	v_cmp_neq_f32_e32 vcc, -1.0, v12
	v_cndmask_b32_e32 v6, v35, v6, vcc
	v_cmp_lt_f32_e64 vcc, |v12|, s37
	v_cndmask_b32_e32 v6, v6, v12, vcc
	v_mul_f32_e32 v12, 0.5, v6
	v_max_f32_e64 v6, |v9|, |v9|
	v_max_f32_e64 v13, |v8|, |v8|
	v_min_f32_e32 v14, v13, v6
	v_max_f32_e32 v6, v13, v6
	v_frexp_mant_f32_e32 v13, v6
	v_rcp_f32_e32 v13, v13
	v_frexp_exp_i32_f32_e32 v6, v6
	v_frexp_exp_i32_f32_e32 v15, v14
	v_frexp_mant_f32_e32 v14, v14
	v_mul_f32_e32 v13, v14, v13
	v_sub_u32_e32 v6, v15, v6
	v_ldexp_f32 v6, v13, v6
	v_mul_f32_e32 v13, v6, v6
	v_mov_b32_e32 v14, 0xbc7a590c
	v_fmac_f32_e32 v14, 0x3b2d2a58, v13
	v_fma_f32 v14, v13, v14, v28
	v_fma_f32 v14, v13, v14, v29
	v_fma_f32 v14, v13, v14, v30
	v_fma_f32 v14, v13, v14, v31
	v_fma_f32 v14, v13, v14, v32
	v_fma_f32 v14, v13, v14, v33
	v_mul_f32_e32 v13, v13, v14
	v_fmac_f32_e32 v6, v6, v13
	v_sub_f32_e32 v13, 0x3fc90fdb, v6
	v_cndmask_b32_e64 v6, v6, v13, s[0:1]
	v_sub_f32_e32 v13, 0x40490fdb, v6
	v_cmp_gt_f32_e32 vcc, 0, v8
	v_cmp_gt_i32_e64 s[2:3], 0, v8
	v_cndmask_b32_e32 v6, v6, v13, vcc
	v_cndmask_b32_e64 v13, 0, v36, s[2:3]
	v_cmp_eq_f32_e64 s[2:3], 0, v9
	v_cndmask_b32_e64 v6, v6, v13, s[2:3]
	v_cmp_class_f32_e64 s[2:3], v8, s38
	v_cmp_class_f32_e64 s[22:23], v9, s38
	v_cndmask_b32_e32 v13, v37, v38, vcc
	s_and_b64 vcc, s[2:3], s[22:23]
	v_cndmask_b32_e32 v6, v6, v13, vcc
                                        ; implicit-def: $vgpr14_vgpr15
.LBB175_202:                            ;   in Loop: Header=BB175_162 Depth=1
	s_andn2_saveexec_b64 s[20:21], s[20:21]
	s_cbranch_execz .LBB175_210
; %bb.203:                              ;   in Loop: Header=BB175_162 Depth=1
	v_pk_mul_f32 v[12:13], v[14:15], v[14:15]
	v_add_f32_e32 v12, v13, v12
	v_cmp_ge_f32_e32 vcc, s39, v12
                                        ; implicit-def: $vgpr6
	s_and_saveexec_b64 s[2:3], vcc
	s_xor_b64 s[22:23], exec, s[2:3]
	s_cbranch_execz .LBB175_205
; %bb.204:                              ;   in Loop: Header=BB175_162 Depth=1
	v_cmp_gt_f32_e32 vcc, s40, v12
	v_cndmask_b32_e32 v6, 1.0, v39, vcc
	v_mul_f32_e32 v6, v12, v6
	v_log_f32_e32 v6, v6
	v_cndmask_b32_e32 v12, 0, v40, vcc
	v_cmp_gt_i32_e64 s[2:3], 0, v8
	v_cmp_class_f32_e64 s[24:25], v9, s38
	v_mul_f32_e32 v13, 0x3f317217, v6
	v_fma_f32 v14, v6, s41, -v13
	v_fmac_f32_e32 v14, 0x3377d1cf, v6
	v_add_f32_e32 v13, v13, v14
	v_cmp_lt_f32_e64 vcc, |v6|, s36
	v_cndmask_b32_e32 v6, v6, v13, vcc
	v_sub_f32_e32 v6, v6, v12
	v_mul_f32_e32 v12, 0.5, v6
	v_max_f32_e64 v6, |v9|, |v9|
	v_max_f32_e64 v13, |v8|, |v8|
	v_min_f32_e32 v14, v13, v6
	v_max_f32_e32 v6, v13, v6
	v_frexp_mant_f32_e32 v13, v6
	v_rcp_f32_e32 v13, v13
	v_frexp_exp_i32_f32_e32 v6, v6
	v_frexp_exp_i32_f32_e32 v15, v14
	v_frexp_mant_f32_e32 v14, v14
	v_mul_f32_e32 v13, v14, v13
	v_sub_u32_e32 v6, v15, v6
	v_ldexp_f32 v6, v13, v6
	v_mul_f32_e32 v13, v6, v6
	v_mov_b32_e32 v14, 0xbc7a590c
	v_fmac_f32_e32 v14, 0x3b2d2a58, v13
	v_fma_f32 v14, v13, v14, v28
	v_fma_f32 v14, v13, v14, v29
	;; [unrolled: 1-line block ×6, first 2 shown]
	v_mul_f32_e32 v13, v13, v14
	v_fmac_f32_e32 v6, v6, v13
	v_sub_f32_e32 v13, 0x3fc90fdb, v6
	v_cndmask_b32_e64 v6, v6, v13, s[0:1]
	v_sub_f32_e32 v13, 0x40490fdb, v6
	v_cmp_gt_f32_e32 vcc, 0, v8
	v_cndmask_b32_e32 v6, v6, v13, vcc
	v_cndmask_b32_e64 v13, 0, v36, s[2:3]
	v_cmp_eq_f32_e64 s[2:3], 0, v9
	v_cndmask_b32_e64 v6, v6, v13, s[2:3]
	v_cmp_class_f32_e64 s[2:3], v8, s38
	v_cndmask_b32_e32 v13, v37, v38, vcc
	s_and_b64 vcc, s[2:3], s[24:25]
	v_cndmask_b32_e32 v6, v6, v13, vcc
                                        ; implicit-def: $vgpr14_vgpr15
.LBB175_205:                            ;   in Loop: Header=BB175_162 Depth=1
	s_andn2_saveexec_b64 s[22:23], s[22:23]
	s_cbranch_execz .LBB175_209
; %bb.206:                              ;   in Loop: Header=BB175_162 Depth=1
	v_and_b32_e32 v17, 0x7fff0000, v14
	v_and_b32_e32 v16, 0x7fff0000, v15
	v_pk_add_f32 v[12:13], v[14:15], v[16:17] op_sel:[1,0] op_sel_hi:[0,1] neg_lo:[0,1] neg_hi:[0,1]
	v_and_b32_e32 v25, 0xffff0000, v13
	v_and_b32_e32 v24, 0xffff0000, v12
	v_pk_add_f32 v[42:43], v[12:13], v[24:25] neg_lo:[0,1] neg_hi:[0,1]
	v_pk_mul_f32 v[12:13], v[16:17], v[16:17]
	v_add_f32_e32 v16, v16, v16
	v_mul_f32_e32 v19, v16, v24
	v_mul_f32_e32 v23, v16, v42
	v_add_f32_e32 v16, v24, v24
	v_add_f32_e32 v17, v17, v17
	v_pk_mul_f32 v[14:15], v[24:25], v[24:25]
	v_mul_f32_e32 v24, v16, v42
	v_add_f32_e32 v16, v25, v25
	v_mul_f32_e32 v6, v17, v25
	v_mul_f32_e32 v22, v17, v43
	;; [unrolled: 1-line block ×3, first 2 shown]
	v_pk_mul_f32 v[16:17], v[42:43], v[42:43]
	s_mov_b64 s[24:25], 0
.LBB175_207:                            ;   Parent Loop BB175_162 Depth=1
                                        ; =>  This Inner Loop Header: Depth=2
	v_cmp_nlt_f32_e32 vcc, v12, v13
	v_cndmask_b32_e32 v42, v12, v13, vcc
	v_cmp_nlt_f32_e64 s[2:3], v42, v19
	v_cndmask_b32_e64 v43, v42, v19, s[2:3]
	v_cndmask_b32_e32 v12, v13, v12, vcc
	s_and_b64 s[46:47], vcc, s[2:3]
	v_cmp_nlt_f32_e32 vcc, v43, v6
	v_cndmask_b32_e64 v13, v19, v42, s[2:3]
	v_cndmask_b32_e32 v42, v43, v6, vcc
	v_cmp_nlt_f32_e64 s[2:3], v42, v14
	v_cndmask_b32_e32 v19, v6, v43, vcc
	v_cndmask_b32_e64 v43, v42, v14, s[2:3]
	s_and_b64 s[48:49], vcc, s[2:3]
	v_cmp_nlt_f32_e32 vcc, v43, v15
	v_cndmask_b32_e64 v6, v14, v42, s[2:3]
	v_cndmask_b32_e32 v42, v43, v15, vcc
	v_cmp_nlt_f32_e64 s[2:3], v42, v23
	v_cndmask_b32_e32 v14, v15, v43, vcc
	v_cndmask_b32_e64 v43, v42, v23, s[2:3]
	v_cndmask_b32_e64 v15, v23, v42, s[2:3]
	s_and_b64 s[2:3], vcc, s[2:3]
	v_cmp_nlt_f32_e32 vcc, v43, v22
	v_cndmask_b32_e32 v42, v43, v22, vcc
	v_cndmask_b32_e32 v23, v22, v43, vcc
	s_and_b64 s[2:3], s[2:3], vcc
	v_cmp_nlt_f32_e32 vcc, v42, v24
	v_cndmask_b32_e32 v43, v42, v24, vcc
	v_cndmask_b32_e32 v22, v24, v42, vcc
	s_and_b64 s[2:3], s[2:3], vcc
	;; [unrolled: 4-line block ×4, first 2 shown]
	v_cmp_nlt_f32_e32 vcc, v43, v17
	s_and_b64 s[2:3], s[2:3], vcc
	s_and_b64 s[2:3], s[2:3], s[48:49]
	s_and_b64 s[2:3], s[2:3], s[46:47]
	s_and_b64 s[2:3], exec, s[2:3]
	v_cndmask_b32_e32 v16, v17, v43, vcc
	s_or_b64 s[24:25], s[2:3], s[24:25]
	v_cndmask_b32_e32 v17, v43, v17, vcc
	s_andn2_b64 exec, exec, s[24:25]
	s_cbranch_execnz .LBB175_207
; %bb.208:                              ;   in Loop: Header=BB175_162 Depth=1
	s_or_b64 exec, exec, s[24:25]
	v_add_f32_e32 v12, -1.0, v12
	v_add_f32_e32 v12, v12, v13
	v_add_f32_e32 v12, v12, v19
	;; [unrolled: 1-line block ×11, first 2 shown]
	v_add_f32_e32 v15, 1.0, v12
	v_add_f32_e32 v13, -1.0, v15
	v_mov_b32_e32 v14, v13
	v_pk_add_f32 v[16:17], v[12:13], v[14:15] neg_lo:[0,1] neg_hi:[0,1]
	v_add_f32_e32 v6, 1.0, v17
	v_add_f32_e32 v6, v16, v6
	v_frexp_mant_f32_e32 v13, v15
	v_cvt_f64_f32_e32 v[16:17], v15
	v_frexp_exp_i32_f64_e32 v14, v[16:17]
	v_cmp_gt_f32_e32 vcc, s34, v13
	v_subbrev_co_u32_e32 v13, vcc, 0, v14, vcc
	v_sub_u32_e32 v14, 0, v13
	v_ldexp_f32 v15, v15, v14
	v_ldexp_f32 v6, v6, v14
	v_add_f32_e32 v14, -1.0, v15
	v_add_f32_e32 v17, 1.0, v15
	v_add_f32_e32 v16, 1.0, v14
	v_add_f32_e32 v19, -1.0, v17
	v_sub_f32_e32 v16, v15, v16
	v_sub_f32_e32 v15, v15, v19
	v_add_f32_e32 v16, v6, v16
	v_add_f32_e32 v6, v6, v15
	;; [unrolled: 1-line block ×3, first 2 shown]
	v_rcp_f32_e32 v42, v19
	v_sub_f32_e32 v15, v19, v17
	v_sub_f32_e32 v6, v6, v15
	v_add_f32_e32 v15, v14, v16
	v_sub_f32_e32 v14, v15, v14
	v_mul_f32_e32 v44, v15, v42
	v_sub_f32_e32 v43, v16, v14
	v_mul_f32_e32 v16, v19, v44
	v_fma_f32 v22, v44, v19, -v16
	v_fmac_f32_e32 v22, v44, v6
	v_add_f32_e32 v14, v16, v22
	v_sub_f32_e32 v17, v15, v14
	v_pk_add_f32 v[24:25], v[14:15], v[16:17] neg_lo:[0,1] neg_hi:[0,1]
	v_mov_b32_e32 v23, v14
	v_pk_add_f32 v[14:15], v[24:25], v[22:23] neg_lo:[0,1] neg_hi:[0,1]
	v_add_f32_e32 v15, v43, v15
	v_add_f32_e32 v14, v14, v15
	v_add_f32_e32 v15, v17, v14
	v_mul_f32_e32 v43, v42, v15
	v_mul_f32_e32 v16, v19, v43
	v_fma_f32 v22, v43, v19, -v16
	v_fmac_f32_e32 v22, v43, v6
	v_sub_f32_e32 v6, v17, v15
	v_add_f32_e32 v6, v14, v6
	v_add_f32_e32 v14, v16, v22
	v_sub_f32_e32 v17, v15, v14
	v_pk_add_f32 v[24:25], v[14:15], v[16:17] neg_lo:[0,1] neg_hi:[0,1]
	v_mov_b32_e32 v23, v14
	v_pk_add_f32 v[14:15], v[24:25], v[22:23] neg_lo:[0,1] neg_hi:[0,1]
	v_add_f32_e32 v6, v6, v15
	v_add_f32_e32 v6, v14, v6
	;; [unrolled: 1-line block ×4, first 2 shown]
	v_sub_f32_e32 v14, v15, v44
	v_mul_f32_e32 v6, v42, v6
	v_sub_f32_e32 v14, v43, v14
	v_add_f32_e32 v6, v14, v6
	v_add_f32_e32 v16, v15, v6
	v_mul_f32_e32 v22, v16, v16
	v_mov_b32_e32 v14, 0x3ecc95a3
	v_fmac_f32_e32 v14, 0x3e9b6dac, v22
	v_fma_f32 v19, v22, v14, v27
	v_cvt_f32_i32_e32 v14, v13
	v_sub_f32_e32 v13, v16, v15
	v_mul_f32_e32 v15, v16, v22
	v_ldexp_f32 v17, v16, 1
	v_pk_mul_f32 v[22:23], v[14:15], v[18:19]
	v_fma_f32 v16, v14, s35, -v22
	v_fmac_f32_e32 v16, 0xb102e308, v14
	v_pk_add_f32 v[14:15], v[22:23], v[16:17]
	v_sub_f32_e32 v6, v6, v13
	v_sub_f32_e32 v13, v15, v17
	v_ldexp_f32 v6, v6, 1
	v_sub_f32_e32 v13, v23, v13
	v_add_f32_e32 v25, v6, v13
	v_mov_b32_e32 v24, v22
	v_pk_add_f32 v[22:23], v[14:15], v[22:23] neg_lo:[0,1] neg_hi:[0,1]
	v_pk_add_f32 v[42:43], v[14:15], v[24:25]
	v_mov_b32_e32 v23, v43
	v_mov_b32_e32 v17, v14
	v_pk_add_f32 v[44:45], v[16:17], v[22:23] neg_lo:[0,1] neg_hi:[0,1]
	v_pk_add_f32 v[16:17], v[16:17], v[22:23]
	v_mov_b32_e32 v6, v17
	v_pk_add_f32 v[22:23], v[6:7], v[14:15] neg_lo:[0,1] neg_hi:[0,1]
	v_mov_b32_e32 v13, v22
	v_pk_add_f32 v[46:47], v[42:43], v[12:13] neg_lo:[0,1] neg_hi:[0,1]
	v_mov_b32_e32 v16, v43
	v_mov_b32_e32 v42, v15
	;; [unrolled: 1-line block ×4, first 2 shown]
	v_pk_add_f32 v[16:17], v[16:17], v[42:43] neg_lo:[0,1] neg_hi:[0,1]
	v_mov_b32_e32 v22, v25
	v_mov_b32_e32 v23, v14
	v_pk_add_f32 v[14:15], v[22:23], v[16:17] neg_lo:[0,1] neg_hi:[0,1]
	v_mov_b32_e32 v46, v44
	v_pk_add_f32 v[16:17], v[46:47], v[14:15]
	v_mov_b32_e32 v22, v17
	v_pk_add_f32 v[22:23], v[16:17], v[22:23]
	v_pk_add_f32 v[24:25], v[6:7], v[22:23]
	v_mov_b32_e32 v17, v24
	v_pk_add_f32 v[42:43], v[16:17], v[44:45] neg_lo:[0,1] neg_hi:[0,1]
	v_mov_b32_e32 v15, v22
	v_sub_f32_e32 v6, v16, v42
	v_pk_add_f32 v[14:15], v[14:15], v[42:43] neg_lo:[0,1] neg_hi:[0,1]
	v_sub_f32_e32 v6, v44, v6
	v_add_f32_e32 v6, v14, v6
	v_add_f32_e32 v6, v6, v15
	;; [unrolled: 1-line block ×3, first 2 shown]
	v_cmp_eq_f32_e32 vcc, s36, v12
	v_cndmask_b32_e32 v6, v6, v12, vcc
	v_cmp_ngt_f32_e32 vcc, -1.0, v12
	v_cndmask_b32_e32 v6, v34, v6, vcc
	v_cmp_neq_f32_e32 vcc, -1.0, v12
	v_cndmask_b32_e32 v6, v35, v6, vcc
	v_cmp_lt_f32_e64 vcc, |v12|, s37
	v_cndmask_b32_e32 v6, v6, v12, vcc
	v_mul_f32_e32 v12, 0.5, v6
	v_max_f32_e64 v6, |v9|, |v9|
	v_max_f32_e64 v13, |v8|, |v8|
	v_min_f32_e32 v14, v13, v6
	v_max_f32_e32 v6, v13, v6
	v_frexp_mant_f32_e32 v13, v6
	v_rcp_f32_e32 v13, v13
	v_frexp_exp_i32_f32_e32 v6, v6
	v_frexp_exp_i32_f32_e32 v15, v14
	v_frexp_mant_f32_e32 v14, v14
	v_mul_f32_e32 v13, v14, v13
	v_sub_u32_e32 v6, v15, v6
	v_ldexp_f32 v6, v13, v6
	v_mul_f32_e32 v13, v6, v6
	v_mov_b32_e32 v14, 0xbc7a590c
	v_fmac_f32_e32 v14, 0x3b2d2a58, v13
	v_fma_f32 v14, v13, v14, v28
	v_fma_f32 v14, v13, v14, v29
	;; [unrolled: 1-line block ×6, first 2 shown]
	v_mul_f32_e32 v13, v13, v14
	v_fmac_f32_e32 v6, v6, v13
	v_sub_f32_e32 v13, 0x3fc90fdb, v6
	v_cndmask_b32_e64 v6, v6, v13, s[0:1]
	v_sub_f32_e32 v13, 0x40490fdb, v6
	v_cmp_gt_f32_e32 vcc, 0, v8
	v_cmp_gt_i32_e64 s[2:3], 0, v8
	v_cndmask_b32_e32 v6, v6, v13, vcc
	v_cndmask_b32_e64 v13, 0, v36, s[2:3]
	v_cmp_eq_f32_e64 s[2:3], 0, v9
	v_cndmask_b32_e64 v6, v6, v13, s[2:3]
	v_cmp_class_f32_e64 s[2:3], v8, s38
	v_cmp_class_f32_e64 s[24:25], v9, s38
	v_cndmask_b32_e32 v13, v37, v38, vcc
	s_and_b64 vcc, s[2:3], s[24:25]
	v_cndmask_b32_e32 v6, v6, v13, vcc
.LBB175_209:                            ;   in Loop: Header=BB175_162 Depth=1
	s_or_b64 exec, exec, s[22:23]
.LBB175_210:                            ;   in Loop: Header=BB175_162 Depth=1
	s_or_b64 exec, exec, s[20:21]
.LBB175_211:                            ;   in Loop: Header=BB175_162 Depth=1
	s_andn2_saveexec_b64 s[18:19], s[18:19]
	s_cbranch_execz .LBB175_213
; %bb.212:                              ;   in Loop: Header=BB175_162 Depth=1
	v_max_f32_e64 v6, |v9|, |v9|
	v_max_f32_e64 v14, |v8|, |v8|
	v_max_f32_e32 v15, v14, v6
	v_cvt_f64_f32_e32 v[12:13], v15
	v_frexp_exp_i32_f64_e32 v12, v[12:13]
	v_sub_u32_e32 v13, 0, v12
	v_ldexp_f32 v16, |v8|, v13
	v_ldexp_f32 v13, |v9|, v13
	v_mul_f32_e32 v13, v13, v13
	v_fmac_f32_e32 v13, v16, v16
	v_sqrt_f32_e32 v13, v13
	v_cmp_neq_f32_e32 vcc, s36, v15
	v_min_f32_e32 v6, v14, v6
	v_frexp_exp_i32_f32_e32 v14, v15
	v_ldexp_f32 v12, v13, v12
	v_cndmask_b32_e32 v12, v41, v12, vcc
	v_cmp_gt_f32_e32 vcc, s40, v12
	v_cndmask_b32_e32 v13, 1.0, v39, vcc
	v_mul_f32_e32 v12, v12, v13
	v_log_f32_e32 v12, v12
	v_cndmask_b32_e32 v13, 0, v40, vcc
	v_cmp_gt_i32_e64 s[2:3], 0, v8
	v_cmp_class_f32_e64 s[20:21], v9, s38
	v_mul_f32_e32 v16, 0x3f317217, v12
	v_fma_f32 v17, v12, s41, -v16
	v_fmac_f32_e32 v17, 0x3377d1cf, v12
	v_add_f32_e32 v16, v16, v17
	v_cmp_lt_f32_e64 vcc, |v12|, s36
	v_cndmask_b32_e32 v12, v12, v16, vcc
	v_sub_f32_e32 v12, v12, v13
	v_frexp_mant_f32_e32 v13, v15
	v_rcp_f32_e32 v13, v13
	v_frexp_exp_i32_f32_e32 v15, v6
	v_frexp_mant_f32_e32 v6, v6
	v_cmp_gt_f32_e32 vcc, 0, v8
	v_mul_f32_e32 v6, v6, v13
	v_sub_u32_e32 v13, v15, v14
	v_ldexp_f32 v6, v6, v13
	v_mul_f32_e32 v13, v6, v6
	v_mov_b32_e32 v14, 0xbc7a590c
	v_fmac_f32_e32 v14, 0x3b2d2a58, v13
	v_fma_f32 v14, v13, v14, v28
	v_fma_f32 v14, v13, v14, v29
	;; [unrolled: 1-line block ×6, first 2 shown]
	v_mul_f32_e32 v13, v13, v14
	v_fmac_f32_e32 v6, v6, v13
	v_sub_f32_e32 v13, 0x3fc90fdb, v6
	v_cndmask_b32_e64 v6, v6, v13, s[0:1]
	v_sub_f32_e32 v13, 0x40490fdb, v6
	v_cndmask_b32_e32 v6, v6, v13, vcc
	v_cndmask_b32_e64 v13, 0, v36, s[2:3]
	v_cmp_eq_f32_e64 s[2:3], 0, v9
	v_cndmask_b32_e64 v6, v6, v13, s[2:3]
	v_cmp_class_f32_e64 s[2:3], v8, s38
	v_cndmask_b32_e32 v13, v37, v38, vcc
	s_and_b64 vcc, s[2:3], s[20:21]
	v_cndmask_b32_e32 v6, v6, v13, vcc
.LBB175_213:                            ;   in Loop: Header=BB175_162 Depth=1
	s_or_b64 exec, exec, s[18:19]
                                        ; implicit-def: $vgpr14
.LBB175_214:                            ;   in Loop: Header=BB175_162 Depth=1
	s_andn2_saveexec_b64 s[16:17], s[16:17]
	s_cbranch_execz .LBB175_220
; %bb.215:                              ;   in Loop: Header=BB175_162 Depth=1
	v_cmp_ngt_f32_e32 vcc, s42, v14
                                        ; implicit-def: $vgpr6
	s_and_saveexec_b64 s[2:3], vcc
	s_xor_b64 s[18:19], exec, s[2:3]
	s_cbranch_execz .LBB175_217
; %bb.216:                              ;   in Loop: Header=BB175_162 Depth=1
	v_pk_mul_f32 v[12:13], v[14:15], v[14:15]
	v_add_f32_e32 v15, 1.0, v12
	v_add_f32_e32 v13, -1.0, v15
	v_mov_b32_e32 v14, v13
	v_pk_add_f32 v[16:17], v[12:13], v[14:15] neg_lo:[0,1] neg_hi:[0,1]
	v_add_f32_e32 v6, 1.0, v17
	v_add_f32_e32 v6, v16, v6
	v_frexp_mant_f32_e32 v13, v15
	v_cvt_f64_f32_e32 v[16:17], v15
	v_frexp_exp_i32_f64_e32 v14, v[16:17]
	v_cmp_gt_f32_e32 vcc, s34, v13
	v_subbrev_co_u32_e32 v13, vcc, 0, v14, vcc
	v_sub_u32_e32 v14, 0, v13
	v_ldexp_f32 v15, v15, v14
	v_ldexp_f32 v6, v6, v14
	v_add_f32_e32 v14, -1.0, v15
	v_add_f32_e32 v17, 1.0, v15
	v_add_f32_e32 v16, 1.0, v14
	v_add_f32_e32 v19, -1.0, v17
	v_sub_f32_e32 v16, v15, v16
	v_sub_f32_e32 v15, v15, v19
	v_add_f32_e32 v16, v6, v16
	v_add_f32_e32 v6, v6, v15
	;; [unrolled: 1-line block ×3, first 2 shown]
	v_rcp_f32_e32 v42, v19
	v_sub_f32_e32 v15, v17, v19
	v_add_f32_e32 v6, v6, v15
	v_add_f32_e32 v15, v14, v16
	v_sub_f32_e32 v14, v14, v15
	v_mul_f32_e32 v44, v15, v42
	v_add_f32_e32 v43, v16, v14
	v_mul_f32_e32 v16, v19, v44
	v_fma_f32 v22, v44, v19, -v16
	v_fmac_f32_e32 v22, v44, v6
	v_add_f32_e32 v14, v16, v22
	v_sub_f32_e32 v17, v15, v14
	v_pk_add_f32 v[24:25], v[14:15], v[16:17] neg_lo:[0,1] neg_hi:[0,1]
	v_mov_b32_e32 v23, v14
	v_pk_add_f32 v[14:15], v[24:25], v[22:23] neg_lo:[0,1] neg_hi:[0,1]
	v_add_f32_e32 v15, v43, v15
	v_add_f32_e32 v14, v14, v15
	;; [unrolled: 1-line block ×3, first 2 shown]
	v_mul_f32_e32 v43, v42, v15
	v_mul_f32_e32 v16, v19, v43
	v_fma_f32 v22, v43, v19, -v16
	v_fmac_f32_e32 v22, v43, v6
	v_sub_f32_e32 v6, v17, v15
	v_add_f32_e32 v6, v14, v6
	v_add_f32_e32 v14, v16, v22
	v_sub_f32_e32 v17, v15, v14
	v_pk_add_f32 v[24:25], v[14:15], v[16:17] neg_lo:[0,1] neg_hi:[0,1]
	v_mov_b32_e32 v23, v14
	v_pk_add_f32 v[14:15], v[24:25], v[22:23] neg_lo:[0,1] neg_hi:[0,1]
	v_add_f32_e32 v6, v6, v15
	v_add_f32_e32 v6, v14, v6
	;; [unrolled: 1-line block ×4, first 2 shown]
	v_sub_f32_e32 v14, v15, v44
	v_mul_f32_e32 v6, v42, v6
	v_sub_f32_e32 v14, v43, v14
	v_add_f32_e32 v6, v14, v6
	v_add_f32_e32 v16, v15, v6
	v_mul_f32_e32 v22, v16, v16
	v_mov_b32_e32 v14, 0x3ecc95a3
	v_fmac_f32_e32 v14, 0x3e9b6dac, v22
	v_fma_f32 v19, v22, v14, v27
	v_cvt_f32_i32_e32 v14, v13
	v_sub_f32_e32 v13, v16, v15
	v_mul_f32_e32 v15, v16, v22
	v_ldexp_f32 v17, v16, 1
	v_pk_mul_f32 v[22:23], v[14:15], v[18:19]
	v_fma_f32 v16, v14, s35, -v22
	v_fmac_f32_e32 v16, 0xb102e308, v14
	v_pk_add_f32 v[14:15], v[22:23], v[16:17]
	v_sub_f32_e32 v6, v6, v13
	v_sub_f32_e32 v13, v15, v17
	v_ldexp_f32 v6, v6, 1
	v_sub_f32_e32 v13, v23, v13
	v_add_f32_e32 v25, v6, v13
	v_mov_b32_e32 v24, v22
	v_pk_add_f32 v[22:23], v[14:15], v[22:23] neg_lo:[0,1] neg_hi:[0,1]
	v_pk_add_f32 v[42:43], v[14:15], v[24:25]
	v_mov_b32_e32 v23, v43
	v_mov_b32_e32 v17, v14
	v_pk_add_f32 v[44:45], v[16:17], v[22:23] neg_lo:[0,1] neg_hi:[0,1]
	v_pk_add_f32 v[16:17], v[16:17], v[22:23]
	v_mov_b32_e32 v6, v17
	v_pk_add_f32 v[22:23], v[6:7], v[14:15] neg_lo:[0,1] neg_hi:[0,1]
	v_mov_b32_e32 v13, v22
	v_pk_add_f32 v[46:47], v[42:43], v[12:13] neg_lo:[0,1] neg_hi:[0,1]
	v_mov_b32_e32 v16, v43
	v_mov_b32_e32 v42, v15
	v_mov_b32_e32 v43, v22
	v_mov_b32_e32 v45, v17
	v_pk_add_f32 v[16:17], v[16:17], v[42:43] neg_lo:[0,1] neg_hi:[0,1]
	v_mov_b32_e32 v22, v25
	v_mov_b32_e32 v23, v14
	v_pk_add_f32 v[14:15], v[22:23], v[16:17] neg_lo:[0,1] neg_hi:[0,1]
	v_mov_b32_e32 v46, v44
	v_pk_add_f32 v[16:17], v[46:47], v[14:15]
	v_mov_b32_e32 v22, v17
	v_pk_add_f32 v[22:23], v[16:17], v[22:23]
	v_pk_add_f32 v[24:25], v[6:7], v[22:23]
	v_mov_b32_e32 v17, v24
	v_pk_add_f32 v[42:43], v[16:17], v[44:45] neg_lo:[0,1] neg_hi:[0,1]
	v_mov_b32_e32 v15, v22
	v_sub_f32_e32 v6, v16, v42
	v_pk_add_f32 v[14:15], v[14:15], v[42:43] neg_lo:[0,1] neg_hi:[0,1]
	v_sub_f32_e32 v6, v44, v6
	v_add_f32_e32 v6, v14, v6
	v_add_f32_e32 v6, v6, v15
	v_cmp_eq_f32_e32 vcc, s36, v12
	v_cmp_lt_f32_e64 s[2:3], |v12|, s37
	v_add_f32_e32 v6, v24, v6
	s_or_b64 vcc, vcc, s[2:3]
	v_cndmask_b32_e32 v6, v6, v12, vcc
	v_mul_f32_e32 v12, 0.5, v6
	v_max_f32_e64 v6, |v9|, |v9|
	v_max_f32_e64 v13, |v8|, |v8|
	v_min_f32_e32 v14, v13, v6
	v_max_f32_e32 v6, v13, v6
	v_frexp_mant_f32_e32 v13, v6
	v_rcp_f32_e32 v13, v13
	v_frexp_exp_i32_f32_e32 v6, v6
	v_frexp_exp_i32_f32_e32 v15, v14
	v_frexp_mant_f32_e32 v14, v14
	v_mul_f32_e32 v13, v14, v13
	v_sub_u32_e32 v6, v15, v6
	v_ldexp_f32 v6, v13, v6
	v_mul_f32_e32 v13, v6, v6
	v_mov_b32_e32 v14, 0xbc7a590c
	v_fmac_f32_e32 v14, 0x3b2d2a58, v13
	v_fma_f32 v14, v13, v14, v28
	v_fma_f32 v14, v13, v14, v29
	;; [unrolled: 1-line block ×6, first 2 shown]
	v_mul_f32_e32 v13, v13, v14
	v_fmac_f32_e32 v6, v6, v13
	v_sub_f32_e32 v13, 0x3fc90fdb, v6
	v_cndmask_b32_e64 v6, v6, v13, s[0:1]
	v_sub_f32_e32 v13, 0x40490fdb, v6
	v_cmp_gt_f32_e32 vcc, 0, v8
	v_cmp_gt_i32_e64 s[2:3], 0, v8
	v_cndmask_b32_e32 v6, v6, v13, vcc
	v_cndmask_b32_e64 v13, 0, v36, s[2:3]
	v_cmp_eq_f32_e64 s[2:3], 0, v9
	v_cndmask_b32_e64 v6, v6, v13, s[2:3]
	v_cmp_class_f32_e64 s[2:3], v8, s38
	v_cmp_class_f32_e64 s[20:21], v9, s38
	v_cndmask_b32_e32 v13, v37, v38, vcc
	s_and_b64 vcc, s[2:3], s[20:21]
	v_cndmask_b32_e32 v6, v6, v13, vcc
                                        ; implicit-def: $vgpr14
.LBB175_217:                            ;   in Loop: Header=BB175_162 Depth=1
	s_andn2_saveexec_b64 s[18:19], s[18:19]
	s_cbranch_execz .LBB175_219
; %bb.218:                              ;   in Loop: Header=BB175_162 Depth=1
	v_mul_f32_e32 v6, 0.5, v14
	v_mul_f32_e32 v12, v14, v6
	v_max_f32_e64 v6, |v9|, |v9|
	v_max_f32_e64 v13, |v8|, |v8|
	v_min_f32_e32 v14, v13, v6
	v_max_f32_e32 v6, v13, v6
	v_frexp_mant_f32_e32 v13, v6
	v_rcp_f32_e32 v13, v13
	v_frexp_exp_i32_f32_e32 v6, v6
	v_frexp_exp_i32_f32_e32 v15, v14
	v_frexp_mant_f32_e32 v14, v14
	v_mul_f32_e32 v13, v14, v13
	v_sub_u32_e32 v6, v15, v6
	v_ldexp_f32 v6, v13, v6
	v_mul_f32_e32 v13, v6, v6
	v_mov_b32_e32 v14, 0xbc7a590c
	v_fmac_f32_e32 v14, 0x3b2d2a58, v13
	v_fma_f32 v14, v13, v14, v28
	v_fma_f32 v14, v13, v14, v29
	;; [unrolled: 1-line block ×6, first 2 shown]
	v_mul_f32_e32 v13, v13, v14
	v_fmac_f32_e32 v6, v6, v13
	v_sub_f32_e32 v13, 0x3fc90fdb, v6
	v_cndmask_b32_e64 v6, v6, v13, s[0:1]
	v_sub_f32_e32 v13, 0x40490fdb, v6
	v_cmp_gt_f32_e32 vcc, 0, v8
	v_cmp_gt_i32_e64 s[2:3], 0, v8
	v_cndmask_b32_e32 v6, v6, v13, vcc
	v_cndmask_b32_e64 v13, 0, v36, s[2:3]
	v_cmp_eq_f32_e64 s[2:3], 0, v9
	v_cndmask_b32_e64 v6, v6, v13, s[2:3]
	v_cmp_class_f32_e64 s[2:3], v8, s38
	v_cmp_class_f32_e64 s[20:21], v9, s38
	v_cndmask_b32_e32 v13, v37, v38, vcc
	s_and_b64 vcc, s[2:3], s[20:21]
	v_cndmask_b32_e32 v6, v6, v13, vcc
.LBB175_219:                            ;   in Loop: Header=BB175_162 Depth=1
	s_or_b64 exec, exec, s[18:19]
.LBB175_220:                            ;   in Loop: Header=BB175_162 Depth=1
	s_or_b64 exec, exec, s[16:17]
.LBB175_221:                            ;   in Loop: Header=BB175_162 Depth=1
	s_andn2_saveexec_b64 s[12:13], s[12:13]
	s_cbranch_execz .LBB175_223
; %bb.222:                              ;   in Loop: Header=BB175_162 Depth=1
	v_div_scale_f32 v6, s[2:3], s43, s43, v8
	v_rcp_f32_e32 v12, v6
	v_div_scale_f32 v13, vcc, v8, s43, v8
	v_fma_f32 v14, -v6, v12, 1.0
	v_fmac_f32_e32 v12, v14, v12
	v_mul_f32_e32 v14, v13, v12
	v_fma_f32 v15, -v6, v14, v13
	v_fmac_f32_e32 v14, v15, v12
	v_fma_f32 v6, -v6, v14, v13
	v_div_scale_f32 v13, s[2:3], s43, s43, v9
	v_rcp_f32_e32 v15, v13
	v_div_fmas_f32 v6, v6, v12, v14
	v_div_fixup_f32 v6, v6, s43, v8
	v_fma_f32 v12, -v13, v15, 1.0
	v_fmac_f32_e32 v15, v12, v15
	v_div_scale_f32 v12, vcc, v9, s43, v9
	v_mul_f32_e32 v14, v12, v15
	v_fma_f32 v16, -v13, v14, v12
	v_fmac_f32_e32 v14, v16, v15
	v_fma_f32 v12, -v13, v14, v12
	v_div_fmas_f32 v12, v12, v15, v14
	v_div_fixup_f32 v14, v12, s43, v9
	v_max_f32_e64 v15, |v6|, |v14|
	v_cvt_f64_f32_e32 v[12:13], v15
	v_frexp_exp_i32_f64_e32 v12, v[12:13]
	v_sub_u32_e32 v13, 0, v12
	v_ldexp_f32 v6, |v6|, v13
	v_ldexp_f32 v13, |v14|, v13
	v_mul_f32_e32 v13, v13, v13
	v_fmac_f32_e32 v13, v6, v6
	v_sqrt_f32_e32 v6, v13
	v_cmp_neq_f32_e32 vcc, s36, v15
	v_ldexp_f32 v6, v6, v12
	v_cndmask_b32_e32 v6, v41, v6, vcc
	v_cmp_gt_f32_e32 vcc, s40, v6
	v_cndmask_b32_e32 v12, 1.0, v39, vcc
	v_mul_f32_e32 v6, v6, v12
	v_log_f32_e32 v6, v6
	v_mul_f32_e32 v12, 0x3f317217, v6
	v_fma_f32 v13, v6, s41, -v12
	v_fmac_f32_e32 v13, 0x3377d1cf, v6
	v_add_f32_e32 v12, v12, v13
	v_cmp_lt_f32_e64 s[2:3], |v6|, s36
	v_cndmask_b32_e64 v6, v6, v12, s[2:3]
	v_cndmask_b32_e32 v12, 0, v40, vcc
	v_sub_f32_e32 v6, v6, v12
	v_add_f32_e32 v12, 1.0, v6
	v_max_f32_e64 v6, |v9|, |v9|
	v_max_f32_e64 v13, |v8|, |v8|
	v_min_f32_e32 v14, v13, v6
	v_max_f32_e32 v6, v13, v6
	v_frexp_mant_f32_e32 v13, v6
	v_rcp_f32_e32 v13, v13
	v_frexp_exp_i32_f32_e32 v6, v6
	v_frexp_exp_i32_f32_e32 v15, v14
	v_frexp_mant_f32_e32 v14, v14
	v_mul_f32_e32 v13, v14, v13
	v_sub_u32_e32 v6, v15, v6
	v_ldexp_f32 v6, v13, v6
	v_mul_f32_e32 v13, v6, v6
	v_mov_b32_e32 v14, 0xbc7a590c
	v_fmac_f32_e32 v14, 0x3b2d2a58, v13
	v_fma_f32 v14, v13, v14, v28
	v_fma_f32 v14, v13, v14, v29
	;; [unrolled: 1-line block ×6, first 2 shown]
	v_mul_f32_e32 v13, v13, v14
	v_fmac_f32_e32 v6, v6, v13
	v_sub_f32_e32 v13, 0x3fc90fdb, v6
	v_cndmask_b32_e64 v6, v6, v13, s[0:1]
	v_sub_f32_e32 v13, 0x40490fdb, v6
	v_cmp_gt_f32_e32 vcc, 0, v8
	v_cmp_gt_i32_e64 s[0:1], 0, v8
	v_cndmask_b32_e32 v6, v6, v13, vcc
	v_cndmask_b32_e64 v13, 0, v36, s[0:1]
	v_cmp_eq_f32_e64 s[0:1], 0, v9
	v_cndmask_b32_e64 v6, v6, v13, s[0:1]
	v_cmp_class_f32_e64 s[0:1], v8, s38
	v_cmp_class_f32_e64 s[2:3], v9, s38
	v_cndmask_b32_e32 v13, v37, v38, vcc
	s_and_b64 vcc, s[0:1], s[2:3]
	v_cndmask_b32_e32 v6, v6, v13, vcc
.LBB175_223:                            ;   in Loop: Header=BB175_162 Depth=1
	s_or_b64 exec, exec, s[12:13]
.LBB175_224:                            ;   in Loop: Header=BB175_162 Depth=1
	s_andn2_saveexec_b64 s[0:1], s[10:11]
	s_cbranch_execz .LBB175_230
; %bb.225:                              ;   in Loop: Header=BB175_162 Depth=1
	v_cmp_nlt_f32_e64 s[2:3], |v8|, s44
	v_cmp_nlt_f32_e64 s[10:11], |v9|, s44
	s_or_b64 s[2:3], s[2:3], s[10:11]
                                        ; implicit-def: $vgpr6
	s_and_saveexec_b64 s[10:11], s[2:3]
	s_xor_b64 s[2:3], exec, s[10:11]
; %bb.226:                              ;   in Loop: Header=BB175_162 Depth=1
	v_pk_mul_f32 v[12:13], v[8:9], v[8:9]
	v_add_f32_e32 v6, v12, v13
; %bb.227:                              ;   in Loop: Header=BB175_162 Depth=1
	s_andn2_saveexec_b64 s[2:3], s[2:3]
; %bb.228:                              ;   in Loop: Header=BB175_162 Depth=1
	v_pk_mul_f32 v[12:13], v[8:9], 4.0 op_sel_hi:[1,0]
	v_pk_mul_f32 v[12:13], v[12:13], v[12:13]
	v_add_f32_e32 v6, v12, v13
	v_mul_f32_e32 v6, 0x3d800000, v6
; %bb.229:                              ;   in Loop: Header=BB175_162 Depth=1
	s_or_b64 exec, exec, s[2:3]
	v_cmp_gt_f32_e32 vcc, s40, v6
	v_cndmask_b32_e32 v8, 1.0, v39, vcc
	v_mul_f32_e32 v6, v6, v8
	v_log_f32_e32 v6, v6
	v_cndmask_b32_e32 v8, 0, v40, vcc
	v_mul_f32_e32 v12, 0x3f317217, v6
	v_fma_f32 v13, v6, s41, -v12
	v_fmac_f32_e32 v13, 0x3377d1cf, v6
	v_add_f32_e32 v12, v12, v13
	v_cmp_lt_f32_e64 vcc, |v6|, s36
	v_cndmask_b32_e32 v6, v6, v12, vcc
	v_sub_f32_e32 v12, v6, v8
	v_mov_b32_e32 v6, 0x7fc00000
.LBB175_230:                            ;   in Loop: Header=BB175_162 Depth=1
	s_or_b64 exec, exec, s[0:1]
	s_waitcnt vmcnt(0)
	v_cmp_o_f32_e32 vcc, v3, v2
                                        ; implicit-def: $vgpr14
                                        ; implicit-def: $vgpr8
	s_and_saveexec_b64 s[0:1], vcc
	s_xor_b64 s[10:11], exec, s[0:1]
	s_cbranch_execz .LBB175_258
; %bb.231:                              ;   in Loop: Header=BB175_162 Depth=1
	v_cmp_lt_f32_e64 s[0:1], |v2|, |v3|
	v_cndmask_b32_e64 v13, v3, v2, s[0:1]
	v_cmp_ngt_f32_e64 s[2:3], |v13|, s29
                                        ; implicit-def: $vgpr14
                                        ; implicit-def: $vgpr8
	s_and_saveexec_b64 s[12:13], s[2:3]
	s_xor_b64 s[12:13], exec, s[12:13]
	s_cbranch_execz .LBB175_255
; %bb.232:                              ;   in Loop: Header=BB175_162 Depth=1
	v_cndmask_b32_e64 v8, v2, v3, s[0:1]
	v_and_b32_e32 v17, 0x7fffffff, v8
	v_and_b32_e32 v16, 0x7fffffff, v13
	v_cmp_neq_f32_e32 vcc, 1.0, v17
                                        ; implicit-def: $vgpr14
                                        ; implicit-def: $vgpr8
	s_and_saveexec_b64 s[2:3], vcc
	s_xor_b64 s[16:17], exec, s[2:3]
	s_cbranch_execz .LBB175_248
; %bb.233:                              ;   in Loop: Header=BB175_162 Depth=1
	v_max_f32_e32 v8, v16, v16
	v_max_f32_e32 v13, v17, v17
	v_min_f32_e32 v14, v13, v8
	v_max_f32_e32 v8, v13, v8
	v_cmp_ngt_f32_e32 vcc, s30, v14
	v_cmp_nlt_f32_e64 s[2:3], s31, v8
	s_and_b64 s[2:3], s[2:3], vcc
                                        ; implicit-def: $vgpr14
                                        ; implicit-def: $vgpr8
	s_and_saveexec_b64 s[18:19], s[2:3]
	s_xor_b64 s[18:19], exec, s[18:19]
	s_cbranch_execz .LBB175_245
; %bb.234:                              ;   in Loop: Header=BB175_162 Depth=1
	v_cmp_le_f32_e32 vcc, 1.0, v17
                                        ; implicit-def: $vgpr14
                                        ; implicit-def: $vgpr8
	s_and_saveexec_b64 s[2:3], vcc
	s_xor_b64 s[20:21], exec, s[2:3]
	s_cbranch_execz .LBB175_236
; %bb.235:                              ;   in Loop: Header=BB175_162 Depth=1
	v_pk_add_f32 v[14:15], v[16:17], s[6:7] op_sel:[1,0]
	v_mov_b32_e32 v8, v15
	v_pk_mul_f32 v[14:15], v[14:15], v[8:9]
	v_pk_fma_f32 v[14:15], v[16:17], v[16:17], v[14:15]
	v_add_f32_e32 v17, 1.0, v14
	v_add_f32_e32 v15, -1.0, v17
	v_mov_b32_e32 v16, v15
	v_pk_add_f32 v[22:23], v[14:15], v[16:17] neg_lo:[0,1] neg_hi:[0,1]
	v_add_f32_e32 v8, 1.0, v23
	v_add_f32_e32 v8, v22, v8
	v_frexp_mant_f32_e32 v13, v17
	v_cvt_f64_f32_e32 v[22:23], v17
	v_frexp_exp_i32_f64_e32 v15, v[22:23]
	v_cmp_gt_f32_e32 vcc, s34, v13
	v_subbrev_co_u32_e32 v13, vcc, 0, v15, vcc
	v_sub_u32_e32 v15, 0, v13
	v_ldexp_f32 v16, v17, v15
	v_ldexp_f32 v8, v8, v15
	v_add_f32_e32 v15, -1.0, v16
	v_add_f32_e32 v17, 1.0, v15
	v_sub_f32_e32 v17, v16, v17
	v_add_f32_e32 v19, v8, v17
	v_add_f32_e32 v17, 1.0, v16
	v_add_f32_e32 v22, -1.0, v17
	v_sub_f32_e32 v16, v16, v22
	v_add_f32_e32 v8, v8, v16
	v_add_f32_e32 v44, v17, v8
	v_rcp_f32_e32 v45, v44
	v_sub_f32_e32 v16, v44, v17
	v_add_f32_e32 v17, v15, v19
	v_sub_f32_e32 v15, v17, v15
	v_sub_f32_e32 v15, v19, v15
	v_mul_f32_e32 v19, v17, v45
	v_mul_f32_e32 v22, v44, v19
	v_sub_f32_e32 v8, v8, v16
	v_fma_f32 v24, v19, v44, -v22
	v_fmac_f32_e32 v24, v19, v8
	v_add_f32_e32 v16, v22, v24
	v_sub_f32_e32 v23, v17, v16
	v_pk_add_f32 v[42:43], v[16:17], v[22:23] neg_lo:[0,1] neg_hi:[0,1]
	v_mov_b32_e32 v25, v16
	v_pk_add_f32 v[16:17], v[42:43], v[24:25] neg_lo:[0,1] neg_hi:[0,1]
	v_add_f32_e32 v15, v15, v17
	v_add_f32_e32 v15, v16, v15
	;; [unrolled: 1-line block ×3, first 2 shown]
	v_mul_f32_e32 v46, v45, v17
	v_mul_f32_e32 v22, v44, v46
	v_fma_f32 v24, v46, v44, -v22
	v_fmac_f32_e32 v24, v46, v8
	v_add_f32_e32 v16, v22, v24
	v_sub_f32_e32 v8, v23, v17
	v_sub_f32_e32 v23, v17, v16
	v_pk_add_f32 v[42:43], v[16:17], v[22:23] neg_lo:[0,1] neg_hi:[0,1]
	v_mov_b32_e32 v25, v16
	v_add_f32_e32 v8, v15, v8
	v_pk_add_f32 v[16:17], v[42:43], v[24:25] neg_lo:[0,1] neg_hi:[0,1]
	v_add_f32_e32 v8, v8, v17
	v_add_f32_e32 v8, v16, v8
	;; [unrolled: 1-line block ×4, first 2 shown]
	v_sub_f32_e32 v16, v15, v19
	v_mul_f32_e32 v8, v45, v8
	v_sub_f32_e32 v16, v46, v16
	v_add_f32_e32 v8, v16, v8
	v_add_f32_e32 v17, v15, v8
	v_mul_f32_e32 v22, v17, v17
	v_mov_b32_e32 v16, 0x3ecc95a3
	v_fmac_f32_e32 v16, 0x3e9b6dac, v22
	v_fma_f32 v19, v22, v16, v27
	v_cvt_f32_i32_e32 v16, v13
	v_sub_f32_e32 v13, v17, v15
	v_ldexp_f32 v23, v17, 1
	v_mul_f32_e32 v17, v17, v22
	v_pk_mul_f32 v[24:25], v[16:17], v[18:19]
	v_fma_f32 v22, v16, s35, -v24
	v_fmac_f32_e32 v22, 0xb102e308, v16
	v_pk_add_f32 v[16:17], v[24:25], v[22:23]
	v_sub_f32_e32 v8, v8, v13
	v_sub_f32_e32 v13, v17, v23
	v_ldexp_f32 v8, v8, 1
	v_sub_f32_e32 v13, v25, v13
	v_add_f32_e32 v43, v8, v13
	v_mov_b32_e32 v42, v24
	v_pk_add_f32 v[24:25], v[16:17], v[24:25] neg_lo:[0,1] neg_hi:[0,1]
	v_pk_add_f32 v[44:45], v[16:17], v[42:43]
	v_mov_b32_e32 v25, v45
	v_mov_b32_e32 v23, v16
	v_pk_add_f32 v[46:47], v[22:23], v[24:25] neg_lo:[0,1] neg_hi:[0,1]
	v_pk_add_f32 v[22:23], v[22:23], v[24:25]
	v_mov_b32_e32 v8, v23
	v_pk_add_f32 v[24:25], v[8:9], v[16:17] neg_lo:[0,1] neg_hi:[0,1]
	v_mov_b32_e32 v13, v24
	v_pk_add_f32 v[48:49], v[44:45], v[12:13] neg_lo:[0,1] neg_hi:[0,1]
	v_mov_b32_e32 v22, v45
	v_mov_b32_e32 v44, v17
	;; [unrolled: 1-line block ×4, first 2 shown]
	v_pk_add_f32 v[22:23], v[22:23], v[44:45] neg_lo:[0,1] neg_hi:[0,1]
	v_mov_b32_e32 v24, v43
	v_mov_b32_e32 v25, v16
	v_pk_add_f32 v[16:17], v[24:25], v[22:23] neg_lo:[0,1] neg_hi:[0,1]
	v_mov_b32_e32 v48, v46
	v_pk_add_f32 v[22:23], v[48:49], v[16:17]
	v_mov_b32_e32 v24, v23
	v_pk_add_f32 v[24:25], v[22:23], v[24:25]
	v_pk_add_f32 v[42:43], v[8:9], v[24:25]
	v_mov_b32_e32 v23, v42
	v_pk_add_f32 v[44:45], v[22:23], v[46:47] neg_lo:[0,1] neg_hi:[0,1]
	v_mov_b32_e32 v17, v24
	v_sub_f32_e32 v8, v22, v44
	v_pk_add_f32 v[16:17], v[16:17], v[44:45] neg_lo:[0,1] neg_hi:[0,1]
	v_sub_f32_e32 v8, v46, v8
	v_add_f32_e32 v8, v16, v8
	v_add_f32_e32 v8, v8, v17
	;; [unrolled: 1-line block ×3, first 2 shown]
	v_cmp_eq_f32_e32 vcc, s36, v14
	v_cndmask_b32_e32 v8, v8, v14, vcc
	v_cmp_ngt_f32_e32 vcc, -1.0, v14
	v_cndmask_b32_e32 v8, v34, v8, vcc
	v_cmp_neq_f32_e32 vcc, -1.0, v14
	v_cndmask_b32_e32 v8, v35, v8, vcc
	v_cmp_lt_f32_e64 vcc, |v14|, s37
	v_cndmask_b32_e32 v8, v8, v14, vcc
	v_mul_f32_e32 v14, 0.5, v8
	v_max_f32_e64 v8, |v3|, |v3|
	v_max_f32_e64 v13, |v2|, |v2|
	v_min_f32_e32 v15, v13, v8
	v_max_f32_e32 v8, v13, v8
	v_frexp_mant_f32_e32 v13, v8
	v_rcp_f32_e32 v13, v13
	v_frexp_exp_i32_f32_e32 v8, v8
	v_frexp_exp_i32_f32_e32 v16, v15
	v_frexp_mant_f32_e32 v15, v15
	v_mul_f32_e32 v13, v15, v13
	v_sub_u32_e32 v8, v16, v8
	v_ldexp_f32 v8, v13, v8
	v_mul_f32_e32 v13, v8, v8
	v_mov_b32_e32 v15, 0xbc7a590c
	v_fmac_f32_e32 v15, 0x3b2d2a58, v13
	v_fma_f32 v15, v13, v15, v28
	v_fma_f32 v15, v13, v15, v29
	;; [unrolled: 1-line block ×6, first 2 shown]
	v_mul_f32_e32 v13, v13, v15
	v_fmac_f32_e32 v8, v8, v13
	v_sub_f32_e32 v13, 0x3fc90fdb, v8
	v_cndmask_b32_e64 v8, v8, v13, s[0:1]
	v_sub_f32_e32 v13, 0x40490fdb, v8
	v_cmp_gt_f32_e32 vcc, 0, v2
	v_cmp_gt_i32_e64 s[2:3], 0, v2
	v_cndmask_b32_e32 v8, v8, v13, vcc
	v_cndmask_b32_e64 v13, 0, v36, s[2:3]
	v_cmp_eq_f32_e64 s[2:3], 0, v3
	v_cndmask_b32_e64 v8, v8, v13, s[2:3]
	v_cmp_class_f32_e64 s[2:3], v2, s38
	v_cmp_class_f32_e64 s[22:23], v3, s38
	v_cndmask_b32_e32 v13, v37, v38, vcc
	s_and_b64 vcc, s[2:3], s[22:23]
	v_cndmask_b32_e32 v8, v8, v13, vcc
                                        ; implicit-def: $vgpr16_vgpr17
.LBB175_236:                            ;   in Loop: Header=BB175_162 Depth=1
	s_andn2_saveexec_b64 s[20:21], s[20:21]
	s_cbranch_execz .LBB175_244
; %bb.237:                              ;   in Loop: Header=BB175_162 Depth=1
	v_pk_mul_f32 v[14:15], v[16:17], v[16:17]
	v_add_f32_e32 v13, v15, v14
	v_cmp_ge_f32_e32 vcc, s39, v13
                                        ; implicit-def: $vgpr14
                                        ; implicit-def: $vgpr8
	s_and_saveexec_b64 s[2:3], vcc
	s_xor_b64 s[22:23], exec, s[2:3]
	s_cbranch_execz .LBB175_239
; %bb.238:                              ;   in Loop: Header=BB175_162 Depth=1
	v_cmp_gt_f32_e32 vcc, s40, v13
	v_cndmask_b32_e32 v8, 1.0, v39, vcc
	v_mul_f32_e32 v8, v13, v8
	v_log_f32_e32 v8, v8
	v_cndmask_b32_e32 v13, 0, v40, vcc
	v_cmp_gt_i32_e64 s[2:3], 0, v2
	v_cmp_class_f32_e64 s[24:25], v3, s38
	v_mul_f32_e32 v14, 0x3f317217, v8
	v_fma_f32 v15, v8, s41, -v14
	v_fmac_f32_e32 v15, 0x3377d1cf, v8
	v_add_f32_e32 v14, v14, v15
	v_cmp_lt_f32_e64 vcc, |v8|, s36
	v_cndmask_b32_e32 v8, v8, v14, vcc
	v_sub_f32_e32 v8, v8, v13
	v_mul_f32_e32 v14, 0.5, v8
	v_max_f32_e64 v8, |v3|, |v3|
	v_max_f32_e64 v13, |v2|, |v2|
	v_min_f32_e32 v15, v13, v8
	v_max_f32_e32 v8, v13, v8
	v_frexp_mant_f32_e32 v13, v8
	v_rcp_f32_e32 v13, v13
	v_frexp_exp_i32_f32_e32 v8, v8
	v_frexp_exp_i32_f32_e32 v16, v15
	v_frexp_mant_f32_e32 v15, v15
	v_mul_f32_e32 v13, v15, v13
	v_sub_u32_e32 v8, v16, v8
	v_ldexp_f32 v8, v13, v8
	v_mul_f32_e32 v13, v8, v8
	v_mov_b32_e32 v15, 0xbc7a590c
	v_fmac_f32_e32 v15, 0x3b2d2a58, v13
	v_fma_f32 v15, v13, v15, v28
	v_fma_f32 v15, v13, v15, v29
	;; [unrolled: 1-line block ×6, first 2 shown]
	v_mul_f32_e32 v13, v13, v15
	v_fmac_f32_e32 v8, v8, v13
	v_sub_f32_e32 v13, 0x3fc90fdb, v8
	v_cndmask_b32_e64 v8, v8, v13, s[0:1]
	v_sub_f32_e32 v13, 0x40490fdb, v8
	v_cmp_gt_f32_e32 vcc, 0, v2
	v_cndmask_b32_e32 v8, v8, v13, vcc
	v_cndmask_b32_e64 v13, 0, v36, s[2:3]
	v_cmp_eq_f32_e64 s[2:3], 0, v3
	v_cndmask_b32_e64 v8, v8, v13, s[2:3]
	v_cmp_class_f32_e64 s[2:3], v2, s38
	v_cndmask_b32_e32 v13, v37, v38, vcc
	s_and_b64 vcc, s[2:3], s[24:25]
	v_cndmask_b32_e32 v8, v8, v13, vcc
                                        ; implicit-def: $vgpr16_vgpr17
.LBB175_239:                            ;   in Loop: Header=BB175_162 Depth=1
	s_andn2_saveexec_b64 s[22:23], s[22:23]
	s_cbranch_execz .LBB175_243
; %bb.240:                              ;   in Loop: Header=BB175_162 Depth=1
	v_and_b32_e32 v23, 0x7fff0000, v16
	v_and_b32_e32 v22, 0x7fff0000, v17
	v_pk_add_f32 v[14:15], v[16:17], v[22:23] op_sel:[1,0] op_sel_hi:[0,1] neg_lo:[0,1] neg_hi:[0,1]
	v_and_b32_e32 v43, 0xffff0000, v15
	v_and_b32_e32 v42, 0xffff0000, v14
	v_pk_add_f32 v[44:45], v[14:15], v[42:43] neg_lo:[0,1] neg_hi:[0,1]
	v_pk_mul_f32 v[14:15], v[22:23], v[22:23]
	v_add_f32_e32 v19, v22, v22
	v_add_f32_e32 v22, v23, v23
	v_mul_f32_e32 v13, v19, v42
	v_mul_f32_e32 v8, v22, v43
	;; [unrolled: 1-line block ×4, first 2 shown]
	v_add_f32_e32 v22, v42, v42
	v_mul_f32_e32 v25, v22, v44
	v_add_f32_e32 v22, v43, v43
	v_pk_mul_f32 v[16:17], v[42:43], v[42:43]
	v_mul_f32_e32 v42, v22, v45
	v_pk_mul_f32 v[22:23], v[44:45], v[44:45]
	s_mov_b64 s[24:25], 0
.LBB175_241:                            ;   Parent Loop BB175_162 Depth=1
                                        ; =>  This Inner Loop Header: Depth=2
	v_cmp_nlt_f32_e32 vcc, v14, v15
	v_cndmask_b32_e32 v43, v14, v15, vcc
	v_cmp_nlt_f32_e64 s[2:3], v43, v13
	v_cndmask_b32_e64 v44, v43, v13, s[2:3]
	v_cndmask_b32_e32 v14, v15, v14, vcc
	s_and_b64 s[46:47], vcc, s[2:3]
	v_cmp_nlt_f32_e32 vcc, v44, v8
	v_cndmask_b32_e64 v15, v13, v43, s[2:3]
	v_cndmask_b32_e32 v43, v44, v8, vcc
	v_cmp_nlt_f32_e64 s[2:3], v43, v16
	v_cndmask_b32_e32 v13, v8, v44, vcc
	v_cndmask_b32_e64 v44, v43, v16, s[2:3]
	s_and_b64 s[48:49], vcc, s[2:3]
	v_cmp_nlt_f32_e32 vcc, v44, v17
	v_cndmask_b32_e64 v8, v16, v43, s[2:3]
	v_cndmask_b32_e32 v43, v44, v17, vcc
	v_cmp_nlt_f32_e64 s[2:3], v43, v24
	v_cndmask_b32_e32 v16, v17, v44, vcc
	v_cndmask_b32_e64 v44, v43, v24, s[2:3]
	v_cndmask_b32_e64 v17, v24, v43, s[2:3]
	s_and_b64 s[2:3], vcc, s[2:3]
	v_cmp_nlt_f32_e32 vcc, v44, v19
	v_cndmask_b32_e32 v43, v44, v19, vcc
	v_cndmask_b32_e32 v24, v19, v44, vcc
	s_and_b64 s[2:3], s[2:3], vcc
	v_cmp_nlt_f32_e32 vcc, v43, v25
	v_cndmask_b32_e32 v44, v43, v25, vcc
	v_cndmask_b32_e32 v19, v25, v43, vcc
	s_and_b64 s[2:3], s[2:3], vcc
	;; [unrolled: 4-line block ×4, first 2 shown]
	v_cmp_nlt_f32_e32 vcc, v44, v23
	s_and_b64 s[2:3], s[2:3], vcc
	s_and_b64 s[2:3], s[2:3], s[48:49]
	s_and_b64 s[2:3], s[2:3], s[46:47]
	s_and_b64 s[2:3], exec, s[2:3]
	v_cndmask_b32_e32 v22, v23, v44, vcc
	s_or_b64 s[24:25], s[2:3], s[24:25]
	v_cndmask_b32_e32 v23, v44, v23, vcc
	s_andn2_b64 exec, exec, s[24:25]
	s_cbranch_execnz .LBB175_241
; %bb.242:                              ;   in Loop: Header=BB175_162 Depth=1
	s_or_b64 exec, exec, s[24:25]
	v_add_f32_e32 v14, -1.0, v14
	v_add_f32_e32 v14, v14, v15
	v_add_f32_e32 v13, v14, v13
	;; [unrolled: 1-line block ×11, first 2 shown]
	v_add_f32_e32 v17, 1.0, v14
	v_add_f32_e32 v15, -1.0, v17
	v_mov_b32_e32 v16, v15
	v_pk_add_f32 v[22:23], v[14:15], v[16:17] neg_lo:[0,1] neg_hi:[0,1]
	v_add_f32_e32 v8, 1.0, v23
	v_add_f32_e32 v8, v22, v8
	v_frexp_mant_f32_e32 v13, v17
	v_cvt_f64_f32_e32 v[22:23], v17
	v_frexp_exp_i32_f64_e32 v15, v[22:23]
	v_cmp_gt_f32_e32 vcc, s34, v13
	v_subbrev_co_u32_e32 v13, vcc, 0, v15, vcc
	v_sub_u32_e32 v15, 0, v13
	v_ldexp_f32 v16, v17, v15
	v_ldexp_f32 v8, v8, v15
	v_add_f32_e32 v15, -1.0, v16
	v_add_f32_e32 v17, 1.0, v15
	v_sub_f32_e32 v17, v16, v17
	v_add_f32_e32 v19, v8, v17
	v_add_f32_e32 v17, 1.0, v16
	v_add_f32_e32 v22, -1.0, v17
	v_sub_f32_e32 v16, v16, v22
	v_add_f32_e32 v8, v8, v16
	v_add_f32_e32 v44, v17, v8
	v_rcp_f32_e32 v45, v44
	v_sub_f32_e32 v16, v44, v17
	v_add_f32_e32 v17, v15, v19
	v_sub_f32_e32 v15, v17, v15
	v_sub_f32_e32 v15, v19, v15
	v_mul_f32_e32 v19, v17, v45
	v_mul_f32_e32 v22, v44, v19
	v_sub_f32_e32 v8, v8, v16
	v_fma_f32 v24, v19, v44, -v22
	v_fmac_f32_e32 v24, v19, v8
	v_add_f32_e32 v16, v22, v24
	v_sub_f32_e32 v23, v17, v16
	v_pk_add_f32 v[42:43], v[16:17], v[22:23] neg_lo:[0,1] neg_hi:[0,1]
	v_mov_b32_e32 v25, v16
	v_pk_add_f32 v[16:17], v[42:43], v[24:25] neg_lo:[0,1] neg_hi:[0,1]
	v_add_f32_e32 v15, v15, v17
	v_add_f32_e32 v15, v16, v15
	;; [unrolled: 1-line block ×3, first 2 shown]
	v_mul_f32_e32 v46, v45, v17
	v_mul_f32_e32 v22, v44, v46
	v_fma_f32 v24, v46, v44, -v22
	v_fmac_f32_e32 v24, v46, v8
	v_add_f32_e32 v16, v22, v24
	v_sub_f32_e32 v8, v23, v17
	v_sub_f32_e32 v23, v17, v16
	v_pk_add_f32 v[42:43], v[16:17], v[22:23] neg_lo:[0,1] neg_hi:[0,1]
	v_mov_b32_e32 v25, v16
	v_add_f32_e32 v8, v15, v8
	v_pk_add_f32 v[16:17], v[42:43], v[24:25] neg_lo:[0,1] neg_hi:[0,1]
	v_add_f32_e32 v8, v8, v17
	v_add_f32_e32 v8, v16, v8
	;; [unrolled: 1-line block ×4, first 2 shown]
	v_sub_f32_e32 v16, v15, v19
	v_mul_f32_e32 v8, v45, v8
	v_sub_f32_e32 v16, v46, v16
	v_add_f32_e32 v8, v16, v8
	v_add_f32_e32 v17, v15, v8
	v_mul_f32_e32 v22, v17, v17
	v_mov_b32_e32 v16, 0x3ecc95a3
	v_fmac_f32_e32 v16, 0x3e9b6dac, v22
	v_fma_f32 v19, v22, v16, v27
	v_cvt_f32_i32_e32 v16, v13
	v_sub_f32_e32 v13, v17, v15
	v_ldexp_f32 v23, v17, 1
	v_mul_f32_e32 v17, v17, v22
	v_pk_mul_f32 v[24:25], v[16:17], v[18:19]
	v_fma_f32 v22, v16, s35, -v24
	v_fmac_f32_e32 v22, 0xb102e308, v16
	v_pk_add_f32 v[16:17], v[24:25], v[22:23]
	v_sub_f32_e32 v8, v8, v13
	v_sub_f32_e32 v13, v17, v23
	v_ldexp_f32 v8, v8, 1
	v_sub_f32_e32 v13, v25, v13
	v_add_f32_e32 v43, v8, v13
	v_mov_b32_e32 v42, v24
	v_pk_add_f32 v[24:25], v[16:17], v[24:25] neg_lo:[0,1] neg_hi:[0,1]
	v_pk_add_f32 v[44:45], v[16:17], v[42:43]
	v_mov_b32_e32 v25, v45
	v_mov_b32_e32 v23, v16
	v_pk_add_f32 v[46:47], v[22:23], v[24:25] neg_lo:[0,1] neg_hi:[0,1]
	v_pk_add_f32 v[22:23], v[22:23], v[24:25]
	v_mov_b32_e32 v8, v23
	v_pk_add_f32 v[24:25], v[8:9], v[16:17] neg_lo:[0,1] neg_hi:[0,1]
	v_mov_b32_e32 v13, v24
	v_pk_add_f32 v[48:49], v[44:45], v[12:13] neg_lo:[0,1] neg_hi:[0,1]
	v_mov_b32_e32 v22, v45
	v_mov_b32_e32 v44, v17
	;; [unrolled: 1-line block ×4, first 2 shown]
	v_pk_add_f32 v[22:23], v[22:23], v[44:45] neg_lo:[0,1] neg_hi:[0,1]
	v_mov_b32_e32 v24, v43
	v_mov_b32_e32 v25, v16
	v_pk_add_f32 v[16:17], v[24:25], v[22:23] neg_lo:[0,1] neg_hi:[0,1]
	v_mov_b32_e32 v48, v46
	v_pk_add_f32 v[22:23], v[48:49], v[16:17]
	v_mov_b32_e32 v24, v23
	v_pk_add_f32 v[24:25], v[22:23], v[24:25]
	v_pk_add_f32 v[42:43], v[8:9], v[24:25]
	v_mov_b32_e32 v23, v42
	v_pk_add_f32 v[44:45], v[22:23], v[46:47] neg_lo:[0,1] neg_hi:[0,1]
	v_mov_b32_e32 v17, v24
	v_sub_f32_e32 v8, v22, v44
	v_pk_add_f32 v[16:17], v[16:17], v[44:45] neg_lo:[0,1] neg_hi:[0,1]
	v_sub_f32_e32 v8, v46, v8
	v_add_f32_e32 v8, v16, v8
	v_add_f32_e32 v8, v8, v17
	;; [unrolled: 1-line block ×3, first 2 shown]
	v_cmp_eq_f32_e32 vcc, s36, v14
	v_cndmask_b32_e32 v8, v8, v14, vcc
	v_cmp_ngt_f32_e32 vcc, -1.0, v14
	v_cndmask_b32_e32 v8, v34, v8, vcc
	v_cmp_neq_f32_e32 vcc, -1.0, v14
	v_cndmask_b32_e32 v8, v35, v8, vcc
	v_cmp_lt_f32_e64 vcc, |v14|, s37
	v_cndmask_b32_e32 v8, v8, v14, vcc
	v_mul_f32_e32 v14, 0.5, v8
	v_max_f32_e64 v8, |v3|, |v3|
	v_max_f32_e64 v13, |v2|, |v2|
	v_min_f32_e32 v15, v13, v8
	v_max_f32_e32 v8, v13, v8
	v_frexp_mant_f32_e32 v13, v8
	v_rcp_f32_e32 v13, v13
	v_frexp_exp_i32_f32_e32 v8, v8
	v_frexp_exp_i32_f32_e32 v16, v15
	v_frexp_mant_f32_e32 v15, v15
	v_mul_f32_e32 v13, v15, v13
	v_sub_u32_e32 v8, v16, v8
	v_ldexp_f32 v8, v13, v8
	v_mul_f32_e32 v13, v8, v8
	v_mov_b32_e32 v15, 0xbc7a590c
	v_fmac_f32_e32 v15, 0x3b2d2a58, v13
	v_fma_f32 v15, v13, v15, v28
	v_fma_f32 v15, v13, v15, v29
	v_fma_f32 v15, v13, v15, v30
	v_fma_f32 v15, v13, v15, v31
	v_fma_f32 v15, v13, v15, v32
	v_fma_f32 v15, v13, v15, v33
	v_mul_f32_e32 v13, v13, v15
	v_fmac_f32_e32 v8, v8, v13
	v_sub_f32_e32 v13, 0x3fc90fdb, v8
	v_cndmask_b32_e64 v8, v8, v13, s[0:1]
	v_sub_f32_e32 v13, 0x40490fdb, v8
	v_cmp_gt_f32_e32 vcc, 0, v2
	v_cmp_gt_i32_e64 s[2:3], 0, v2
	v_cndmask_b32_e32 v8, v8, v13, vcc
	v_cndmask_b32_e64 v13, 0, v36, s[2:3]
	v_cmp_eq_f32_e64 s[2:3], 0, v3
	v_cndmask_b32_e64 v8, v8, v13, s[2:3]
	v_cmp_class_f32_e64 s[2:3], v2, s38
	v_cmp_class_f32_e64 s[24:25], v3, s38
	v_cndmask_b32_e32 v13, v37, v38, vcc
	s_and_b64 vcc, s[2:3], s[24:25]
	v_cndmask_b32_e32 v8, v8, v13, vcc
.LBB175_243:                            ;   in Loop: Header=BB175_162 Depth=1
	s_or_b64 exec, exec, s[22:23]
.LBB175_244:                            ;   in Loop: Header=BB175_162 Depth=1
	s_or_b64 exec, exec, s[20:21]
.LBB175_245:                            ;   in Loop: Header=BB175_162 Depth=1
	s_andn2_saveexec_b64 s[18:19], s[18:19]
	s_cbranch_execz .LBB175_247
; %bb.246:                              ;   in Loop: Header=BB175_162 Depth=1
	v_max_f32_e64 v8, |v3|, |v3|
	v_max_f32_e64 v13, |v2|, |v2|
	v_max_f32_e32 v16, v13, v8
	v_cvt_f64_f32_e32 v[14:15], v16
	v_frexp_exp_i32_f64_e32 v14, v[14:15]
	v_sub_u32_e32 v15, 0, v14
	v_ldexp_f32 v17, |v2|, v15
	v_ldexp_f32 v15, |v3|, v15
	v_mul_f32_e32 v15, v15, v15
	v_fmac_f32_e32 v15, v17, v17
	v_sqrt_f32_e32 v15, v15
	v_cmp_neq_f32_e32 vcc, s36, v16
	v_min_f32_e32 v8, v13, v8
	v_frexp_mant_f32_e32 v13, v16
	v_ldexp_f32 v14, v15, v14
	v_cndmask_b32_e32 v14, v41, v14, vcc
	v_cmp_gt_f32_e32 vcc, s40, v14
	v_cndmask_b32_e32 v15, 1.0, v39, vcc
	v_mul_f32_e32 v14, v14, v15
	v_log_f32_e32 v14, v14
	v_rcp_f32_e32 v13, v13
	v_cndmask_b32_e32 v15, 0, v40, vcc
	v_cmp_gt_i32_e64 s[2:3], 0, v2
	v_mul_f32_e32 v17, 0x3f317217, v14
	v_fma_f32 v19, v14, s41, -v17
	v_fmac_f32_e32 v19, 0x3377d1cf, v14
	v_add_f32_e32 v17, v17, v19
	v_cmp_lt_f32_e64 vcc, |v14|, s36
	v_cndmask_b32_e32 v14, v14, v17, vcc
	v_sub_f32_e32 v14, v14, v15
	v_frexp_exp_i32_f32_e32 v15, v16
	v_frexp_exp_i32_f32_e32 v16, v8
	v_frexp_mant_f32_e32 v8, v8
	v_mul_f32_e32 v8, v8, v13
	v_sub_u32_e32 v13, v16, v15
	v_ldexp_f32 v8, v8, v13
	v_mul_f32_e32 v13, v8, v8
	v_mov_b32_e32 v15, 0xbc7a590c
	v_fmac_f32_e32 v15, 0x3b2d2a58, v13
	v_fma_f32 v15, v13, v15, v28
	v_fma_f32 v15, v13, v15, v29
	;; [unrolled: 1-line block ×6, first 2 shown]
	v_mul_f32_e32 v13, v13, v15
	v_fmac_f32_e32 v8, v8, v13
	v_sub_f32_e32 v13, 0x3fc90fdb, v8
	v_cndmask_b32_e64 v8, v8, v13, s[0:1]
	v_sub_f32_e32 v13, 0x40490fdb, v8
	v_cmp_gt_f32_e32 vcc, 0, v2
	v_cndmask_b32_e32 v8, v8, v13, vcc
	v_cndmask_b32_e64 v13, 0, v36, s[2:3]
	v_cmp_eq_f32_e64 s[2:3], 0, v3
	v_cndmask_b32_e64 v8, v8, v13, s[2:3]
	v_cmp_class_f32_e64 s[2:3], v2, s38
	v_cmp_class_f32_e64 s[20:21], v3, s38
	v_cndmask_b32_e32 v13, v37, v38, vcc
	s_and_b64 vcc, s[2:3], s[20:21]
	v_cndmask_b32_e32 v8, v8, v13, vcc
.LBB175_247:                            ;   in Loop: Header=BB175_162 Depth=1
	s_or_b64 exec, exec, s[18:19]
                                        ; implicit-def: $vgpr16
.LBB175_248:                            ;   in Loop: Header=BB175_162 Depth=1
	s_andn2_saveexec_b64 s[16:17], s[16:17]
	s_cbranch_execz .LBB175_254
; %bb.249:                              ;   in Loop: Header=BB175_162 Depth=1
	v_cmp_ngt_f32_e32 vcc, s42, v16
                                        ; implicit-def: $vgpr14
                                        ; implicit-def: $vgpr8
	s_and_saveexec_b64 s[2:3], vcc
	s_xor_b64 s[18:19], exec, s[2:3]
	s_cbranch_execz .LBB175_251
; %bb.250:                              ;   in Loop: Header=BB175_162 Depth=1
	v_pk_mul_f32 v[14:15], v[16:17], v[16:17]
	v_add_f32_e32 v17, 1.0, v14
	v_add_f32_e32 v15, -1.0, v17
	v_mov_b32_e32 v16, v15
	v_pk_add_f32 v[22:23], v[14:15], v[16:17] neg_lo:[0,1] neg_hi:[0,1]
	v_add_f32_e32 v8, 1.0, v23
	v_add_f32_e32 v8, v22, v8
	v_frexp_mant_f32_e32 v13, v17
	v_cvt_f64_f32_e32 v[22:23], v17
	v_frexp_exp_i32_f64_e32 v15, v[22:23]
	v_cmp_gt_f32_e32 vcc, s34, v13
	v_subbrev_co_u32_e32 v13, vcc, 0, v15, vcc
	v_sub_u32_e32 v15, 0, v13
	v_ldexp_f32 v16, v17, v15
	v_ldexp_f32 v8, v8, v15
	v_add_f32_e32 v15, -1.0, v16
	v_add_f32_e32 v17, 1.0, v15
	v_sub_f32_e32 v17, v16, v17
	v_add_f32_e32 v19, v8, v17
	v_add_f32_e32 v17, 1.0, v16
	v_add_f32_e32 v22, -1.0, v17
	v_sub_f32_e32 v16, v16, v22
	v_add_f32_e32 v8, v8, v16
	v_add_f32_e32 v44, v17, v8
	v_rcp_f32_e32 v45, v44
	v_sub_f32_e32 v16, v17, v44
	v_add_f32_e32 v17, v15, v19
	v_sub_f32_e32 v15, v15, v17
	v_add_f32_e32 v15, v19, v15
	v_mul_f32_e32 v19, v17, v45
	v_mul_f32_e32 v22, v44, v19
	v_add_f32_e32 v8, v8, v16
	v_fma_f32 v24, v19, v44, -v22
	v_fmac_f32_e32 v24, v19, v8
	v_add_f32_e32 v16, v22, v24
	v_sub_f32_e32 v23, v17, v16
	v_pk_add_f32 v[42:43], v[16:17], v[22:23] neg_lo:[0,1] neg_hi:[0,1]
	v_mov_b32_e32 v25, v16
	v_pk_add_f32 v[16:17], v[42:43], v[24:25] neg_lo:[0,1] neg_hi:[0,1]
	v_add_f32_e32 v15, v15, v17
	v_add_f32_e32 v15, v16, v15
	v_add_f32_e32 v17, v23, v15
	v_mul_f32_e32 v46, v45, v17
	v_mul_f32_e32 v22, v44, v46
	v_fma_f32 v24, v46, v44, -v22
	v_fmac_f32_e32 v24, v46, v8
	v_add_f32_e32 v16, v22, v24
	v_sub_f32_e32 v8, v23, v17
	v_sub_f32_e32 v23, v17, v16
	v_pk_add_f32 v[42:43], v[16:17], v[22:23] neg_lo:[0,1] neg_hi:[0,1]
	v_mov_b32_e32 v25, v16
	v_add_f32_e32 v8, v15, v8
	v_pk_add_f32 v[16:17], v[42:43], v[24:25] neg_lo:[0,1] neg_hi:[0,1]
	v_add_f32_e32 v8, v8, v17
	v_add_f32_e32 v8, v16, v8
	;; [unrolled: 1-line block ×4, first 2 shown]
	v_sub_f32_e32 v16, v15, v19
	v_mul_f32_e32 v8, v45, v8
	v_sub_f32_e32 v16, v46, v16
	v_add_f32_e32 v8, v16, v8
	v_add_f32_e32 v17, v15, v8
	v_mul_f32_e32 v22, v17, v17
	v_mov_b32_e32 v16, 0x3ecc95a3
	v_fmac_f32_e32 v16, 0x3e9b6dac, v22
	v_fma_f32 v19, v22, v16, v27
	v_cvt_f32_i32_e32 v16, v13
	v_sub_f32_e32 v13, v17, v15
	v_ldexp_f32 v23, v17, 1
	v_mul_f32_e32 v17, v17, v22
	v_pk_mul_f32 v[24:25], v[16:17], v[18:19]
	v_fma_f32 v22, v16, s35, -v24
	v_fmac_f32_e32 v22, 0xb102e308, v16
	v_pk_add_f32 v[16:17], v[24:25], v[22:23]
	v_sub_f32_e32 v8, v8, v13
	v_sub_f32_e32 v13, v17, v23
	v_ldexp_f32 v8, v8, 1
	v_sub_f32_e32 v13, v25, v13
	v_add_f32_e32 v43, v8, v13
	v_mov_b32_e32 v42, v24
	v_pk_add_f32 v[24:25], v[16:17], v[24:25] neg_lo:[0,1] neg_hi:[0,1]
	v_pk_add_f32 v[44:45], v[16:17], v[42:43]
	v_mov_b32_e32 v25, v45
	v_mov_b32_e32 v23, v16
	v_pk_add_f32 v[46:47], v[22:23], v[24:25] neg_lo:[0,1] neg_hi:[0,1]
	v_pk_add_f32 v[22:23], v[22:23], v[24:25]
	v_mov_b32_e32 v8, v23
	v_pk_add_f32 v[24:25], v[8:9], v[16:17] neg_lo:[0,1] neg_hi:[0,1]
	v_mov_b32_e32 v13, v24
	v_pk_add_f32 v[48:49], v[44:45], v[12:13] neg_lo:[0,1] neg_hi:[0,1]
	v_mov_b32_e32 v22, v45
	v_mov_b32_e32 v44, v17
	;; [unrolled: 1-line block ×4, first 2 shown]
	v_pk_add_f32 v[22:23], v[22:23], v[44:45] neg_lo:[0,1] neg_hi:[0,1]
	v_mov_b32_e32 v24, v43
	v_mov_b32_e32 v25, v16
	v_pk_add_f32 v[16:17], v[24:25], v[22:23] neg_lo:[0,1] neg_hi:[0,1]
	v_mov_b32_e32 v48, v46
	v_pk_add_f32 v[22:23], v[48:49], v[16:17]
	v_mov_b32_e32 v24, v23
	v_pk_add_f32 v[24:25], v[22:23], v[24:25]
	v_pk_add_f32 v[42:43], v[8:9], v[24:25]
	v_mov_b32_e32 v23, v42
	v_pk_add_f32 v[44:45], v[22:23], v[46:47] neg_lo:[0,1] neg_hi:[0,1]
	v_mov_b32_e32 v17, v24
	v_sub_f32_e32 v8, v22, v44
	v_pk_add_f32 v[16:17], v[16:17], v[44:45] neg_lo:[0,1] neg_hi:[0,1]
	v_sub_f32_e32 v8, v46, v8
	v_add_f32_e32 v8, v16, v8
	v_add_f32_e32 v8, v8, v17
	v_cmp_eq_f32_e32 vcc, s36, v14
	v_cmp_lt_f32_e64 s[2:3], |v14|, s37
	v_add_f32_e32 v8, v42, v8
	s_or_b64 vcc, vcc, s[2:3]
	v_cndmask_b32_e32 v8, v8, v14, vcc
	v_mul_f32_e32 v14, 0.5, v8
	v_max_f32_e64 v8, |v3|, |v3|
	v_max_f32_e64 v13, |v2|, |v2|
	v_min_f32_e32 v15, v13, v8
	v_max_f32_e32 v8, v13, v8
	v_frexp_mant_f32_e32 v13, v8
	v_rcp_f32_e32 v13, v13
	v_frexp_exp_i32_f32_e32 v8, v8
	v_frexp_exp_i32_f32_e32 v16, v15
	v_frexp_mant_f32_e32 v15, v15
	v_mul_f32_e32 v13, v15, v13
	v_sub_u32_e32 v8, v16, v8
	v_ldexp_f32 v8, v13, v8
	v_mul_f32_e32 v13, v8, v8
	v_mov_b32_e32 v15, 0xbc7a590c
	v_fmac_f32_e32 v15, 0x3b2d2a58, v13
	v_fma_f32 v15, v13, v15, v28
	v_fma_f32 v15, v13, v15, v29
	;; [unrolled: 1-line block ×6, first 2 shown]
	v_mul_f32_e32 v13, v13, v15
	v_fmac_f32_e32 v8, v8, v13
	v_sub_f32_e32 v13, 0x3fc90fdb, v8
	v_cndmask_b32_e64 v8, v8, v13, s[0:1]
	v_sub_f32_e32 v13, 0x40490fdb, v8
	v_cmp_gt_f32_e32 vcc, 0, v2
	v_cmp_gt_i32_e64 s[2:3], 0, v2
	v_cndmask_b32_e32 v8, v8, v13, vcc
	v_cndmask_b32_e64 v13, 0, v36, s[2:3]
	v_cmp_eq_f32_e64 s[2:3], 0, v3
	v_cndmask_b32_e64 v8, v8, v13, s[2:3]
	v_cmp_class_f32_e64 s[2:3], v2, s38
	v_cmp_class_f32_e64 s[20:21], v3, s38
	v_cndmask_b32_e32 v13, v37, v38, vcc
	s_and_b64 vcc, s[2:3], s[20:21]
	v_cndmask_b32_e32 v8, v8, v13, vcc
                                        ; implicit-def: $vgpr16
.LBB175_251:                            ;   in Loop: Header=BB175_162 Depth=1
	s_andn2_saveexec_b64 s[18:19], s[18:19]
	s_cbranch_execz .LBB175_253
; %bb.252:                              ;   in Loop: Header=BB175_162 Depth=1
	v_mul_f32_e32 v8, 0.5, v16
	v_mul_f32_e32 v14, v16, v8
	v_max_f32_e64 v8, |v3|, |v3|
	v_max_f32_e64 v13, |v2|, |v2|
	v_min_f32_e32 v15, v13, v8
	v_max_f32_e32 v8, v13, v8
	v_frexp_mant_f32_e32 v13, v8
	v_rcp_f32_e32 v13, v13
	v_frexp_exp_i32_f32_e32 v8, v8
	v_frexp_exp_i32_f32_e32 v16, v15
	v_frexp_mant_f32_e32 v15, v15
	v_mul_f32_e32 v13, v15, v13
	v_sub_u32_e32 v8, v16, v8
	v_ldexp_f32 v8, v13, v8
	v_mul_f32_e32 v13, v8, v8
	v_mov_b32_e32 v15, 0xbc7a590c
	v_fmac_f32_e32 v15, 0x3b2d2a58, v13
	v_fma_f32 v15, v13, v15, v28
	v_fma_f32 v15, v13, v15, v29
	;; [unrolled: 1-line block ×6, first 2 shown]
	v_mul_f32_e32 v13, v13, v15
	v_fmac_f32_e32 v8, v8, v13
	v_sub_f32_e32 v13, 0x3fc90fdb, v8
	v_cndmask_b32_e64 v8, v8, v13, s[0:1]
	v_sub_f32_e32 v13, 0x40490fdb, v8
	v_cmp_gt_f32_e32 vcc, 0, v2
	v_cmp_gt_i32_e64 s[2:3], 0, v2
	v_cndmask_b32_e32 v8, v8, v13, vcc
	v_cndmask_b32_e64 v13, 0, v36, s[2:3]
	v_cmp_eq_f32_e64 s[2:3], 0, v3
	v_cndmask_b32_e64 v8, v8, v13, s[2:3]
	v_cmp_class_f32_e64 s[2:3], v2, s38
	v_cmp_class_f32_e64 s[20:21], v3, s38
	v_cndmask_b32_e32 v13, v37, v38, vcc
	s_and_b64 vcc, s[2:3], s[20:21]
	v_cndmask_b32_e32 v8, v8, v13, vcc
.LBB175_253:                            ;   in Loop: Header=BB175_162 Depth=1
	s_or_b64 exec, exec, s[18:19]
.LBB175_254:                            ;   in Loop: Header=BB175_162 Depth=1
	s_or_b64 exec, exec, s[16:17]
.LBB175_255:                            ;   in Loop: Header=BB175_162 Depth=1
	s_andn2_saveexec_b64 s[12:13], s[12:13]
	s_cbranch_execz .LBB175_257
; %bb.256:                              ;   in Loop: Header=BB175_162 Depth=1
	v_div_scale_f32 v8, s[2:3], s43, s43, v2
	v_rcp_f32_e32 v13, v8
	v_div_scale_f32 v14, vcc, v2, s43, v2
	v_fma_f32 v15, -v8, v13, 1.0
	v_fmac_f32_e32 v13, v15, v13
	v_mul_f32_e32 v15, v14, v13
	v_fma_f32 v16, -v8, v15, v14
	v_fmac_f32_e32 v15, v16, v13
	v_fma_f32 v8, -v8, v15, v14
	v_div_scale_f32 v14, s[2:3], s43, s43, v3
	v_rcp_f32_e32 v16, v14
	v_div_fmas_f32 v8, v8, v13, v15
	v_div_fixup_f32 v8, v8, s43, v2
	v_fma_f32 v13, -v14, v16, 1.0
	v_fmac_f32_e32 v16, v13, v16
	v_div_scale_f32 v13, vcc, v3, s43, v3
	v_mul_f32_e32 v15, v13, v16
	v_fma_f32 v17, -v14, v15, v13
	v_fmac_f32_e32 v15, v17, v16
	v_fma_f32 v13, -v14, v15, v13
	v_div_fmas_f32 v13, v13, v16, v15
	v_div_fixup_f32 v13, v13, s43, v3
	v_max_f32_e64 v16, |v8|, |v13|
	v_cvt_f64_f32_e32 v[14:15], v16
	v_frexp_exp_i32_f64_e32 v14, v[14:15]
	v_sub_u32_e32 v15, 0, v14
	v_ldexp_f32 v13, |v13|, v15
	v_ldexp_f32 v8, |v8|, v15
	v_mul_f32_e32 v13, v13, v13
	v_fmac_f32_e32 v13, v8, v8
	v_sqrt_f32_e32 v8, v13
	v_cmp_neq_f32_e32 vcc, s36, v16
	v_ldexp_f32 v8, v8, v14
	v_cndmask_b32_e32 v8, v41, v8, vcc
	v_cmp_gt_f32_e32 vcc, s40, v8
	v_cndmask_b32_e32 v13, 1.0, v39, vcc
	v_mul_f32_e32 v8, v8, v13
	v_log_f32_e32 v8, v8
	v_mul_f32_e32 v13, 0x3f317217, v8
	v_fma_f32 v14, v8, s41, -v13
	v_fmac_f32_e32 v14, 0x3377d1cf, v8
	v_add_f32_e32 v13, v13, v14
	v_cmp_lt_f32_e64 s[2:3], |v8|, s36
	v_cndmask_b32_e64 v8, v8, v13, s[2:3]
	v_cndmask_b32_e32 v13, 0, v40, vcc
	v_sub_f32_e32 v8, v8, v13
	v_add_f32_e32 v14, 1.0, v8
	v_max_f32_e64 v8, |v3|, |v3|
	v_max_f32_e64 v13, |v2|, |v2|
	v_min_f32_e32 v15, v13, v8
	v_max_f32_e32 v8, v13, v8
	v_frexp_mant_f32_e32 v13, v8
	v_rcp_f32_e32 v13, v13
	v_frexp_exp_i32_f32_e32 v8, v8
	v_frexp_exp_i32_f32_e32 v16, v15
	v_frexp_mant_f32_e32 v15, v15
	v_mul_f32_e32 v13, v15, v13
	v_sub_u32_e32 v8, v16, v8
	v_ldexp_f32 v8, v13, v8
	v_mul_f32_e32 v13, v8, v8
	v_mov_b32_e32 v15, 0xbc7a590c
	v_fmac_f32_e32 v15, 0x3b2d2a58, v13
	v_fma_f32 v15, v13, v15, v28
	v_fma_f32 v15, v13, v15, v29
	;; [unrolled: 1-line block ×6, first 2 shown]
	v_mul_f32_e32 v13, v13, v15
	v_fmac_f32_e32 v8, v8, v13
	v_sub_f32_e32 v13, 0x3fc90fdb, v8
	v_cndmask_b32_e64 v8, v8, v13, s[0:1]
	v_sub_f32_e32 v13, 0x40490fdb, v8
	v_cmp_gt_f32_e32 vcc, 0, v2
	v_cmp_gt_i32_e64 s[0:1], 0, v2
	v_cndmask_b32_e32 v8, v8, v13, vcc
	v_cndmask_b32_e64 v13, 0, v36, s[0:1]
	v_cmp_eq_f32_e64 s[0:1], 0, v3
	v_cndmask_b32_e64 v8, v8, v13, s[0:1]
	v_cmp_class_f32_e64 s[0:1], v2, s38
	v_cmp_class_f32_e64 s[2:3], v3, s38
	v_cndmask_b32_e32 v13, v37, v38, vcc
	s_and_b64 vcc, s[0:1], s[2:3]
	v_cndmask_b32_e32 v8, v8, v13, vcc
.LBB175_257:                            ;   in Loop: Header=BB175_162 Depth=1
	s_or_b64 exec, exec, s[12:13]
.LBB175_258:                            ;   in Loop: Header=BB175_162 Depth=1
	s_andn2_saveexec_b64 s[0:1], s[10:11]
	s_cbranch_execz .LBB175_264
; %bb.259:                              ;   in Loop: Header=BB175_162 Depth=1
	v_cmp_nlt_f32_e64 s[2:3], |v2|, s44
	v_cmp_nlt_f32_e64 s[10:11], |v3|, s44
	s_or_b64 s[2:3], s[2:3], s[10:11]
                                        ; implicit-def: $vgpr8
	s_and_saveexec_b64 s[10:11], s[2:3]
	s_xor_b64 s[2:3], exec, s[10:11]
; %bb.260:                              ;   in Loop: Header=BB175_162 Depth=1
	v_pk_mul_f32 v[14:15], v[2:3], v[2:3]
	v_add_f32_e32 v8, v14, v15
; %bb.261:                              ;   in Loop: Header=BB175_162 Depth=1
	s_andn2_saveexec_b64 s[2:3], s[2:3]
; %bb.262:                              ;   in Loop: Header=BB175_162 Depth=1
	v_pk_mul_f32 v[14:15], v[2:3], 4.0 op_sel_hi:[1,0]
	v_pk_mul_f32 v[14:15], v[14:15], v[14:15]
	v_add_f32_e32 v2, v14, v15
	v_mul_f32_e32 v8, 0x3d800000, v2
; %bb.263:                              ;   in Loop: Header=BB175_162 Depth=1
	s_or_b64 exec, exec, s[2:3]
	v_cmp_gt_f32_e32 vcc, s40, v8
	v_cndmask_b32_e32 v2, 1.0, v39, vcc
	v_mul_f32_e32 v2, v8, v2
	v_log_f32_e32 v2, v2
	v_cndmask_b32_e32 v8, 0, v40, vcc
	v_mul_f32_e32 v13, 0x3f317217, v2
	v_fma_f32 v14, v2, s41, -v13
	v_fmac_f32_e32 v14, 0x3377d1cf, v2
	v_add_f32_e32 v13, v13, v14
	v_cmp_lt_f32_e64 vcc, |v2|, s36
	v_cndmask_b32_e32 v2, v2, v13, vcc
	v_sub_f32_e32 v14, v2, v8
	v_mov_b32_e32 v8, 0x7fc00000
.LBB175_264:                            ;   in Loop: Header=BB175_162 Depth=1
	s_or_b64 exec, exec, s[0:1]
	v_cmp_o_f32_e32 vcc, v5, v4
                                        ; implicit-def: $vgpr2
	s_and_saveexec_b64 s[0:1], vcc
	s_xor_b64 s[10:11], exec, s[0:1]
	s_cbranch_execz .LBB175_292
; %bb.265:                              ;   in Loop: Header=BB175_162 Depth=1
	v_cmp_lt_f32_e64 s[0:1], |v4|, |v5|
	v_cndmask_b32_e64 v13, v5, v4, s[0:1]
	v_cmp_ngt_f32_e64 s[2:3], |v13|, s29
                                        ; implicit-def: $vgpr2
	s_and_saveexec_b64 s[12:13], s[2:3]
	s_xor_b64 s[12:13], exec, s[12:13]
	s_cbranch_execz .LBB175_289
; %bb.266:                              ;   in Loop: Header=BB175_162 Depth=1
	v_cndmask_b32_e64 v2, v4, v5, s[0:1]
	v_and_b32_e32 v23, 0x7fffffff, v2
	v_and_b32_e32 v22, 0x7fffffff, v13
	v_cmp_neq_f32_e32 vcc, 1.0, v23
                                        ; implicit-def: $vgpr2
	s_and_saveexec_b64 s[2:3], vcc
	s_xor_b64 s[16:17], exec, s[2:3]
	s_cbranch_execz .LBB175_282
; %bb.267:                              ;   in Loop: Header=BB175_162 Depth=1
	v_max_f32_e32 v2, v22, v22
	v_max_f32_e32 v13, v23, v23
	v_min_f32_e32 v15, v13, v2
	v_max_f32_e32 v2, v13, v2
	v_cmp_ngt_f32_e32 vcc, s30, v15
	v_cmp_nlt_f32_e64 s[2:3], s31, v2
	s_and_b64 s[2:3], s[2:3], vcc
                                        ; implicit-def: $vgpr2
	s_and_saveexec_b64 s[18:19], s[2:3]
	s_xor_b64 s[18:19], exec, s[18:19]
	s_cbranch_execz .LBB175_279
; %bb.268:                              ;   in Loop: Header=BB175_162 Depth=1
	v_cmp_le_f32_e32 vcc, 1.0, v23
                                        ; implicit-def: $vgpr2
	s_and_saveexec_b64 s[2:3], vcc
	s_xor_b64 s[20:21], exec, s[2:3]
	s_cbranch_execz .LBB175_270
; %bb.269:                              ;   in Loop: Header=BB175_162 Depth=1
	v_pk_add_f32 v[16:17], v[22:23], s[6:7] op_sel:[1,0]
	v_mov_b32_e32 v2, v17
	v_pk_mul_f32 v[16:17], v[16:17], v[2:3]
	v_pk_fma_f32 v[16:17], v[22:23], v[22:23], v[16:17]
	v_add_f32_e32 v23, 1.0, v16
	v_add_f32_e32 v17, -1.0, v23
	v_mov_b32_e32 v22, v17
	v_pk_add_f32 v[24:25], v[16:17], v[22:23] neg_lo:[0,1] neg_hi:[0,1]
	v_add_f32_e32 v2, 1.0, v25
	v_add_f32_e32 v2, v24, v2
	v_frexp_mant_f32_e32 v13, v23
	v_cvt_f64_f32_e32 v[24:25], v23
	v_frexp_exp_i32_f64_e32 v15, v[24:25]
	v_cmp_gt_f32_e32 vcc, s34, v13
	v_subbrev_co_u32_e32 v13, vcc, 0, v15, vcc
	v_sub_u32_e32 v15, 0, v13
	v_ldexp_f32 v17, v23, v15
	v_ldexp_f32 v2, v2, v15
	v_add_f32_e32 v15, -1.0, v17
	v_add_f32_e32 v22, 1.0, v17
	v_add_f32_e32 v19, 1.0, v15
	v_add_f32_e32 v23, -1.0, v22
	v_sub_f32_e32 v19, v17, v19
	v_sub_f32_e32 v17, v17, v23
	v_add_f32_e32 v19, v2, v19
	v_add_f32_e32 v2, v2, v17
	;; [unrolled: 1-line block ×3, first 2 shown]
	v_rcp_f32_e32 v46, v17
	v_add_f32_e32 v23, v15, v19
	v_sub_f32_e32 v15, v23, v15
	v_sub_f32_e32 v15, v19, v15
	v_mul_f32_e32 v19, v23, v46
	v_sub_f32_e32 v22, v17, v22
	v_mul_f32_e32 v24, v17, v19
	v_sub_f32_e32 v2, v2, v22
	v_fma_f32 v42, v19, v17, -v24
	v_fmac_f32_e32 v42, v19, v2
	v_add_f32_e32 v22, v24, v42
	v_sub_f32_e32 v25, v23, v22
	v_pk_add_f32 v[44:45], v[22:23], v[24:25] neg_lo:[0,1] neg_hi:[0,1]
	v_mov_b32_e32 v43, v22
	v_pk_add_f32 v[22:23], v[44:45], v[42:43] neg_lo:[0,1] neg_hi:[0,1]
	v_add_f32_e32 v15, v15, v23
	v_add_f32_e32 v15, v22, v15
	;; [unrolled: 1-line block ×3, first 2 shown]
	v_mul_f32_e32 v47, v46, v23
	v_mul_f32_e32 v24, v17, v47
	v_fma_f32 v42, v47, v17, -v24
	v_fmac_f32_e32 v42, v47, v2
	v_add_f32_e32 v22, v24, v42
	v_sub_f32_e32 v2, v25, v23
	v_sub_f32_e32 v25, v23, v22
	v_pk_add_f32 v[44:45], v[22:23], v[24:25] neg_lo:[0,1] neg_hi:[0,1]
	v_mov_b32_e32 v43, v22
	v_add_f32_e32 v2, v15, v2
	v_pk_add_f32 v[22:23], v[44:45], v[42:43] neg_lo:[0,1] neg_hi:[0,1]
	v_add_f32_e32 v2, v2, v23
	v_add_f32_e32 v2, v22, v2
	;; [unrolled: 1-line block ×4, first 2 shown]
	v_sub_f32_e32 v17, v15, v19
	v_mul_f32_e32 v2, v46, v2
	v_sub_f32_e32 v17, v47, v17
	v_add_f32_e32 v2, v17, v2
	v_add_f32_e32 v17, v15, v2
	v_cvt_f32_i32_e32 v22, v13
	v_mul_f32_e32 v23, v17, v17
	v_mov_b32_e32 v19, 0x3ecc95a3
	v_fmac_f32_e32 v19, 0x3e9b6dac, v23
	v_fma_f32 v19, v23, v19, v27
	v_mul_f32_e32 v23, v17, v23
	v_pk_mul_f32 v[42:43], v[22:23], v[18:19]
	v_fma_f32 v24, v22, s35, -v42
	v_ldexp_f32 v25, v17, 1
	v_fmac_f32_e32 v24, 0xb102e308, v22
	v_sub_f32_e32 v13, v17, v15
	v_pk_add_f32 v[22:23], v[42:43], v[24:25]
	v_sub_f32_e32 v2, v2, v13
	v_sub_f32_e32 v13, v23, v25
	v_ldexp_f32 v2, v2, 1
	v_sub_f32_e32 v13, v43, v13
	v_add_f32_e32 v45, v2, v13
	v_mov_b32_e32 v44, v42
	v_pk_add_f32 v[42:43], v[22:23], v[42:43] neg_lo:[0,1] neg_hi:[0,1]
	v_pk_add_f32 v[46:47], v[22:23], v[44:45]
	v_mov_b32_e32 v43, v47
	v_mov_b32_e32 v25, v22
	v_pk_add_f32 v[48:49], v[24:25], v[42:43] neg_lo:[0,1] neg_hi:[0,1]
	v_pk_add_f32 v[24:25], v[24:25], v[42:43]
	v_mov_b32_e32 v2, v25
	v_pk_add_f32 v[42:43], v[2:3], v[22:23] neg_lo:[0,1] neg_hi:[0,1]
	v_mov_b32_e32 v13, v42
	v_pk_add_f32 v[50:51], v[46:47], v[12:13] neg_lo:[0,1] neg_hi:[0,1]
	v_mov_b32_e32 v24, v47
	v_mov_b32_e32 v46, v23
	;; [unrolled: 1-line block ×4, first 2 shown]
	v_pk_add_f32 v[24:25], v[24:25], v[46:47] neg_lo:[0,1] neg_hi:[0,1]
	v_mov_b32_e32 v42, v45
	v_mov_b32_e32 v43, v22
	v_pk_add_f32 v[22:23], v[42:43], v[24:25] neg_lo:[0,1] neg_hi:[0,1]
	v_mov_b32_e32 v50, v48
	v_pk_add_f32 v[24:25], v[50:51], v[22:23]
	v_mov_b32_e32 v42, v25
	v_pk_add_f32 v[42:43], v[24:25], v[42:43]
	v_pk_add_f32 v[44:45], v[2:3], v[42:43]
	v_mov_b32_e32 v25, v44
	v_pk_add_f32 v[46:47], v[24:25], v[48:49] neg_lo:[0,1] neg_hi:[0,1]
	v_mov_b32_e32 v23, v42
	v_sub_f32_e32 v2, v24, v46
	v_pk_add_f32 v[22:23], v[22:23], v[46:47] neg_lo:[0,1] neg_hi:[0,1]
	v_sub_f32_e32 v2, v48, v2
	v_add_f32_e32 v2, v22, v2
	v_add_f32_e32 v2, v2, v23
	;; [unrolled: 1-line block ×3, first 2 shown]
	v_cmp_eq_f32_e32 vcc, s36, v16
	v_cndmask_b32_e32 v2, v2, v16, vcc
	v_cmp_ngt_f32_e32 vcc, -1.0, v16
	v_cndmask_b32_e32 v2, v34, v2, vcc
	v_cmp_neq_f32_e32 vcc, -1.0, v16
	v_cndmask_b32_e32 v2, v35, v2, vcc
	v_cmp_lt_f32_e64 vcc, |v16|, s37
	v_cndmask_b32_e32 v2, v2, v16, vcc
	v_mul_f32_e32 v16, 0.5, v2
	v_max_f32_e64 v2, |v5|, |v5|
	v_max_f32_e64 v13, |v4|, |v4|
	v_min_f32_e32 v15, v13, v2
	v_max_f32_e32 v2, v13, v2
	v_frexp_mant_f32_e32 v13, v2
	v_rcp_f32_e32 v13, v13
	v_frexp_exp_i32_f32_e32 v2, v2
	v_frexp_exp_i32_f32_e32 v17, v15
	v_frexp_mant_f32_e32 v15, v15
	v_mul_f32_e32 v13, v15, v13
	v_sub_u32_e32 v2, v17, v2
	v_ldexp_f32 v2, v13, v2
	v_mul_f32_e32 v13, v2, v2
	v_mov_b32_e32 v15, 0xbc7a590c
	v_fmac_f32_e32 v15, 0x3b2d2a58, v13
	v_fma_f32 v15, v13, v15, v28
	v_fma_f32 v15, v13, v15, v29
	;; [unrolled: 1-line block ×6, first 2 shown]
	v_mul_f32_e32 v13, v13, v15
	v_fmac_f32_e32 v2, v2, v13
	v_sub_f32_e32 v13, 0x3fc90fdb, v2
	v_cndmask_b32_e64 v2, v2, v13, s[0:1]
	v_sub_f32_e32 v13, 0x40490fdb, v2
	v_cmp_gt_f32_e32 vcc, 0, v4
	v_cmp_gt_i32_e64 s[2:3], 0, v4
	v_cndmask_b32_e32 v2, v2, v13, vcc
	v_cndmask_b32_e64 v13, 0, v36, s[2:3]
	v_cmp_eq_f32_e64 s[2:3], 0, v5
	v_cndmask_b32_e64 v2, v2, v13, s[2:3]
	v_cmp_class_f32_e64 s[2:3], v4, s38
	v_cmp_class_f32_e64 s[22:23], v5, s38
	v_cndmask_b32_e32 v13, v37, v38, vcc
	s_and_b64 vcc, s[2:3], s[22:23]
	v_cndmask_b32_e32 v2, v2, v13, vcc
                                        ; implicit-def: $vgpr22_vgpr23
.LBB175_270:                            ;   in Loop: Header=BB175_162 Depth=1
	s_andn2_saveexec_b64 s[20:21], s[20:21]
	s_cbranch_execz .LBB175_278
; %bb.271:                              ;   in Loop: Header=BB175_162 Depth=1
	v_pk_mul_f32 v[16:17], v[22:23], v[22:23]
	v_add_f32_e32 v13, v17, v16
	v_cmp_ge_f32_e32 vcc, s39, v13
                                        ; implicit-def: $vgpr2
	s_and_saveexec_b64 s[2:3], vcc
	s_xor_b64 s[22:23], exec, s[2:3]
	s_cbranch_execz .LBB175_273
; %bb.272:                              ;   in Loop: Header=BB175_162 Depth=1
	v_cmp_gt_f32_e32 vcc, s40, v13
	v_cndmask_b32_e32 v2, 1.0, v39, vcc
	v_mul_f32_e32 v2, v13, v2
	v_log_f32_e32 v2, v2
	v_cndmask_b32_e32 v13, 0, v40, vcc
	v_cmp_gt_i32_e64 s[2:3], 0, v4
	v_cmp_class_f32_e64 s[24:25], v5, s38
	v_mul_f32_e32 v15, 0x3f317217, v2
	v_fma_f32 v16, v2, s41, -v15
	v_fmac_f32_e32 v16, 0x3377d1cf, v2
	v_add_f32_e32 v15, v15, v16
	v_cmp_lt_f32_e64 vcc, |v2|, s36
	v_cndmask_b32_e32 v2, v2, v15, vcc
	v_sub_f32_e32 v2, v2, v13
	v_mul_f32_e32 v16, 0.5, v2
	v_max_f32_e64 v2, |v5|, |v5|
	v_max_f32_e64 v13, |v4|, |v4|
	v_min_f32_e32 v15, v13, v2
	v_max_f32_e32 v2, v13, v2
	v_frexp_mant_f32_e32 v13, v2
	v_rcp_f32_e32 v13, v13
	v_frexp_exp_i32_f32_e32 v2, v2
	v_frexp_exp_i32_f32_e32 v17, v15
	v_frexp_mant_f32_e32 v15, v15
	v_mul_f32_e32 v13, v15, v13
	v_sub_u32_e32 v2, v17, v2
	v_ldexp_f32 v2, v13, v2
	v_mul_f32_e32 v13, v2, v2
	v_mov_b32_e32 v15, 0xbc7a590c
	v_fmac_f32_e32 v15, 0x3b2d2a58, v13
	v_fma_f32 v15, v13, v15, v28
	v_fma_f32 v15, v13, v15, v29
	;; [unrolled: 1-line block ×6, first 2 shown]
	v_mul_f32_e32 v13, v13, v15
	v_fmac_f32_e32 v2, v2, v13
	v_sub_f32_e32 v13, 0x3fc90fdb, v2
	v_cndmask_b32_e64 v2, v2, v13, s[0:1]
	v_sub_f32_e32 v13, 0x40490fdb, v2
	v_cmp_gt_f32_e32 vcc, 0, v4
	v_cndmask_b32_e32 v2, v2, v13, vcc
	v_cndmask_b32_e64 v13, 0, v36, s[2:3]
	v_cmp_eq_f32_e64 s[2:3], 0, v5
	v_cndmask_b32_e64 v2, v2, v13, s[2:3]
	v_cmp_class_f32_e64 s[2:3], v4, s38
	v_cndmask_b32_e32 v13, v37, v38, vcc
	s_and_b64 vcc, s[2:3], s[24:25]
	v_cndmask_b32_e32 v2, v2, v13, vcc
                                        ; implicit-def: $vgpr22_vgpr23
.LBB175_273:                            ;   in Loop: Header=BB175_162 Depth=1
	s_andn2_saveexec_b64 s[22:23], s[22:23]
	s_cbranch_execz .LBB175_277
; %bb.274:                              ;   in Loop: Header=BB175_162 Depth=1
	v_and_b32_e32 v25, 0x7fff0000, v22
	v_and_b32_e32 v24, 0x7fff0000, v23
	v_pk_add_f32 v[16:17], v[22:23], v[24:25] op_sel:[1,0] op_sel_hi:[0,1] neg_lo:[0,1] neg_hi:[0,1]
	v_and_b32_e32 v43, 0xffff0000, v17
	v_and_b32_e32 v42, 0xffff0000, v16
	v_pk_add_f32 v[44:45], v[16:17], v[42:43] neg_lo:[0,1] neg_hi:[0,1]
	v_pk_mul_f32 v[16:17], v[24:25], v[24:25]
	v_add_f32_e32 v15, v24, v24
	v_add_f32_e32 v24, v25, v25
	v_mul_f32_e32 v13, v15, v42
	v_mul_f32_e32 v2, v24, v43
	;; [unrolled: 1-line block ×4, first 2 shown]
	v_add_f32_e32 v24, v42, v42
	v_pk_mul_f32 v[22:23], v[42:43], v[42:43]
	v_mul_f32_e32 v42, v24, v44
	v_add_f32_e32 v24, v43, v43
	v_mul_f32_e32 v43, v24, v45
	v_pk_mul_f32 v[24:25], v[44:45], v[44:45]
	s_mov_b64 s[24:25], 0
.LBB175_275:                            ;   Parent Loop BB175_162 Depth=1
                                        ; =>  This Inner Loop Header: Depth=2
	v_cmp_nlt_f32_e32 vcc, v16, v17
	v_cndmask_b32_e32 v44, v16, v17, vcc
	v_cmp_nlt_f32_e64 s[2:3], v44, v13
	v_cndmask_b32_e64 v45, v44, v13, s[2:3]
	v_cndmask_b32_e32 v16, v17, v16, vcc
	s_and_b64 s[46:47], vcc, s[2:3]
	v_cmp_nlt_f32_e32 vcc, v45, v2
	v_cndmask_b32_e64 v17, v13, v44, s[2:3]
	v_cndmask_b32_e32 v44, v45, v2, vcc
	v_cmp_nlt_f32_e64 s[2:3], v44, v22
	v_cndmask_b32_e32 v13, v2, v45, vcc
	v_cndmask_b32_e64 v45, v44, v22, s[2:3]
	s_and_b64 s[48:49], vcc, s[2:3]
	v_cmp_nlt_f32_e32 vcc, v45, v23
	v_cndmask_b32_e64 v2, v22, v44, s[2:3]
	v_cndmask_b32_e32 v44, v45, v23, vcc
	v_cmp_nlt_f32_e64 s[2:3], v44, v19
	v_cndmask_b32_e32 v22, v23, v45, vcc
	v_cndmask_b32_e64 v45, v44, v19, s[2:3]
	v_cndmask_b32_e64 v23, v19, v44, s[2:3]
	s_and_b64 s[2:3], vcc, s[2:3]
	v_cmp_nlt_f32_e32 vcc, v45, v15
	v_cndmask_b32_e32 v44, v45, v15, vcc
	v_cndmask_b32_e32 v19, v15, v45, vcc
	s_and_b64 s[2:3], s[2:3], vcc
	v_cmp_nlt_f32_e32 vcc, v44, v42
	v_cndmask_b32_e32 v45, v44, v42, vcc
	v_cndmask_b32_e32 v15, v42, v44, vcc
	s_and_b64 s[2:3], s[2:3], vcc
	;; [unrolled: 4-line block ×4, first 2 shown]
	v_cmp_nlt_f32_e32 vcc, v45, v25
	s_and_b64 s[2:3], s[2:3], vcc
	s_and_b64 s[2:3], s[2:3], s[48:49]
	s_and_b64 s[2:3], s[2:3], s[46:47]
	s_and_b64 s[2:3], exec, s[2:3]
	v_cndmask_b32_e32 v24, v25, v45, vcc
	s_or_b64 s[24:25], s[2:3], s[24:25]
	v_cndmask_b32_e32 v25, v45, v25, vcc
	s_andn2_b64 exec, exec, s[24:25]
	s_cbranch_execnz .LBB175_275
; %bb.276:                              ;   in Loop: Header=BB175_162 Depth=1
	s_or_b64 exec, exec, s[24:25]
	v_add_f32_e32 v16, -1.0, v16
	v_add_f32_e32 v16, v16, v17
	v_add_f32_e32 v13, v16, v13
	;; [unrolled: 1-line block ×11, first 2 shown]
	v_add_f32_e32 v23, 1.0, v16
	v_add_f32_e32 v17, -1.0, v23
	v_mov_b32_e32 v22, v17
	v_pk_add_f32 v[24:25], v[16:17], v[22:23] neg_lo:[0,1] neg_hi:[0,1]
	v_add_f32_e32 v2, 1.0, v25
	v_add_f32_e32 v2, v24, v2
	v_frexp_mant_f32_e32 v13, v23
	v_cvt_f64_f32_e32 v[24:25], v23
	v_frexp_exp_i32_f64_e32 v15, v[24:25]
	v_cmp_gt_f32_e32 vcc, s34, v13
	v_subbrev_co_u32_e32 v13, vcc, 0, v15, vcc
	v_sub_u32_e32 v15, 0, v13
	v_ldexp_f32 v17, v23, v15
	v_ldexp_f32 v2, v2, v15
	v_add_f32_e32 v15, -1.0, v17
	v_add_f32_e32 v22, 1.0, v17
	v_add_f32_e32 v19, 1.0, v15
	v_add_f32_e32 v23, -1.0, v22
	v_sub_f32_e32 v19, v17, v19
	v_sub_f32_e32 v17, v17, v23
	v_add_f32_e32 v19, v2, v19
	v_add_f32_e32 v2, v2, v17
	;; [unrolled: 1-line block ×3, first 2 shown]
	v_rcp_f32_e32 v46, v17
	v_add_f32_e32 v23, v15, v19
	v_sub_f32_e32 v15, v23, v15
	v_sub_f32_e32 v15, v19, v15
	v_mul_f32_e32 v19, v23, v46
	v_sub_f32_e32 v22, v17, v22
	v_mul_f32_e32 v24, v17, v19
	v_sub_f32_e32 v2, v2, v22
	v_fma_f32 v42, v19, v17, -v24
	v_fmac_f32_e32 v42, v19, v2
	v_add_f32_e32 v22, v24, v42
	v_sub_f32_e32 v25, v23, v22
	v_pk_add_f32 v[44:45], v[22:23], v[24:25] neg_lo:[0,1] neg_hi:[0,1]
	v_mov_b32_e32 v43, v22
	v_pk_add_f32 v[22:23], v[44:45], v[42:43] neg_lo:[0,1] neg_hi:[0,1]
	v_add_f32_e32 v15, v15, v23
	v_add_f32_e32 v15, v22, v15
	v_add_f32_e32 v23, v25, v15
	v_mul_f32_e32 v47, v46, v23
	v_mul_f32_e32 v24, v17, v47
	v_fma_f32 v42, v47, v17, -v24
	v_fmac_f32_e32 v42, v47, v2
	v_add_f32_e32 v22, v24, v42
	v_sub_f32_e32 v2, v25, v23
	v_sub_f32_e32 v25, v23, v22
	v_pk_add_f32 v[44:45], v[22:23], v[24:25] neg_lo:[0,1] neg_hi:[0,1]
	v_mov_b32_e32 v43, v22
	v_add_f32_e32 v2, v15, v2
	v_pk_add_f32 v[22:23], v[44:45], v[42:43] neg_lo:[0,1] neg_hi:[0,1]
	v_add_f32_e32 v2, v2, v23
	v_add_f32_e32 v2, v22, v2
	;; [unrolled: 1-line block ×4, first 2 shown]
	v_sub_f32_e32 v17, v15, v19
	v_mul_f32_e32 v2, v46, v2
	v_sub_f32_e32 v17, v47, v17
	v_add_f32_e32 v2, v17, v2
	v_add_f32_e32 v17, v15, v2
	v_cvt_f32_i32_e32 v22, v13
	v_mul_f32_e32 v23, v17, v17
	v_mov_b32_e32 v19, 0x3ecc95a3
	v_fmac_f32_e32 v19, 0x3e9b6dac, v23
	v_fma_f32 v19, v23, v19, v27
	v_mul_f32_e32 v23, v17, v23
	v_pk_mul_f32 v[42:43], v[22:23], v[18:19]
	v_fma_f32 v24, v22, s35, -v42
	v_ldexp_f32 v25, v17, 1
	v_fmac_f32_e32 v24, 0xb102e308, v22
	v_sub_f32_e32 v13, v17, v15
	v_pk_add_f32 v[22:23], v[42:43], v[24:25]
	v_sub_f32_e32 v2, v2, v13
	v_sub_f32_e32 v13, v23, v25
	v_ldexp_f32 v2, v2, 1
	v_sub_f32_e32 v13, v43, v13
	v_add_f32_e32 v45, v2, v13
	v_mov_b32_e32 v44, v42
	v_pk_add_f32 v[42:43], v[22:23], v[42:43] neg_lo:[0,1] neg_hi:[0,1]
	v_pk_add_f32 v[46:47], v[22:23], v[44:45]
	v_mov_b32_e32 v43, v47
	v_mov_b32_e32 v25, v22
	v_pk_add_f32 v[48:49], v[24:25], v[42:43] neg_lo:[0,1] neg_hi:[0,1]
	v_pk_add_f32 v[24:25], v[24:25], v[42:43]
	v_mov_b32_e32 v2, v25
	v_pk_add_f32 v[42:43], v[2:3], v[22:23] neg_lo:[0,1] neg_hi:[0,1]
	v_mov_b32_e32 v13, v42
	v_pk_add_f32 v[50:51], v[46:47], v[12:13] neg_lo:[0,1] neg_hi:[0,1]
	v_mov_b32_e32 v24, v47
	v_mov_b32_e32 v46, v23
	;; [unrolled: 1-line block ×4, first 2 shown]
	v_pk_add_f32 v[24:25], v[24:25], v[46:47] neg_lo:[0,1] neg_hi:[0,1]
	v_mov_b32_e32 v42, v45
	v_mov_b32_e32 v43, v22
	v_pk_add_f32 v[22:23], v[42:43], v[24:25] neg_lo:[0,1] neg_hi:[0,1]
	v_mov_b32_e32 v50, v48
	v_pk_add_f32 v[24:25], v[50:51], v[22:23]
	v_mov_b32_e32 v42, v25
	v_pk_add_f32 v[42:43], v[24:25], v[42:43]
	v_pk_add_f32 v[44:45], v[2:3], v[42:43]
	v_mov_b32_e32 v25, v44
	v_pk_add_f32 v[46:47], v[24:25], v[48:49] neg_lo:[0,1] neg_hi:[0,1]
	v_mov_b32_e32 v23, v42
	v_sub_f32_e32 v2, v24, v46
	v_pk_add_f32 v[22:23], v[22:23], v[46:47] neg_lo:[0,1] neg_hi:[0,1]
	v_sub_f32_e32 v2, v48, v2
	v_add_f32_e32 v2, v22, v2
	v_add_f32_e32 v2, v2, v23
	;; [unrolled: 1-line block ×3, first 2 shown]
	v_cmp_eq_f32_e32 vcc, s36, v16
	v_cndmask_b32_e32 v2, v2, v16, vcc
	v_cmp_ngt_f32_e32 vcc, -1.0, v16
	v_cndmask_b32_e32 v2, v34, v2, vcc
	v_cmp_neq_f32_e32 vcc, -1.0, v16
	v_cndmask_b32_e32 v2, v35, v2, vcc
	v_cmp_lt_f32_e64 vcc, |v16|, s37
	v_cndmask_b32_e32 v2, v2, v16, vcc
	v_mul_f32_e32 v16, 0.5, v2
	v_max_f32_e64 v2, |v5|, |v5|
	v_max_f32_e64 v13, |v4|, |v4|
	v_min_f32_e32 v15, v13, v2
	v_max_f32_e32 v2, v13, v2
	v_frexp_mant_f32_e32 v13, v2
	v_rcp_f32_e32 v13, v13
	v_frexp_exp_i32_f32_e32 v2, v2
	v_frexp_exp_i32_f32_e32 v17, v15
	v_frexp_mant_f32_e32 v15, v15
	v_mul_f32_e32 v13, v15, v13
	v_sub_u32_e32 v2, v17, v2
	v_ldexp_f32 v2, v13, v2
	v_mul_f32_e32 v13, v2, v2
	v_mov_b32_e32 v15, 0xbc7a590c
	v_fmac_f32_e32 v15, 0x3b2d2a58, v13
	v_fma_f32 v15, v13, v15, v28
	v_fma_f32 v15, v13, v15, v29
	;; [unrolled: 1-line block ×6, first 2 shown]
	v_mul_f32_e32 v13, v13, v15
	v_fmac_f32_e32 v2, v2, v13
	v_sub_f32_e32 v13, 0x3fc90fdb, v2
	v_cndmask_b32_e64 v2, v2, v13, s[0:1]
	v_sub_f32_e32 v13, 0x40490fdb, v2
	v_cmp_gt_f32_e32 vcc, 0, v4
	v_cmp_gt_i32_e64 s[2:3], 0, v4
	v_cndmask_b32_e32 v2, v2, v13, vcc
	v_cndmask_b32_e64 v13, 0, v36, s[2:3]
	v_cmp_eq_f32_e64 s[2:3], 0, v5
	v_cndmask_b32_e64 v2, v2, v13, s[2:3]
	v_cmp_class_f32_e64 s[2:3], v4, s38
	v_cmp_class_f32_e64 s[24:25], v5, s38
	v_cndmask_b32_e32 v13, v37, v38, vcc
	s_and_b64 vcc, s[2:3], s[24:25]
	v_cndmask_b32_e32 v2, v2, v13, vcc
.LBB175_277:                            ;   in Loop: Header=BB175_162 Depth=1
	s_or_b64 exec, exec, s[22:23]
.LBB175_278:                            ;   in Loop: Header=BB175_162 Depth=1
	s_or_b64 exec, exec, s[20:21]
.LBB175_279:                            ;   in Loop: Header=BB175_162 Depth=1
	s_andn2_saveexec_b64 s[18:19], s[18:19]
	s_cbranch_execz .LBB175_281
; %bb.280:                              ;   in Loop: Header=BB175_162 Depth=1
	v_max_f32_e64 v2, |v5|, |v5|
	v_max_f32_e64 v13, |v4|, |v4|
	v_max_f32_e32 v15, v13, v2
	v_cvt_f64_f32_e32 v[16:17], v15
	v_frexp_exp_i32_f64_e32 v16, v[16:17]
	v_sub_u32_e32 v17, 0, v16
	v_ldexp_f32 v19, |v4|, v17
	v_ldexp_f32 v17, |v5|, v17
	v_mul_f32_e32 v17, v17, v17
	v_fmac_f32_e32 v17, v19, v19
	v_sqrt_f32_e32 v17, v17
	v_cmp_neq_f32_e32 vcc, s36, v15
	v_min_f32_e32 v2, v13, v2
	v_frexp_mant_f32_e32 v13, v15
	v_ldexp_f32 v16, v17, v16
	v_cndmask_b32_e32 v16, v41, v16, vcc
	v_cmp_gt_f32_e32 vcc, s40, v16
	v_cndmask_b32_e32 v17, 1.0, v39, vcc
	v_mul_f32_e32 v16, v16, v17
	v_log_f32_e32 v16, v16
	v_rcp_f32_e32 v13, v13
	v_cndmask_b32_e32 v17, 0, v40, vcc
	v_frexp_exp_i32_f32_e32 v15, v15
	v_mul_f32_e32 v19, 0x3f317217, v16
	v_fma_f32 v22, v16, s41, -v19
	v_fmac_f32_e32 v22, 0x3377d1cf, v16
	v_add_f32_e32 v19, v19, v22
	v_cmp_lt_f32_e64 vcc, |v16|, s36
	v_cndmask_b32_e32 v16, v16, v19, vcc
	v_sub_f32_e32 v16, v16, v17
	v_frexp_exp_i32_f32_e32 v17, v2
	v_frexp_mant_f32_e32 v2, v2
	v_mul_f32_e32 v2, v2, v13
	v_sub_u32_e32 v13, v17, v15
	v_ldexp_f32 v2, v2, v13
	v_mul_f32_e32 v13, v2, v2
	v_mov_b32_e32 v15, 0xbc7a590c
	v_fmac_f32_e32 v15, 0x3b2d2a58, v13
	v_fma_f32 v15, v13, v15, v28
	v_fma_f32 v15, v13, v15, v29
	;; [unrolled: 1-line block ×6, first 2 shown]
	v_mul_f32_e32 v13, v13, v15
	v_fmac_f32_e32 v2, v2, v13
	v_sub_f32_e32 v13, 0x3fc90fdb, v2
	v_cndmask_b32_e64 v2, v2, v13, s[0:1]
	v_sub_f32_e32 v13, 0x40490fdb, v2
	v_cmp_gt_f32_e32 vcc, 0, v4
	v_cmp_gt_i32_e64 s[2:3], 0, v4
	v_cndmask_b32_e32 v2, v2, v13, vcc
	v_cndmask_b32_e64 v13, 0, v36, s[2:3]
	v_cmp_eq_f32_e64 s[2:3], 0, v5
	v_cndmask_b32_e64 v2, v2, v13, s[2:3]
	v_cmp_class_f32_e64 s[2:3], v4, s38
	v_cmp_class_f32_e64 s[20:21], v5, s38
	v_cndmask_b32_e32 v13, v37, v38, vcc
	s_and_b64 vcc, s[2:3], s[20:21]
	v_cndmask_b32_e32 v2, v2, v13, vcc
.LBB175_281:                            ;   in Loop: Header=BB175_162 Depth=1
	s_or_b64 exec, exec, s[18:19]
                                        ; implicit-def: $vgpr22
.LBB175_282:                            ;   in Loop: Header=BB175_162 Depth=1
	s_andn2_saveexec_b64 s[16:17], s[16:17]
	s_cbranch_execz .LBB175_288
; %bb.283:                              ;   in Loop: Header=BB175_162 Depth=1
	v_cmp_ngt_f32_e32 vcc, s42, v22
                                        ; implicit-def: $vgpr2
	s_and_saveexec_b64 s[2:3], vcc
	s_xor_b64 s[18:19], exec, s[2:3]
	s_cbranch_execz .LBB175_285
; %bb.284:                              ;   in Loop: Header=BB175_162 Depth=1
	v_pk_mul_f32 v[16:17], v[22:23], v[22:23]
	v_add_f32_e32 v23, 1.0, v16
	v_add_f32_e32 v17, -1.0, v23
	v_mov_b32_e32 v22, v17
	v_pk_add_f32 v[24:25], v[16:17], v[22:23] neg_lo:[0,1] neg_hi:[0,1]
	v_add_f32_e32 v2, 1.0, v25
	v_add_f32_e32 v2, v24, v2
	v_frexp_mant_f32_e32 v13, v23
	v_cvt_f64_f32_e32 v[24:25], v23
	v_frexp_exp_i32_f64_e32 v15, v[24:25]
	v_cmp_gt_f32_e32 vcc, s34, v13
	v_subbrev_co_u32_e32 v13, vcc, 0, v15, vcc
	v_sub_u32_e32 v15, 0, v13
	v_ldexp_f32 v17, v23, v15
	v_ldexp_f32 v2, v2, v15
	v_add_f32_e32 v15, -1.0, v17
	v_add_f32_e32 v22, 1.0, v17
	v_add_f32_e32 v19, 1.0, v15
	v_add_f32_e32 v23, -1.0, v22
	v_sub_f32_e32 v19, v17, v19
	v_sub_f32_e32 v17, v17, v23
	v_add_f32_e32 v19, v2, v19
	v_add_f32_e32 v2, v2, v17
	;; [unrolled: 1-line block ×3, first 2 shown]
	v_rcp_f32_e32 v46, v17
	v_add_f32_e32 v23, v15, v19
	v_sub_f32_e32 v15, v15, v23
	v_add_f32_e32 v15, v19, v15
	v_mul_f32_e32 v19, v23, v46
	v_sub_f32_e32 v22, v22, v17
	v_mul_f32_e32 v24, v17, v19
	v_add_f32_e32 v2, v2, v22
	v_fma_f32 v42, v19, v17, -v24
	v_fmac_f32_e32 v42, v19, v2
	v_add_f32_e32 v22, v24, v42
	v_sub_f32_e32 v25, v23, v22
	v_pk_add_f32 v[44:45], v[22:23], v[24:25] neg_lo:[0,1] neg_hi:[0,1]
	v_mov_b32_e32 v43, v22
	v_pk_add_f32 v[22:23], v[44:45], v[42:43] neg_lo:[0,1] neg_hi:[0,1]
	v_add_f32_e32 v15, v15, v23
	v_add_f32_e32 v15, v22, v15
	;; [unrolled: 1-line block ×3, first 2 shown]
	v_mul_f32_e32 v47, v46, v23
	v_mul_f32_e32 v24, v17, v47
	v_fma_f32 v42, v47, v17, -v24
	v_fmac_f32_e32 v42, v47, v2
	v_add_f32_e32 v22, v24, v42
	v_sub_f32_e32 v2, v25, v23
	v_sub_f32_e32 v25, v23, v22
	v_pk_add_f32 v[44:45], v[22:23], v[24:25] neg_lo:[0,1] neg_hi:[0,1]
	v_mov_b32_e32 v43, v22
	v_add_f32_e32 v2, v15, v2
	v_pk_add_f32 v[22:23], v[44:45], v[42:43] neg_lo:[0,1] neg_hi:[0,1]
	v_add_f32_e32 v2, v2, v23
	v_add_f32_e32 v2, v22, v2
	;; [unrolled: 1-line block ×4, first 2 shown]
	v_sub_f32_e32 v17, v15, v19
	v_mul_f32_e32 v2, v46, v2
	v_sub_f32_e32 v17, v47, v17
	v_add_f32_e32 v2, v17, v2
	v_add_f32_e32 v17, v15, v2
	v_cvt_f32_i32_e32 v22, v13
	v_mul_f32_e32 v23, v17, v17
	v_mov_b32_e32 v19, 0x3ecc95a3
	v_fmac_f32_e32 v19, 0x3e9b6dac, v23
	v_fma_f32 v19, v23, v19, v27
	v_mul_f32_e32 v23, v17, v23
	v_pk_mul_f32 v[42:43], v[22:23], v[18:19]
	v_fma_f32 v24, v22, s35, -v42
	v_ldexp_f32 v25, v17, 1
	v_fmac_f32_e32 v24, 0xb102e308, v22
	v_sub_f32_e32 v13, v17, v15
	v_pk_add_f32 v[22:23], v[42:43], v[24:25]
	v_sub_f32_e32 v2, v2, v13
	v_sub_f32_e32 v13, v23, v25
	v_ldexp_f32 v2, v2, 1
	v_sub_f32_e32 v13, v43, v13
	v_add_f32_e32 v45, v2, v13
	v_mov_b32_e32 v44, v42
	v_pk_add_f32 v[42:43], v[22:23], v[42:43] neg_lo:[0,1] neg_hi:[0,1]
	v_pk_add_f32 v[46:47], v[22:23], v[44:45]
	v_mov_b32_e32 v43, v47
	v_mov_b32_e32 v25, v22
	v_pk_add_f32 v[48:49], v[24:25], v[42:43] neg_lo:[0,1] neg_hi:[0,1]
	v_pk_add_f32 v[24:25], v[24:25], v[42:43]
	v_mov_b32_e32 v2, v25
	v_pk_add_f32 v[42:43], v[2:3], v[22:23] neg_lo:[0,1] neg_hi:[0,1]
	v_mov_b32_e32 v13, v42
	v_pk_add_f32 v[50:51], v[46:47], v[12:13] neg_lo:[0,1] neg_hi:[0,1]
	v_mov_b32_e32 v24, v47
	v_mov_b32_e32 v46, v23
	;; [unrolled: 1-line block ×4, first 2 shown]
	v_pk_add_f32 v[24:25], v[24:25], v[46:47] neg_lo:[0,1] neg_hi:[0,1]
	v_mov_b32_e32 v42, v45
	v_mov_b32_e32 v43, v22
	v_pk_add_f32 v[22:23], v[42:43], v[24:25] neg_lo:[0,1] neg_hi:[0,1]
	v_mov_b32_e32 v50, v48
	v_pk_add_f32 v[24:25], v[50:51], v[22:23]
	v_mov_b32_e32 v42, v25
	v_pk_add_f32 v[42:43], v[24:25], v[42:43]
	v_pk_add_f32 v[44:45], v[2:3], v[42:43]
	v_mov_b32_e32 v25, v44
	v_pk_add_f32 v[46:47], v[24:25], v[48:49] neg_lo:[0,1] neg_hi:[0,1]
	v_mov_b32_e32 v23, v42
	v_sub_f32_e32 v2, v24, v46
	v_pk_add_f32 v[22:23], v[22:23], v[46:47] neg_lo:[0,1] neg_hi:[0,1]
	v_sub_f32_e32 v2, v48, v2
	v_add_f32_e32 v2, v22, v2
	v_add_f32_e32 v2, v2, v23
	v_cmp_eq_f32_e32 vcc, s36, v16
	v_cmp_lt_f32_e64 s[2:3], |v16|, s37
	v_add_f32_e32 v2, v44, v2
	s_or_b64 vcc, vcc, s[2:3]
	v_cndmask_b32_e32 v2, v2, v16, vcc
	v_mul_f32_e32 v16, 0.5, v2
	v_max_f32_e64 v2, |v5|, |v5|
	v_max_f32_e64 v13, |v4|, |v4|
	v_min_f32_e32 v15, v13, v2
	v_max_f32_e32 v2, v13, v2
	v_frexp_mant_f32_e32 v13, v2
	v_rcp_f32_e32 v13, v13
	v_frexp_exp_i32_f32_e32 v2, v2
	v_frexp_exp_i32_f32_e32 v17, v15
	v_frexp_mant_f32_e32 v15, v15
	v_mul_f32_e32 v13, v15, v13
	v_sub_u32_e32 v2, v17, v2
	v_ldexp_f32 v2, v13, v2
	v_mul_f32_e32 v13, v2, v2
	v_mov_b32_e32 v15, 0xbc7a590c
	v_fmac_f32_e32 v15, 0x3b2d2a58, v13
	v_fma_f32 v15, v13, v15, v28
	v_fma_f32 v15, v13, v15, v29
	;; [unrolled: 1-line block ×6, first 2 shown]
	v_mul_f32_e32 v13, v13, v15
	v_fmac_f32_e32 v2, v2, v13
	v_sub_f32_e32 v13, 0x3fc90fdb, v2
	v_cndmask_b32_e64 v2, v2, v13, s[0:1]
	v_sub_f32_e32 v13, 0x40490fdb, v2
	v_cmp_gt_f32_e32 vcc, 0, v4
	v_cmp_gt_i32_e64 s[2:3], 0, v4
	v_cndmask_b32_e32 v2, v2, v13, vcc
	v_cndmask_b32_e64 v13, 0, v36, s[2:3]
	v_cmp_eq_f32_e64 s[2:3], 0, v5
	v_cndmask_b32_e64 v2, v2, v13, s[2:3]
	v_cmp_class_f32_e64 s[2:3], v4, s38
	v_cmp_class_f32_e64 s[20:21], v5, s38
	v_cndmask_b32_e32 v13, v37, v38, vcc
	s_and_b64 vcc, s[2:3], s[20:21]
	v_cndmask_b32_e32 v2, v2, v13, vcc
                                        ; implicit-def: $vgpr22
.LBB175_285:                            ;   in Loop: Header=BB175_162 Depth=1
	s_andn2_saveexec_b64 s[18:19], s[18:19]
	s_cbranch_execz .LBB175_287
; %bb.286:                              ;   in Loop: Header=BB175_162 Depth=1
	v_mul_f32_e32 v2, 0.5, v22
	v_mul_f32_e32 v16, v22, v2
	v_max_f32_e64 v2, |v5|, |v5|
	v_max_f32_e64 v13, |v4|, |v4|
	v_min_f32_e32 v15, v13, v2
	v_max_f32_e32 v2, v13, v2
	v_frexp_mant_f32_e32 v13, v2
	v_rcp_f32_e32 v13, v13
	v_frexp_exp_i32_f32_e32 v2, v2
	v_frexp_exp_i32_f32_e32 v17, v15
	v_frexp_mant_f32_e32 v15, v15
	v_mul_f32_e32 v13, v15, v13
	v_sub_u32_e32 v2, v17, v2
	v_ldexp_f32 v2, v13, v2
	v_mul_f32_e32 v13, v2, v2
	v_mov_b32_e32 v15, 0xbc7a590c
	v_fmac_f32_e32 v15, 0x3b2d2a58, v13
	v_fma_f32 v15, v13, v15, v28
	v_fma_f32 v15, v13, v15, v29
	;; [unrolled: 1-line block ×6, first 2 shown]
	v_mul_f32_e32 v13, v13, v15
	v_fmac_f32_e32 v2, v2, v13
	v_sub_f32_e32 v13, 0x3fc90fdb, v2
	v_cndmask_b32_e64 v2, v2, v13, s[0:1]
	v_sub_f32_e32 v13, 0x40490fdb, v2
	v_cmp_gt_f32_e32 vcc, 0, v4
	v_cmp_gt_i32_e64 s[2:3], 0, v4
	v_cndmask_b32_e32 v2, v2, v13, vcc
	v_cndmask_b32_e64 v13, 0, v36, s[2:3]
	v_cmp_eq_f32_e64 s[2:3], 0, v5
	v_cndmask_b32_e64 v2, v2, v13, s[2:3]
	v_cmp_class_f32_e64 s[2:3], v4, s38
	v_cmp_class_f32_e64 s[20:21], v5, s38
	v_cndmask_b32_e32 v13, v37, v38, vcc
	s_and_b64 vcc, s[2:3], s[20:21]
	v_cndmask_b32_e32 v2, v2, v13, vcc
.LBB175_287:                            ;   in Loop: Header=BB175_162 Depth=1
	s_or_b64 exec, exec, s[18:19]
.LBB175_288:                            ;   in Loop: Header=BB175_162 Depth=1
	s_or_b64 exec, exec, s[16:17]
.LBB175_289:                            ;   in Loop: Header=BB175_162 Depth=1
	s_andn2_saveexec_b64 s[12:13], s[12:13]
	s_cbranch_execz .LBB175_291
; %bb.290:                              ;   in Loop: Header=BB175_162 Depth=1
	v_div_scale_f32 v2, s[2:3], s43, s43, v4
	v_rcp_f32_e32 v13, v2
	v_div_scale_f32 v15, vcc, v4, s43, v4
	v_fma_f32 v16, -v2, v13, 1.0
	v_fmac_f32_e32 v13, v16, v13
	v_mul_f32_e32 v16, v15, v13
	v_fma_f32 v17, -v2, v16, v15
	v_fmac_f32_e32 v16, v17, v13
	v_fma_f32 v2, -v2, v16, v15
	v_div_scale_f32 v15, s[2:3], s43, s43, v5
	v_rcp_f32_e32 v17, v15
	v_div_fmas_f32 v2, v2, v13, v16
	v_div_fixup_f32 v2, v2, s43, v4
	v_fma_f32 v13, -v15, v17, 1.0
	v_fmac_f32_e32 v17, v13, v17
	v_div_scale_f32 v13, vcc, v5, s43, v5
	v_mul_f32_e32 v16, v13, v17
	v_fma_f32 v19, -v15, v16, v13
	v_fmac_f32_e32 v16, v19, v17
	v_fma_f32 v13, -v15, v16, v13
	v_div_fmas_f32 v13, v13, v17, v16
	v_div_fixup_f32 v13, v13, s43, v5
	v_max_f32_e64 v15, |v2|, |v13|
	v_cvt_f64_f32_e32 v[16:17], v15
	v_frexp_exp_i32_f64_e32 v16, v[16:17]
	v_sub_u32_e32 v17, 0, v16
	v_ldexp_f32 v13, |v13|, v17
	v_ldexp_f32 v2, |v2|, v17
	v_mul_f32_e32 v13, v13, v13
	v_fmac_f32_e32 v13, v2, v2
	v_sqrt_f32_e32 v2, v13
	v_cmp_neq_f32_e32 vcc, s36, v15
	v_ldexp_f32 v2, v2, v16
	v_cndmask_b32_e32 v2, v41, v2, vcc
	v_cmp_gt_f32_e32 vcc, s40, v2
	v_cndmask_b32_e32 v13, 1.0, v39, vcc
	v_mul_f32_e32 v2, v2, v13
	v_log_f32_e32 v2, v2
	v_mul_f32_e32 v13, 0x3f317217, v2
	v_fma_f32 v15, v2, s41, -v13
	v_fmac_f32_e32 v15, 0x3377d1cf, v2
	v_add_f32_e32 v13, v13, v15
	v_cmp_lt_f32_e64 s[2:3], |v2|, s36
	v_cndmask_b32_e64 v2, v2, v13, s[2:3]
	v_cndmask_b32_e32 v13, 0, v40, vcc
	v_sub_f32_e32 v2, v2, v13
	v_add_f32_e32 v16, 1.0, v2
	v_max_f32_e64 v2, |v5|, |v5|
	v_max_f32_e64 v13, |v4|, |v4|
	v_min_f32_e32 v15, v13, v2
	v_max_f32_e32 v2, v13, v2
	v_frexp_mant_f32_e32 v13, v2
	v_rcp_f32_e32 v13, v13
	v_frexp_exp_i32_f32_e32 v2, v2
	v_frexp_exp_i32_f32_e32 v17, v15
	v_frexp_mant_f32_e32 v15, v15
	v_mul_f32_e32 v13, v15, v13
	v_sub_u32_e32 v2, v17, v2
	v_ldexp_f32 v2, v13, v2
	v_mul_f32_e32 v13, v2, v2
	v_mov_b32_e32 v15, 0xbc7a590c
	v_fmac_f32_e32 v15, 0x3b2d2a58, v13
	v_fma_f32 v15, v13, v15, v28
	v_fma_f32 v15, v13, v15, v29
	;; [unrolled: 1-line block ×6, first 2 shown]
	v_mul_f32_e32 v13, v13, v15
	v_fmac_f32_e32 v2, v2, v13
	v_sub_f32_e32 v13, 0x3fc90fdb, v2
	v_cndmask_b32_e64 v2, v2, v13, s[0:1]
	v_sub_f32_e32 v13, 0x40490fdb, v2
	v_cmp_gt_f32_e32 vcc, 0, v4
	v_cmp_gt_i32_e64 s[0:1], 0, v4
	v_cndmask_b32_e32 v2, v2, v13, vcc
	v_cndmask_b32_e64 v13, 0, v36, s[0:1]
	v_cmp_eq_f32_e64 s[0:1], 0, v5
	v_cndmask_b32_e64 v2, v2, v13, s[0:1]
	v_cmp_class_f32_e64 s[0:1], v4, s38
	v_cmp_class_f32_e64 s[2:3], v5, s38
	v_cndmask_b32_e32 v13, v37, v38, vcc
	s_and_b64 vcc, s[0:1], s[2:3]
	v_cndmask_b32_e32 v2, v2, v13, vcc
.LBB175_291:                            ;   in Loop: Header=BB175_162 Depth=1
	s_or_b64 exec, exec, s[12:13]
.LBB175_292:                            ;   in Loop: Header=BB175_162 Depth=1
	s_andn2_saveexec_b64 s[0:1], s[10:11]
	s_cbranch_execz .LBB175_161
; %bb.293:                              ;   in Loop: Header=BB175_162 Depth=1
	v_cmp_nlt_f32_e64 s[2:3], |v4|, s44
	v_cmp_nlt_f32_e64 s[10:11], |v5|, s44
	s_or_b64 s[2:3], s[2:3], s[10:11]
                                        ; implicit-def: $vgpr2
	s_and_saveexec_b64 s[10:11], s[2:3]
	s_xor_b64 s[2:3], exec, s[10:11]
; %bb.294:                              ;   in Loop: Header=BB175_162 Depth=1
	v_pk_mul_f32 v[16:17], v[4:5], v[4:5]
	v_add_f32_e32 v2, v16, v17
; %bb.295:                              ;   in Loop: Header=BB175_162 Depth=1
	s_andn2_saveexec_b64 s[2:3], s[2:3]
	s_cbranch_execz .LBB175_160
; %bb.296:                              ;   in Loop: Header=BB175_162 Depth=1
	v_pk_mul_f32 v[16:17], v[4:5], 4.0 op_sel_hi:[1,0]
	v_pk_mul_f32 v[16:17], v[16:17], v[16:17]
	v_add_f32_e32 v2, v16, v17
	v_mul_f32_e32 v2, 0x3d800000, v2
	s_branch .LBB175_160
.LBB175_297:
	s_endpgm
	.section	.rodata,"a",@progbits
	.p2align	6, 0x0
	.amdhsa_kernel _ZN2at6native12_GLOBAL__N_125multi_tensor_apply_kernelINS1_18TensorListMetadataILi1EEENS1_14UnaryOpFunctorIN3c107complexIfEELi1ELi1ELi0EEEJNS0_3LogIS8_EEEEEvT_T0_DpT1_
		.amdhsa_group_segment_fixed_size 0
		.amdhsa_private_segment_fixed_size 0
		.amdhsa_kernarg_size 3632
		.amdhsa_user_sgpr_count 6
		.amdhsa_user_sgpr_private_segment_buffer 1
		.amdhsa_user_sgpr_dispatch_ptr 0
		.amdhsa_user_sgpr_queue_ptr 0
		.amdhsa_user_sgpr_kernarg_segment_ptr 1
		.amdhsa_user_sgpr_dispatch_id 0
		.amdhsa_user_sgpr_flat_scratch_init 0
		.amdhsa_user_sgpr_kernarg_preload_length 0
		.amdhsa_user_sgpr_kernarg_preload_offset 0
		.amdhsa_user_sgpr_private_segment_size 0
		.amdhsa_uses_dynamic_stack 0
		.amdhsa_system_sgpr_private_segment_wavefront_offset 0
		.amdhsa_system_sgpr_workgroup_id_x 1
		.amdhsa_system_sgpr_workgroup_id_y 0
		.amdhsa_system_sgpr_workgroup_id_z 0
		.amdhsa_system_sgpr_workgroup_info 0
		.amdhsa_system_vgpr_workitem_id 0
		.amdhsa_next_free_vgpr 58
		.amdhsa_next_free_sgpr 62
		.amdhsa_accum_offset 60
		.amdhsa_reserve_vcc 1
		.amdhsa_reserve_flat_scratch 0
		.amdhsa_float_round_mode_32 0
		.amdhsa_float_round_mode_16_64 0
		.amdhsa_float_denorm_mode_32 3
		.amdhsa_float_denorm_mode_16_64 3
		.amdhsa_dx10_clamp 1
		.amdhsa_ieee_mode 1
		.amdhsa_fp16_overflow 0
		.amdhsa_tg_split 0
		.amdhsa_exception_fp_ieee_invalid_op 0
		.amdhsa_exception_fp_denorm_src 0
		.amdhsa_exception_fp_ieee_div_zero 0
		.amdhsa_exception_fp_ieee_overflow 0
		.amdhsa_exception_fp_ieee_underflow 0
		.amdhsa_exception_fp_ieee_inexact 0
		.amdhsa_exception_int_div_zero 0
	.end_amdhsa_kernel
	.section	.text._ZN2at6native12_GLOBAL__N_125multi_tensor_apply_kernelINS1_18TensorListMetadataILi1EEENS1_14UnaryOpFunctorIN3c107complexIfEELi1ELi1ELi0EEEJNS0_3LogIS8_EEEEEvT_T0_DpT1_,"axG",@progbits,_ZN2at6native12_GLOBAL__N_125multi_tensor_apply_kernelINS1_18TensorListMetadataILi1EEENS1_14UnaryOpFunctorIN3c107complexIfEELi1ELi1ELi0EEEJNS0_3LogIS8_EEEEEvT_T0_DpT1_,comdat
.Lfunc_end175:
	.size	_ZN2at6native12_GLOBAL__N_125multi_tensor_apply_kernelINS1_18TensorListMetadataILi1EEENS1_14UnaryOpFunctorIN3c107complexIfEELi1ELi1ELi0EEEJNS0_3LogIS8_EEEEEvT_T0_DpT1_, .Lfunc_end175-_ZN2at6native12_GLOBAL__N_125multi_tensor_apply_kernelINS1_18TensorListMetadataILi1EEENS1_14UnaryOpFunctorIN3c107complexIfEELi1ELi1ELi0EEEJNS0_3LogIS8_EEEEEvT_T0_DpT1_
                                        ; -- End function
	.section	.AMDGPU.csdata,"",@progbits
; Kernel info:
; codeLenInByte = 39388
; NumSgprs: 66
; NumVgprs: 58
; NumAgprs: 0
; TotalNumVgprs: 58
; ScratchSize: 0
; MemoryBound: 1
; FloatMode: 240
; IeeeMode: 1
; LDSByteSize: 0 bytes/workgroup (compile time only)
; SGPRBlocks: 8
; VGPRBlocks: 7
; NumSGPRsForWavesPerEU: 66
; NumVGPRsForWavesPerEU: 58
; AccumOffset: 60
; Occupancy: 8
; WaveLimiterHint : 0
; COMPUTE_PGM_RSRC2:SCRATCH_EN: 0
; COMPUTE_PGM_RSRC2:USER_SGPR: 6
; COMPUTE_PGM_RSRC2:TRAP_HANDLER: 0
; COMPUTE_PGM_RSRC2:TGID_X_EN: 1
; COMPUTE_PGM_RSRC2:TGID_Y_EN: 0
; COMPUTE_PGM_RSRC2:TGID_Z_EN: 0
; COMPUTE_PGM_RSRC2:TIDIG_COMP_CNT: 0
; COMPUTE_PGM_RSRC3_GFX90A:ACCUM_OFFSET: 14
; COMPUTE_PGM_RSRC3_GFX90A:TG_SPLIT: 0
	.section	.text._ZN2at6native12_GLOBAL__N_125multi_tensor_apply_kernelINS1_18TensorListMetadataILi1EEENS1_14UnaryOpFunctorIN3c104HalfELi1ELi1ELi0EEEJNS0_3LogIfEEEEEvT_T0_DpT1_,"axG",@progbits,_ZN2at6native12_GLOBAL__N_125multi_tensor_apply_kernelINS1_18TensorListMetadataILi1EEENS1_14UnaryOpFunctorIN3c104HalfELi1ELi1ELi0EEEJNS0_3LogIfEEEEEvT_T0_DpT1_,comdat
	.globl	_ZN2at6native12_GLOBAL__N_125multi_tensor_apply_kernelINS1_18TensorListMetadataILi1EEENS1_14UnaryOpFunctorIN3c104HalfELi1ELi1ELi0EEEJNS0_3LogIfEEEEEvT_T0_DpT1_ ; -- Begin function _ZN2at6native12_GLOBAL__N_125multi_tensor_apply_kernelINS1_18TensorListMetadataILi1EEENS1_14UnaryOpFunctorIN3c104HalfELi1ELi1ELi0EEEJNS0_3LogIfEEEEEvT_T0_DpT1_
	.p2align	8
	.type	_ZN2at6native12_GLOBAL__N_125multi_tensor_apply_kernelINS1_18TensorListMetadataILi1EEENS1_14UnaryOpFunctorIN3c104HalfELi1ELi1ELi0EEEJNS0_3LogIfEEEEEvT_T0_DpT1_,@function
_ZN2at6native12_GLOBAL__N_125multi_tensor_apply_kernelINS1_18TensorListMetadataILi1EEENS1_14UnaryOpFunctorIN3c104HalfELi1ELi1ELi0EEEJNS0_3LogIfEEEEEvT_T0_DpT1_: ; @_ZN2at6native12_GLOBAL__N_125multi_tensor_apply_kernelINS1_18TensorListMetadataILi1EEENS1_14UnaryOpFunctorIN3c104HalfELi1ELi1ELi0EEEJNS0_3LogIfEEEEEvT_T0_DpT1_
; %bb.0:
	v_mov_b32_e32 v1, s6
	global_load_ubyte v1, v1, s[4:5] offset:1760
	s_add_u32 s0, s4, s6
	s_mul_hi_u32 s1, s6, 3
	s_mul_i32 s6, s6, 3
	s_addc_u32 s2, s5, 0
	s_add_u32 s0, s0, s6
	s_addc_u32 s1, s2, s1
	s_load_dword s0, s[0:1], 0x820
	s_mov_b32 s7, 0
	s_waitcnt vmcnt(0)
	v_readfirstlane_b32 s2, v1
	s_lshl_b32 s1, s2, 3
	s_load_dwordx2 s[2:3], s[4:5], s1 offset:0x370
	s_load_dwordx2 s[12:13], s[4:5], s1 offset:0x0
	s_waitcnt lgkmcnt(0)
	s_ashr_i32 s1, s0, 31
	s_lshl_b64 s[14:15], s[0:1], 17
	s_lshl_b64 s[0:1], s[0:1], 16
	s_and_b32 s6, s12, 7
	s_sub_u32 s10, s2, s0
	s_subb_u32 s11, s3, s1
	s_and_b32 s0, s2, 3
	s_mov_b32 s1, s7
	s_or_b64 s[0:1], s[6:7], s[0:1]
	s_cmp_eq_u64 s[0:1], 0
	s_cbranch_scc1 .LBB176_21
; %bb.1:
	v_cmp_lt_i64_e64 s[0:1], s[10:11], 1
	s_and_b64 vcc, exec, s[0:1]
	s_cbranch_vccnz .LBB176_20
; %bb.2:
	s_load_dword s0, s[4:5], 0xd3c
	v_mov_b32_e32 v2, 0x10000
	v_mov_b32_e32 v3, 0
	v_cmp_lt_u64_e32 vcc, s[10:11], v[2:3]
	v_lshlrev_b32_e32 v1, 1, v0
	s_waitcnt lgkmcnt(0)
	s_and_b32 s2, s0, 0xffff
	s_and_b64 s[0:1], vcc, exec
	s_cselect_b32 s17, s11, 0
	s_cselect_b32 s16, s10, 0x10000
	s_lshl_b32 s3, s2, 1
	s_lshl_b32 s23, s2, 2
	s_add_u32 s6, s12, s14
	s_addc_u32 s7, s13, s15
	v_mov_b32_e32 v5, s7
	v_add_co_u32_e32 v4, vcc, s6, v1
	s_mul_i32 s0, s2, 3
	v_addc_co_u32_e32 v5, vcc, 0, v5, vcc
	v_add_co_u32_e32 v1, vcc, s0, v0
	v_addc_co_u32_e64 v10, s[0:1], 0, 0, vcc
	v_add_co_u32_e32 v11, vcc, s3, v0
	v_addc_co_u32_e64 v12, s[0:1], 0, 0, vcc
	v_add_co_u32_e32 v13, vcc, s2, v0
	v_lshlrev_b32_e32 v6, 1, v13
	s_mov_b32 s22, 0
	v_addc_co_u32_e64 v14, s[0:1], 0, 0, vcc
	v_mov_b32_e32 v7, s7
	v_add_co_u32_e32 v6, vcc, s6, v6
	s_lshl_b32 s24, s2, 3
	s_mul_i32 s25, s2, 6
	s_mov_b32 s26, s22
	v_addc_co_u32_e32 v7, vcc, 0, v7, vcc
	s_mov_b64 s[18:19], 0
	s_mov_b32 s27, 0x3f317217
	s_mov_b32 s28, 0x7f800000
	v_pk_mov_b32 v[8:9], s[10:11], s[10:11] op_sel:[0,1]
	v_mov_b32_e32 v15, s22
	s_branch .LBB176_4
.LBB176_3:                              ;   in Loop: Header=BB176_4 Depth=1
	s_or_b64 exec, exec, s[0:1]
	s_add_u32 s18, s18, s23
	s_addc_u32 s19, s19, 0
	v_cmp_lt_i64_e32 vcc, s[18:19], v[8:9]
	v_cmp_lt_u64_e64 s[0:1], s[18:19], v[2:3]
	s_and_b64 s[0:1], vcc, s[0:1]
	v_add_co_u32_e32 v4, vcc, s24, v4
	v_addc_co_u32_e32 v5, vcc, v5, v15, vcc
	v_add_co_u32_e32 v6, vcc, s24, v6
	v_addc_co_u32_e32 v7, vcc, v7, v15, vcc
	s_and_b64 vcc, exec, s[0:1]
	s_cbranch_vccz .LBB176_20
.LBB176_4:                              ; =>This Inner Loop Header: Depth=1
	s_waitcnt vmcnt(0)
	v_mov_b32_e32 v17, s19
	v_add_co_u32_e32 v16, vcc, s18, v0
	v_addc_co_u32_e32 v17, vcc, 0, v17, vcc
	v_cmp_gt_u64_e64 s[0:1], s[16:17], v[16:17]
	v_mov_b32_e32 v17, 0
	s_and_saveexec_b64 s[2:3], s[0:1]
	s_cbranch_execz .LBB176_6
; %bb.5:                                ;   in Loop: Header=BB176_4 Depth=1
	global_load_ushort v17, v[4:5], off
.LBB176_6:                              ;   in Loop: Header=BB176_4 Depth=1
	s_or_b64 exec, exec, s[2:3]
	v_mov_b32_e32 v16, s19
	v_add_co_u32_e32 v18, vcc, s18, v13
	v_addc_co_u32_e32 v19, vcc, v14, v16, vcc
	v_cmp_gt_u64_e64 s[2:3], s[16:17], v[18:19]
	v_mov_b32_e32 v18, 0
	s_and_saveexec_b64 s[6:7], s[2:3]
	s_cbranch_execz .LBB176_8
; %bb.7:                                ;   in Loop: Header=BB176_4 Depth=1
	global_load_ushort v18, v[6:7], off
.LBB176_8:                              ;   in Loop: Header=BB176_4 Depth=1
	s_or_b64 exec, exec, s[6:7]
	v_mov_b32_e32 v16, s19
	v_add_co_u32_e32 v20, vcc, s18, v11
	v_addc_co_u32_e32 v21, vcc, v12, v16, vcc
	v_cmp_gt_u64_e64 s[6:7], s[16:17], v[20:21]
	v_mov_b32_e32 v16, 0
	v_mov_b32_e32 v19, 0
	s_and_saveexec_b64 s[8:9], s[6:7]
	s_cbranch_execz .LBB176_10
; %bb.9:                                ;   in Loop: Header=BB176_4 Depth=1
	v_mov_b32_e32 v19, s22
	v_add_co_u32_e32 v20, vcc, s23, v4
	v_addc_co_u32_e32 v21, vcc, v5, v19, vcc
	global_load_ushort v19, v[20:21], off
.LBB176_10:                             ;   in Loop: Header=BB176_4 Depth=1
	s_or_b64 exec, exec, s[8:9]
	v_mov_b32_e32 v21, s19
	v_add_co_u32_e32 v20, vcc, s18, v1
	v_addc_co_u32_e32 v21, vcc, v10, v21, vcc
	v_cmp_gt_u64_e32 vcc, s[16:17], v[20:21]
	s_and_saveexec_b64 s[20:21], vcc
	s_cbranch_execnz .LBB176_15
; %bb.11:                               ;   in Loop: Header=BB176_4 Depth=1
	s_or_b64 exec, exec, s[20:21]
	s_and_saveexec_b64 s[8:9], s[0:1]
	s_cbranch_execnz .LBB176_16
.LBB176_12:                             ;   in Loop: Header=BB176_4 Depth=1
	s_or_b64 exec, exec, s[8:9]
	s_and_saveexec_b64 s[8:9], s[2:3]
	s_cbranch_execnz .LBB176_17
.LBB176_13:                             ;   in Loop: Header=BB176_4 Depth=1
	s_or_b64 exec, exec, s[8:9]
	s_and_saveexec_b64 s[2:3], s[6:7]
	s_cbranch_execnz .LBB176_18
.LBB176_14:                             ;   in Loop: Header=BB176_4 Depth=1
	s_or_b64 exec, exec, s[2:3]
	s_and_saveexec_b64 s[0:1], vcc
	s_cbranch_execz .LBB176_3
	s_branch .LBB176_19
.LBB176_15:                             ;   in Loop: Header=BB176_4 Depth=1
	v_mov_b32_e32 v16, s26
	v_add_co_u32_e64 v20, s[8:9], s25, v4
	v_addc_co_u32_e64 v21, s[8:9], v5, v16, s[8:9]
	global_load_ushort v16, v[20:21], off
	s_or_b64 exec, exec, s[20:21]
	s_and_saveexec_b64 s[8:9], s[0:1]
	s_cbranch_execz .LBB176_12
.LBB176_16:                             ;   in Loop: Header=BB176_4 Depth=1
	s_waitcnt vmcnt(0)
	v_cvt_f32_f16_e32 v17, v17
	v_log_f32_e32 v17, v17
	v_mul_f32_e32 v20, 0x3f317217, v17
	v_fma_f32 v21, v17, s27, -v20
	v_fmac_f32_e32 v21, 0x3377d1cf, v17
	v_add_f32_e32 v20, v20, v21
	v_cmp_lt_f32_e64 s[0:1], |v17|, s28
	v_cndmask_b32_e64 v17, v17, v20, s[0:1]
	v_cvt_f16_f32_e32 v17, v17
	global_store_short v[4:5], v17, off
	s_or_b64 exec, exec, s[8:9]
	s_and_saveexec_b64 s[8:9], s[2:3]
	s_cbranch_execz .LBB176_13
.LBB176_17:                             ;   in Loop: Header=BB176_4 Depth=1
	s_waitcnt vmcnt(0)
	v_cvt_f32_f16_e32 v17, v18
	v_log_f32_e32 v17, v17
	v_mul_f32_e32 v18, 0x3f317217, v17
	v_fma_f32 v20, v17, s27, -v18
	v_fmac_f32_e32 v20, 0x3377d1cf, v17
	v_add_f32_e32 v18, v18, v20
	v_cmp_lt_f32_e64 s[0:1], |v17|, s28
	v_cndmask_b32_e64 v17, v17, v18, s[0:1]
	v_cvt_f16_f32_e32 v17, v17
	global_store_short v[6:7], v17, off
	s_or_b64 exec, exec, s[8:9]
	s_and_saveexec_b64 s[2:3], s[6:7]
	s_cbranch_execz .LBB176_14
.LBB176_18:                             ;   in Loop: Header=BB176_4 Depth=1
	s_waitcnt vmcnt(0)
	v_cvt_f32_f16_e32 v17, v19
	v_mov_b32_e32 v19, s22
	v_log_f32_e32 v17, v17
	v_mul_f32_e32 v18, 0x3f317217, v17
	v_fma_f32 v20, v17, s27, -v18
	v_fmac_f32_e32 v20, 0x3377d1cf, v17
	v_add_f32_e32 v18, v18, v20
	v_cmp_lt_f32_e64 s[0:1], |v17|, s28
	v_cndmask_b32_e64 v17, v17, v18, s[0:1]
	v_cvt_f16_f32_e32 v17, v17
	v_add_co_u32_e64 v18, s[0:1], s23, v4
	v_addc_co_u32_e64 v19, s[0:1], v5, v19, s[0:1]
	global_store_short v[18:19], v17, off
	s_or_b64 exec, exec, s[2:3]
	s_and_saveexec_b64 s[0:1], vcc
	s_cbranch_execz .LBB176_3
.LBB176_19:                             ;   in Loop: Header=BB176_4 Depth=1
	s_waitcnt vmcnt(0)
	v_cvt_f32_f16_e32 v16, v16
	v_mov_b32_e32 v17, s26
	v_log_f32_e32 v16, v16
	v_mul_f32_e32 v18, 0x3f317217, v16
	v_fma_f32 v19, v16, s27, -v18
	v_fmac_f32_e32 v19, 0x3377d1cf, v16
	v_add_f32_e32 v18, v18, v19
	v_cmp_lt_f32_e64 vcc, |v16|, s28
	v_cndmask_b32_e32 v16, v16, v18, vcc
	v_cvt_f16_f32_e32 v18, v16
	v_add_co_u32_e32 v16, vcc, s25, v4
	v_addc_co_u32_e32 v17, vcc, v5, v17, vcc
	global_store_short v[16:17], v18, off
	s_branch .LBB176_3
.LBB176_20:
	s_cbranch_execz .LBB176_22
	s_branch .LBB176_25
.LBB176_21:
.LBB176_22:
	v_mov_b32_e32 v3, 0
	v_lshlrev_b32_e32 v2, 2, v0
	s_mov_b32 s0, 0
	v_cmp_gt_i64_e32 vcc, s[10:11], v[2:3]
	s_and_saveexec_b64 s[2:3], vcc
	s_cbranch_execz .LBB176_25
; %bb.23:
	s_load_dword s1, s[4:5], 0xd3c
	v_lshlrev_b32_e32 v1, 3, v0
	s_mov_b64 s[4:5], 0
	s_mov_b64 s[6:7], 0xffff
	v_mov_b32_e32 v5, s0
	s_waitcnt lgkmcnt(0)
	s_and_b32 s1, s1, 0xffff
	s_lshl_b32 s8, s1, 2
	s_add_u32 s2, s12, s14
	s_addc_u32 s3, s13, s15
	v_add_lshl_u32 v2, v0, s1, 2
	v_mov_b32_e32 v0, s3
	v_add_co_u32_e32 v1, vcc, s2, v1
	v_addc_co_u32_e32 v4, vcc, 0, v0, vcc
	v_add_co_u32_e32 v0, vcc, 4, v1
	v_addc_co_u32_e32 v1, vcc, 0, v4, vcc
	s_lshl_b32 s9, s1, 3
	s_mov_b32 s12, 0x3f317217
	s_mov_b32 s13, 0x7f800000
	v_mov_b32_e32 v4, s0
.LBB176_24:                             ; =>This Inner Loop Header: Depth=1
	global_load_dwordx2 v[6:7], v[0:1], off offset:-4
	v_cmp_le_i64_e32 vcc, s[10:11], v[2:3]
	v_cmp_lt_u64_e64 s[0:1], s[6:7], v[2:3]
	s_or_b64 s[0:1], vcc, s[0:1]
	v_add_co_u32_e64 v2, s[2:3], s8, v2
	s_and_b64 s[0:1], exec, s[0:1]
	v_addc_co_u32_e64 v3, s[2:3], v3, v4, s[2:3]
	s_or_b64 s[4:5], s[0:1], s[4:5]
	s_waitcnt vmcnt(0)
	v_cvt_f32_f16_e32 v8, v6
	v_cvt_f32_f16_sdwa v6, v6 dst_sel:DWORD dst_unused:UNUSED_PAD src0_sel:WORD_1
	v_cvt_f32_f16_e32 v9, v7
	v_cvt_f32_f16_sdwa v7, v7 dst_sel:DWORD dst_unused:UNUSED_PAD src0_sel:WORD_1
	v_log_f32_e32 v8, v8
	v_log_f32_e32 v6, v6
	;; [unrolled: 1-line block ×4, first 2 shown]
	v_mul_f32_e32 v10, 0x3f317217, v8
	v_mul_f32_e32 v11, 0x3f317217, v6
	v_fma_f32 v14, v8, s12, -v10
	v_mul_f32_e32 v12, 0x3f317217, v9
	v_fma_f32 v15, v6, s12, -v11
	v_fmac_f32_e32 v14, 0x3377d1cf, v8
	v_mul_f32_e32 v13, 0x3f317217, v7
	v_fma_f32 v16, v9, s12, -v12
	v_fmac_f32_e32 v15, 0x3377d1cf, v6
	v_add_f32_e32 v10, v10, v14
	v_cmp_lt_f32_e64 vcc, |v8|, s13
	v_fma_f32 v17, v7, s12, -v13
	v_fmac_f32_e32 v16, 0x3377d1cf, v9
	v_add_f32_e32 v11, v11, v15
	v_cndmask_b32_e32 v8, v8, v10, vcc
	v_cmp_lt_f32_e64 vcc, |v6|, s13
	v_fmac_f32_e32 v17, 0x3377d1cf, v7
	v_add_f32_e32 v12, v12, v16
	v_cndmask_b32_e32 v6, v6, v11, vcc
	v_cmp_lt_f32_e64 vcc, |v9|, s13
	v_add_f32_e32 v13, v13, v17
	v_cndmask_b32_e32 v9, v9, v12, vcc
	v_cmp_lt_f32_e64 vcc, |v7|, s13
	v_cndmask_b32_e32 v7, v7, v13, vcc
	v_cvt_f16_f32_e32 v8, v8
	v_cvt_f16_f32_e32 v9, v9
	;; [unrolled: 1-line block ×4, first 2 shown]
	v_pack_b32_f16 v7, v9, v7
	v_pack_b32_f16 v6, v8, v6
	global_store_dwordx2 v[0:1], v[6:7], off offset:-4
	v_add_co_u32_e32 v0, vcc, s9, v0
	v_addc_co_u32_e32 v1, vcc, v1, v5, vcc
	s_andn2_b64 exec, exec, s[4:5]
	s_cbranch_execnz .LBB176_24
.LBB176_25:
	s_endpgm
	.section	.rodata,"a",@progbits
	.p2align	6, 0x0
	.amdhsa_kernel _ZN2at6native12_GLOBAL__N_125multi_tensor_apply_kernelINS1_18TensorListMetadataILi1EEENS1_14UnaryOpFunctorIN3c104HalfELi1ELi1ELi0EEEJNS0_3LogIfEEEEEvT_T0_DpT1_
		.amdhsa_group_segment_fixed_size 0
		.amdhsa_private_segment_fixed_size 0
		.amdhsa_kernarg_size 3632
		.amdhsa_user_sgpr_count 6
		.amdhsa_user_sgpr_private_segment_buffer 1
		.amdhsa_user_sgpr_dispatch_ptr 0
		.amdhsa_user_sgpr_queue_ptr 0
		.amdhsa_user_sgpr_kernarg_segment_ptr 1
		.amdhsa_user_sgpr_dispatch_id 0
		.amdhsa_user_sgpr_flat_scratch_init 0
		.amdhsa_user_sgpr_kernarg_preload_length 0
		.amdhsa_user_sgpr_kernarg_preload_offset 0
		.amdhsa_user_sgpr_private_segment_size 0
		.amdhsa_uses_dynamic_stack 0
		.amdhsa_system_sgpr_private_segment_wavefront_offset 0
		.amdhsa_system_sgpr_workgroup_id_x 1
		.amdhsa_system_sgpr_workgroup_id_y 0
		.amdhsa_system_sgpr_workgroup_id_z 0
		.amdhsa_system_sgpr_workgroup_info 0
		.amdhsa_system_vgpr_workitem_id 0
		.amdhsa_next_free_vgpr 22
		.amdhsa_next_free_sgpr 29
		.amdhsa_accum_offset 24
		.amdhsa_reserve_vcc 1
		.amdhsa_reserve_flat_scratch 0
		.amdhsa_float_round_mode_32 0
		.amdhsa_float_round_mode_16_64 0
		.amdhsa_float_denorm_mode_32 3
		.amdhsa_float_denorm_mode_16_64 3
		.amdhsa_dx10_clamp 1
		.amdhsa_ieee_mode 1
		.amdhsa_fp16_overflow 0
		.amdhsa_tg_split 0
		.amdhsa_exception_fp_ieee_invalid_op 0
		.amdhsa_exception_fp_denorm_src 0
		.amdhsa_exception_fp_ieee_div_zero 0
		.amdhsa_exception_fp_ieee_overflow 0
		.amdhsa_exception_fp_ieee_underflow 0
		.amdhsa_exception_fp_ieee_inexact 0
		.amdhsa_exception_int_div_zero 0
	.end_amdhsa_kernel
	.section	.text._ZN2at6native12_GLOBAL__N_125multi_tensor_apply_kernelINS1_18TensorListMetadataILi1EEENS1_14UnaryOpFunctorIN3c104HalfELi1ELi1ELi0EEEJNS0_3LogIfEEEEEvT_T0_DpT1_,"axG",@progbits,_ZN2at6native12_GLOBAL__N_125multi_tensor_apply_kernelINS1_18TensorListMetadataILi1EEENS1_14UnaryOpFunctorIN3c104HalfELi1ELi1ELi0EEEJNS0_3LogIfEEEEEvT_T0_DpT1_,comdat
.Lfunc_end176:
	.size	_ZN2at6native12_GLOBAL__N_125multi_tensor_apply_kernelINS1_18TensorListMetadataILi1EEENS1_14UnaryOpFunctorIN3c104HalfELi1ELi1ELi0EEEJNS0_3LogIfEEEEEvT_T0_DpT1_, .Lfunc_end176-_ZN2at6native12_GLOBAL__N_125multi_tensor_apply_kernelINS1_18TensorListMetadataILi1EEENS1_14UnaryOpFunctorIN3c104HalfELi1ELi1ELi0EEEJNS0_3LogIfEEEEEvT_T0_DpT1_
                                        ; -- End function
	.section	.AMDGPU.csdata,"",@progbits
; Kernel info:
; codeLenInByte = 1440
; NumSgprs: 33
; NumVgprs: 22
; NumAgprs: 0
; TotalNumVgprs: 22
; ScratchSize: 0
; MemoryBound: 0
; FloatMode: 240
; IeeeMode: 1
; LDSByteSize: 0 bytes/workgroup (compile time only)
; SGPRBlocks: 4
; VGPRBlocks: 2
; NumSGPRsForWavesPerEU: 33
; NumVGPRsForWavesPerEU: 22
; AccumOffset: 24
; Occupancy: 8
; WaveLimiterHint : 0
; COMPUTE_PGM_RSRC2:SCRATCH_EN: 0
; COMPUTE_PGM_RSRC2:USER_SGPR: 6
; COMPUTE_PGM_RSRC2:TRAP_HANDLER: 0
; COMPUTE_PGM_RSRC2:TGID_X_EN: 1
; COMPUTE_PGM_RSRC2:TGID_Y_EN: 0
; COMPUTE_PGM_RSRC2:TGID_Z_EN: 0
; COMPUTE_PGM_RSRC2:TIDIG_COMP_CNT: 0
; COMPUTE_PGM_RSRC3_GFX90A:ACCUM_OFFSET: 5
; COMPUTE_PGM_RSRC3_GFX90A:TG_SPLIT: 0
	.section	.text._ZN2at6native12_GLOBAL__N_125multi_tensor_apply_kernelINS1_18TensorListMetadataILi1EEENS1_14UnaryOpFunctorIN3c108BFloat16ELi1ELi1ELi0EEEJNS0_3LogIfEEEEEvT_T0_DpT1_,"axG",@progbits,_ZN2at6native12_GLOBAL__N_125multi_tensor_apply_kernelINS1_18TensorListMetadataILi1EEENS1_14UnaryOpFunctorIN3c108BFloat16ELi1ELi1ELi0EEEJNS0_3LogIfEEEEEvT_T0_DpT1_,comdat
	.globl	_ZN2at6native12_GLOBAL__N_125multi_tensor_apply_kernelINS1_18TensorListMetadataILi1EEENS1_14UnaryOpFunctorIN3c108BFloat16ELi1ELi1ELi0EEEJNS0_3LogIfEEEEEvT_T0_DpT1_ ; -- Begin function _ZN2at6native12_GLOBAL__N_125multi_tensor_apply_kernelINS1_18TensorListMetadataILi1EEENS1_14UnaryOpFunctorIN3c108BFloat16ELi1ELi1ELi0EEEJNS0_3LogIfEEEEEvT_T0_DpT1_
	.p2align	8
	.type	_ZN2at6native12_GLOBAL__N_125multi_tensor_apply_kernelINS1_18TensorListMetadataILi1EEENS1_14UnaryOpFunctorIN3c108BFloat16ELi1ELi1ELi0EEEJNS0_3LogIfEEEEEvT_T0_DpT1_,@function
_ZN2at6native12_GLOBAL__N_125multi_tensor_apply_kernelINS1_18TensorListMetadataILi1EEENS1_14UnaryOpFunctorIN3c108BFloat16ELi1ELi1ELi0EEEJNS0_3LogIfEEEEEvT_T0_DpT1_: ; @_ZN2at6native12_GLOBAL__N_125multi_tensor_apply_kernelINS1_18TensorListMetadataILi1EEENS1_14UnaryOpFunctorIN3c108BFloat16ELi1ELi1ELi0EEEJNS0_3LogIfEEEEEvT_T0_DpT1_
; %bb.0:
	v_mov_b32_e32 v1, s6
	global_load_ubyte v1, v1, s[4:5] offset:1760
	s_add_u32 s0, s4, s6
	s_mul_hi_u32 s1, s6, 3
	s_mul_i32 s6, s6, 3
	s_addc_u32 s2, s5, 0
	s_add_u32 s0, s0, s6
	s_addc_u32 s1, s2, s1
	s_load_dword s0, s[0:1], 0x820
	s_mov_b32 s7, 0
	s_waitcnt vmcnt(0)
	v_readfirstlane_b32 s2, v1
	s_lshl_b32 s1, s2, 3
	s_load_dwordx2 s[2:3], s[4:5], s1 offset:0x370
	s_load_dwordx2 s[12:13], s[4:5], s1 offset:0x0
	s_waitcnt lgkmcnt(0)
	s_ashr_i32 s1, s0, 31
	s_lshl_b64 s[14:15], s[0:1], 17
	s_lshl_b64 s[0:1], s[0:1], 16
	s_and_b32 s6, s12, 7
	s_sub_u32 s10, s2, s0
	s_subb_u32 s11, s3, s1
	s_and_b32 s0, s2, 3
	s_mov_b32 s1, s7
	s_or_b64 s[0:1], s[6:7], s[0:1]
	s_cmp_eq_u64 s[0:1], 0
	s_cbranch_scc1 .LBB177_21
; %bb.1:
	v_cmp_lt_i64_e64 s[0:1], s[10:11], 1
	s_and_b64 vcc, exec, s[0:1]
	s_cbranch_vccnz .LBB177_20
; %bb.2:
	s_load_dword s0, s[4:5], 0xd3c
	v_mov_b32_e32 v2, 0x10000
	v_mov_b32_e32 v3, 0
	v_cmp_lt_u64_e32 vcc, s[10:11], v[2:3]
	v_lshlrev_b32_e32 v1, 1, v0
	s_waitcnt lgkmcnt(0)
	s_and_b32 s2, s0, 0xffff
	s_and_b64 s[0:1], vcc, exec
	s_cselect_b32 s17, s11, 0
	s_cselect_b32 s16, s10, 0x10000
	s_lshl_b32 s3, s2, 1
	s_lshl_b32 s23, s2, 2
	s_add_u32 s6, s12, s14
	s_addc_u32 s7, s13, s15
	v_mov_b32_e32 v3, s7
	v_add_co_u32_e32 v2, vcc, s6, v1
	s_mul_i32 s0, s2, 3
	v_addc_co_u32_e32 v3, vcc, 0, v3, vcc
	v_add_co_u32_e32 v1, vcc, s0, v0
	v_addc_co_u32_e64 v8, s[0:1], 0, 0, vcc
	v_add_co_u32_e32 v9, vcc, s3, v0
	v_addc_co_u32_e64 v10, s[0:1], 0, 0, vcc
	v_add_co_u32_e32 v11, vcc, s2, v0
	v_lshlrev_b32_e32 v4, 1, v11
	s_mov_b32 s22, 0
	v_addc_co_u32_e64 v12, s[0:1], 0, 0, vcc
	v_mov_b32_e32 v5, s7
	v_add_co_u32_e32 v4, vcc, s6, v4
	s_lshl_b32 s24, s2, 3
	s_mul_i32 s25, s2, 6
	s_mov_b32 s26, s22
	v_addc_co_u32_e32 v5, vcc, 0, v5, vcc
	s_mov_b64 s[18:19], 0
	s_mov_b32 s27, 0x800000
	s_mov_b32 s28, 0x3f317217
	;; [unrolled: 1-line block ×3, first 2 shown]
	s_movk_i32 s30, 0x7fff
	v_mov_b32_e32 v13, 0x4f800000
	v_mov_b32_e32 v14, 0x41b17218
	;; [unrolled: 1-line block ×3, first 2 shown]
	v_pk_mov_b32 v[6:7], s[10:11], s[10:11] op_sel:[0,1]
	v_mov_b32_e32 v16, s22
	s_branch .LBB177_4
.LBB177_3:                              ;   in Loop: Header=BB177_4 Depth=1
	s_or_b64 exec, exec, s[0:1]
	s_add_u32 s18, s18, s23
	s_waitcnt vmcnt(0)
	v_mov_b32_e32 v18, 0x10000
	s_addc_u32 s19, s19, 0
	v_mov_b32_e32 v19, 0
	v_cmp_lt_i64_e32 vcc, s[18:19], v[6:7]
	v_cmp_lt_u64_e64 s[0:1], s[18:19], v[18:19]
	s_and_b64 s[0:1], vcc, s[0:1]
	v_add_co_u32_e32 v2, vcc, s24, v2
	v_addc_co_u32_e32 v3, vcc, v3, v16, vcc
	v_add_co_u32_e32 v4, vcc, s24, v4
	v_addc_co_u32_e32 v5, vcc, v5, v16, vcc
	s_and_b64 vcc, exec, s[0:1]
	s_cbranch_vccz .LBB177_20
.LBB177_4:                              ; =>This Inner Loop Header: Depth=1
	v_mov_b32_e32 v17, s19
	v_add_co_u32_e32 v18, vcc, s18, v0
	v_addc_co_u32_e32 v19, vcc, 0, v17, vcc
	v_cmp_gt_u64_e64 s[6:7], s[16:17], v[18:19]
	v_mov_b32_e32 v20, 0
	s_and_saveexec_b64 s[0:1], s[6:7]
	s_cbranch_execz .LBB177_6
; %bb.5:                                ;   in Loop: Header=BB177_4 Depth=1
	global_load_ushort v20, v[2:3], off
.LBB177_6:                              ;   in Loop: Header=BB177_4 Depth=1
	s_or_b64 exec, exec, s[0:1]
	v_mov_b32_e32 v17, s19
	v_add_co_u32_e32 v18, vcc, s18, v11
	v_addc_co_u32_e32 v19, vcc, v12, v17, vcc
	v_cmp_gt_u64_e64 s[2:3], s[16:17], v[18:19]
	v_mov_b32_e32 v19, 0
	s_and_saveexec_b64 s[0:1], s[2:3]
	s_cbranch_execz .LBB177_8
; %bb.7:                                ;   in Loop: Header=BB177_4 Depth=1
	global_load_ushort v19, v[4:5], off
.LBB177_8:                              ;   in Loop: Header=BB177_4 Depth=1
	s_or_b64 exec, exec, s[0:1]
	v_mov_b32_e32 v17, s19
	v_add_co_u32_e32 v22, vcc, s18, v9
	v_addc_co_u32_e32 v23, vcc, v10, v17, vcc
	v_cmp_gt_u64_e64 s[0:1], s[16:17], v[22:23]
	v_mov_b32_e32 v17, 0
	v_mov_b32_e32 v18, 0
	s_and_saveexec_b64 s[8:9], s[0:1]
	s_cbranch_execz .LBB177_10
; %bb.9:                                ;   in Loop: Header=BB177_4 Depth=1
	v_mov_b32_e32 v18, s22
	v_add_co_u32_e32 v22, vcc, s23, v2
	v_addc_co_u32_e32 v23, vcc, v3, v18, vcc
	global_load_ushort v18, v[22:23], off
.LBB177_10:                             ;   in Loop: Header=BB177_4 Depth=1
	s_or_b64 exec, exec, s[8:9]
	v_mov_b32_e32 v21, s19
	v_add_co_u32_e32 v22, vcc, s18, v1
	v_addc_co_u32_e32 v23, vcc, v8, v21, vcc
	v_cmp_gt_u64_e32 vcc, s[16:17], v[22:23]
	s_and_saveexec_b64 s[20:21], vcc
	s_cbranch_execnz .LBB177_15
; %bb.11:                               ;   in Loop: Header=BB177_4 Depth=1
	s_or_b64 exec, exec, s[20:21]
	s_and_saveexec_b64 s[8:9], s[6:7]
	s_cbranch_execnz .LBB177_16
.LBB177_12:                             ;   in Loop: Header=BB177_4 Depth=1
	s_or_b64 exec, exec, s[8:9]
	s_and_saveexec_b64 s[6:7], s[2:3]
	s_cbranch_execnz .LBB177_17
.LBB177_13:                             ;   in Loop: Header=BB177_4 Depth=1
	s_or_b64 exec, exec, s[6:7]
	s_and_saveexec_b64 s[2:3], s[0:1]
	s_cbranch_execnz .LBB177_18
.LBB177_14:                             ;   in Loop: Header=BB177_4 Depth=1
	s_or_b64 exec, exec, s[2:3]
	s_and_saveexec_b64 s[0:1], vcc
	s_cbranch_execz .LBB177_3
	s_branch .LBB177_19
.LBB177_15:                             ;   in Loop: Header=BB177_4 Depth=1
	v_mov_b32_e32 v17, s26
	v_add_co_u32_e64 v22, s[8:9], s25, v2
	v_addc_co_u32_e64 v23, s[8:9], v3, v17, s[8:9]
	global_load_ushort v17, v[22:23], off
	s_or_b64 exec, exec, s[20:21]
	s_and_saveexec_b64 s[8:9], s[6:7]
	s_cbranch_execz .LBB177_12
.LBB177_16:                             ;   in Loop: Header=BB177_4 Depth=1
	s_waitcnt vmcnt(0)
	v_lshlrev_b32_e32 v20, 16, v20
	v_cmp_gt_f32_e64 s[6:7], s27, v20
	v_cndmask_b32_e64 v21, 1.0, v13, s[6:7]
	v_mul_f32_e32 v20, v20, v21
	v_log_f32_e32 v20, v20
	v_cndmask_b32_e64 v21, 0, v14, s[6:7]
	v_mul_f32_e32 v22, 0x3f317217, v20
	v_fma_f32 v23, v20, s28, -v22
	v_fmac_f32_e32 v23, 0x3377d1cf, v20
	v_add_f32_e32 v22, v22, v23
	v_cmp_lt_f32_e64 s[6:7], |v20|, s29
	v_cndmask_b32_e64 v20, v20, v22, s[6:7]
	v_sub_f32_e32 v20, v20, v21
	v_bfe_u32 v21, v20, 16, 1
	v_add3_u32 v21, v20, v21, s30
	v_lshrrev_b32_e32 v21, 16, v21
	v_cmp_o_f32_e64 s[6:7], v20, v20
	v_cndmask_b32_e64 v20, v15, v21, s[6:7]
	global_store_short v[2:3], v20, off
	s_or_b64 exec, exec, s[8:9]
	s_and_saveexec_b64 s[6:7], s[2:3]
	s_cbranch_execz .LBB177_13
.LBB177_17:                             ;   in Loop: Header=BB177_4 Depth=1
	s_waitcnt vmcnt(0)
	v_lshlrev_b32_e32 v19, 16, v19
	v_cmp_gt_f32_e64 s[2:3], s27, v19
	v_cndmask_b32_e64 v20, 1.0, v13, s[2:3]
	v_mul_f32_e32 v19, v19, v20
	v_log_f32_e32 v19, v19
	v_cndmask_b32_e64 v20, 0, v14, s[2:3]
	v_mul_f32_e32 v21, 0x3f317217, v19
	v_fma_f32 v22, v19, s28, -v21
	v_fmac_f32_e32 v22, 0x3377d1cf, v19
	v_add_f32_e32 v21, v21, v22
	v_cmp_lt_f32_e64 s[2:3], |v19|, s29
	v_cndmask_b32_e64 v19, v19, v21, s[2:3]
	v_sub_f32_e32 v19, v19, v20
	v_bfe_u32 v20, v19, 16, 1
	v_add3_u32 v20, v19, v20, s30
	v_lshrrev_b32_e32 v20, 16, v20
	v_cmp_o_f32_e64 s[2:3], v19, v19
	v_cndmask_b32_e64 v19, v15, v20, s[2:3]
	global_store_short v[4:5], v19, off
	s_or_b64 exec, exec, s[6:7]
	s_and_saveexec_b64 s[2:3], s[0:1]
	s_cbranch_execz .LBB177_14
.LBB177_18:                             ;   in Loop: Header=BB177_4 Depth=1
	s_waitcnt vmcnt(0)
	v_lshlrev_b32_e32 v18, 16, v18
	v_cmp_gt_f32_e64 s[0:1], s27, v18
	v_cndmask_b32_e64 v19, 1.0, v13, s[0:1]
	v_mul_f32_e32 v18, v18, v19
	v_log_f32_e32 v18, v18
	v_cndmask_b32_e64 v19, 0, v14, s[0:1]
	v_mul_f32_e32 v20, 0x3f317217, v18
	v_fma_f32 v21, v18, s28, -v20
	v_fmac_f32_e32 v21, 0x3377d1cf, v18
	v_add_f32_e32 v20, v20, v21
	v_cmp_lt_f32_e64 s[0:1], |v18|, s29
	v_cndmask_b32_e64 v18, v18, v20, s[0:1]
	v_sub_f32_e32 v18, v18, v19
	v_bfe_u32 v19, v18, 16, 1
	v_add3_u32 v19, v18, v19, s30
	v_lshrrev_b32_e32 v19, 16, v19
	v_cmp_o_f32_e64 s[0:1], v18, v18
	v_cndmask_b32_e64 v20, v15, v19, s[0:1]
	v_mov_b32_e32 v19, s22
	v_add_co_u32_e64 v18, s[0:1], s23, v2
	v_addc_co_u32_e64 v19, s[0:1], v3, v19, s[0:1]
	global_store_short v[18:19], v20, off
	s_or_b64 exec, exec, s[2:3]
	s_and_saveexec_b64 s[0:1], vcc
	s_cbranch_execz .LBB177_3
.LBB177_19:                             ;   in Loop: Header=BB177_4 Depth=1
	s_waitcnt vmcnt(0)
	v_lshlrev_b32_e32 v17, 16, v17
	v_cmp_gt_f32_e32 vcc, s27, v17
	v_cndmask_b32_e32 v18, 1.0, v13, vcc
	v_mul_f32_e32 v17, v17, v18
	v_log_f32_e32 v17, v17
	v_cndmask_b32_e32 v18, 0, v14, vcc
	v_mul_f32_e32 v19, 0x3f317217, v17
	v_fma_f32 v20, v17, s28, -v19
	v_fmac_f32_e32 v20, 0x3377d1cf, v17
	v_add_f32_e32 v19, v19, v20
	v_cmp_lt_f32_e64 vcc, |v17|, s29
	v_cndmask_b32_e32 v17, v17, v19, vcc
	v_sub_f32_e32 v17, v17, v18
	v_bfe_u32 v18, v17, 16, 1
	v_add3_u32 v18, v17, v18, s30
	v_lshrrev_b32_e32 v18, 16, v18
	v_cmp_o_f32_e32 vcc, v17, v17
	v_cndmask_b32_e32 v17, v15, v18, vcc
	v_mov_b32_e32 v19, s26
	v_add_co_u32_e32 v18, vcc, s25, v2
	v_addc_co_u32_e32 v19, vcc, v3, v19, vcc
	global_store_short v[18:19], v17, off
	s_branch .LBB177_3
.LBB177_20:
	s_cbranch_execz .LBB177_22
	s_branch .LBB177_25
.LBB177_21:
.LBB177_22:
	v_mov_b32_e32 v3, 0
	v_lshlrev_b32_e32 v2, 2, v0
	s_mov_b32 s0, 0
	v_cmp_gt_i64_e32 vcc, s[10:11], v[2:3]
	s_and_saveexec_b64 s[2:3], vcc
	s_cbranch_execz .LBB177_25
; %bb.23:
	s_load_dword s1, s[4:5], 0xd3c
	v_lshlrev_b32_e32 v1, 3, v0
	s_mov_b64 s[4:5], 0
	v_mov_b32_e32 v6, 0x7fc00000
	v_mov_b32_e32 v7, 0x7fc0
	s_waitcnt lgkmcnt(0)
	s_and_b32 s1, s1, 0xffff
	s_add_u32 s2, s12, s14
	s_addc_u32 s3, s13, s15
	v_mov_b32_e32 v2, s3
	v_add_co_u32_e32 v4, vcc, s2, v1
	v_addc_co_u32_e32 v5, vcc, 0, v2, vcc
	s_lshl_b32 s8, s1, 3
	v_add_lshl_u32 v2, v0, s1, 2
	s_lshl_b32 s9, s1, 2
	s_mov_b32 s12, 0x800000
	v_mov_b32_e32 v0, 0x4f800000
	s_mov_b32 s13, 0x3f317217
	s_mov_b32 s14, 0x7f800000
	v_mov_b32_e32 v1, 0x41b17218
	s_movk_i32 s15, 0x7fff
	s_mov_b64 s[6:7], 0xffff
	v_mov_b32_e32 v8, s0
	v_mov_b32_e32 v9, s0
.LBB177_24:                             ; =>This Inner Loop Header: Depth=1
	global_load_dwordx2 v[10:11], v[4:5], off
	v_cmp_le_i64_e32 vcc, s[10:11], v[2:3]
	v_cmp_lt_u64_e64 s[0:1], s[6:7], v[2:3]
	s_or_b64 s[0:1], vcc, s[0:1]
	s_and_b64 s[0:1], exec, s[0:1]
	s_or_b64 s[4:5], s[0:1], s[4:5]
	s_waitcnt vmcnt(0)
	v_lshlrev_b32_e32 v13, 16, v10
	v_and_b32_e32 v12, 0xffff0000, v10
	v_cmp_gt_f32_e32 vcc, s12, v13
	v_alignbit_b32 v10, v11, v10, 16
	v_and_b32_e32 v11, 0xffff0000, v11
	v_cndmask_b32_e32 v14, 1.0, v0, vcc
	v_cmp_gt_f32_e64 s[0:1], s12, v12
	v_cndmask_b32_e64 v15, 1.0, v0, s[0:1]
	v_cmp_gt_f32_e64 s[2:3], s12, v11
	v_mul_f32_e32 v13, v13, v14
	v_cndmask_b32_e64 v16, 1.0, v0, s[2:3]
	v_mul_f32_e32 v12, v12, v15
	v_log_f32_e32 v13, v13
	v_and_b32_e32 v10, 0xffff0000, v10
	v_mul_f32_e32 v11, v11, v16
	v_log_f32_e32 v12, v12
	v_cndmask_b32_e32 v14, 0, v1, vcc
	v_cmp_gt_f32_e32 vcc, s12, v10
	v_log_f32_e32 v11, v11
	v_cndmask_b32_e32 v17, 1.0, v0, vcc
	v_mul_f32_e32 v10, v10, v17
	v_mul_f32_e32 v18, 0x3f317217, v13
	v_log_f32_e32 v10, v10
	v_mul_f32_e32 v19, 0x3f317217, v12
	v_fma_f32 v21, v13, s13, -v18
	v_mul_f32_e32 v20, 0x3f317217, v11
	v_fma_f32 v22, v12, s13, -v19
	v_fmac_f32_e32 v21, 0x3377d1cf, v13
	v_cndmask_b32_e32 v17, 0, v1, vcc
	v_fma_f32 v24, v11, s13, -v20
	v_fmac_f32_e32 v22, 0x3377d1cf, v12
	v_add_f32_e32 v18, v18, v21
	v_cmp_lt_f32_e64 vcc, |v13|, s14
	v_fmac_f32_e32 v24, 0x3377d1cf, v11
	v_add_f32_e32 v19, v19, v22
	v_cndmask_b32_e32 v13, v13, v18, vcc
	v_cmp_lt_f32_e64 vcc, |v12|, s14
	v_mul_f32_e32 v23, 0x3f317217, v10
	v_add_f32_e32 v20, v20, v24
	v_cndmask_b32_e32 v12, v12, v19, vcc
	v_cmp_lt_f32_e64 vcc, |v11|, s14
	v_cndmask_b32_e64 v16, 0, v1, s[2:3]
	v_fma_f32 v25, v10, s13, -v23
	v_cndmask_b32_e32 v11, v11, v20, vcc
	v_cndmask_b32_e64 v15, 0, v1, s[0:1]
	v_fmac_f32_e32 v25, 0x3377d1cf, v10
	v_sub_f32_e32 v11, v11, v16
	v_add_f32_e32 v18, v23, v25
	v_sub_f32_e32 v12, v12, v15
	v_cmp_lt_f32_e64 vcc, |v10|, s14
	v_bfe_u32 v16, v11, 16, 1
	v_sub_f32_e32 v13, v13, v14
	v_cndmask_b32_e32 v10, v10, v18, vcc
	v_bfe_u32 v15, v12, 16, 1
	v_add3_u32 v16, v11, v16, s15
	v_bfe_u32 v14, v13, 16, 1
	v_sub_f32_e32 v10, v10, v17
	v_add3_u32 v15, v12, v15, s15
	v_and_b32_e32 v16, 0xffff0000, v16
	v_cmp_o_f32_e32 vcc, v11, v11
	v_add3_u32 v14, v13, v14, s15
	v_bfe_u32 v17, v10, 16, 1
	v_and_b32_e32 v15, 0xffff0000, v15
	v_cndmask_b32_e32 v11, v6, v16, vcc
	v_cmp_o_f32_e32 vcc, v12, v12
	v_lshrrev_b32_e32 v14, 16, v14
	v_add3_u32 v17, v10, v17, s15
	v_cndmask_b32_e32 v12, v6, v15, vcc
	v_cmp_o_f32_e32 vcc, v13, v13
	v_lshrrev_b32_e32 v17, 16, v17
	v_cndmask_b32_e32 v13, v7, v14, vcc
	v_cmp_o_f32_e32 vcc, v10, v10
	v_cndmask_b32_e32 v10, v7, v17, vcc
	v_or_b32_e32 v12, v13, v12
	v_or3_b32 v11, 0, v10, v11
	v_or3_b32 v10, v12, 0, 0
	global_store_dwordx2 v[4:5], v[10:11], off
	v_add_co_u32_e32 v4, vcc, s8, v4
	v_addc_co_u32_e32 v5, vcc, v5, v8, vcc
	v_add_co_u32_e32 v2, vcc, s9, v2
	v_addc_co_u32_e32 v3, vcc, v3, v9, vcc
	s_andn2_b64 exec, exec, s[4:5]
	s_cbranch_execnz .LBB177_24
.LBB177_25:
	s_endpgm
	.section	.rodata,"a",@progbits
	.p2align	6, 0x0
	.amdhsa_kernel _ZN2at6native12_GLOBAL__N_125multi_tensor_apply_kernelINS1_18TensorListMetadataILi1EEENS1_14UnaryOpFunctorIN3c108BFloat16ELi1ELi1ELi0EEEJNS0_3LogIfEEEEEvT_T0_DpT1_
		.amdhsa_group_segment_fixed_size 0
		.amdhsa_private_segment_fixed_size 0
		.amdhsa_kernarg_size 3632
		.amdhsa_user_sgpr_count 6
		.amdhsa_user_sgpr_private_segment_buffer 1
		.amdhsa_user_sgpr_dispatch_ptr 0
		.amdhsa_user_sgpr_queue_ptr 0
		.amdhsa_user_sgpr_kernarg_segment_ptr 1
		.amdhsa_user_sgpr_dispatch_id 0
		.amdhsa_user_sgpr_flat_scratch_init 0
		.amdhsa_user_sgpr_kernarg_preload_length 0
		.amdhsa_user_sgpr_kernarg_preload_offset 0
		.amdhsa_user_sgpr_private_segment_size 0
		.amdhsa_uses_dynamic_stack 0
		.amdhsa_system_sgpr_private_segment_wavefront_offset 0
		.amdhsa_system_sgpr_workgroup_id_x 1
		.amdhsa_system_sgpr_workgroup_id_y 0
		.amdhsa_system_sgpr_workgroup_id_z 0
		.amdhsa_system_sgpr_workgroup_info 0
		.amdhsa_system_vgpr_workitem_id 0
		.amdhsa_next_free_vgpr 26
		.amdhsa_next_free_sgpr 31
		.amdhsa_accum_offset 28
		.amdhsa_reserve_vcc 1
		.amdhsa_reserve_flat_scratch 0
		.amdhsa_float_round_mode_32 0
		.amdhsa_float_round_mode_16_64 0
		.amdhsa_float_denorm_mode_32 3
		.amdhsa_float_denorm_mode_16_64 3
		.amdhsa_dx10_clamp 1
		.amdhsa_ieee_mode 1
		.amdhsa_fp16_overflow 0
		.amdhsa_tg_split 0
		.amdhsa_exception_fp_ieee_invalid_op 0
		.amdhsa_exception_fp_denorm_src 0
		.amdhsa_exception_fp_ieee_div_zero 0
		.amdhsa_exception_fp_ieee_overflow 0
		.amdhsa_exception_fp_ieee_underflow 0
		.amdhsa_exception_fp_ieee_inexact 0
		.amdhsa_exception_int_div_zero 0
	.end_amdhsa_kernel
	.section	.text._ZN2at6native12_GLOBAL__N_125multi_tensor_apply_kernelINS1_18TensorListMetadataILi1EEENS1_14UnaryOpFunctorIN3c108BFloat16ELi1ELi1ELi0EEEJNS0_3LogIfEEEEEvT_T0_DpT1_,"axG",@progbits,_ZN2at6native12_GLOBAL__N_125multi_tensor_apply_kernelINS1_18TensorListMetadataILi1EEENS1_14UnaryOpFunctorIN3c108BFloat16ELi1ELi1ELi0EEEJNS0_3LogIfEEEEEvT_T0_DpT1_,comdat
.Lfunc_end177:
	.size	_ZN2at6native12_GLOBAL__N_125multi_tensor_apply_kernelINS1_18TensorListMetadataILi1EEENS1_14UnaryOpFunctorIN3c108BFloat16ELi1ELi1ELi0EEEJNS0_3LogIfEEEEEvT_T0_DpT1_, .Lfunc_end177-_ZN2at6native12_GLOBAL__N_125multi_tensor_apply_kernelINS1_18TensorListMetadataILi1EEENS1_14UnaryOpFunctorIN3c108BFloat16ELi1ELi1ELi0EEEJNS0_3LogIfEEEEEvT_T0_DpT1_
                                        ; -- End function
	.section	.AMDGPU.csdata,"",@progbits
; Kernel info:
; codeLenInByte = 1976
; NumSgprs: 35
; NumVgprs: 26
; NumAgprs: 0
; TotalNumVgprs: 26
; ScratchSize: 0
; MemoryBound: 0
; FloatMode: 240
; IeeeMode: 1
; LDSByteSize: 0 bytes/workgroup (compile time only)
; SGPRBlocks: 4
; VGPRBlocks: 3
; NumSGPRsForWavesPerEU: 35
; NumVGPRsForWavesPerEU: 26
; AccumOffset: 28
; Occupancy: 8
; WaveLimiterHint : 0
; COMPUTE_PGM_RSRC2:SCRATCH_EN: 0
; COMPUTE_PGM_RSRC2:USER_SGPR: 6
; COMPUTE_PGM_RSRC2:TRAP_HANDLER: 0
; COMPUTE_PGM_RSRC2:TGID_X_EN: 1
; COMPUTE_PGM_RSRC2:TGID_Y_EN: 0
; COMPUTE_PGM_RSRC2:TGID_Z_EN: 0
; COMPUTE_PGM_RSRC2:TIDIG_COMP_CNT: 0
; COMPUTE_PGM_RSRC3_GFX90A:ACCUM_OFFSET: 6
; COMPUTE_PGM_RSRC3_GFX90A:TG_SPLIT: 0
	.section	.text._ZN2at6native12_GLOBAL__N_125multi_tensor_apply_kernelINS1_18TensorListMetadataILi2EEENS1_14UnaryOpFunctorIdLi2ELi1ELi1EEEJNS0_5Log10IdEEEEEvT_T0_DpT1_,"axG",@progbits,_ZN2at6native12_GLOBAL__N_125multi_tensor_apply_kernelINS1_18TensorListMetadataILi2EEENS1_14UnaryOpFunctorIdLi2ELi1ELi1EEEJNS0_5Log10IdEEEEEvT_T0_DpT1_,comdat
	.globl	_ZN2at6native12_GLOBAL__N_125multi_tensor_apply_kernelINS1_18TensorListMetadataILi2EEENS1_14UnaryOpFunctorIdLi2ELi1ELi1EEEJNS0_5Log10IdEEEEEvT_T0_DpT1_ ; -- Begin function _ZN2at6native12_GLOBAL__N_125multi_tensor_apply_kernelINS1_18TensorListMetadataILi2EEENS1_14UnaryOpFunctorIdLi2ELi1ELi1EEEJNS0_5Log10IdEEEEEvT_T0_DpT1_
	.p2align	8
	.type	_ZN2at6native12_GLOBAL__N_125multi_tensor_apply_kernelINS1_18TensorListMetadataILi2EEENS1_14UnaryOpFunctorIdLi2ELi1ELi1EEEJNS0_5Log10IdEEEEEvT_T0_DpT1_,@function
_ZN2at6native12_GLOBAL__N_125multi_tensor_apply_kernelINS1_18TensorListMetadataILi2EEENS1_14UnaryOpFunctorIdLi2ELi1ELi1EEEJNS0_5Log10IdEEEEEvT_T0_DpT1_: ; @_ZN2at6native12_GLOBAL__N_125multi_tensor_apply_kernelINS1_18TensorListMetadataILi2EEENS1_14UnaryOpFunctorIdLi2ELi1ELi1EEEJNS0_5Log10IdEEEEEvT_T0_DpT1_
; %bb.0:
	v_mov_b32_e32 v1, s6
	global_load_ubyte v1, v1, s[4:5] offset:1536
	s_add_u32 s0, s4, s6
	s_mul_hi_u32 s3, s6, 3
	s_mul_i32 s6, s6, 3
	s_addc_u32 s7, s5, 0
	s_add_u32 s2, s0, s6
	s_addc_u32 s3, s7, s3
	s_load_dword s14, s[2:3], 0x740
	s_mov_b32 s1, 0
	s_mov_b32 s13, s1
	;; [unrolled: 1-line block ×3, first 2 shown]
	s_waitcnt lgkmcnt(0)
	s_ashr_i32 s15, s14, 31
	s_lshl_b64 s[8:9], s[14:15], 19
	s_waitcnt vmcnt(0)
	v_readfirstlane_b32 s0, v1
	s_lshl_b32 s0, s0, 3
	s_load_dwordx2 s[6:7], s[4:5], s0 offset:0x0
	s_load_dwordx2 s[16:17], s[4:5], s0 offset:0x400
	;; [unrolled: 1-line block ×3, first 2 shown]
	s_waitcnt lgkmcnt(0)
	s_add_u32 s33, s6, s8
	s_addc_u32 s42, s7, s9
	s_and_b32 s0, s33, 31
	s_add_u32 s43, s2, s8
	s_addc_u32 s44, s3, s9
	s_and_b32 s12, s16, 3
	s_and_b32 s10, s43, 31
	s_or_b64 s[12:13], s[0:1], s[12:13]
	s_or_b64 s[12:13], s[10:11], s[12:13]
	s_lshl_b64 s[10:11], s[14:15], 16
	s_sub_u32 s10, s16, s10
	s_subb_u32 s11, s17, s11
	s_cmp_eq_u64 s[12:13], 0
	s_mov_b64 s[12:13], -1
	s_cbranch_scc0 .LBB178_5
; %bb.1:
	v_mov_b32_e32 v14, 0
	v_lshlrev_b32_e32 v2, 2, v0
	v_mov_b32_e32 v3, v14
	v_cmp_gt_i64_e32 vcc, s[10:11], v[2:3]
	s_and_saveexec_b64 s[12:13], vcc
	s_cbranch_execz .LBB178_4
; %bb.2:
	s_load_dword s0, s[4:5], 0xc5c
	s_mov_b32 s20, 0x6b47b09a
	s_mov_b32 s16, 0x55555555
	;; [unrolled: 1-line block ×4, first 2 shown]
	s_waitcnt lgkmcnt(0)
	s_and_b32 s0, s0, 0xffff
	s_mov_b32 s18, 0xbf559e2b
	v_pk_mov_b32 v[20:21], s[20:21], s[20:21] op_sel:[0,1]
	s_mov_b32 s20, 0xd7f4df2e
	s_mov_b32 s22, 0x16291751
	;; [unrolled: 1-line block ×8, first 2 shown]
	v_mov_b32_e32 v17, v14
	v_lshlrev_b32_e32 v18, 5, v0
	v_add_lshl_u32 v16, v0, s0, 2
	s_lshl_b32 s45, s0, 2
	s_lshl_b32 s46, s0, 5
	s_mov_b64 s[14:15], 0
	v_mov_b32_e32 v1, 0x3ff00000
	s_mov_b32 s19, 0x3fc3ab76
	s_mov_b32 s21, 0x3fc7474d
	;; [unrolled: 1-line block ×11, first 2 shown]
	s_movk_i32 s47, 0x204
	v_mov_b32_e32 v19, 0x7ff80000
	v_mov_b32_e32 v22, 0xfff00000
	s_mov_b64 s[40:41], 0xffff
	v_mov_b32_e32 v23, s1
.LBB178_3:                              ; =>This Inner Loop Header: Depth=1
	v_add_co_u32_e32 v2, vcc, s33, v18
	v_mov_b32_e32 v3, s42
	v_addc_co_u32_e32 v3, vcc, 0, v3, vcc
	global_load_dwordx4 v[6:9], v[2:3], off offset:16
	global_load_dwordx4 v[10:13], v[2:3], off
	v_cmp_lt_u64_e64 s[0:1], s[40:41], v[16:17]
	s_waitcnt vmcnt(0)
	v_frexp_mant_f64_e32 v[2:3], v[10:11]
	v_cmp_gt_f64_e32 vcc, s[16:17], v[2:3]
	v_cndmask_b32_e64 v15, v1, 2.0, vcc
	v_mul_f64 v[2:3], v[2:3], v[14:15]
	v_add_f64 v[24:25], v[2:3], 1.0
	v_frexp_exp_i32_f64_e32 v4, v[10:11]
	v_add_f64 v[26:27], v[24:25], -1.0
	v_subbrev_co_u32_e32 v15, vcc, 0, v4, vcc
	v_add_f64 v[4:5], v[2:3], -1.0
	v_add_f64 v[2:3], v[2:3], -v[26:27]
	v_rcp_f64_e32 v[26:27], v[24:25]
	v_cmp_class_f64_e64 vcc, v[10:11], s47
	v_fma_f64 v[28:29], -v[24:25], v[26:27], 1.0
	v_fmac_f64_e32 v[26:27], v[28:29], v[26:27]
	v_fma_f64 v[28:29], -v[24:25], v[26:27], 1.0
	v_fmac_f64_e32 v[26:27], v[28:29], v[26:27]
	v_mul_f64 v[28:29], v[4:5], v[26:27]
	v_mul_f64 v[30:31], v[24:25], v[28:29]
	v_fma_f64 v[24:25], v[28:29], v[24:25], -v[30:31]
	v_fmac_f64_e32 v[24:25], v[28:29], v[2:3]
	v_add_f64 v[2:3], v[30:31], v[24:25]
	v_add_f64 v[32:33], v[4:5], -v[2:3]
	v_add_f64 v[30:31], v[2:3], -v[30:31]
	;; [unrolled: 1-line block ×5, first 2 shown]
	v_add_f64 v[2:3], v[4:5], v[2:3]
	v_add_f64 v[2:3], v[32:33], v[2:3]
	v_mul_f64 v[2:3], v[26:27], v[2:3]
	v_add_f64 v[4:5], v[28:29], v[2:3]
	v_add_f64 v[24:25], v[4:5], -v[28:29]
	v_add_f64 v[2:3], v[2:3], -v[24:25]
	v_mul_f64 v[24:25], v[4:5], v[4:5]
	v_fma_f64 v[26:27], s[18:19], v[24:25], v[20:21]
	v_fma_f64 v[26:27], v[24:25], v[26:27], s[20:21]
	;; [unrolled: 1-line block ×6, first 2 shown]
	v_ldexp_f64 v[28:29], v[4:5], 1
	v_mul_f64 v[4:5], v[4:5], v[24:25]
	v_mul_f64 v[4:5], v[4:5], v[26:27]
	v_add_f64 v[24:25], v[28:29], v[4:5]
	v_add_f64 v[26:27], v[24:25], -v[28:29]
	v_ldexp_f64 v[2:3], v[2:3], 1
	v_add_f64 v[4:5], v[4:5], -v[26:27]
	v_add_f64 v[2:3], v[2:3], v[4:5]
	v_add_f64 v[4:5], v[24:25], v[2:3]
	v_add_f64 v[24:25], v[4:5], -v[24:25]
	v_add_f64 v[2:3], v[2:3], -v[24:25]
	v_cvt_f64_i32_e32 v[24:25], v15
	v_mul_f64 v[26:27], v[24:25], s[30:31]
	v_fma_f64 v[28:29], v[24:25], s[30:31], -v[26:27]
	v_fmac_f64_e32 v[28:29], s[34:35], v[24:25]
	v_add_f64 v[24:25], v[26:27], v[28:29]
	v_add_f64 v[26:27], v[24:25], -v[26:27]
	v_add_f64 v[26:27], v[28:29], -v[26:27]
	v_mul_f64 v[28:29], v[4:5], s[36:37]
	v_fma_f64 v[30:31], v[4:5], s[36:37], -v[28:29]
	v_fmac_f64_e32 v[30:31], s[36:37], v[2:3]
	v_fmac_f64_e32 v[30:31], s[38:39], v[4:5]
	v_add_f64 v[2:3], v[28:29], v[30:31]
	v_add_f64 v[4:5], v[2:3], -v[28:29]
	v_add_f64 v[28:29], v[24:25], v[2:3]
	v_add_f64 v[4:5], v[30:31], -v[4:5]
	v_add_f64 v[30:31], v[28:29], -v[24:25]
	;; [unrolled: 1-line block ×5, first 2 shown]
	v_add_f64 v[2:3], v[2:3], v[24:25]
	v_add_f64 v[24:25], v[26:27], v[4:5]
	v_add_f64 v[30:31], v[24:25], -v[26:27]
	v_add_f64 v[32:33], v[24:25], -v[30:31]
	v_add_f64 v[2:3], v[24:25], v[2:3]
	v_add_f64 v[26:27], v[26:27], -v[32:33]
	v_add_f64 v[4:5], v[4:5], -v[30:31]
	v_add_f64 v[24:25], v[28:29], v[2:3]
	v_add_f64 v[4:5], v[4:5], v[26:27]
	v_add_f64 v[26:27], v[24:25], -v[28:29]
	v_add_f64 v[2:3], v[2:3], -v[26:27]
	v_add_f64 v[2:3], v[4:5], v[2:3]
	v_add_f64 v[2:3], v[24:25], v[2:3]
	v_cndmask_b32_e32 v2, v2, v10, vcc
	v_cndmask_b32_e32 v3, v3, v11, vcc
	v_cmp_ngt_f64_e32 vcc, 0, v[10:11]
	v_cndmask_b32_e32 v3, v19, v3, vcc
	v_cmp_nge_f64_e32 vcc, 0, v[10:11]
	v_cndmask_b32_e32 v2, 0, v2, vcc
	v_cmp_neq_f64_e32 vcc, 0, v[10:11]
	v_frexp_mant_f64_e32 v[4:5], v[12:13]
	v_cndmask_b32_e32 v3, v22, v3, vcc
	v_cmp_gt_f64_e32 vcc, s[16:17], v[4:5]
	v_cndmask_b32_e64 v15, v1, 2.0, vcc
	v_mul_f64 v[4:5], v[4:5], v[14:15]
	v_add_f64 v[24:25], v[4:5], 1.0
	v_frexp_exp_i32_f64_e32 v10, v[12:13]
	v_add_f64 v[26:27], v[24:25], -1.0
	v_subbrev_co_u32_e32 v15, vcc, 0, v10, vcc
	v_add_f64 v[10:11], v[4:5], -1.0
	v_add_f64 v[4:5], v[4:5], -v[26:27]
	v_rcp_f64_e32 v[26:27], v[24:25]
	v_cmp_class_f64_e64 vcc, v[12:13], s47
	v_fma_f64 v[28:29], -v[24:25], v[26:27], 1.0
	v_fmac_f64_e32 v[26:27], v[28:29], v[26:27]
	v_fma_f64 v[28:29], -v[24:25], v[26:27], 1.0
	v_fmac_f64_e32 v[26:27], v[28:29], v[26:27]
	v_mul_f64 v[28:29], v[10:11], v[26:27]
	v_mul_f64 v[30:31], v[24:25], v[28:29]
	v_fma_f64 v[24:25], v[28:29], v[24:25], -v[30:31]
	v_fmac_f64_e32 v[24:25], v[28:29], v[4:5]
	v_add_f64 v[4:5], v[30:31], v[24:25]
	v_add_f64 v[32:33], v[10:11], -v[4:5]
	v_add_f64 v[30:31], v[4:5], -v[30:31]
	;; [unrolled: 1-line block ×5, first 2 shown]
	v_add_f64 v[4:5], v[10:11], v[4:5]
	v_add_f64 v[4:5], v[32:33], v[4:5]
	v_mul_f64 v[4:5], v[26:27], v[4:5]
	v_add_f64 v[10:11], v[28:29], v[4:5]
	v_add_f64 v[24:25], v[10:11], -v[28:29]
	v_add_f64 v[4:5], v[4:5], -v[24:25]
	v_mul_f64 v[24:25], v[10:11], v[10:11]
	v_fma_f64 v[26:27], s[18:19], v[24:25], v[20:21]
	v_fma_f64 v[26:27], v[24:25], v[26:27], s[20:21]
	v_fma_f64 v[26:27], v[24:25], v[26:27], s[22:23]
	v_fma_f64 v[26:27], v[24:25], v[26:27], s[24:25]
	v_fma_f64 v[26:27], v[24:25], v[26:27], s[26:27]
	v_fma_f64 v[26:27], v[24:25], v[26:27], s[28:29]
	v_ldexp_f64 v[28:29], v[10:11], 1
	v_mul_f64 v[10:11], v[10:11], v[24:25]
	v_mul_f64 v[10:11], v[10:11], v[26:27]
	v_add_f64 v[24:25], v[28:29], v[10:11]
	v_add_f64 v[26:27], v[24:25], -v[28:29]
	v_ldexp_f64 v[4:5], v[4:5], 1
	v_add_f64 v[10:11], v[10:11], -v[26:27]
	v_add_f64 v[4:5], v[4:5], v[10:11]
	v_add_f64 v[10:11], v[24:25], v[4:5]
	v_add_f64 v[24:25], v[10:11], -v[24:25]
	v_add_f64 v[4:5], v[4:5], -v[24:25]
	v_cvt_f64_i32_e32 v[24:25], v15
	v_mul_f64 v[26:27], v[24:25], s[30:31]
	v_fma_f64 v[28:29], v[24:25], s[30:31], -v[26:27]
	v_fmac_f64_e32 v[28:29], s[34:35], v[24:25]
	v_add_f64 v[24:25], v[26:27], v[28:29]
	v_add_f64 v[26:27], v[24:25], -v[26:27]
	v_add_f64 v[26:27], v[28:29], -v[26:27]
	v_mul_f64 v[28:29], v[10:11], s[36:37]
	v_fma_f64 v[30:31], v[10:11], s[36:37], -v[28:29]
	v_fmac_f64_e32 v[30:31], s[36:37], v[4:5]
	v_fmac_f64_e32 v[30:31], s[38:39], v[10:11]
	v_add_f64 v[4:5], v[28:29], v[30:31]
	v_add_f64 v[10:11], v[4:5], -v[28:29]
	v_add_f64 v[28:29], v[24:25], v[4:5]
	v_add_f64 v[10:11], v[30:31], -v[10:11]
	v_add_f64 v[30:31], v[28:29], -v[24:25]
	;; [unrolled: 1-line block ×5, first 2 shown]
	v_add_f64 v[4:5], v[4:5], v[24:25]
	v_add_f64 v[24:25], v[26:27], v[10:11]
	v_add_f64 v[30:31], v[24:25], -v[26:27]
	v_add_f64 v[32:33], v[24:25], -v[30:31]
	v_add_f64 v[4:5], v[24:25], v[4:5]
	v_add_f64 v[26:27], v[26:27], -v[32:33]
	v_add_f64 v[10:11], v[10:11], -v[30:31]
	v_add_f64 v[24:25], v[28:29], v[4:5]
	v_add_f64 v[10:11], v[10:11], v[26:27]
	v_add_f64 v[26:27], v[24:25], -v[28:29]
	v_add_f64 v[4:5], v[4:5], -v[26:27]
	v_add_f64 v[4:5], v[10:11], v[4:5]
	v_add_f64 v[4:5], v[24:25], v[4:5]
	v_cndmask_b32_e32 v4, v4, v12, vcc
	v_cndmask_b32_e32 v5, v5, v13, vcc
	v_cmp_ngt_f64_e32 vcc, 0, v[12:13]
	v_cndmask_b32_e32 v5, v19, v5, vcc
	v_cmp_nge_f64_e32 vcc, 0, v[12:13]
	v_cndmask_b32_e32 v4, 0, v4, vcc
	v_cmp_neq_f64_e32 vcc, 0, v[12:13]
	v_frexp_mant_f64_e32 v[10:11], v[6:7]
	v_cndmask_b32_e32 v5, v22, v5, vcc
	v_cmp_gt_f64_e32 vcc, s[16:17], v[10:11]
	v_cndmask_b32_e64 v15, v1, 2.0, vcc
	v_mul_f64 v[10:11], v[10:11], v[14:15]
	v_add_f64 v[24:25], v[10:11], 1.0
	v_frexp_exp_i32_f64_e32 v12, v[6:7]
	v_add_f64 v[26:27], v[24:25], -1.0
	v_subbrev_co_u32_e32 v15, vcc, 0, v12, vcc
	v_add_f64 v[12:13], v[10:11], -1.0
	v_add_f64 v[10:11], v[10:11], -v[26:27]
	v_rcp_f64_e32 v[26:27], v[24:25]
	v_cmp_class_f64_e64 vcc, v[6:7], s47
	v_fma_f64 v[28:29], -v[24:25], v[26:27], 1.0
	v_fmac_f64_e32 v[26:27], v[28:29], v[26:27]
	v_fma_f64 v[28:29], -v[24:25], v[26:27], 1.0
	v_fmac_f64_e32 v[26:27], v[28:29], v[26:27]
	v_mul_f64 v[28:29], v[12:13], v[26:27]
	v_mul_f64 v[30:31], v[24:25], v[28:29]
	v_fma_f64 v[24:25], v[28:29], v[24:25], -v[30:31]
	v_fmac_f64_e32 v[24:25], v[28:29], v[10:11]
	v_add_f64 v[10:11], v[30:31], v[24:25]
	v_add_f64 v[32:33], v[12:13], -v[10:11]
	v_add_f64 v[30:31], v[10:11], -v[30:31]
	;; [unrolled: 1-line block ×5, first 2 shown]
	v_add_f64 v[10:11], v[12:13], v[10:11]
	v_add_f64 v[10:11], v[32:33], v[10:11]
	v_mul_f64 v[10:11], v[26:27], v[10:11]
	v_add_f64 v[12:13], v[28:29], v[10:11]
	v_add_f64 v[24:25], v[12:13], -v[28:29]
	v_add_f64 v[10:11], v[10:11], -v[24:25]
	v_mul_f64 v[24:25], v[12:13], v[12:13]
	v_fma_f64 v[26:27], s[18:19], v[24:25], v[20:21]
	v_fma_f64 v[26:27], v[24:25], v[26:27], s[20:21]
	;; [unrolled: 1-line block ×6, first 2 shown]
	v_ldexp_f64 v[28:29], v[12:13], 1
	v_mul_f64 v[12:13], v[12:13], v[24:25]
	v_mul_f64 v[12:13], v[12:13], v[26:27]
	v_add_f64 v[24:25], v[28:29], v[12:13]
	v_add_f64 v[26:27], v[24:25], -v[28:29]
	v_ldexp_f64 v[10:11], v[10:11], 1
	v_add_f64 v[12:13], v[12:13], -v[26:27]
	v_add_f64 v[10:11], v[10:11], v[12:13]
	v_add_f64 v[12:13], v[24:25], v[10:11]
	v_add_f64 v[24:25], v[12:13], -v[24:25]
	v_add_f64 v[10:11], v[10:11], -v[24:25]
	v_cvt_f64_i32_e32 v[24:25], v15
	v_mul_f64 v[26:27], v[24:25], s[30:31]
	v_fma_f64 v[28:29], v[24:25], s[30:31], -v[26:27]
	v_fmac_f64_e32 v[28:29], s[34:35], v[24:25]
	v_add_f64 v[24:25], v[26:27], v[28:29]
	v_add_f64 v[26:27], v[24:25], -v[26:27]
	v_add_f64 v[26:27], v[28:29], -v[26:27]
	v_mul_f64 v[28:29], v[12:13], s[36:37]
	v_fma_f64 v[30:31], v[12:13], s[36:37], -v[28:29]
	v_fmac_f64_e32 v[30:31], s[36:37], v[10:11]
	v_fmac_f64_e32 v[30:31], s[38:39], v[12:13]
	v_add_f64 v[10:11], v[28:29], v[30:31]
	v_add_f64 v[12:13], v[10:11], -v[28:29]
	v_add_f64 v[28:29], v[24:25], v[10:11]
	v_add_f64 v[12:13], v[30:31], -v[12:13]
	v_add_f64 v[30:31], v[28:29], -v[24:25]
	;; [unrolled: 1-line block ×5, first 2 shown]
	v_add_f64 v[10:11], v[10:11], v[24:25]
	v_add_f64 v[24:25], v[26:27], v[12:13]
	v_add_f64 v[30:31], v[24:25], -v[26:27]
	v_add_f64 v[32:33], v[24:25], -v[30:31]
	v_add_f64 v[10:11], v[24:25], v[10:11]
	v_add_f64 v[26:27], v[26:27], -v[32:33]
	v_add_f64 v[12:13], v[12:13], -v[30:31]
	v_add_f64 v[24:25], v[28:29], v[10:11]
	v_add_f64 v[12:13], v[12:13], v[26:27]
	v_add_f64 v[26:27], v[24:25], -v[28:29]
	v_add_f64 v[10:11], v[10:11], -v[26:27]
	v_add_f64 v[10:11], v[12:13], v[10:11]
	v_add_f64 v[10:11], v[24:25], v[10:11]
	v_cndmask_b32_e32 v10, v10, v6, vcc
	v_cndmask_b32_e32 v11, v11, v7, vcc
	v_cmp_ngt_f64_e32 vcc, 0, v[6:7]
	v_cndmask_b32_e32 v11, v19, v11, vcc
	v_cmp_nge_f64_e32 vcc, 0, v[6:7]
	v_cndmask_b32_e32 v10, 0, v10, vcc
	v_cmp_neq_f64_e32 vcc, 0, v[6:7]
	v_frexp_mant_f64_e32 v[6:7], v[8:9]
	v_cndmask_b32_e32 v11, v22, v11, vcc
	v_cmp_gt_f64_e32 vcc, s[16:17], v[6:7]
	v_cndmask_b32_e64 v15, v1, 2.0, vcc
	v_mul_f64 v[6:7], v[6:7], v[14:15]
	v_add_f64 v[24:25], v[6:7], 1.0
	v_frexp_exp_i32_f64_e32 v12, v[8:9]
	v_add_f64 v[26:27], v[24:25], -1.0
	v_subbrev_co_u32_e32 v15, vcc, 0, v12, vcc
	v_add_f64 v[12:13], v[6:7], -1.0
	v_add_f64 v[6:7], v[6:7], -v[26:27]
	v_rcp_f64_e32 v[26:27], v[24:25]
	v_cmp_class_f64_e64 vcc, v[8:9], s47
	v_fma_f64 v[28:29], -v[24:25], v[26:27], 1.0
	v_fmac_f64_e32 v[26:27], v[28:29], v[26:27]
	v_fma_f64 v[28:29], -v[24:25], v[26:27], 1.0
	v_fmac_f64_e32 v[26:27], v[28:29], v[26:27]
	v_mul_f64 v[28:29], v[12:13], v[26:27]
	v_mul_f64 v[30:31], v[24:25], v[28:29]
	v_fma_f64 v[24:25], v[28:29], v[24:25], -v[30:31]
	v_fmac_f64_e32 v[24:25], v[28:29], v[6:7]
	v_add_f64 v[6:7], v[30:31], v[24:25]
	v_add_f64 v[32:33], v[12:13], -v[6:7]
	v_add_f64 v[30:31], v[6:7], -v[30:31]
	;; [unrolled: 1-line block ×5, first 2 shown]
	v_add_f64 v[6:7], v[12:13], v[6:7]
	v_add_f64 v[6:7], v[32:33], v[6:7]
	v_mul_f64 v[6:7], v[26:27], v[6:7]
	v_add_f64 v[12:13], v[28:29], v[6:7]
	v_add_f64 v[24:25], v[12:13], -v[28:29]
	v_add_f64 v[6:7], v[6:7], -v[24:25]
	v_mul_f64 v[24:25], v[12:13], v[12:13]
	v_fma_f64 v[26:27], s[18:19], v[24:25], v[20:21]
	v_fma_f64 v[26:27], v[24:25], v[26:27], s[20:21]
	;; [unrolled: 1-line block ×6, first 2 shown]
	v_ldexp_f64 v[28:29], v[12:13], 1
	v_mul_f64 v[12:13], v[12:13], v[24:25]
	v_mul_f64 v[12:13], v[12:13], v[26:27]
	v_add_f64 v[24:25], v[28:29], v[12:13]
	v_add_f64 v[26:27], v[24:25], -v[28:29]
	v_ldexp_f64 v[6:7], v[6:7], 1
	v_add_f64 v[12:13], v[12:13], -v[26:27]
	v_add_f64 v[6:7], v[6:7], v[12:13]
	v_add_f64 v[12:13], v[24:25], v[6:7]
	v_add_f64 v[24:25], v[12:13], -v[24:25]
	v_add_f64 v[6:7], v[6:7], -v[24:25]
	v_cvt_f64_i32_e32 v[24:25], v15
	v_mul_f64 v[26:27], v[24:25], s[30:31]
	v_fma_f64 v[28:29], v[24:25], s[30:31], -v[26:27]
	v_fmac_f64_e32 v[28:29], s[34:35], v[24:25]
	v_add_f64 v[24:25], v[26:27], v[28:29]
	v_add_f64 v[26:27], v[24:25], -v[26:27]
	v_add_f64 v[26:27], v[28:29], -v[26:27]
	v_mul_f64 v[28:29], v[12:13], s[36:37]
	v_fma_f64 v[30:31], v[12:13], s[36:37], -v[28:29]
	v_fmac_f64_e32 v[30:31], s[36:37], v[6:7]
	v_fmac_f64_e32 v[30:31], s[38:39], v[12:13]
	v_add_f64 v[6:7], v[28:29], v[30:31]
	v_add_f64 v[12:13], v[6:7], -v[28:29]
	v_add_f64 v[28:29], v[24:25], v[6:7]
	v_add_f64 v[12:13], v[30:31], -v[12:13]
	v_add_f64 v[30:31], v[28:29], -v[24:25]
	;; [unrolled: 1-line block ×5, first 2 shown]
	v_add_f64 v[6:7], v[6:7], v[24:25]
	v_add_f64 v[24:25], v[26:27], v[12:13]
	v_add_f64 v[30:31], v[24:25], -v[26:27]
	v_add_f64 v[32:33], v[24:25], -v[30:31]
	v_add_f64 v[6:7], v[24:25], v[6:7]
	v_add_f64 v[26:27], v[26:27], -v[32:33]
	v_add_f64 v[12:13], v[12:13], -v[30:31]
	v_add_f64 v[24:25], v[28:29], v[6:7]
	v_add_f64 v[12:13], v[12:13], v[26:27]
	v_add_f64 v[26:27], v[24:25], -v[28:29]
	v_add_f64 v[6:7], v[6:7], -v[26:27]
	v_add_f64 v[6:7], v[12:13], v[6:7]
	v_add_f64 v[6:7], v[24:25], v[6:7]
	v_cndmask_b32_e32 v6, v6, v8, vcc
	v_cndmask_b32_e32 v7, v7, v9, vcc
	v_cmp_ngt_f64_e32 vcc, 0, v[8:9]
	v_cndmask_b32_e32 v7, v19, v7, vcc
	v_cmp_nge_f64_e32 vcc, 0, v[8:9]
	v_cndmask_b32_e32 v12, 0, v6, vcc
	v_cmp_neq_f64_e32 vcc, 0, v[8:9]
	v_cndmask_b32_e32 v13, v22, v7, vcc
	v_add_co_u32_e32 v6, vcc, s43, v18
	v_mov_b32_e32 v7, s44
	v_addc_co_u32_e32 v7, vcc, 0, v7, vcc
	v_cmp_le_i64_e32 vcc, s[10:11], v[16:17]
	s_or_b64 s[0:1], vcc, s[0:1]
	s_add_u32 s33, s33, s46
	s_addc_u32 s42, s42, 0
	s_add_u32 s43, s43, s46
	s_addc_u32 s44, s44, 0
	v_add_co_u32_e32 v16, vcc, s45, v16
	s_and_b64 s[0:1], exec, s[0:1]
	v_addc_co_u32_e32 v17, vcc, v17, v23, vcc
	s_or_b64 s[14:15], s[0:1], s[14:15]
	global_store_dwordx4 v[6:7], v[2:5], off
	global_store_dwordx4 v[6:7], v[10:13], off offset:16
	s_andn2_b64 exec, exec, s[14:15]
	s_cbranch_execnz .LBB178_3
.LBB178_4:
	s_or_b64 exec, exec, s[12:13]
	s_mov_b64 s[12:13], 0
.LBB178_5:
	s_andn2_b64 vcc, exec, s[12:13]
	s_cbranch_vccnz .LBB178_25
; %bb.6:
	v_cmp_lt_i64_e64 s[0:1], s[10:11], 1
	s_and_b64 vcc, exec, s[0:1]
	s_cbranch_vccnz .LBB178_25
; %bb.7:
	s_load_dword s0, s[4:5], 0xc5c
	v_mov_b32_e32 v4, 0x10000
	v_mov_b32_e32 v5, 0
	v_cmp_lt_u64_e32 vcc, s[10:11], v[4:5]
	v_lshlrev_b32_e32 v12, 3, v0
	s_waitcnt lgkmcnt(0)
	s_and_b32 s4, s0, 0xffff
	s_and_b64 s[0:1], vcc, exec
	v_mov_b32_e32 v3, s7
	v_add_co_u32_e32 v4, vcc, s6, v12
	v_mov_b32_e32 v2, 0
	v_addc_co_u32_e32 v1, vcc, 0, v3, vcc
	v_mov_b32_e32 v13, v2
	v_mov_b32_e32 v17, s3
	v_add_co_u32_e32 v6, vcc, s2, v12
	v_addc_co_u32_e32 v5, vcc, 0, v17, vcc
	v_mad_u64_u32 v[10:11], s[0:1], s4, 24, v[12:13]
	v_add_co_u32_e32 v8, vcc, s6, v10
	v_addc_co_u32_e32 v7, vcc, v3, v11, vcc
	v_add_co_u32_e32 v10, vcc, s2, v10
	s_mul_i32 s14, s4, 3
	v_addc_co_u32_e32 v9, vcc, v17, v11, vcc
	v_add_co_u32_e32 v19, vcc, s14, v0
	v_addc_co_u32_e64 v40, s[0:1], 0, 0, vcc
	s_cselect_b32 s13, s11, 0
	s_cselect_b32 s12, s10, 0x10000
	s_lshl_b32 s0, s4, 4
	v_add_co_u32_e32 v13, vcc, s0, v12
	v_addc_co_u32_e64 v15, s[0:1], 0, 0, vcc
	v_add_co_u32_e32 v12, vcc, s6, v13
	v_addc_co_u32_e32 v11, vcc, v3, v15, vcc
	v_add_co_u32_e32 v14, vcc, s2, v13
	s_lshl_b32 s5, s4, 1
	v_addc_co_u32_e32 v13, vcc, v17, v15, vcc
	v_add_co_u32_e32 v41, vcc, s5, v0
	v_addc_co_u32_e64 v42, s[0:1], 0, 0, vcc
	v_add_co_u32_e32 v43, vcc, s4, v0
	v_lshlrev_b32_e32 v18, 3, v43
	v_addc_co_u32_e64 v44, s[0:1], 0, 0, vcc
	v_add_co_u32_e32 v16, vcc, s6, v18
	v_addc_co_u32_e32 v15, vcc, 0, v3, vcc
	v_add_co_u32_e32 v18, vcc, s2, v18
	s_mov_b32 s16, 0x55555555
	s_mov_b32 s18, 0x509f79ff
	;; [unrolled: 1-line block ×7, first 2 shown]
	s_lshl_b32 s31, s4, 2
	s_lshl_b32 s33, s4, 5
	v_addc_co_u32_e32 v17, vcc, 0, v17, vcc
	s_mov_b64 s[14:15], 0
	s_movk_i32 s34, 0x204
	s_mov_b32 s17, 0x3fe55555
	s_mov_b32 s19, 0x3fd34413
	;; [unrolled: 1-line block ×6, first 2 shown]
	v_mov_b32_e32 v45, 0x3ff00000
	v_mov_b32_e32 v20, 0x6b47b09a
	;; [unrolled: 1-line block ×15, first 2 shown]
	s_branch .LBB178_9
.LBB178_8:                              ;   in Loop: Header=BB178_9 Depth=1
	s_or_b64 exec, exec, s[0:1]
	s_add_u32 s14, s14, s31
	s_addc_u32 s15, s15, 0
	s_waitcnt vmcnt(0)
	v_pk_mov_b32 v[32:33], s[10:11], s[10:11] op_sel:[0,1]
	v_cmp_ge_i64_e32 vcc, s[14:15], v[32:33]
	v_mov_b32_e32 v32, 0xffff
	v_mov_b32_e32 v33, 0
	v_cmp_gt_u64_e64 s[0:1], s[14:15], v[32:33]
	s_or_b64 s[0:1], vcc, s[0:1]
	v_mov_b32_e32 v3, s30
	v_add_co_u32_e32 v4, vcc, s33, v4
	v_addc_co_u32_e32 v1, vcc, v1, v3, vcc
	v_add_co_u32_e32 v6, vcc, s33, v6
	v_addc_co_u32_e32 v5, vcc, v5, v3, vcc
	;; [unrolled: 2-line block ×8, first 2 shown]
	s_and_b64 vcc, exec, s[0:1]
	s_cbranch_vccnz .LBB178_25
.LBB178_9:                              ; =>This Inner Loop Header: Depth=1
	v_mov_b32_e32 v3, s15
	v_add_co_u32_e32 v32, vcc, s14, v0
	v_addc_co_u32_e32 v33, vcc, 0, v3, vcc
	v_pk_mov_b32 v[36:37], 0, 0
	v_cmp_gt_u64_e64 s[4:5], s[12:13], v[32:33]
	v_pk_mov_b32 v[38:39], v[36:37], v[36:37] op_sel:[0,1]
	s_and_saveexec_b64 s[0:1], s[4:5]
	s_cbranch_execz .LBB178_11
; %bb.10:                               ;   in Loop: Header=BB178_9 Depth=1
	v_mov_b32_e32 v3, s9
	v_add_co_u32_e32 v32, vcc, s8, v4
	v_addc_co_u32_e32 v33, vcc, v1, v3, vcc
	global_load_dwordx2 v[38:39], v[32:33], off
.LBB178_11:                             ;   in Loop: Header=BB178_9 Depth=1
	s_or_b64 exec, exec, s[0:1]
	v_mov_b32_e32 v3, s15
	v_add_co_u32_e32 v32, vcc, s14, v43
	v_addc_co_u32_e32 v33, vcc, v44, v3, vcc
	v_cmp_gt_u64_e64 s[2:3], s[12:13], v[32:33]
	s_and_saveexec_b64 s[0:1], s[2:3]
	s_cbranch_execz .LBB178_13
; %bb.12:                               ;   in Loop: Header=BB178_9 Depth=1
	v_mov_b32_e32 v3, s9
	v_add_co_u32_e32 v32, vcc, s8, v16
	v_addc_co_u32_e32 v33, vcc, v15, v3, vcc
	global_load_dwordx2 v[36:37], v[32:33], off
.LBB178_13:                             ;   in Loop: Header=BB178_9 Depth=1
	s_or_b64 exec, exec, s[0:1]
	v_mov_b32_e32 v3, s15
	v_add_co_u32_e32 v32, vcc, s14, v41
	v_addc_co_u32_e32 v33, vcc, v42, v3, vcc
	v_cmp_gt_u64_e64 s[0:1], s[12:13], v[32:33]
	v_pk_mov_b32 v[32:33], 0, 0
	v_pk_mov_b32 v[34:35], v[32:33], v[32:33] op_sel:[0,1]
	s_and_saveexec_b64 s[6:7], s[0:1]
	s_cbranch_execz .LBB178_15
; %bb.14:                               ;   in Loop: Header=BB178_9 Depth=1
	v_mov_b32_e32 v3, s9
	v_add_co_u32_e32 v34, vcc, s8, v12
	v_addc_co_u32_e32 v35, vcc, v11, v3, vcc
	global_load_dwordx2 v[34:35], v[34:35], off
.LBB178_15:                             ;   in Loop: Header=BB178_9 Depth=1
	s_or_b64 exec, exec, s[6:7]
	v_mov_b32_e32 v3, s15
	v_add_co_u32_e32 v48, vcc, s14, v19
	v_addc_co_u32_e32 v49, vcc, v40, v3, vcc
	v_cmp_gt_u64_e32 vcc, s[12:13], v[48:49]
	s_and_saveexec_b64 s[28:29], vcc
	s_cbranch_execnz .LBB178_20
; %bb.16:                               ;   in Loop: Header=BB178_9 Depth=1
	s_or_b64 exec, exec, s[28:29]
	s_and_saveexec_b64 s[28:29], s[4:5]
	s_cbranch_execnz .LBB178_21
.LBB178_17:                             ;   in Loop: Header=BB178_9 Depth=1
	s_or_b64 exec, exec, s[28:29]
	s_and_saveexec_b64 s[4:5], s[2:3]
	s_cbranch_execnz .LBB178_22
.LBB178_18:                             ;   in Loop: Header=BB178_9 Depth=1
	s_or_b64 exec, exec, s[4:5]
	s_and_saveexec_b64 s[2:3], s[0:1]
	s_cbranch_execnz .LBB178_23
.LBB178_19:                             ;   in Loop: Header=BB178_9 Depth=1
	s_or_b64 exec, exec, s[2:3]
	s_and_saveexec_b64 s[0:1], vcc
	s_cbranch_execz .LBB178_8
	s_branch .LBB178_24
.LBB178_20:                             ;   in Loop: Header=BB178_9 Depth=1
	v_mov_b32_e32 v3, s9
	v_add_co_u32_e64 v32, s[6:7], s8, v8
	v_addc_co_u32_e64 v33, s[6:7], v7, v3, s[6:7]
	global_load_dwordx2 v[32:33], v[32:33], off
	s_or_b64 exec, exec, s[28:29]
	s_and_saveexec_b64 s[28:29], s[4:5]
	s_cbranch_execz .LBB178_17
.LBB178_21:                             ;   in Loop: Header=BB178_9 Depth=1
	s_waitcnt vmcnt(0)
	v_frexp_mant_f64_e32 v[48:49], v[38:39]
	v_frexp_exp_i32_f64_e32 v3, v[38:39]
	v_cmp_gt_f64_e64 s[4:5], s[16:17], v[48:49]
	v_subbrev_co_u32_e64 v3, s[6:7], 0, v3, s[4:5]
	v_cvt_f64_i32_e32 v[50:51], v3
	v_cndmask_b32_e64 v3, v45, 2.0, s[4:5]
	v_mul_f64 v[48:49], v[48:49], v[2:3]
	v_add_f64 v[56:57], v[48:49], 1.0
	v_rcp_f64_e32 v[58:59], v[56:57]
	v_add_f64 v[60:61], v[48:49], -1.0
	v_add_f64 v[66:67], v[56:57], -1.0
	v_add_f64 v[48:49], v[48:49], -v[66:67]
	v_fma_f64 v[62:63], -v[56:57], v[58:59], 1.0
	v_fmac_f64_e32 v[58:59], v[62:63], v[58:59]
	v_fma_f64 v[62:63], -v[56:57], v[58:59], 1.0
	v_fmac_f64_e32 v[58:59], v[62:63], v[58:59]
	v_mul_f64 v[62:63], v[60:61], v[58:59]
	v_mul_f64 v[64:65], v[56:57], v[62:63]
	v_fma_f64 v[56:57], v[62:63], v[56:57], -v[64:65]
	v_fmac_f64_e32 v[56:57], v[62:63], v[48:49]
	v_add_f64 v[48:49], v[64:65], v[56:57]
	v_add_f64 v[66:67], v[60:61], -v[48:49]
	v_add_f64 v[64:65], v[48:49], -v[64:65]
	;; [unrolled: 1-line block ×5, first 2 shown]
	v_add_f64 v[48:49], v[56:57], v[48:49]
	v_add_f64 v[48:49], v[66:67], v[48:49]
	v_mul_f64 v[48:49], v[58:59], v[48:49]
	v_add_f64 v[56:57], v[62:63], v[48:49]
	v_mul_f64 v[60:61], v[56:57], v[56:57]
	v_pk_mov_b32 v[66:67], v[20:21], v[20:21] op_sel:[0,1]
	v_fmac_f64_e32 v[66:67], s[22:23], v[60:61]
	v_pk_mov_b32 v[68:69], v[22:23], v[22:23] op_sel:[0,1]
	v_fmac_f64_e32 v[68:69], v[60:61], v[66:67]
	;; [unrolled: 2-line block ×5, first 2 shown]
	v_pk_mov_b32 v[68:69], v[30:31], v[30:31] op_sel:[0,1]
	v_mul_f64 v[64:65], v[56:57], v[60:61]
	v_fmac_f64_e32 v[68:69], v[60:61], v[66:67]
	v_ldexp_f64 v[58:59], v[56:57], 1
	v_mul_f64 v[60:61], v[64:65], v[68:69]
	v_add_f64 v[64:65], v[58:59], v[60:61]
	v_add_f64 v[56:57], v[56:57], -v[62:63]
	v_add_f64 v[48:49], v[48:49], -v[56:57]
	;; [unrolled: 1-line block ×3, first 2 shown]
	v_ldexp_f64 v[48:49], v[48:49], 1
	v_add_f64 v[56:57], v[60:61], -v[56:57]
	v_add_f64 v[48:49], v[48:49], v[56:57]
	v_add_f64 v[56:57], v[64:65], v[48:49]
	v_mul_f64 v[52:53], v[50:51], s[18:19]
	v_mul_f64 v[58:59], v[56:57], s[24:25]
	v_add_f64 v[60:61], v[56:57], -v[64:65]
	v_fma_f64 v[54:55], v[50:51], s[18:19], -v[52:53]
	v_add_f64 v[48:49], v[48:49], -v[60:61]
	v_fma_f64 v[60:61], v[56:57], s[24:25], -v[58:59]
	v_fmac_f64_e32 v[54:55], s[20:21], v[50:51]
	v_fmac_f64_e32 v[60:61], s[24:25], v[48:49]
	v_add_f64 v[50:51], v[52:53], v[54:55]
	v_fmac_f64_e32 v[60:61], s[26:27], v[56:57]
	v_add_f64 v[48:49], v[58:59], v[60:61]
	v_add_f64 v[52:53], v[50:51], -v[52:53]
	v_add_f64 v[56:57], v[50:51], v[48:49]
	v_add_f64 v[52:53], v[54:55], -v[52:53]
	v_add_f64 v[54:55], v[48:49], -v[58:59]
	;; [unrolled: 1-line block ×6, first 2 shown]
	v_add_f64 v[58:59], v[52:53], v[54:55]
	v_add_f64 v[50:51], v[50:51], -v[60:61]
	v_add_f64 v[48:49], v[48:49], v[50:51]
	v_add_f64 v[60:61], v[58:59], -v[52:53]
	;; [unrolled: 2-line block ×4, first 2 shown]
	v_add_f64 v[52:53], v[52:53], -v[58:59]
	v_add_f64 v[52:53], v[54:55], v[52:53]
	v_add_f64 v[54:55], v[50:51], -v[56:57]
	v_add_f64 v[48:49], v[48:49], -v[54:55]
	v_add_f64 v[48:49], v[52:53], v[48:49]
	v_add_f64 v[48:49], v[50:51], v[48:49]
	v_cmp_class_f64_e64 s[4:5], v[38:39], s34
	v_cndmask_b32_e64 v3, v48, v38, s[4:5]
	v_cndmask_b32_e64 v48, v49, v39, s[4:5]
	v_cmp_ngt_f64_e64 s[4:5], 0, v[38:39]
	v_cndmask_b32_e64 v49, v46, v48, s[4:5]
	v_cmp_nge_f64_e64 s[4:5], 0, v[38:39]
	v_cndmask_b32_e64 v48, 0, v3, s[4:5]
	v_cmp_neq_f64_e64 s[4:5], 0, v[38:39]
	v_cndmask_b32_e64 v49, v47, v49, s[4:5]
	v_mov_b32_e32 v3, s9
	v_add_co_u32_e64 v38, s[4:5], s8, v6
	v_addc_co_u32_e64 v39, s[4:5], v5, v3, s[4:5]
	global_store_dwordx2 v[38:39], v[48:49], off
	s_or_b64 exec, exec, s[28:29]
	s_and_saveexec_b64 s[4:5], s[2:3]
	s_cbranch_execz .LBB178_18
.LBB178_22:                             ;   in Loop: Header=BB178_9 Depth=1
	s_waitcnt vmcnt(0)
	v_frexp_mant_f64_e32 v[38:39], v[36:37]
	v_cmp_gt_f64_e64 s[2:3], s[16:17], v[38:39]
	v_cndmask_b32_e64 v3, v45, 2.0, s[2:3]
	v_frexp_exp_i32_f64_e32 v48, v[36:37]
	v_mul_f64 v[38:39], v[38:39], v[2:3]
	v_subbrev_co_u32_e64 v3, s[2:3], 0, v48, s[2:3]
	v_add_f64 v[48:49], v[38:39], 1.0
	v_rcp_f64_e32 v[50:51], v[48:49]
	v_add_f64 v[54:55], v[48:49], -1.0
	v_add_f64 v[52:53], v[38:39], -1.0
	v_add_f64 v[38:39], v[38:39], -v[54:55]
	v_fma_f64 v[54:55], -v[48:49], v[50:51], 1.0
	v_fmac_f64_e32 v[50:51], v[54:55], v[50:51]
	v_fma_f64 v[54:55], -v[48:49], v[50:51], 1.0
	v_fmac_f64_e32 v[50:51], v[54:55], v[50:51]
	v_mul_f64 v[54:55], v[52:53], v[50:51]
	v_mul_f64 v[56:57], v[48:49], v[54:55]
	v_fma_f64 v[48:49], v[54:55], v[48:49], -v[56:57]
	v_fmac_f64_e32 v[48:49], v[54:55], v[38:39]
	v_add_f64 v[38:39], v[56:57], v[48:49]
	v_add_f64 v[58:59], v[52:53], -v[38:39]
	v_add_f64 v[56:57], v[38:39], -v[56:57]
	;; [unrolled: 1-line block ×5, first 2 shown]
	v_add_f64 v[38:39], v[48:49], v[38:39]
	v_add_f64 v[38:39], v[58:59], v[38:39]
	v_mul_f64 v[38:39], v[50:51], v[38:39]
	v_add_f64 v[48:49], v[54:55], v[38:39]
	v_add_f64 v[50:51], v[48:49], -v[54:55]
	v_add_f64 v[38:39], v[38:39], -v[50:51]
	v_mul_f64 v[50:51], v[48:49], v[48:49]
	v_pk_mov_b32 v[52:53], v[20:21], v[20:21] op_sel:[0,1]
	v_fmac_f64_e32 v[52:53], s[22:23], v[50:51]
	v_pk_mov_b32 v[54:55], v[22:23], v[22:23] op_sel:[0,1]
	v_fmac_f64_e32 v[54:55], v[50:51], v[52:53]
	;; [unrolled: 2-line block ×6, first 2 shown]
	v_ldexp_f64 v[52:53], v[48:49], 1
	v_mul_f64 v[48:49], v[48:49], v[50:51]
	v_mul_f64 v[48:49], v[48:49], v[54:55]
	v_add_f64 v[50:51], v[52:53], v[48:49]
	v_add_f64 v[52:53], v[50:51], -v[52:53]
	v_ldexp_f64 v[38:39], v[38:39], 1
	v_add_f64 v[48:49], v[48:49], -v[52:53]
	v_add_f64 v[38:39], v[38:39], v[48:49]
	v_add_f64 v[48:49], v[50:51], v[38:39]
	v_add_f64 v[50:51], v[48:49], -v[50:51]
	v_add_f64 v[38:39], v[38:39], -v[50:51]
	v_cvt_f64_i32_e32 v[50:51], v3
	v_mul_f64 v[52:53], v[50:51], s[18:19]
	v_fma_f64 v[54:55], v[50:51], s[18:19], -v[52:53]
	v_fmac_f64_e32 v[54:55], s[20:21], v[50:51]
	v_add_f64 v[50:51], v[52:53], v[54:55]
	v_add_f64 v[52:53], v[50:51], -v[52:53]
	v_add_f64 v[52:53], v[54:55], -v[52:53]
	v_mul_f64 v[54:55], v[48:49], s[24:25]
	v_fma_f64 v[56:57], v[48:49], s[24:25], -v[54:55]
	v_fmac_f64_e32 v[56:57], s[24:25], v[38:39]
	v_fmac_f64_e32 v[56:57], s[26:27], v[48:49]
	v_add_f64 v[38:39], v[54:55], v[56:57]
	v_add_f64 v[48:49], v[38:39], -v[54:55]
	v_add_f64 v[54:55], v[50:51], v[38:39]
	v_add_f64 v[48:49], v[56:57], -v[48:49]
	v_add_f64 v[56:57], v[54:55], -v[50:51]
	;; [unrolled: 1-line block ×5, first 2 shown]
	v_add_f64 v[38:39], v[38:39], v[50:51]
	v_add_f64 v[50:51], v[52:53], v[48:49]
	v_add_f64 v[56:57], v[50:51], -v[52:53]
	v_add_f64 v[58:59], v[50:51], -v[56:57]
	v_add_f64 v[38:39], v[50:51], v[38:39]
	v_add_f64 v[52:53], v[52:53], -v[58:59]
	v_add_f64 v[48:49], v[48:49], -v[56:57]
	v_add_f64 v[50:51], v[54:55], v[38:39]
	v_add_f64 v[48:49], v[48:49], v[52:53]
	v_add_f64 v[52:53], v[50:51], -v[54:55]
	v_add_f64 v[38:39], v[38:39], -v[52:53]
	v_add_f64 v[38:39], v[48:49], v[38:39]
	v_add_f64 v[38:39], v[50:51], v[38:39]
	v_cmp_class_f64_e64 s[2:3], v[36:37], s34
	v_cndmask_b32_e64 v3, v38, v36, s[2:3]
	v_cndmask_b32_e64 v38, v39, v37, s[2:3]
	v_cmp_ngt_f64_e64 s[2:3], 0, v[36:37]
	v_cndmask_b32_e64 v39, v46, v38, s[2:3]
	v_cmp_nge_f64_e64 s[2:3], 0, v[36:37]
	v_cndmask_b32_e64 v38, 0, v3, s[2:3]
	v_cmp_neq_f64_e64 s[2:3], 0, v[36:37]
	v_cndmask_b32_e64 v39, v47, v39, s[2:3]
	v_mov_b32_e32 v3, s9
	v_add_co_u32_e64 v36, s[2:3], s8, v18
	v_addc_co_u32_e64 v37, s[2:3], v17, v3, s[2:3]
	global_store_dwordx2 v[36:37], v[38:39], off
	s_or_b64 exec, exec, s[4:5]
	s_and_saveexec_b64 s[2:3], s[0:1]
	s_cbranch_execz .LBB178_19
.LBB178_23:                             ;   in Loop: Header=BB178_9 Depth=1
	s_waitcnt vmcnt(0)
	v_frexp_mant_f64_e32 v[36:37], v[34:35]
	v_cmp_gt_f64_e64 s[0:1], s[16:17], v[36:37]
	v_cndmask_b32_e64 v3, v45, 2.0, s[0:1]
	v_frexp_exp_i32_f64_e32 v38, v[34:35]
	v_mul_f64 v[36:37], v[36:37], v[2:3]
	v_subbrev_co_u32_e64 v3, s[0:1], 0, v38, s[0:1]
	v_add_f64 v[38:39], v[36:37], 1.0
	v_rcp_f64_e32 v[48:49], v[38:39]
	v_add_f64 v[52:53], v[38:39], -1.0
	v_add_f64 v[50:51], v[36:37], -1.0
	v_add_f64 v[36:37], v[36:37], -v[52:53]
	v_fma_f64 v[52:53], -v[38:39], v[48:49], 1.0
	v_fmac_f64_e32 v[48:49], v[52:53], v[48:49]
	v_fma_f64 v[52:53], -v[38:39], v[48:49], 1.0
	v_fmac_f64_e32 v[48:49], v[52:53], v[48:49]
	v_mul_f64 v[52:53], v[50:51], v[48:49]
	v_mul_f64 v[54:55], v[38:39], v[52:53]
	v_fma_f64 v[38:39], v[52:53], v[38:39], -v[54:55]
	v_fmac_f64_e32 v[38:39], v[52:53], v[36:37]
	v_add_f64 v[36:37], v[54:55], v[38:39]
	v_add_f64 v[56:57], v[50:51], -v[36:37]
	v_add_f64 v[54:55], v[36:37], -v[54:55]
	;; [unrolled: 1-line block ×5, first 2 shown]
	v_add_f64 v[36:37], v[38:39], v[36:37]
	v_add_f64 v[36:37], v[56:57], v[36:37]
	v_mul_f64 v[36:37], v[48:49], v[36:37]
	v_add_f64 v[38:39], v[52:53], v[36:37]
	v_add_f64 v[48:49], v[38:39], -v[52:53]
	v_add_f64 v[36:37], v[36:37], -v[48:49]
	v_mul_f64 v[48:49], v[38:39], v[38:39]
	v_pk_mov_b32 v[50:51], v[20:21], v[20:21] op_sel:[0,1]
	v_fmac_f64_e32 v[50:51], s[22:23], v[48:49]
	v_pk_mov_b32 v[52:53], v[22:23], v[22:23] op_sel:[0,1]
	v_fmac_f64_e32 v[52:53], v[48:49], v[50:51]
	;; [unrolled: 2-line block ×6, first 2 shown]
	v_ldexp_f64 v[50:51], v[38:39], 1
	v_mul_f64 v[38:39], v[38:39], v[48:49]
	v_mul_f64 v[38:39], v[38:39], v[52:53]
	v_add_f64 v[48:49], v[50:51], v[38:39]
	v_add_f64 v[50:51], v[48:49], -v[50:51]
	v_ldexp_f64 v[36:37], v[36:37], 1
	v_add_f64 v[38:39], v[38:39], -v[50:51]
	v_add_f64 v[36:37], v[36:37], v[38:39]
	v_add_f64 v[38:39], v[48:49], v[36:37]
	v_add_f64 v[48:49], v[38:39], -v[48:49]
	v_add_f64 v[36:37], v[36:37], -v[48:49]
	v_cvt_f64_i32_e32 v[48:49], v3
	v_mul_f64 v[50:51], v[48:49], s[18:19]
	v_fma_f64 v[52:53], v[48:49], s[18:19], -v[50:51]
	v_fmac_f64_e32 v[52:53], s[20:21], v[48:49]
	v_add_f64 v[48:49], v[50:51], v[52:53]
	v_add_f64 v[50:51], v[48:49], -v[50:51]
	v_add_f64 v[50:51], v[52:53], -v[50:51]
	v_mul_f64 v[52:53], v[38:39], s[24:25]
	v_fma_f64 v[54:55], v[38:39], s[24:25], -v[52:53]
	v_fmac_f64_e32 v[54:55], s[24:25], v[36:37]
	v_fmac_f64_e32 v[54:55], s[26:27], v[38:39]
	v_add_f64 v[36:37], v[52:53], v[54:55]
	v_add_f64 v[38:39], v[36:37], -v[52:53]
	v_add_f64 v[52:53], v[48:49], v[36:37]
	v_add_f64 v[38:39], v[54:55], -v[38:39]
	v_add_f64 v[54:55], v[52:53], -v[48:49]
	;; [unrolled: 1-line block ×5, first 2 shown]
	v_add_f64 v[36:37], v[36:37], v[48:49]
	v_add_f64 v[48:49], v[50:51], v[38:39]
	v_add_f64 v[54:55], v[48:49], -v[50:51]
	v_add_f64 v[56:57], v[48:49], -v[54:55]
	v_add_f64 v[36:37], v[48:49], v[36:37]
	v_add_f64 v[50:51], v[50:51], -v[56:57]
	v_add_f64 v[38:39], v[38:39], -v[54:55]
	v_add_f64 v[48:49], v[52:53], v[36:37]
	v_add_f64 v[38:39], v[38:39], v[50:51]
	v_add_f64 v[50:51], v[48:49], -v[52:53]
	v_add_f64 v[36:37], v[36:37], -v[50:51]
	v_add_f64 v[36:37], v[38:39], v[36:37]
	v_add_f64 v[36:37], v[48:49], v[36:37]
	v_cmp_class_f64_e64 s[0:1], v[34:35], s34
	v_cndmask_b32_e64 v3, v36, v34, s[0:1]
	v_cndmask_b32_e64 v36, v37, v35, s[0:1]
	v_cmp_ngt_f64_e64 s[0:1], 0, v[34:35]
	v_cndmask_b32_e64 v37, v46, v36, s[0:1]
	v_cmp_nge_f64_e64 s[0:1], 0, v[34:35]
	v_cndmask_b32_e64 v36, 0, v3, s[0:1]
	v_cmp_neq_f64_e64 s[0:1], 0, v[34:35]
	v_cndmask_b32_e64 v37, v47, v37, s[0:1]
	v_mov_b32_e32 v3, s9
	v_add_co_u32_e64 v34, s[0:1], s8, v14
	v_addc_co_u32_e64 v35, s[0:1], v13, v3, s[0:1]
	global_store_dwordx2 v[34:35], v[36:37], off
	s_or_b64 exec, exec, s[2:3]
	s_and_saveexec_b64 s[0:1], vcc
	s_cbranch_execz .LBB178_8
.LBB178_24:                             ;   in Loop: Header=BB178_9 Depth=1
	s_waitcnt vmcnt(0)
	v_frexp_mant_f64_e32 v[34:35], v[32:33]
	v_cmp_gt_f64_e32 vcc, s[16:17], v[34:35]
	v_cndmask_b32_e64 v3, v45, 2.0, vcc
	v_frexp_exp_i32_f64_e32 v36, v[32:33]
	v_mul_f64 v[34:35], v[34:35], v[2:3]
	v_subbrev_co_u32_e32 v3, vcc, 0, v36, vcc
	v_add_f64 v[36:37], v[34:35], 1.0
	v_rcp_f64_e32 v[38:39], v[36:37]
	v_add_f64 v[50:51], v[36:37], -1.0
	v_add_f64 v[48:49], v[34:35], -1.0
	v_add_f64 v[34:35], v[34:35], -v[50:51]
	v_fma_f64 v[50:51], -v[36:37], v[38:39], 1.0
	v_fmac_f64_e32 v[38:39], v[50:51], v[38:39]
	v_fma_f64 v[50:51], -v[36:37], v[38:39], 1.0
	v_fmac_f64_e32 v[38:39], v[50:51], v[38:39]
	v_mul_f64 v[50:51], v[48:49], v[38:39]
	v_mul_f64 v[52:53], v[36:37], v[50:51]
	v_fma_f64 v[36:37], v[50:51], v[36:37], -v[52:53]
	v_fmac_f64_e32 v[36:37], v[50:51], v[34:35]
	v_add_f64 v[34:35], v[52:53], v[36:37]
	v_add_f64 v[54:55], v[48:49], -v[34:35]
	v_add_f64 v[52:53], v[34:35], -v[52:53]
	;; [unrolled: 1-line block ×5, first 2 shown]
	v_add_f64 v[34:35], v[36:37], v[34:35]
	v_add_f64 v[34:35], v[54:55], v[34:35]
	v_mul_f64 v[34:35], v[38:39], v[34:35]
	v_add_f64 v[36:37], v[50:51], v[34:35]
	v_add_f64 v[38:39], v[36:37], -v[50:51]
	v_add_f64 v[34:35], v[34:35], -v[38:39]
	v_mul_f64 v[38:39], v[36:37], v[36:37]
	v_pk_mov_b32 v[48:49], v[20:21], v[20:21] op_sel:[0,1]
	v_fmac_f64_e32 v[48:49], s[22:23], v[38:39]
	v_pk_mov_b32 v[50:51], v[22:23], v[22:23] op_sel:[0,1]
	v_fmac_f64_e32 v[50:51], v[38:39], v[48:49]
	;; [unrolled: 2-line block ×6, first 2 shown]
	v_ldexp_f64 v[48:49], v[36:37], 1
	v_mul_f64 v[36:37], v[36:37], v[38:39]
	v_mul_f64 v[36:37], v[36:37], v[50:51]
	v_add_f64 v[38:39], v[48:49], v[36:37]
	v_add_f64 v[48:49], v[38:39], -v[48:49]
	v_ldexp_f64 v[34:35], v[34:35], 1
	v_add_f64 v[36:37], v[36:37], -v[48:49]
	v_add_f64 v[34:35], v[34:35], v[36:37]
	v_add_f64 v[36:37], v[38:39], v[34:35]
	v_add_f64 v[38:39], v[36:37], -v[38:39]
	v_add_f64 v[34:35], v[34:35], -v[38:39]
	v_cvt_f64_i32_e32 v[38:39], v3
	v_mul_f64 v[48:49], v[38:39], s[18:19]
	v_fma_f64 v[50:51], v[38:39], s[18:19], -v[48:49]
	v_fmac_f64_e32 v[50:51], s[20:21], v[38:39]
	v_add_f64 v[38:39], v[48:49], v[50:51]
	v_add_f64 v[48:49], v[38:39], -v[48:49]
	v_add_f64 v[48:49], v[50:51], -v[48:49]
	v_mul_f64 v[50:51], v[36:37], s[24:25]
	v_fma_f64 v[52:53], v[36:37], s[24:25], -v[50:51]
	v_fmac_f64_e32 v[52:53], s[24:25], v[34:35]
	v_fmac_f64_e32 v[52:53], s[26:27], v[36:37]
	v_add_f64 v[34:35], v[50:51], v[52:53]
	v_add_f64 v[36:37], v[34:35], -v[50:51]
	v_add_f64 v[50:51], v[38:39], v[34:35]
	v_add_f64 v[36:37], v[52:53], -v[36:37]
	v_add_f64 v[52:53], v[50:51], -v[38:39]
	;; [unrolled: 1-line block ×5, first 2 shown]
	v_add_f64 v[34:35], v[34:35], v[38:39]
	v_add_f64 v[38:39], v[48:49], v[36:37]
	v_add_f64 v[52:53], v[38:39], -v[48:49]
	v_add_f64 v[54:55], v[38:39], -v[52:53]
	v_add_f64 v[34:35], v[38:39], v[34:35]
	v_add_f64 v[48:49], v[48:49], -v[54:55]
	v_add_f64 v[36:37], v[36:37], -v[52:53]
	v_add_f64 v[38:39], v[50:51], v[34:35]
	v_add_f64 v[36:37], v[36:37], v[48:49]
	v_add_f64 v[48:49], v[38:39], -v[50:51]
	v_add_f64 v[34:35], v[34:35], -v[48:49]
	v_add_f64 v[34:35], v[36:37], v[34:35]
	v_add_f64 v[34:35], v[38:39], v[34:35]
	v_cmp_class_f64_e64 vcc, v[32:33], s34
	v_cndmask_b32_e32 v3, v34, v32, vcc
	v_cndmask_b32_e32 v34, v35, v33, vcc
	v_cmp_ngt_f64_e32 vcc, 0, v[32:33]
	v_cndmask_b32_e32 v35, v46, v34, vcc
	v_cmp_nge_f64_e32 vcc, 0, v[32:33]
	v_cndmask_b32_e32 v34, 0, v3, vcc
	v_cmp_neq_f64_e32 vcc, 0, v[32:33]
	v_cndmask_b32_e32 v35, v47, v35, vcc
	v_mov_b32_e32 v3, s9
	v_add_co_u32_e32 v32, vcc, s8, v10
	v_addc_co_u32_e32 v33, vcc, v9, v3, vcc
	global_store_dwordx2 v[32:33], v[34:35], off
	s_branch .LBB178_8
.LBB178_25:
	s_endpgm
	.section	.rodata,"a",@progbits
	.p2align	6, 0x0
	.amdhsa_kernel _ZN2at6native12_GLOBAL__N_125multi_tensor_apply_kernelINS1_18TensorListMetadataILi2EEENS1_14UnaryOpFunctorIdLi2ELi1ELi1EEEJNS0_5Log10IdEEEEEvT_T0_DpT1_
		.amdhsa_group_segment_fixed_size 0
		.amdhsa_private_segment_fixed_size 0
		.amdhsa_kernarg_size 3408
		.amdhsa_user_sgpr_count 6
		.amdhsa_user_sgpr_private_segment_buffer 1
		.amdhsa_user_sgpr_dispatch_ptr 0
		.amdhsa_user_sgpr_queue_ptr 0
		.amdhsa_user_sgpr_kernarg_segment_ptr 1
		.amdhsa_user_sgpr_dispatch_id 0
		.amdhsa_user_sgpr_flat_scratch_init 0
		.amdhsa_user_sgpr_kernarg_preload_length 0
		.amdhsa_user_sgpr_kernarg_preload_offset 0
		.amdhsa_user_sgpr_private_segment_size 0
		.amdhsa_uses_dynamic_stack 0
		.amdhsa_system_sgpr_private_segment_wavefront_offset 0
		.amdhsa_system_sgpr_workgroup_id_x 1
		.amdhsa_system_sgpr_workgroup_id_y 0
		.amdhsa_system_sgpr_workgroup_id_z 0
		.amdhsa_system_sgpr_workgroup_info 0
		.amdhsa_system_vgpr_workitem_id 0
		.amdhsa_next_free_vgpr 70
		.amdhsa_next_free_sgpr 48
		.amdhsa_accum_offset 72
		.amdhsa_reserve_vcc 1
		.amdhsa_reserve_flat_scratch 0
		.amdhsa_float_round_mode_32 0
		.amdhsa_float_round_mode_16_64 0
		.amdhsa_float_denorm_mode_32 3
		.amdhsa_float_denorm_mode_16_64 3
		.amdhsa_dx10_clamp 1
		.amdhsa_ieee_mode 1
		.amdhsa_fp16_overflow 0
		.amdhsa_tg_split 0
		.amdhsa_exception_fp_ieee_invalid_op 0
		.amdhsa_exception_fp_denorm_src 0
		.amdhsa_exception_fp_ieee_div_zero 0
		.amdhsa_exception_fp_ieee_overflow 0
		.amdhsa_exception_fp_ieee_underflow 0
		.amdhsa_exception_fp_ieee_inexact 0
		.amdhsa_exception_int_div_zero 0
	.end_amdhsa_kernel
	.section	.text._ZN2at6native12_GLOBAL__N_125multi_tensor_apply_kernelINS1_18TensorListMetadataILi2EEENS1_14UnaryOpFunctorIdLi2ELi1ELi1EEEJNS0_5Log10IdEEEEEvT_T0_DpT1_,"axG",@progbits,_ZN2at6native12_GLOBAL__N_125multi_tensor_apply_kernelINS1_18TensorListMetadataILi2EEENS1_14UnaryOpFunctorIdLi2ELi1ELi1EEEJNS0_5Log10IdEEEEEvT_T0_DpT1_,comdat
.Lfunc_end178:
	.size	_ZN2at6native12_GLOBAL__N_125multi_tensor_apply_kernelINS1_18TensorListMetadataILi2EEENS1_14UnaryOpFunctorIdLi2ELi1ELi1EEEJNS0_5Log10IdEEEEEvT_T0_DpT1_, .Lfunc_end178-_ZN2at6native12_GLOBAL__N_125multi_tensor_apply_kernelINS1_18TensorListMetadataILi2EEENS1_14UnaryOpFunctorIdLi2ELi1ELi1EEEJNS0_5Log10IdEEEEEvT_T0_DpT1_
                                        ; -- End function
	.section	.AMDGPU.csdata,"",@progbits
; Kernel info:
; codeLenInByte = 7004
; NumSgprs: 52
; NumVgprs: 70
; NumAgprs: 0
; TotalNumVgprs: 70
; ScratchSize: 0
; MemoryBound: 0
; FloatMode: 240
; IeeeMode: 1
; LDSByteSize: 0 bytes/workgroup (compile time only)
; SGPRBlocks: 6
; VGPRBlocks: 8
; NumSGPRsForWavesPerEU: 52
; NumVGPRsForWavesPerEU: 70
; AccumOffset: 72
; Occupancy: 7
; WaveLimiterHint : 0
; COMPUTE_PGM_RSRC2:SCRATCH_EN: 0
; COMPUTE_PGM_RSRC2:USER_SGPR: 6
; COMPUTE_PGM_RSRC2:TRAP_HANDLER: 0
; COMPUTE_PGM_RSRC2:TGID_X_EN: 1
; COMPUTE_PGM_RSRC2:TGID_Y_EN: 0
; COMPUTE_PGM_RSRC2:TGID_Z_EN: 0
; COMPUTE_PGM_RSRC2:TIDIG_COMP_CNT: 0
; COMPUTE_PGM_RSRC3_GFX90A:ACCUM_OFFSET: 17
; COMPUTE_PGM_RSRC3_GFX90A:TG_SPLIT: 0
	.section	.text._ZN2at6native12_GLOBAL__N_125multi_tensor_apply_kernelINS1_18TensorListMetadataILi2EEENS1_14UnaryOpFunctorIfLi2ELi1ELi1EEEJNS0_5Log10IfEEEEEvT_T0_DpT1_,"axG",@progbits,_ZN2at6native12_GLOBAL__N_125multi_tensor_apply_kernelINS1_18TensorListMetadataILi2EEENS1_14UnaryOpFunctorIfLi2ELi1ELi1EEEJNS0_5Log10IfEEEEEvT_T0_DpT1_,comdat
	.globl	_ZN2at6native12_GLOBAL__N_125multi_tensor_apply_kernelINS1_18TensorListMetadataILi2EEENS1_14UnaryOpFunctorIfLi2ELi1ELi1EEEJNS0_5Log10IfEEEEEvT_T0_DpT1_ ; -- Begin function _ZN2at6native12_GLOBAL__N_125multi_tensor_apply_kernelINS1_18TensorListMetadataILi2EEENS1_14UnaryOpFunctorIfLi2ELi1ELi1EEEJNS0_5Log10IfEEEEEvT_T0_DpT1_
	.p2align	8
	.type	_ZN2at6native12_GLOBAL__N_125multi_tensor_apply_kernelINS1_18TensorListMetadataILi2EEENS1_14UnaryOpFunctorIfLi2ELi1ELi1EEEJNS0_5Log10IfEEEEEvT_T0_DpT1_,@function
_ZN2at6native12_GLOBAL__N_125multi_tensor_apply_kernelINS1_18TensorListMetadataILi2EEENS1_14UnaryOpFunctorIfLi2ELi1ELi1EEEJNS0_5Log10IfEEEEEvT_T0_DpT1_: ; @_ZN2at6native12_GLOBAL__N_125multi_tensor_apply_kernelINS1_18TensorListMetadataILi2EEENS1_14UnaryOpFunctorIfLi2ELi1ELi1EEEJNS0_5Log10IfEEEEEvT_T0_DpT1_
; %bb.0:
	v_mov_b32_e32 v1, s6
	global_load_ubyte v1, v1, s[4:5] offset:1536
	s_add_u32 s0, s4, s6
	s_mul_hi_u32 s2, s6, 3
	s_mul_i32 s6, s6, 3
	s_addc_u32 s7, s5, 0
	s_add_u32 s6, s0, s6
	s_addc_u32 s7, s7, s2
	s_mov_b32 s1, 0
	s_mov_b32 s3, s1
	s_waitcnt vmcnt(0)
	v_readfirstlane_b32 s0, v1
	s_lshl_b32 s0, s0, 3
	s_load_dword s10, s[6:7], 0x740
	s_load_dwordx2 s[16:17], s[4:5], s0 offset:0x0
	s_load_dwordx2 s[12:13], s[4:5], s0 offset:0x400
	;; [unrolled: 1-line block ×3, first 2 shown]
	s_mov_b32 s7, s1
	s_waitcnt lgkmcnt(0)
	s_ashr_i32 s11, s10, 31
	s_and_b32 s0, s16, 15
	s_and_b32 s6, s12, 3
	;; [unrolled: 1-line block ×3, first 2 shown]
	s_or_b64 s[6:7], s[0:1], s[6:7]
	s_lshl_b64 s[8:9], s[10:11], 18
	s_or_b64 s[2:3], s[2:3], s[6:7]
	s_lshl_b64 s[6:7], s[10:11], 16
	s_sub_u32 s10, s12, s6
	s_subb_u32 s11, s13, s7
	s_cmp_eq_u64 s[2:3], 0
	s_mov_b64 s[2:3], -1
	s_cbranch_scc0 .LBB179_5
; %bb.1:
	v_mov_b32_e32 v3, 0
	v_lshlrev_b32_e32 v2, 2, v0
	v_cmp_gt_i64_e32 vcc, s[10:11], v[2:3]
	s_and_saveexec_b64 s[12:13], vcc
	s_cbranch_execz .LBB179_4
; %bb.2:
	s_load_dword s0, s[4:5], 0xc5c
	v_lshlrev_b32_e32 v1, 4, v0
	v_mov_b32_e32 v4, s9
	v_add_co_u32_e32 v1, vcc, s8, v1
	v_addc_co_u32_e32 v5, vcc, 0, v4, vcc
	s_waitcnt lgkmcnt(0)
	s_and_b32 s0, s0, 0xffff
	v_add_co_u32_e32 v4, vcc, 8, v1
	v_add_lshl_u32 v2, v0, s0, 2
	s_lshl_b32 s22, s0, 2
	v_addc_co_u32_e32 v1, vcc, 0, v5, vcc
	s_lshl_b32 s23, s0, 4
	s_mov_b64 s[18:19], 0
	v_mov_b32_e32 v5, s17
	v_mov_b32_e32 v6, s15
	s_mov_b32 s24, 0x800000
	v_mov_b32_e32 v7, 0x4f800000
	s_mov_b32 s25, 0x3e9a209a
	s_mov_b32 s26, 0x7f800000
	v_mov_b32_e32 v8, 0x411a209b
	s_mov_b64 s[20:21], 0xffff
	v_mov_b32_e32 v9, s1
	v_mov_b32_e32 v10, s1
.LBB179_3:                              ; =>This Inner Loop Header: Depth=1
	v_add_co_u32_e32 v12, vcc, s16, v4
	v_addc_co_u32_e32 v13, vcc, v5, v1, vcc
	global_load_dwordx4 v[12:15], v[12:13], off offset:-8
	v_add_co_u32_e32 v16, vcc, s14, v4
	v_addc_co_u32_e32 v17, vcc, v6, v1, vcc
	v_cmp_le_i64_e32 vcc, s[10:11], v[2:3]
	v_cmp_lt_u64_e64 s[0:1], s[20:21], v[2:3]
	v_add_co_u32_e64 v2, s[2:3], s22, v2
	v_addc_co_u32_e64 v3, s[2:3], v3, v9, s[2:3]
	v_add_co_u32_e64 v4, s[2:3], s23, v4
	s_or_b64 s[0:1], vcc, s[0:1]
	v_addc_co_u32_e64 v1, s[2:3], v1, v10, s[2:3]
	s_and_b64 s[0:1], exec, s[0:1]
	s_or_b64 s[18:19], s[0:1], s[18:19]
	s_waitcnt vmcnt(0)
	v_cmp_gt_f32_e32 vcc, s24, v13
	v_cmp_gt_f32_e64 s[0:1], s24, v12
	v_cmp_gt_f32_e64 s[2:3], s24, v15
	;; [unrolled: 1-line block ×3, first 2 shown]
	v_cndmask_b32_e32 v11, 1.0, v7, vcc
	v_cndmask_b32_e64 v18, 1.0, v7, s[0:1]
	v_cndmask_b32_e64 v19, 1.0, v7, s[2:3]
	;; [unrolled: 1-line block ×3, first 2 shown]
	v_mul_f32_e32 v11, v13, v11
	v_mul_f32_e32 v12, v12, v18
	;; [unrolled: 1-line block ×4, first 2 shown]
	v_log_f32_e32 v11, v11
	v_log_f32_e32 v12, v12
	;; [unrolled: 1-line block ×4, first 2 shown]
	v_mul_f32_e32 v21, 0x3e9a209a, v11
	v_mul_f32_e32 v22, 0x3e9a209a, v12
	;; [unrolled: 1-line block ×4, first 2 shown]
	v_fma_f32 v21, v11, s25, -v21
	v_fma_f32 v22, v12, s25, -v22
	;; [unrolled: 1-line block ×4, first 2 shown]
	v_fmac_f32_e32 v21, 0x3284fbcf, v11
	v_fmac_f32_e32 v22, 0x3284fbcf, v12
	;; [unrolled: 1-line block ×4, first 2 shown]
	v_cndmask_b32_e32 v13, 0, v8, vcc
	v_cndmask_b32_e64 v18, 0, v8, s[0:1]
	v_cndmask_b32_e64 v19, 0, v8, s[2:3]
	;; [unrolled: 1-line block ×3, first 2 shown]
	v_fmac_f32_e32 v21, 0x3e9a209a, v11
	v_fmac_f32_e32 v22, 0x3e9a209a, v12
	v_cmp_lt_f32_e64 vcc, |v12|, s26
	v_fmac_f32_e32 v23, 0x3e9a209a, v15
	v_cmp_lt_f32_e64 s[0:1], |v15|, s26
	v_fmac_f32_e32 v24, 0x3e9a209a, v14
	v_cmp_lt_f32_e64 s[2:3], |v14|, s26
	v_cmp_lt_f32_e64 s[6:7], |v11|, s26
	v_cndmask_b32_e64 v11, v11, v21, s[6:7]
	v_cndmask_b32_e32 v12, v12, v22, vcc
	v_cndmask_b32_e64 v15, v15, v23, s[0:1]
	v_cndmask_b32_e64 v14, v14, v24, s[2:3]
	v_sub_f32_e32 v13, v11, v13
	v_sub_f32_e32 v12, v12, v18
	;; [unrolled: 1-line block ×4, first 2 shown]
	global_store_dwordx4 v[16:17], v[12:15], off offset:-8
	s_andn2_b64 exec, exec, s[18:19]
	s_cbranch_execnz .LBB179_3
.LBB179_4:
	s_or_b64 exec, exec, s[12:13]
	s_mov_b64 s[2:3], 0
.LBB179_5:
	s_andn2_b64 vcc, exec, s[2:3]
	s_cbranch_vccnz .LBB179_25
; %bb.6:
	v_cmp_lt_i64_e64 s[0:1], s[10:11], 1
	s_and_b64 vcc, exec, s[0:1]
	s_cbranch_vccnz .LBB179_25
; %bb.7:
	s_load_dword s0, s[4:5], 0xc5c
	v_mov_b32_e32 v2, 0x10000
	v_mov_b32_e32 v3, 0
	v_cmp_lt_u64_e32 vcc, s[10:11], v[2:3]
	v_lshlrev_b32_e32 v10, 2, v0
	s_waitcnt lgkmcnt(0)
	s_and_b32 s2, s0, 0xffff
	s_and_b64 s[0:1], vcc, exec
	v_mov_b32_e32 v13, s17
	v_add_co_u32_e32 v2, vcc, s16, v10
	v_addc_co_u32_e32 v1, vcc, 0, v13, vcc
	v_mov_b32_e32 v11, 0
	v_mov_b32_e32 v15, s15
	v_add_co_u32_e32 v4, vcc, s14, v10
	v_addc_co_u32_e32 v3, vcc, 0, v15, vcc
	v_mad_u64_u32 v[8:9], s[0:1], s2, 12, v[10:11]
	v_add_co_u32_e32 v6, vcc, s16, v8
	v_addc_co_u32_e32 v5, vcc, v13, v9, vcc
	v_add_co_u32_e32 v8, vcc, s14, v8
	s_mul_i32 s4, s2, 3
	v_addc_co_u32_e32 v7, vcc, v15, v9, vcc
	v_add_co_u32_e32 v17, vcc, s4, v0
	v_addc_co_u32_e64 v18, s[0:1], 0, 0, vcc
	s_cselect_b32 s13, s11, 0
	s_cselect_b32 s12, s10, 0x10000
	s_lshl_b32 s0, s2, 3
	v_add_co_u32_e32 v11, vcc, s0, v10
	v_addc_co_u32_e64 v14, s[0:1], 0, 0, vcc
	v_add_co_u32_e32 v10, vcc, s16, v11
	v_addc_co_u32_e32 v9, vcc, v13, v14, vcc
	v_add_co_u32_e32 v12, vcc, s14, v11
	s_lshl_b32 s3, s2, 1
	v_addc_co_u32_e32 v11, vcc, v15, v14, vcc
	v_add_co_u32_e32 v19, vcc, s3, v0
	v_addc_co_u32_e64 v20, s[0:1], 0, 0, vcc
	v_add_co_u32_e32 v21, vcc, s2, v0
	v_lshlrev_b32_e32 v16, 2, v21
	v_addc_co_u32_e64 v22, s[0:1], 0, 0, vcc
	v_add_co_u32_e32 v14, vcc, s16, v16
	v_addc_co_u32_e32 v13, vcc, 0, v13, vcc
	v_add_co_u32_e32 v16, vcc, s14, v16
	s_mov_b32 s18, 0
	s_lshl_b32 s19, s2, 2
	s_lshl_b32 s20, s2, 4
	v_addc_co_u32_e32 v15, vcc, 0, v15, vcc
	s_mov_b64 s[14:15], 0
	s_mov_b32 s21, 0x800000
	s_mov_b32 s22, 0x3e9a209a
	;; [unrolled: 1-line block ×3, first 2 shown]
	v_mov_b32_e32 v23, 0x4f800000
	v_mov_b32_e32 v24, 0x411a209b
	s_branch .LBB179_9
.LBB179_8:                              ;   in Loop: Header=BB179_9 Depth=1
	s_or_b64 exec, exec, s[0:1]
	s_add_u32 s14, s14, s19
	s_addc_u32 s15, s15, 0
	s_waitcnt vmcnt(0)
	v_pk_mov_b32 v[26:27], s[10:11], s[10:11] op_sel:[0,1]
	v_cmp_ge_i64_e32 vcc, s[14:15], v[26:27]
	v_mov_b32_e32 v26, 0xffff
	v_mov_b32_e32 v27, 0
	v_cmp_gt_u64_e64 s[0:1], s[14:15], v[26:27]
	s_or_b64 s[0:1], vcc, s[0:1]
	v_mov_b32_e32 v25, s18
	v_add_co_u32_e32 v2, vcc, s20, v2
	v_addc_co_u32_e32 v1, vcc, v1, v25, vcc
	v_add_co_u32_e32 v4, vcc, s20, v4
	v_addc_co_u32_e32 v3, vcc, v3, v25, vcc
	;; [unrolled: 2-line block ×8, first 2 shown]
	s_and_b64 vcc, exec, s[0:1]
	s_cbranch_vccnz .LBB179_25
.LBB179_9:                              ; =>This Inner Loop Header: Depth=1
	v_mov_b32_e32 v25, s15
	v_add_co_u32_e32 v26, vcc, s14, v0
	v_addc_co_u32_e32 v27, vcc, 0, v25, vcc
	v_cmp_gt_u64_e64 s[4:5], s[12:13], v[26:27]
	v_mov_b32_e32 v27, 0
	s_and_saveexec_b64 s[0:1], s[4:5]
	s_cbranch_execz .LBB179_11
; %bb.10:                               ;   in Loop: Header=BB179_9 Depth=1
	v_mov_b32_e32 v25, s9
	v_add_co_u32_e32 v26, vcc, s8, v2
	v_addc_co_u32_e32 v27, vcc, v1, v25, vcc
	global_load_dword v27, v[26:27], off
.LBB179_11:                             ;   in Loop: Header=BB179_9 Depth=1
	s_or_b64 exec, exec, s[0:1]
	v_mov_b32_e32 v25, s15
	v_add_co_u32_e32 v28, vcc, s14, v21
	v_addc_co_u32_e32 v29, vcc, v22, v25, vcc
	v_cmp_gt_u64_e64 s[2:3], s[12:13], v[28:29]
	v_mov_b32_e32 v28, 0
	s_and_saveexec_b64 s[0:1], s[2:3]
	s_cbranch_execz .LBB179_13
; %bb.12:                               ;   in Loop: Header=BB179_9 Depth=1
	v_mov_b32_e32 v25, s9
	v_add_co_u32_e32 v28, vcc, s8, v14
	v_addc_co_u32_e32 v29, vcc, v13, v25, vcc
	global_load_dword v28, v[28:29], off
.LBB179_13:                             ;   in Loop: Header=BB179_9 Depth=1
	s_or_b64 exec, exec, s[0:1]
	v_mov_b32_e32 v25, s15
	v_add_co_u32_e32 v30, vcc, s14, v19
	v_addc_co_u32_e32 v31, vcc, v20, v25, vcc
	v_cmp_gt_u64_e64 s[0:1], s[12:13], v[30:31]
	v_mov_b32_e32 v25, 0
	v_mov_b32_e32 v26, 0
	s_and_saveexec_b64 s[6:7], s[0:1]
	s_cbranch_execz .LBB179_15
; %bb.14:                               ;   in Loop: Header=BB179_9 Depth=1
	v_mov_b32_e32 v26, s9
	v_add_co_u32_e32 v30, vcc, s8, v10
	v_addc_co_u32_e32 v31, vcc, v9, v26, vcc
	global_load_dword v26, v[30:31], off
.LBB179_15:                             ;   in Loop: Header=BB179_9 Depth=1
	s_or_b64 exec, exec, s[6:7]
	v_mov_b32_e32 v29, s15
	v_add_co_u32_e32 v30, vcc, s14, v17
	v_addc_co_u32_e32 v31, vcc, v18, v29, vcc
	v_cmp_gt_u64_e32 vcc, s[12:13], v[30:31]
	s_and_saveexec_b64 s[16:17], vcc
	s_cbranch_execnz .LBB179_20
; %bb.16:                               ;   in Loop: Header=BB179_9 Depth=1
	s_or_b64 exec, exec, s[16:17]
	s_and_saveexec_b64 s[16:17], s[4:5]
	s_cbranch_execnz .LBB179_21
.LBB179_17:                             ;   in Loop: Header=BB179_9 Depth=1
	s_or_b64 exec, exec, s[16:17]
	s_and_saveexec_b64 s[4:5], s[2:3]
	s_cbranch_execnz .LBB179_22
.LBB179_18:                             ;   in Loop: Header=BB179_9 Depth=1
	s_or_b64 exec, exec, s[4:5]
	s_and_saveexec_b64 s[2:3], s[0:1]
	s_cbranch_execnz .LBB179_23
.LBB179_19:                             ;   in Loop: Header=BB179_9 Depth=1
	s_or_b64 exec, exec, s[2:3]
	s_and_saveexec_b64 s[0:1], vcc
	s_cbranch_execz .LBB179_8
	s_branch .LBB179_24
.LBB179_20:                             ;   in Loop: Header=BB179_9 Depth=1
	v_mov_b32_e32 v25, s9
	v_add_co_u32_e64 v30, s[6:7], s8, v6
	v_addc_co_u32_e64 v31, s[6:7], v5, v25, s[6:7]
	global_load_dword v25, v[30:31], off
	s_or_b64 exec, exec, s[16:17]
	s_and_saveexec_b64 s[16:17], s[4:5]
	s_cbranch_execz .LBB179_17
.LBB179_21:                             ;   in Loop: Header=BB179_9 Depth=1
	s_waitcnt vmcnt(0)
	v_cmp_gt_f32_e64 s[4:5], s21, v27
	v_cndmask_b32_e64 v30, 1.0, v23, s[4:5]
	v_mul_f32_e32 v27, v27, v30
	v_log_f32_e32 v27, v27
	v_mov_b32_e32 v29, s9
	v_add_co_u32_e64 v30, s[6:7], s8, v4
	v_addc_co_u32_e64 v31, s[6:7], v3, v29, s[6:7]
	v_mul_f32_e32 v29, 0x3e9a209a, v27
	v_fma_f32 v29, v27, s22, -v29
	v_fmac_f32_e32 v29, 0x3284fbcf, v27
	v_fmac_f32_e32 v29, 0x3e9a209a, v27
	v_cmp_lt_f32_e64 s[6:7], |v27|, s23
	v_cndmask_b32_e64 v27, v27, v29, s[6:7]
	v_cndmask_b32_e64 v29, 0, v24, s[4:5]
	v_sub_f32_e32 v27, v27, v29
	global_store_dword v[30:31], v27, off
	s_or_b64 exec, exec, s[16:17]
	s_and_saveexec_b64 s[4:5], s[2:3]
	s_cbranch_execz .LBB179_18
.LBB179_22:                             ;   in Loop: Header=BB179_9 Depth=1
	s_waitcnt vmcnt(0)
	v_cmp_gt_f32_e64 s[2:3], s21, v28
	v_cndmask_b32_e64 v27, 1.0, v23, s[2:3]
	v_mul_f32_e32 v27, v28, v27
	v_log_f32_e32 v27, v27
	v_cndmask_b32_e64 v28, 0, v24, s[2:3]
	v_mul_f32_e32 v29, 0x3e9a209a, v27
	v_fma_f32 v29, v27, s22, -v29
	v_fmac_f32_e32 v29, 0x3284fbcf, v27
	v_fmac_f32_e32 v29, 0x3e9a209a, v27
	v_cmp_lt_f32_e64 s[2:3], |v27|, s23
	v_cndmask_b32_e64 v27, v27, v29, s[2:3]
	v_sub_f32_e32 v27, v27, v28
	v_mov_b32_e32 v29, s9
	v_add_co_u32_e64 v28, s[2:3], s8, v16
	v_addc_co_u32_e64 v29, s[2:3], v15, v29, s[2:3]
	global_store_dword v[28:29], v27, off
	s_or_b64 exec, exec, s[4:5]
	s_and_saveexec_b64 s[2:3], s[0:1]
	s_cbranch_execz .LBB179_19
.LBB179_23:                             ;   in Loop: Header=BB179_9 Depth=1
	s_waitcnt vmcnt(0)
	v_cmp_gt_f32_e64 s[0:1], s21, v26
	v_cndmask_b32_e64 v27, 1.0, v23, s[0:1]
	v_mul_f32_e32 v26, v26, v27
	v_log_f32_e32 v26, v26
	v_cndmask_b32_e64 v27, 0, v24, s[0:1]
	v_mul_f32_e32 v28, 0x3e9a209a, v26
	v_fma_f32 v28, v26, s22, -v28
	v_fmac_f32_e32 v28, 0x3284fbcf, v26
	v_fmac_f32_e32 v28, 0x3e9a209a, v26
	v_cmp_lt_f32_e64 s[0:1], |v26|, s23
	v_cndmask_b32_e64 v26, v26, v28, s[0:1]
	v_sub_f32_e32 v28, v26, v27
	v_mov_b32_e32 v27, s9
	v_add_co_u32_e64 v26, s[0:1], s8, v12
	v_addc_co_u32_e64 v27, s[0:1], v11, v27, s[0:1]
	global_store_dword v[26:27], v28, off
	s_or_b64 exec, exec, s[2:3]
	s_and_saveexec_b64 s[0:1], vcc
	s_cbranch_execz .LBB179_8
.LBB179_24:                             ;   in Loop: Header=BB179_9 Depth=1
	s_waitcnt vmcnt(0)
	v_cmp_gt_f32_e32 vcc, s21, v25
	v_cndmask_b32_e32 v26, 1.0, v23, vcc
	v_mul_f32_e32 v25, v25, v26
	v_log_f32_e32 v25, v25
	v_cndmask_b32_e32 v26, 0, v24, vcc
	v_mul_f32_e32 v27, 0x3e9a209a, v25
	v_fma_f32 v27, v25, s22, -v27
	v_fmac_f32_e32 v27, 0x3284fbcf, v25
	v_fmac_f32_e32 v27, 0x3e9a209a, v25
	v_cmp_lt_f32_e64 vcc, |v25|, s23
	v_cndmask_b32_e32 v25, v25, v27, vcc
	v_sub_f32_e32 v25, v25, v26
	v_mov_b32_e32 v27, s9
	v_add_co_u32_e32 v26, vcc, s8, v8
	v_addc_co_u32_e32 v27, vcc, v7, v27, vcc
	global_store_dword v[26:27], v25, off
	s_branch .LBB179_8
.LBB179_25:
	s_endpgm
	.section	.rodata,"a",@progbits
	.p2align	6, 0x0
	.amdhsa_kernel _ZN2at6native12_GLOBAL__N_125multi_tensor_apply_kernelINS1_18TensorListMetadataILi2EEENS1_14UnaryOpFunctorIfLi2ELi1ELi1EEEJNS0_5Log10IfEEEEEvT_T0_DpT1_
		.amdhsa_group_segment_fixed_size 0
		.amdhsa_private_segment_fixed_size 0
		.amdhsa_kernarg_size 3408
		.amdhsa_user_sgpr_count 6
		.amdhsa_user_sgpr_private_segment_buffer 1
		.amdhsa_user_sgpr_dispatch_ptr 0
		.amdhsa_user_sgpr_queue_ptr 0
		.amdhsa_user_sgpr_kernarg_segment_ptr 1
		.amdhsa_user_sgpr_dispatch_id 0
		.amdhsa_user_sgpr_flat_scratch_init 0
		.amdhsa_user_sgpr_kernarg_preload_length 0
		.amdhsa_user_sgpr_kernarg_preload_offset 0
		.amdhsa_user_sgpr_private_segment_size 0
		.amdhsa_uses_dynamic_stack 0
		.amdhsa_system_sgpr_private_segment_wavefront_offset 0
		.amdhsa_system_sgpr_workgroup_id_x 1
		.amdhsa_system_sgpr_workgroup_id_y 0
		.amdhsa_system_sgpr_workgroup_id_z 0
		.amdhsa_system_sgpr_workgroup_info 0
		.amdhsa_system_vgpr_workitem_id 0
		.amdhsa_next_free_vgpr 32
		.amdhsa_next_free_sgpr 27
		.amdhsa_accum_offset 32
		.amdhsa_reserve_vcc 1
		.amdhsa_reserve_flat_scratch 0
		.amdhsa_float_round_mode_32 0
		.amdhsa_float_round_mode_16_64 0
		.amdhsa_float_denorm_mode_32 3
		.amdhsa_float_denorm_mode_16_64 3
		.amdhsa_dx10_clamp 1
		.amdhsa_ieee_mode 1
		.amdhsa_fp16_overflow 0
		.amdhsa_tg_split 0
		.amdhsa_exception_fp_ieee_invalid_op 0
		.amdhsa_exception_fp_denorm_src 0
		.amdhsa_exception_fp_ieee_div_zero 0
		.amdhsa_exception_fp_ieee_overflow 0
		.amdhsa_exception_fp_ieee_underflow 0
		.amdhsa_exception_fp_ieee_inexact 0
		.amdhsa_exception_int_div_zero 0
	.end_amdhsa_kernel
	.section	.text._ZN2at6native12_GLOBAL__N_125multi_tensor_apply_kernelINS1_18TensorListMetadataILi2EEENS1_14UnaryOpFunctorIfLi2ELi1ELi1EEEJNS0_5Log10IfEEEEEvT_T0_DpT1_,"axG",@progbits,_ZN2at6native12_GLOBAL__N_125multi_tensor_apply_kernelINS1_18TensorListMetadataILi2EEENS1_14UnaryOpFunctorIfLi2ELi1ELi1EEEJNS0_5Log10IfEEEEEvT_T0_DpT1_,comdat
.Lfunc_end179:
	.size	_ZN2at6native12_GLOBAL__N_125multi_tensor_apply_kernelINS1_18TensorListMetadataILi2EEENS1_14UnaryOpFunctorIfLi2ELi1ELi1EEEJNS0_5Log10IfEEEEEvT_T0_DpT1_, .Lfunc_end179-_ZN2at6native12_GLOBAL__N_125multi_tensor_apply_kernelINS1_18TensorListMetadataILi2EEENS1_14UnaryOpFunctorIfLi2ELi1ELi1EEEJNS0_5Log10IfEEEEEvT_T0_DpT1_
                                        ; -- End function
	.section	.AMDGPU.csdata,"",@progbits
; Kernel info:
; codeLenInByte = 1912
; NumSgprs: 31
; NumVgprs: 32
; NumAgprs: 0
; TotalNumVgprs: 32
; ScratchSize: 0
; MemoryBound: 0
; FloatMode: 240
; IeeeMode: 1
; LDSByteSize: 0 bytes/workgroup (compile time only)
; SGPRBlocks: 3
; VGPRBlocks: 3
; NumSGPRsForWavesPerEU: 31
; NumVGPRsForWavesPerEU: 32
; AccumOffset: 32
; Occupancy: 8
; WaveLimiterHint : 0
; COMPUTE_PGM_RSRC2:SCRATCH_EN: 0
; COMPUTE_PGM_RSRC2:USER_SGPR: 6
; COMPUTE_PGM_RSRC2:TRAP_HANDLER: 0
; COMPUTE_PGM_RSRC2:TGID_X_EN: 1
; COMPUTE_PGM_RSRC2:TGID_Y_EN: 0
; COMPUTE_PGM_RSRC2:TGID_Z_EN: 0
; COMPUTE_PGM_RSRC2:TIDIG_COMP_CNT: 0
; COMPUTE_PGM_RSRC3_GFX90A:ACCUM_OFFSET: 7
; COMPUTE_PGM_RSRC3_GFX90A:TG_SPLIT: 0
	.section	.text._ZN2at6native12_GLOBAL__N_125multi_tensor_apply_kernelINS1_18TensorListMetadataILi2EEENS1_14UnaryOpFunctorIN3c107complexIdEELi2ELi1ELi1EEEJNS0_5Log10IS8_EEEEEvT_T0_DpT1_,"axG",@progbits,_ZN2at6native12_GLOBAL__N_125multi_tensor_apply_kernelINS1_18TensorListMetadataILi2EEENS1_14UnaryOpFunctorIN3c107complexIdEELi2ELi1ELi1EEEJNS0_5Log10IS8_EEEEEvT_T0_DpT1_,comdat
	.globl	_ZN2at6native12_GLOBAL__N_125multi_tensor_apply_kernelINS1_18TensorListMetadataILi2EEENS1_14UnaryOpFunctorIN3c107complexIdEELi2ELi1ELi1EEEJNS0_5Log10IS8_EEEEEvT_T0_DpT1_ ; -- Begin function _ZN2at6native12_GLOBAL__N_125multi_tensor_apply_kernelINS1_18TensorListMetadataILi2EEENS1_14UnaryOpFunctorIN3c107complexIdEELi2ELi1ELi1EEEJNS0_5Log10IS8_EEEEEvT_T0_DpT1_
	.p2align	8
	.type	_ZN2at6native12_GLOBAL__N_125multi_tensor_apply_kernelINS1_18TensorListMetadataILi2EEENS1_14UnaryOpFunctorIN3c107complexIdEELi2ELi1ELi1EEEJNS0_5Log10IS8_EEEEEvT_T0_DpT1_,@function
_ZN2at6native12_GLOBAL__N_125multi_tensor_apply_kernelINS1_18TensorListMetadataILi2EEENS1_14UnaryOpFunctorIN3c107complexIdEELi2ELi1ELi1EEEJNS0_5Log10IS8_EEEEEvT_T0_DpT1_: ; @_ZN2at6native12_GLOBAL__N_125multi_tensor_apply_kernelINS1_18TensorListMetadataILi2EEENS1_14UnaryOpFunctorIN3c107complexIdEELi2ELi1ELi1EEEJNS0_5Log10IS8_EEEEEvT_T0_DpT1_
; %bb.0:
	v_mov_b32_e32 v1, s6
	global_load_ubyte v1, v1, s[4:5] offset:1536
	s_add_u32 s0, s4, s6
	s_mul_hi_u32 s3, s6, 3
	s_mul_i32 s6, s6, 3
	s_addc_u32 s7, s5, 0
	s_add_u32 s2, s0, s6
	s_addc_u32 s3, s7, s3
	s_load_dword s2, s[2:3], 0x740
	s_mov_b32 s9, 0
	s_mov_b32 s1, s9
	s_waitcnt lgkmcnt(0)
	s_ashr_i32 s3, s2, 31
	s_lshl_b64 s[14:15], s[2:3], 20
	s_waitcnt vmcnt(0)
	v_readfirstlane_b32 s0, v1
	s_lshl_b32 s0, s0, 3
	s_load_dwordx2 s[6:7], s[4:5], s0 offset:0x0
	s_load_dwordx2 s[10:11], s[4:5], s0 offset:0x400
	;; [unrolled: 1-line block ×3, first 2 shown]
	s_waitcnt lgkmcnt(0)
	s_add_u32 s33, s6, s14
	s_addc_u32 s68, s7, s15
	s_add_u32 s69, s12, s14
	s_addc_u32 s70, s13, s15
	s_and_b32 s0, s33, 63
	s_and_b32 s6, s10, 3
	s_mov_b32 s7, s9
	s_and_b32 s8, s69, 63
	s_or_b64 s[0:1], s[0:1], s[6:7]
	s_lshl_b64 s[2:3], s[2:3], 16
	s_or_b64 s[0:1], s[8:9], s[0:1]
	s_sub_u32 s14, s10, s2
	s_subb_u32 s15, s11, s3
	s_cmp_eq_u64 s[0:1], 0
	s_mov_b64 s[0:1], -1
	s_cbranch_scc0 .LBB180_141
; %bb.1:
	v_mov_b32_e32 v18, 0
	v_lshlrev_b32_e32 v2, 2, v0
	v_mov_b32_e32 v3, v18
	v_cmp_gt_i64_e32 vcc, s[14:15], v[2:3]
	s_and_saveexec_b64 s[10:11], vcc
	s_cbranch_execz .LBB180_140
; %bb.2:
	s_load_dword s0, s[4:5], 0xc5c
	v_mov_b32_e32 v1, v18
	s_mov_b32 s16, 0x85ebc8a0
	s_mov_b32 s18, 0x4ad4b81f
	;; [unrolled: 1-line block ×15, first 2 shown]
	s_mov_b64 s[12:13], 0
	v_mov_b32_e32 v106, s68
	s_brev_b32 s8, -2
	s_waitcnt lgkmcnt(0)
	s_and_b32 s66, s0, 0xffff
	s_mov_b32 s17, 0x7fd1ccf3
	s_mov_b32 s19, 0x358dee7a
	;; [unrolled: 1-line block ×9, first 2 shown]
	s_movk_i32 s67, 0x204
	s_mov_b32 s37, 0x3ff921fb
	s_mov_b32 s39, 0x400921fb
	;; [unrolled: 1-line block ×5, first 2 shown]
	s_brev_b32 s47, 4
	s_mov_b32 s49, 0x40026bb1
	s_mov_b64 s[50:51], 0xffff
	v_mov_b32_e32 v20, 0x6b47b09a
	v_mov_b32_e32 v21, 0x3fc38538
	;; [unrolled: 1-line block ×58, first 2 shown]
	v_pk_mov_b32 v[70:71], v[0:1], v[0:1] op_sel:[0,1]
	s_branch .LBB180_5
.LBB180_3:                              ;   in Loop: Header=BB180_5 Depth=1
	s_or_b64 exec, exec, s[2:3]
	v_frexp_mant_f64_e32 v[2:3], v[82:83]
	v_cmp_gt_f64_e32 vcc, s[22:23], v[2:3]
	v_cndmask_b32_e64 v19, v113, 2.0, vcc
	v_mul_f64 v[2:3], v[2:3], v[18:19]
	v_add_f64 v[14:15], v[2:3], 1.0
	v_rcp_f64_e32 v[84:85], v[14:15]
	v_add_f64 v[88:89], v[14:15], -1.0
	v_add_f64 v[86:87], v[2:3], -1.0
	v_add_f64 v[2:3], v[2:3], -v[88:89]
	v_fma_f64 v[88:89], -v[14:15], v[84:85], 1.0
	v_fmac_f64_e32 v[84:85], v[88:89], v[84:85]
	v_fma_f64 v[88:89], -v[14:15], v[84:85], 1.0
	v_fmac_f64_e32 v[84:85], v[88:89], v[84:85]
	v_mul_f64 v[88:89], v[86:87], v[84:85]
	v_mul_f64 v[90:91], v[14:15], v[88:89]
	v_fma_f64 v[14:15], v[88:89], v[14:15], -v[90:91]
	v_fmac_f64_e32 v[14:15], v[88:89], v[2:3]
	v_add_f64 v[2:3], v[90:91], v[14:15]
	v_add_f64 v[92:93], v[86:87], -v[2:3]
	v_add_f64 v[90:91], v[2:3], -v[90:91]
	;; [unrolled: 1-line block ×5, first 2 shown]
	v_add_f64 v[2:3], v[14:15], v[2:3]
	v_add_f64 v[2:3], v[92:93], v[2:3]
	v_mul_f64 v[2:3], v[84:85], v[2:3]
	v_add_f64 v[14:15], v[88:89], v[2:3]
	v_add_f64 v[84:85], v[14:15], -v[88:89]
	v_add_f64 v[2:3], v[2:3], -v[84:85]
	v_mul_f64 v[84:85], v[14:15], v[14:15]
	v_pk_mov_b32 v[86:87], v[20:21], v[20:21] op_sel:[0,1]
	v_fmac_f64_e32 v[86:87], s[24:25], v[84:85]
	v_pk_mov_b32 v[88:89], v[22:23], v[22:23] op_sel:[0,1]
	v_fmac_f64_e32 v[88:89], v[84:85], v[86:87]
	v_pk_mov_b32 v[86:87], v[24:25], v[24:25] op_sel:[0,1]
	v_fmac_f64_e32 v[86:87], v[84:85], v[88:89]
	v_pk_mov_b32 v[88:89], v[26:27], v[26:27] op_sel:[0,1]
	v_fmac_f64_e32 v[88:89], v[84:85], v[86:87]
	v_pk_mov_b32 v[86:87], v[28:29], v[28:29] op_sel:[0,1]
	v_fmac_f64_e32 v[86:87], v[84:85], v[88:89]
	v_pk_mov_b32 v[88:89], v[30:31], v[30:31] op_sel:[0,1]
	v_fmac_f64_e32 v[88:89], v[84:85], v[86:87]
	v_ldexp_f64 v[86:87], v[14:15], 1
	v_mul_f64 v[14:15], v[14:15], v[84:85]
	v_mul_f64 v[14:15], v[14:15], v[88:89]
	v_add_f64 v[84:85], v[86:87], v[14:15]
	v_add_f64 v[86:87], v[84:85], -v[86:87]
	v_ldexp_f64 v[2:3], v[2:3], 1
	v_add_f64 v[14:15], v[14:15], -v[86:87]
	v_add_f64 v[2:3], v[2:3], v[14:15]
	v_frexp_exp_i32_f64_e32 v1, v[82:83]
	v_add_f64 v[14:15], v[84:85], v[2:3]
	v_subbrev_co_u32_e32 v1, vcc, 0, v1, vcc
	v_add_f64 v[84:85], v[14:15], -v[84:85]
	v_add_f64 v[2:3], v[2:3], -v[84:85]
	v_cvt_f64_i32_e32 v[84:85], v1
	v_mul_f64 v[86:87], v[84:85], s[26:27]
	v_fma_f64 v[88:89], v[84:85], s[26:27], -v[86:87]
	v_fmac_f64_e32 v[88:89], s[28:29], v[84:85]
	v_add_f64 v[84:85], v[86:87], v[88:89]
	v_add_f64 v[86:87], v[84:85], -v[86:87]
	v_add_f64 v[86:87], v[88:89], -v[86:87]
	v_add_f64 v[88:89], v[84:85], v[14:15]
	v_add_f64 v[90:91], v[88:89], -v[84:85]
	v_add_f64 v[92:93], v[88:89], -v[90:91]
	;; [unrolled: 1-line block ×4, first 2 shown]
	v_add_f64 v[14:15], v[14:15], v[84:85]
	v_add_f64 v[84:85], v[86:87], v[2:3]
	v_add_f64 v[90:91], v[84:85], -v[86:87]
	v_add_f64 v[92:93], v[84:85], -v[90:91]
	v_add_f64 v[14:15], v[84:85], v[14:15]
	v_add_f64 v[86:87], v[86:87], -v[92:93]
	v_add_f64 v[2:3], v[2:3], -v[90:91]
	v_add_f64 v[84:85], v[88:89], v[14:15]
	v_add_f64 v[2:3], v[2:3], v[86:87]
	v_add_f64 v[86:87], v[84:85], -v[88:89]
	v_add_f64 v[14:15], v[14:15], -v[86:87]
	v_add_f64 v[2:3], v[2:3], v[14:15]
	v_add_f64 v[2:3], v[84:85], v[2:3]
	v_cmp_class_f64_e64 vcc, v[82:83], s67
	v_cndmask_b32_e32 v1, v2, v82, vcc
	v_cndmask_b32_e32 v2, v3, v83, vcc
	v_cmp_ngt_f64_e32 vcc, 0, v[82:83]
	v_cndmask_b32_e32 v2, v107, v2, vcc
	v_cmp_nge_f64_e32 vcc, 0, v[82:83]
	v_cndmask_b32_e32 v14, 0, v1, vcc
	v_cmp_neq_f64_e32 vcc, 0, v[82:83]
	v_mov_b32_e32 v82, 0
	v_cndmask_b32_e32 v15, v108, v2, vcc
	v_mov_b32_e32 v83, 0x7ff80000
.LBB180_4:                              ;   in Loop: Header=BB180_5 Depth=1
	s_or_b64 exec, exec, s[0:1]
	v_div_scale_f64 v[2:3], s[0:1], s[48:49], s[48:49], v[10:11]
	v_rcp_f64_e32 v[84:85], v[2:3]
	v_bfi_b32 v81, s8, v81, v17
	v_bfi_b32 v79, s8, v79, v13
	v_div_scale_f64 v[12:13], s[0:1], s[48:49], s[48:49], v[78:79]
	v_fma_f64 v[16:17], -v[2:3], v[84:85], 1.0
	v_fmac_f64_e32 v[84:85], v[84:85], v[16:17]
	v_fma_f64 v[16:17], -v[2:3], v[84:85], 1.0
	v_fmac_f64_e32 v[84:85], v[84:85], v[16:17]
	v_div_scale_f64 v[16:17], vcc, v[10:11], s[48:49], v[10:11]
	v_mul_f64 v[86:87], v[16:17], v[84:85]
	v_fma_f64 v[2:3], -v[2:3], v[86:87], v[16:17]
	v_div_scale_f64 v[16:17], s[0:1], s[48:49], s[48:49], v[80:81]
	v_rcp_f64_e32 v[88:89], v[16:17]
	v_div_fmas_f64 v[2:3], v[2:3], v[84:85], v[86:87]
	v_div_fixup_f64 v[84:85], v[2:3], s[48:49], v[10:11]
	v_bfi_b32 v77, s8, v77, v9
	v_fma_f64 v[2:3], -v[16:17], v[88:89], 1.0
	v_fmac_f64_e32 v[88:89], v[88:89], v[2:3]
	v_fma_f64 v[2:3], -v[16:17], v[88:89], 1.0
	v_fmac_f64_e32 v[88:89], v[88:89], v[2:3]
	v_div_scale_f64 v[2:3], vcc, v[80:81], s[48:49], v[80:81]
	v_mul_f64 v[10:11], v[2:3], v[88:89]
	v_fma_f64 v[2:3], -v[16:17], v[10:11], v[2:3]
	v_div_scale_f64 v[16:17], s[0:1], s[48:49], s[48:49], v[6:7]
	v_rcp_f64_e32 v[90:91], v[16:17]
	v_div_fmas_f64 v[2:3], v[2:3], v[88:89], v[10:11]
	v_div_fixup_f64 v[86:87], v[2:3], s[48:49], v[80:81]
	v_div_scale_f64 v[80:81], s[0:1], s[48:49], s[48:49], v[74:75]
	v_fma_f64 v[2:3], -v[16:17], v[90:91], 1.0
	v_fmac_f64_e32 v[90:91], v[90:91], v[2:3]
	v_fma_f64 v[2:3], -v[16:17], v[90:91], 1.0
	v_fmac_f64_e32 v[90:91], v[90:91], v[2:3]
	v_div_scale_f64 v[2:3], vcc, v[6:7], s[48:49], v[6:7]
	v_mul_f64 v[10:11], v[2:3], v[90:91]
	v_fma_f64 v[2:3], -v[16:17], v[10:11], v[2:3]
	v_rcp_f64_e32 v[16:17], v[12:13]
	s_nop 0
	v_div_fmas_f64 v[2:3], v[2:3], v[90:91], v[10:11]
	v_div_fixup_f64 v[10:11], v[2:3], s[48:49], v[6:7]
	v_rcp_f64_e32 v[88:89], v[80:81]
	v_fma_f64 v[2:3], -v[12:13], v[16:17], 1.0
	v_fmac_f64_e32 v[16:17], v[16:17], v[2:3]
	v_fma_f64 v[2:3], -v[12:13], v[16:17], 1.0
	v_fmac_f64_e32 v[16:17], v[16:17], v[2:3]
	v_div_scale_f64 v[2:3], vcc, v[78:79], s[48:49], v[78:79]
	v_mul_f64 v[6:7], v[2:3], v[16:17]
	v_fma_f64 v[2:3], -v[12:13], v[6:7], v[2:3]
	v_div_scale_f64 v[8:9], s[0:1], s[48:49], s[48:49], v[76:77]
	s_nop 0
	v_div_fmas_f64 v[2:3], v[2:3], v[16:17], v[6:7]
	v_div_fixup_f64 v[12:13], v[2:3], s[48:49], v[78:79]
	v_fma_f64 v[2:3], -v[80:81], v[88:89], 1.0
	v_fmac_f64_e32 v[88:89], v[88:89], v[2:3]
	v_fma_f64 v[2:3], -v[80:81], v[88:89], 1.0
	v_fmac_f64_e32 v[88:89], v[88:89], v[2:3]
	v_div_scale_f64 v[2:3], vcc, v[74:75], s[48:49], v[74:75]
	v_rcp_f64_e32 v[16:17], v[8:9]
	v_mul_f64 v[6:7], v[2:3], v[88:89]
	v_fma_f64 v[2:3], -v[80:81], v[6:7], v[2:3]
	s_nop 0
	v_div_fmas_f64 v[2:3], v[2:3], v[88:89], v[6:7]
	v_div_fixup_f64 v[6:7], v[2:3], s[48:49], v[74:75]
	v_fma_f64 v[2:3], -v[8:9], v[16:17], 1.0
	v_fmac_f64_e32 v[16:17], v[16:17], v[2:3]
	v_fma_f64 v[2:3], -v[8:9], v[16:17], 1.0
	v_div_scale_f64 v[78:79], s[0:1], s[48:49], s[48:49], v[14:15]
	v_fmac_f64_e32 v[16:17], v[16:17], v[2:3]
	v_div_scale_f64 v[2:3], vcc, v[76:77], s[48:49], v[76:77]
	v_rcp_f64_e32 v[80:81], v[78:79]
	v_mul_f64 v[74:75], v[2:3], v[16:17]
	v_fma_f64 v[2:3], -v[8:9], v[74:75], v[2:3]
	s_nop 0
	v_div_fmas_f64 v[2:3], v[2:3], v[16:17], v[74:75]
	v_div_fixup_f64 v[8:9], v[2:3], s[48:49], v[76:77]
	v_bfi_b32 v83, s8, v83, v5
	v_fma_f64 v[2:3], -v[78:79], v[80:81], 1.0
	v_fmac_f64_e32 v[80:81], v[80:81], v[2:3]
	v_div_scale_f64 v[16:17], s[0:1], s[48:49], s[48:49], v[82:83]
	v_fma_f64 v[2:3], -v[78:79], v[80:81], 1.0
	v_rcp_f64_e32 v[74:75], v[16:17]
	v_fmac_f64_e32 v[80:81], v[80:81], v[2:3]
	v_div_scale_f64 v[2:3], vcc, v[14:15], s[48:49], v[14:15]
	v_mul_f64 v[4:5], v[2:3], v[80:81]
	v_fma_f64 v[2:3], -v[78:79], v[4:5], v[2:3]
	v_mov_b32_e32 v1, s70
	s_nop 0
	v_div_fmas_f64 v[2:3], v[2:3], v[80:81], v[4:5]
	v_fma_f64 v[4:5], -v[16:17], v[74:75], 1.0
	v_fmac_f64_e32 v[74:75], v[74:75], v[4:5]
	v_fma_f64 v[4:5], -v[16:17], v[74:75], 1.0
	v_fmac_f64_e32 v[74:75], v[74:75], v[4:5]
	v_div_scale_f64 v[4:5], vcc, v[82:83], s[48:49], v[82:83]
	v_div_fixup_f64 v[2:3], v[2:3], s[48:49], v[14:15]
	v_mul_f64 v[14:15], v[4:5], v[74:75]
	v_fma_f64 v[4:5], -v[16:17], v[14:15], v[4:5]
	s_nop 0
	v_div_fmas_f64 v[4:5], v[4:5], v[74:75], v[14:15]
	v_add_co_u32_e32 v14, vcc, s69, v72
	v_addc_co_u32_e32 v15, vcc, v1, v73, vcc
	v_mov_b32_e32 v1, s9
	v_add_co_u32_e32 v70, vcc, s66, v70
	v_addc_co_u32_e32 v71, vcc, v71, v1, vcc
	global_store_dwordx4 v[14:15], v[6:9], off
	global_store_dwordx4 v[14:15], v[10:13], off offset:16
	global_store_dwordx4 v[14:15], v[84:87], off offset:32
	v_lshlrev_b64 v[6:7], 2, v[70:71]
	v_cmp_le_i64_e32 vcc, s[14:15], v[6:7]
	v_cmp_lt_u64_e64 s[0:1], s[50:51], v[6:7]
	s_or_b64 s[0:1], vcc, s[0:1]
	s_and_b64 s[0:1], exec, s[0:1]
	v_div_fixup_f64 v[4:5], v[4:5], s[48:49], v[82:83]
	s_or_b64 s[12:13], s[0:1], s[12:13]
	global_store_dwordx4 v[14:15], v[2:5], off offset:48
	s_andn2_b64 exec, exec, s[12:13]
	s_cbranch_execz .LBB180_140
.LBB180_5:                              ; =>This Loop Header: Depth=1
                                        ;     Child Loop BB180_16 Depth 2
                                        ;     Child Loop BB180_50 Depth 2
	;; [unrolled: 1-line block ×4, first 2 shown]
	v_lshlrev_b64 v[72:73], 6, v[70:71]
	v_add_co_u32_e32 v14, vcc, s33, v72
	v_addc_co_u32_e32 v15, vcc, v106, v73, vcc
	global_load_dwordx4 v[10:13], v[14:15], off offset:16
	global_load_dwordx4 v[6:9], v[14:15], off
	global_load_dwordx4 v[2:5], v[14:15], off offset:48
	s_nop 0
	global_load_dwordx4 v[14:17], v[14:15], off offset:32
                                        ; implicit-def: $vgpr74_vgpr75
                                        ; implicit-def: $vgpr76_vgpr77
	s_waitcnt vmcnt(2)
	v_cmp_o_f64_e32 vcc, v[6:7], v[8:9]
	s_and_saveexec_b64 s[0:1], vcc
	s_xor_b64 s[52:53], exec, s[0:1]
	s_cbranch_execz .LBB180_33
; %bb.6:                                ;   in Loop: Header=BB180_5 Depth=1
	v_and_b32_e32 v19, 0x7fffffff, v7
	v_and_b32_e32 v1, 0x7fffffff, v9
	v_mov_b32_e32 v80, v8
	v_cmp_lt_f64_e64 s[0:1], |v[6:7]|, |v[8:9]|
	v_cndmask_b32_e64 v79, v1, v19, s[0:1]
	v_cndmask_b32_e64 v78, v80, v6, s[0:1]
	v_cmp_nlt_f64_e32 vcc, s[16:17], v[78:79]
                                        ; implicit-def: $vgpr74_vgpr75
                                        ; implicit-def: $vgpr76_vgpr77
	s_and_saveexec_b64 s[2:3], vcc
	s_xor_b64 s[6:7], exec, s[2:3]
	s_cbranch_execz .LBB180_30
; %bb.7:                                ;   in Loop: Header=BB180_5 Depth=1
	v_cndmask_b32_e64 v83, v19, v1, s[0:1]
	v_cndmask_b32_e64 v82, v6, v80, s[0:1]
	v_cmp_neq_f64_e32 vcc, 1.0, v[82:83]
                                        ; implicit-def: $vgpr74_vgpr75
                                        ; implicit-def: $vgpr76_vgpr77
	s_and_saveexec_b64 s[2:3], vcc
	s_xor_b64 s[54:55], exec, s[2:3]
	s_cbranch_execz .LBB180_23
; %bb.8:                                ;   in Loop: Header=BB180_5 Depth=1
	v_max_f64 v[74:75], v[78:79], v[78:79]
	v_max_f64 v[76:77], v[82:83], v[82:83]
	v_min_f64 v[80:81], v[76:77], v[74:75]
	v_max_f64 v[74:75], v[76:77], v[74:75]
	v_cmp_ngt_f64_e32 vcc, s[18:19], v[80:81]
	v_cmp_nlt_f64_e64 s[2:3], s[20:21], v[74:75]
	s_and_b64 s[2:3], s[2:3], vcc
                                        ; implicit-def: $vgpr74_vgpr75
                                        ; implicit-def: $vgpr76_vgpr77
	s_and_saveexec_b64 s[56:57], s[2:3]
	s_xor_b64 s[56:57], exec, s[56:57]
	s_cbranch_execz .LBB180_20
; %bb.9:                                ;   in Loop: Header=BB180_5 Depth=1
	v_cmp_le_f64_e32 vcc, 1.0, v[82:83]
                                        ; implicit-def: $vgpr74_vgpr75
                                        ; implicit-def: $vgpr76_vgpr77
	s_and_saveexec_b64 s[2:3], vcc
	s_xor_b64 s[2:3], exec, s[2:3]
	s_cbranch_execz .LBB180_11
; %bb.10:                               ;   in Loop: Header=BB180_5 Depth=1
	v_add_f64 v[74:75], v[82:83], -1.0
	v_add_f64 v[76:77], v[82:83], 1.0
	v_mul_f64 v[76:77], v[74:75], v[76:77]
	v_fmac_f64_e32 v[76:77], v[78:79], v[78:79]
	v_add_f64 v[74:75], v[76:77], 1.0
	v_add_f64 v[78:79], v[74:75], -1.0
	v_add_f64 v[80:81], v[78:79], -v[74:75]
	v_add_f64 v[80:81], v[80:81], 1.0
	v_add_f64 v[78:79], v[76:77], -v[78:79]
	v_add_f64 v[78:79], v[78:79], v[80:81]
	v_frexp_mant_f64_e32 v[80:81], v[74:75]
	v_frexp_exp_i32_f64_e32 v1, v[74:75]
	v_cmp_gt_f64_e32 vcc, s[22:23], v[80:81]
	v_subbrev_co_u32_e32 v1, vcc, 0, v1, vcc
	v_sub_u32_e32 v19, 0, v1
	v_ldexp_f64 v[74:75], v[74:75], v19
	v_add_f64 v[80:81], v[74:75], -1.0
	v_add_f64 v[86:87], v[74:75], 1.0
	v_add_f64 v[82:83], v[80:81], 1.0
	v_add_f64 v[88:89], v[86:87], -1.0
	v_ldexp_f64 v[78:79], v[78:79], v19
	v_add_f64 v[82:83], v[74:75], -v[82:83]
	v_add_f64 v[74:75], v[74:75], -v[88:89]
	v_add_f64 v[74:75], v[78:79], v[74:75]
	v_add_f64 v[82:83], v[78:79], v[82:83]
	;; [unrolled: 1-line block ×3, first 2 shown]
	v_rcp_f64_e32 v[88:89], v[78:79]
	v_add_f64 v[84:85], v[80:81], v[82:83]
	v_add_f64 v[80:81], v[84:85], -v[80:81]
	v_add_f64 v[80:81], v[82:83], -v[80:81]
	;; [unrolled: 1-line block ×4, first 2 shown]
	v_fma_f64 v[82:83], -v[78:79], v[88:89], 1.0
	v_fmac_f64_e32 v[88:89], v[82:83], v[88:89]
	v_fma_f64 v[82:83], -v[78:79], v[88:89], 1.0
	v_fmac_f64_e32 v[88:89], v[82:83], v[88:89]
	v_mul_f64 v[82:83], v[84:85], v[88:89]
	v_mul_f64 v[86:87], v[78:79], v[82:83]
	v_fma_f64 v[90:91], v[82:83], v[78:79], -v[86:87]
	v_fmac_f64_e32 v[90:91], v[82:83], v[74:75]
	v_add_f64 v[92:93], v[86:87], v[90:91]
	v_add_f64 v[94:95], v[84:85], -v[92:93]
	v_add_f64 v[84:85], v[84:85], -v[94:95]
	;; [unrolled: 1-line block ×4, first 2 shown]
	v_add_f64 v[80:81], v[80:81], v[84:85]
	v_add_f64 v[84:85], v[86:87], -v[90:91]
	v_add_f64 v[80:81], v[84:85], v[80:81]
	v_add_f64 v[84:85], v[94:95], v[80:81]
	v_add_f64 v[86:87], v[94:95], -v[84:85]
	v_add_f64 v[80:81], v[80:81], v[86:87]
	v_mul_f64 v[86:87], v[88:89], v[84:85]
	v_mul_f64 v[90:91], v[78:79], v[86:87]
	v_fma_f64 v[78:79], v[86:87], v[78:79], -v[90:91]
	v_fmac_f64_e32 v[78:79], v[86:87], v[74:75]
	v_add_f64 v[74:75], v[90:91], v[78:79]
	v_add_f64 v[92:93], v[84:85], -v[74:75]
	v_add_f64 v[84:85], v[84:85], -v[92:93]
	;; [unrolled: 1-line block ×4, first 2 shown]
	v_add_f64 v[74:75], v[80:81], v[74:75]
	v_add_f64 v[78:79], v[90:91], -v[78:79]
	v_add_f64 v[74:75], v[78:79], v[74:75]
	v_add_f64 v[78:79], v[82:83], v[86:87]
	;; [unrolled: 1-line block ×3, first 2 shown]
	v_add_f64 v[80:81], v[78:79], -v[82:83]
	v_mul_f64 v[74:75], v[88:89], v[74:75]
	v_add_f64 v[80:81], v[86:87], -v[80:81]
	v_add_f64 v[74:75], v[80:81], v[74:75]
	v_add_f64 v[80:81], v[78:79], v[74:75]
	v_add_f64 v[78:79], v[80:81], -v[78:79]
	v_add_f64 v[74:75], v[74:75], -v[78:79]
	v_mul_f64 v[78:79], v[80:81], v[80:81]
	v_pk_mov_b32 v[82:83], v[20:21], v[20:21] op_sel:[0,1]
	v_fmac_f64_e32 v[82:83], s[24:25], v[78:79]
	v_pk_mov_b32 v[84:85], v[22:23], v[22:23] op_sel:[0,1]
	v_fmac_f64_e32 v[84:85], v[78:79], v[82:83]
	;; [unrolled: 2-line block ×6, first 2 shown]
	v_cvt_f64_i32_e32 v[82:83], v1
	v_mul_f64 v[86:87], v[82:83], s[26:27]
	v_fma_f64 v[88:89], v[82:83], s[26:27], -v[86:87]
	v_fmac_f64_e32 v[88:89], s[28:29], v[82:83]
	v_add_f64 v[82:83], v[86:87], v[88:89]
	v_add_f64 v[86:87], v[82:83], -v[86:87]
	v_mul_f64 v[78:79], v[80:81], v[78:79]
	v_add_f64 v[86:87], v[88:89], -v[86:87]
	v_ldexp_f64 v[88:89], v[80:81], 1
	v_mul_f64 v[78:79], v[78:79], v[84:85]
	v_add_f64 v[80:81], v[88:89], v[78:79]
	v_add_f64 v[84:85], v[80:81], -v[88:89]
	v_ldexp_f64 v[74:75], v[74:75], 1
	v_add_f64 v[78:79], v[78:79], -v[84:85]
	v_add_f64 v[74:75], v[74:75], v[78:79]
	v_add_f64 v[78:79], v[80:81], v[74:75]
	v_add_f64 v[80:81], v[78:79], -v[80:81]
	v_add_f64 v[74:75], v[74:75], -v[80:81]
	v_add_f64 v[80:81], v[82:83], v[78:79]
	v_add_f64 v[84:85], v[80:81], -v[82:83]
	v_add_f64 v[88:89], v[80:81], -v[84:85]
	;; [unrolled: 1-line block ×4, first 2 shown]
	v_add_f64 v[78:79], v[78:79], v[82:83]
	v_add_f64 v[82:83], v[86:87], v[74:75]
	v_add_f64 v[84:85], v[82:83], -v[86:87]
	v_add_f64 v[78:79], v[82:83], v[78:79]
	v_add_f64 v[88:89], v[82:83], -v[84:85]
	;; [unrolled: 2-line block ×3, first 2 shown]
	v_add_f64 v[74:75], v[74:75], -v[84:85]
	v_add_f64 v[80:81], v[82:83], -v[80:81]
	v_add_f64 v[74:75], v[74:75], v[86:87]
	v_add_f64 v[78:79], v[78:79], -v[80:81]
	v_add_f64 v[74:75], v[74:75], v[78:79]
	v_max_f64 v[78:79], |v[8:9]|, |v[8:9]|
	v_max_f64 v[80:81], |v[6:7]|, |v[6:7]|
	v_add_f64 v[74:75], v[82:83], v[74:75]
	v_max_f64 v[82:83], v[80:81], v[78:79]
	v_min_f64 v[78:79], v[80:81], v[78:79]
	v_div_scale_f64 v[80:81], s[58:59], v[82:83], v[82:83], v[78:79]
	v_cmp_eq_f64_e32 vcc, s[30:31], v[76:77]
	v_rcp_f64_e32 v[84:85], v[80:81]
	v_cndmask_b32_e32 v75, v75, v77, vcc
	v_cndmask_b32_e32 v74, v74, v76, vcc
	v_mul_f64 v[74:75], v[74:75], 0.5
	v_cmp_ngt_f64_e32 vcc, -1.0, v[76:77]
	v_cndmask_b32_e32 v1, v107, v75, vcc
	v_cmp_nge_f64_e32 vcc, -1.0, v[76:77]
	v_cndmask_b32_e32 v74, 0, v74, vcc
	v_cmp_neq_f64_e32 vcc, -1.0, v[76:77]
	v_fma_f64 v[76:77], -v[80:81], v[84:85], 1.0
	v_fmac_f64_e32 v[84:85], v[84:85], v[76:77]
	v_fma_f64 v[76:77], -v[80:81], v[84:85], 1.0
	v_cndmask_b32_e32 v75, v108, v1, vcc
	v_fmac_f64_e32 v[84:85], v[84:85], v[76:77]
	v_div_scale_f64 v[76:77], vcc, v[78:79], v[82:83], v[78:79]
	v_mul_f64 v[86:87], v[76:77], v[84:85]
	v_fma_f64 v[76:77], -v[80:81], v[86:87], v[76:77]
	v_pk_mov_b32 v[80:81], v[32:33], v[32:33] op_sel:[0,1]
	s_nop 0
	v_div_fmas_f64 v[76:77], v[76:77], v[84:85], v[86:87]
	v_div_fixup_f64 v[76:77], v[76:77], v[82:83], v[78:79]
	v_mul_f64 v[78:79], v[76:77], v[76:77]
	v_fmac_f64_e32 v[80:81], s[34:35], v[78:79]
	v_pk_mov_b32 v[82:83], v[34:35], v[34:35] op_sel:[0,1]
	v_fmac_f64_e32 v[82:83], v[78:79], v[80:81]
	v_pk_mov_b32 v[80:81], v[36:37], v[36:37] op_sel:[0,1]
	;; [unrolled: 2-line block ×18, first 2 shown]
	v_fmac_f64_e32 v[80:81], v[78:79], v[82:83]
	v_cmp_gt_i32_e32 vcc, 0, v7
	v_mul_f64 v[78:79], v[78:79], v[80:81]
	v_cmp_class_f64_e64 s[60:61], v[6:7], s67
	v_cndmask_b32_e32 v6, v111, v112, vcc
	v_fmac_f64_e32 v[76:77], v[76:77], v[78:79]
	v_bfi_b32 v19, s8, v6, v9
	v_ashrrev_i32_e32 v6, 31, v7
	v_and_b32_e32 v78, 0x400921fb, v6
	v_and_b32_e32 v79, 0x54442d18, v6
	v_add_f64 v[6:7], -v[76:77], s[36:37]
	v_cndmask_b32_e64 v7, v77, v7, s[0:1]
	v_cndmask_b32_e64 v6, v76, v6, s[0:1]
	s_mov_b32 s38, s36
	v_add_f64 v[76:77], -v[6:7], s[38:39]
	v_cmp_class_f64_e64 s[58:59], v[8:9], s67
	v_cndmask_b32_e32 v1, v109, v110, vcc
	v_cndmask_b32_e32 v7, v7, v77, vcc
	v_cndmask_b32_e32 v6, v6, v76, vcc
	v_cmp_eq_f64_e32 vcc, 0, v[8:9]
	v_cndmask_b32_e32 v6, v6, v79, vcc
	v_cndmask_b32_e32 v7, v7, v78, vcc
	s_and_b64 vcc, s[60:61], s[58:59]
	v_cndmask_b32_e32 v77, v7, v19, vcc
	v_cndmask_b32_e32 v76, v6, v1, vcc
                                        ; implicit-def: $vgpr78_vgpr79
                                        ; implicit-def: $vgpr82_vgpr83
.LBB180_11:                             ;   in Loop: Header=BB180_5 Depth=1
	s_andn2_saveexec_b64 s[58:59], s[2:3]
	s_cbranch_execz .LBB180_19
; %bb.12:                               ;   in Loop: Header=BB180_5 Depth=1
	v_mul_f64 v[80:81], v[78:79], v[78:79]
	v_fmac_f64_e32 v[80:81], v[82:83], v[82:83]
	v_cmp_ge_f64_e32 vcc, s[40:41], v[80:81]
                                        ; implicit-def: $vgpr74_vgpr75
                                        ; implicit-def: $vgpr76_vgpr77
	s_and_saveexec_b64 s[2:3], vcc
	s_xor_b64 s[2:3], exec, s[2:3]
	s_cbranch_execz .LBB180_14
; %bb.13:                               ;   in Loop: Header=BB180_5 Depth=1
	v_frexp_mant_f64_e32 v[74:75], v[80:81]
	v_cmp_gt_f64_e32 vcc, s[22:23], v[74:75]
	v_cndmask_b32_e64 v19, v113, 2.0, vcc
	v_mul_f64 v[74:75], v[74:75], v[18:19]
	v_add_f64 v[76:77], v[74:75], 1.0
	v_rcp_f64_e32 v[78:79], v[76:77]
	v_add_f64 v[84:85], v[76:77], -1.0
	v_add_f64 v[82:83], v[74:75], -1.0
	v_add_f64 v[74:75], v[74:75], -v[84:85]
	v_fma_f64 v[84:85], -v[76:77], v[78:79], 1.0
	v_fmac_f64_e32 v[78:79], v[84:85], v[78:79]
	v_fma_f64 v[84:85], -v[76:77], v[78:79], 1.0
	v_fmac_f64_e32 v[78:79], v[84:85], v[78:79]
	v_mul_f64 v[84:85], v[82:83], v[78:79]
	v_mul_f64 v[86:87], v[76:77], v[84:85]
	v_fma_f64 v[76:77], v[84:85], v[76:77], -v[86:87]
	v_fmac_f64_e32 v[76:77], v[84:85], v[74:75]
	v_add_f64 v[74:75], v[86:87], v[76:77]
	v_add_f64 v[88:89], v[82:83], -v[74:75]
	v_add_f64 v[86:87], v[74:75], -v[86:87]
	;; [unrolled: 1-line block ×5, first 2 shown]
	v_add_f64 v[74:75], v[76:77], v[74:75]
	v_add_f64 v[74:75], v[88:89], v[74:75]
	v_mul_f64 v[74:75], v[78:79], v[74:75]
	v_add_f64 v[76:77], v[84:85], v[74:75]
	v_add_f64 v[78:79], v[76:77], -v[84:85]
	v_add_f64 v[74:75], v[74:75], -v[78:79]
	v_mul_f64 v[78:79], v[76:77], v[76:77]
	v_pk_mov_b32 v[82:83], v[20:21], v[20:21] op_sel:[0,1]
	v_fmac_f64_e32 v[82:83], s[24:25], v[78:79]
	v_pk_mov_b32 v[84:85], v[22:23], v[22:23] op_sel:[0,1]
	v_fmac_f64_e32 v[84:85], v[78:79], v[82:83]
	;; [unrolled: 2-line block ×6, first 2 shown]
	v_ldexp_f64 v[82:83], v[76:77], 1
	v_mul_f64 v[76:77], v[76:77], v[78:79]
	v_mul_f64 v[76:77], v[76:77], v[84:85]
	v_add_f64 v[78:79], v[82:83], v[76:77]
	v_add_f64 v[82:83], v[78:79], -v[82:83]
	v_ldexp_f64 v[74:75], v[74:75], 1
	v_add_f64 v[76:77], v[76:77], -v[82:83]
	v_add_f64 v[74:75], v[74:75], v[76:77]
	v_frexp_exp_i32_f64_e32 v1, v[80:81]
	v_add_f64 v[76:77], v[78:79], v[74:75]
	v_subbrev_co_u32_e32 v1, vcc, 0, v1, vcc
	v_add_f64 v[78:79], v[76:77], -v[78:79]
	v_add_f64 v[74:75], v[74:75], -v[78:79]
	v_cvt_f64_i32_e32 v[78:79], v1
	v_mul_f64 v[82:83], v[78:79], s[26:27]
	v_fma_f64 v[84:85], v[78:79], s[26:27], -v[82:83]
	v_fmac_f64_e32 v[84:85], s[28:29], v[78:79]
	v_add_f64 v[78:79], v[82:83], v[84:85]
	v_add_f64 v[82:83], v[78:79], -v[82:83]
	v_add_f64 v[82:83], v[84:85], -v[82:83]
	v_add_f64 v[84:85], v[78:79], v[76:77]
	v_add_f64 v[86:87], v[84:85], -v[78:79]
	v_add_f64 v[88:89], v[84:85], -v[86:87]
	;; [unrolled: 1-line block ×4, first 2 shown]
	v_add_f64 v[76:77], v[76:77], v[78:79]
	v_add_f64 v[78:79], v[82:83], v[74:75]
	v_add_f64 v[86:87], v[78:79], -v[82:83]
	v_add_f64 v[88:89], v[78:79], -v[86:87]
	v_add_f64 v[76:77], v[78:79], v[76:77]
	v_add_f64 v[82:83], v[82:83], -v[88:89]
	v_add_f64 v[74:75], v[74:75], -v[86:87]
	v_add_f64 v[78:79], v[84:85], v[76:77]
	v_add_f64 v[74:75], v[74:75], v[82:83]
	v_add_f64 v[82:83], v[78:79], -v[84:85]
	v_add_f64 v[76:77], v[76:77], -v[82:83]
	v_add_f64 v[74:75], v[74:75], v[76:77]
	v_add_f64 v[74:75], v[78:79], v[74:75]
	v_max_f64 v[76:77], |v[8:9]|, |v[8:9]|
	v_max_f64 v[78:79], |v[6:7]|, |v[6:7]|
	v_max_f64 v[82:83], v[78:79], v[76:77]
	v_min_f64 v[76:77], v[78:79], v[76:77]
	v_div_scale_f64 v[78:79], s[60:61], v[82:83], v[82:83], v[76:77]
	v_rcp_f64_e32 v[84:85], v[78:79]
	v_cmp_neq_f64_e32 vcc, 0, v[80:81]
	v_mul_f64 v[74:75], v[74:75], 0.5
	v_cndmask_b32_e32 v75, v108, v75, vcc
	v_fma_f64 v[80:81], -v[78:79], v[84:85], 1.0
	v_fmac_f64_e32 v[84:85], v[84:85], v[80:81]
	v_fma_f64 v[80:81], -v[78:79], v[84:85], 1.0
	v_cndmask_b32_e32 v74, 0, v74, vcc
	v_fmac_f64_e32 v[84:85], v[84:85], v[80:81]
	v_div_scale_f64 v[80:81], vcc, v[76:77], v[82:83], v[76:77]
	v_mul_f64 v[86:87], v[80:81], v[84:85]
	v_fma_f64 v[78:79], -v[78:79], v[86:87], v[80:81]
	v_pk_mov_b32 v[80:81], v[32:33], v[32:33] op_sel:[0,1]
	s_nop 0
	v_div_fmas_f64 v[78:79], v[78:79], v[84:85], v[86:87]
	v_div_fixup_f64 v[76:77], v[78:79], v[82:83], v[76:77]
	v_mul_f64 v[78:79], v[76:77], v[76:77]
	v_fmac_f64_e32 v[80:81], s[34:35], v[78:79]
	v_pk_mov_b32 v[82:83], v[34:35], v[34:35] op_sel:[0,1]
	v_fmac_f64_e32 v[82:83], v[78:79], v[80:81]
	v_pk_mov_b32 v[80:81], v[36:37], v[36:37] op_sel:[0,1]
	;; [unrolled: 2-line block ×18, first 2 shown]
	v_fmac_f64_e32 v[80:81], v[78:79], v[82:83]
	v_cmp_gt_i32_e32 vcc, 0, v7
	v_mul_f64 v[78:79], v[78:79], v[80:81]
	v_cmp_class_f64_e64 s[62:63], v[6:7], s67
	v_cndmask_b32_e32 v6, v111, v112, vcc
	v_fmac_f64_e32 v[76:77], v[76:77], v[78:79]
	v_bfi_b32 v19, s8, v6, v9
	v_ashrrev_i32_e32 v6, 31, v7
	v_and_b32_e32 v78, 0x400921fb, v6
	v_and_b32_e32 v79, 0x54442d18, v6
	v_add_f64 v[6:7], -v[76:77], s[36:37]
	v_cndmask_b32_e64 v7, v77, v7, s[0:1]
	v_cndmask_b32_e64 v6, v76, v6, s[0:1]
	s_mov_b32 s38, s36
	v_add_f64 v[76:77], -v[6:7], s[38:39]
	v_cmp_class_f64_e64 s[60:61], v[8:9], s67
	v_cndmask_b32_e32 v1, v109, v110, vcc
	v_cndmask_b32_e32 v7, v7, v77, vcc
	v_cndmask_b32_e32 v6, v6, v76, vcc
	v_cmp_eq_f64_e32 vcc, 0, v[8:9]
	v_cndmask_b32_e32 v6, v6, v79, vcc
	v_cndmask_b32_e32 v7, v7, v78, vcc
	s_and_b64 vcc, s[62:63], s[60:61]
	v_cndmask_b32_e32 v77, v7, v19, vcc
	v_cndmask_b32_e32 v76, v6, v1, vcc
                                        ; implicit-def: $vgpr82_vgpr83
                                        ; implicit-def: $vgpr78_vgpr79
.LBB180_14:                             ;   in Loop: Header=BB180_5 Depth=1
	s_andn2_saveexec_b64 s[60:61], s[2:3]
	s_cbranch_execz .LBB180_18
; %bb.15:                               ;   in Loop: Header=BB180_5 Depth=1
	v_and_b32_e32 v19, 0x7ffffff8, v83
	v_add_f64 v[74:75], v[82:83], -v[18:19]
	v_and_b32_e32 v91, -8, v75
	v_mov_b32_e32 v90, v18
	v_and_b32_e32 v81, 0x7ffffff8, v79
	v_mov_b32_e32 v80, v18
	v_add_f64 v[94:95], v[74:75], -v[90:91]
	v_add_f64 v[74:75], v[78:79], -v[80:81]
	v_and_b32_e32 v93, -8, v75
	v_mov_b32_e32 v92, v18
	v_add_f64 v[84:85], v[18:19], v[18:19]
	v_add_f64 v[98:99], v[80:81], v[80:81]
	v_add_f64 v[96:97], v[74:75], -v[92:93]
	v_mul_f64 v[76:77], v[80:81], v[80:81]
	v_mul_f64 v[82:83], v[84:85], v[90:91]
	;; [unrolled: 1-line block ×5, first 2 shown]
	v_add_f64 v[90:91], v[90:91], v[90:91]
	v_add_f64 v[92:93], v[92:93], v[92:93]
	v_mul_f64 v[74:75], v[18:19], v[18:19]
	v_mul_f64 v[86:87], v[84:85], v[94:95]
	;; [unrolled: 1-line block ×7, first 2 shown]
	s_mov_b64 s[62:63], 0
.LBB180_16:                             ;   Parent Loop BB180_5 Depth=1
                                        ; =>  This Inner Loop Header: Depth=2
	v_cmp_nlt_f64_e32 vcc, v[74:75], v[76:77]
	v_cndmask_b32_e32 v99, v75, v77, vcc
	v_cndmask_b32_e32 v98, v74, v76, vcc
	v_cmp_nlt_f64_e64 s[2:3], v[98:99], v[82:83]
	v_cndmask_b32_e64 v101, v99, v83, s[2:3]
	v_cndmask_b32_e64 v100, v98, v82, s[2:3]
	v_cndmask_b32_e32 v75, v77, v75, vcc
	v_cndmask_b32_e32 v74, v76, v74, vcc
	s_and_b64 s[64:65], vcc, s[2:3]
	v_cmp_nlt_f64_e32 vcc, v[100:101], v[80:81]
	v_cndmask_b32_e64 v77, v83, v99, s[2:3]
	v_cndmask_b32_e64 v76, v82, v98, s[2:3]
	v_cndmask_b32_e32 v99, v101, v81, vcc
	v_cndmask_b32_e32 v98, v100, v80, vcc
	v_cmp_nlt_f64_e64 s[2:3], v[98:99], v[88:89]
	v_cndmask_b32_e32 v83, v81, v101, vcc
	v_cndmask_b32_e32 v82, v80, v100, vcc
	v_cndmask_b32_e64 v101, v99, v89, s[2:3]
	v_cndmask_b32_e64 v100, v98, v88, s[2:3]
	s_and_b64 s[72:73], vcc, s[2:3]
	v_cmp_nlt_f64_e32 vcc, v[100:101], v[78:79]
	v_cndmask_b32_e64 v81, v89, v99, s[2:3]
	v_cndmask_b32_e64 v80, v88, v98, s[2:3]
	v_cndmask_b32_e32 v99, v101, v79, vcc
	v_cndmask_b32_e32 v98, v100, v78, vcc
	v_cmp_nlt_f64_e64 s[2:3], v[98:99], v[86:87]
	v_cndmask_b32_e32 v89, v79, v101, vcc
	v_cndmask_b32_e32 v88, v78, v100, vcc
	v_cndmask_b32_e64 v101, v99, v87, s[2:3]
	v_cndmask_b32_e64 v100, v98, v86, s[2:3]
	v_cndmask_b32_e64 v79, v87, v99, s[2:3]
	v_cndmask_b32_e64 v78, v86, v98, s[2:3]
	s_and_b64 s[2:3], vcc, s[2:3]
	v_cmp_nlt_f64_e32 vcc, v[100:101], v[84:85]
	v_cndmask_b32_e32 v99, v101, v85, vcc
	v_cndmask_b32_e32 v98, v100, v84, vcc
	v_cndmask_b32_e32 v87, v85, v101, vcc
	v_cndmask_b32_e32 v86, v84, v100, vcc
	s_and_b64 s[2:3], s[2:3], vcc
	v_cmp_nlt_f64_e32 vcc, v[98:99], v[90:91]
	v_cndmask_b32_e32 v101, v99, v91, vcc
	v_cndmask_b32_e32 v100, v98, v90, vcc
	v_cndmask_b32_e32 v85, v91, v99, vcc
	v_cndmask_b32_e32 v84, v90, v98, vcc
	s_and_b64 s[2:3], s[2:3], vcc
	;; [unrolled: 6-line block ×4, first 2 shown]
	v_cmp_nlt_f64_e32 vcc, v[100:101], v[96:97]
	s_and_b64 s[2:3], s[2:3], vcc
	s_and_b64 s[2:3], s[2:3], s[72:73]
	s_and_b64 s[2:3], s[2:3], s[64:65]
	v_cndmask_b32_e32 v99, v101, v97, vcc
	v_cndmask_b32_e32 v98, v100, v96, vcc
	s_and_b64 s[2:3], exec, s[2:3]
	v_cndmask_b32_e32 v95, v97, v101, vcc
	v_cndmask_b32_e32 v94, v96, v100, vcc
	s_or_b64 s[62:63], s[2:3], s[62:63]
	v_pk_mov_b32 v[96:97], v[98:99], v[98:99] op_sel:[0,1]
	s_andn2_b64 exec, exec, s[62:63]
	s_cbranch_execnz .LBB180_16
; %bb.17:                               ;   in Loop: Header=BB180_5 Depth=1
	s_or_b64 exec, exec, s[62:63]
	v_add_f64 v[74:75], v[74:75], -1.0
	v_add_f64 v[74:75], v[74:75], v[76:77]
	v_add_f64 v[74:75], v[74:75], v[82:83]
	;; [unrolled: 1-line block ×11, first 2 shown]
	v_add_f64 v[74:75], v[76:77], 1.0
	v_add_f64 v[78:79], v[74:75], -1.0
	v_add_f64 v[80:81], v[78:79], -v[74:75]
	v_add_f64 v[80:81], v[80:81], 1.0
	v_add_f64 v[78:79], v[76:77], -v[78:79]
	v_add_f64 v[78:79], v[78:79], v[80:81]
	v_frexp_mant_f64_e32 v[80:81], v[74:75]
	v_frexp_exp_i32_f64_e32 v1, v[74:75]
	v_cmp_gt_f64_e32 vcc, s[22:23], v[80:81]
	v_subbrev_co_u32_e32 v1, vcc, 0, v1, vcc
	v_sub_u32_e32 v19, 0, v1
	v_ldexp_f64 v[74:75], v[74:75], v19
	v_add_f64 v[80:81], v[74:75], -1.0
	v_add_f64 v[86:87], v[74:75], 1.0
	v_add_f64 v[82:83], v[80:81], 1.0
	v_add_f64 v[88:89], v[86:87], -1.0
	v_ldexp_f64 v[78:79], v[78:79], v19
	v_add_f64 v[82:83], v[74:75], -v[82:83]
	v_add_f64 v[74:75], v[74:75], -v[88:89]
	v_add_f64 v[74:75], v[78:79], v[74:75]
	v_add_f64 v[82:83], v[78:79], v[82:83]
	;; [unrolled: 1-line block ×3, first 2 shown]
	v_rcp_f64_e32 v[88:89], v[78:79]
	v_add_f64 v[84:85], v[80:81], v[82:83]
	v_add_f64 v[80:81], v[84:85], -v[80:81]
	v_add_f64 v[80:81], v[82:83], -v[80:81]
	;; [unrolled: 1-line block ×4, first 2 shown]
	v_fma_f64 v[82:83], -v[78:79], v[88:89], 1.0
	v_fmac_f64_e32 v[88:89], v[82:83], v[88:89]
	v_fma_f64 v[82:83], -v[78:79], v[88:89], 1.0
	v_fmac_f64_e32 v[88:89], v[82:83], v[88:89]
	v_mul_f64 v[82:83], v[84:85], v[88:89]
	v_mul_f64 v[86:87], v[78:79], v[82:83]
	v_fma_f64 v[90:91], v[82:83], v[78:79], -v[86:87]
	v_fmac_f64_e32 v[90:91], v[82:83], v[74:75]
	v_add_f64 v[92:93], v[86:87], v[90:91]
	v_add_f64 v[94:95], v[84:85], -v[92:93]
	v_add_f64 v[84:85], v[84:85], -v[94:95]
	;; [unrolled: 1-line block ×4, first 2 shown]
	v_add_f64 v[80:81], v[80:81], v[84:85]
	v_add_f64 v[84:85], v[86:87], -v[90:91]
	v_add_f64 v[80:81], v[84:85], v[80:81]
	v_add_f64 v[84:85], v[94:95], v[80:81]
	v_add_f64 v[86:87], v[94:95], -v[84:85]
	v_add_f64 v[80:81], v[80:81], v[86:87]
	v_mul_f64 v[86:87], v[88:89], v[84:85]
	v_mul_f64 v[90:91], v[78:79], v[86:87]
	v_fma_f64 v[78:79], v[86:87], v[78:79], -v[90:91]
	v_fmac_f64_e32 v[78:79], v[86:87], v[74:75]
	v_add_f64 v[74:75], v[90:91], v[78:79]
	v_add_f64 v[92:93], v[84:85], -v[74:75]
	v_add_f64 v[84:85], v[84:85], -v[92:93]
	;; [unrolled: 1-line block ×4, first 2 shown]
	v_add_f64 v[74:75], v[80:81], v[74:75]
	v_add_f64 v[78:79], v[90:91], -v[78:79]
	v_add_f64 v[74:75], v[78:79], v[74:75]
	v_add_f64 v[78:79], v[82:83], v[86:87]
	;; [unrolled: 1-line block ×3, first 2 shown]
	v_add_f64 v[80:81], v[78:79], -v[82:83]
	v_mul_f64 v[74:75], v[88:89], v[74:75]
	v_add_f64 v[80:81], v[86:87], -v[80:81]
	v_add_f64 v[74:75], v[80:81], v[74:75]
	v_add_f64 v[80:81], v[78:79], v[74:75]
	v_add_f64 v[78:79], v[80:81], -v[78:79]
	v_add_f64 v[74:75], v[74:75], -v[78:79]
	v_mul_f64 v[78:79], v[80:81], v[80:81]
	v_pk_mov_b32 v[82:83], v[20:21], v[20:21] op_sel:[0,1]
	v_fmac_f64_e32 v[82:83], s[24:25], v[78:79]
	v_pk_mov_b32 v[84:85], v[22:23], v[22:23] op_sel:[0,1]
	v_fmac_f64_e32 v[84:85], v[78:79], v[82:83]
	;; [unrolled: 2-line block ×6, first 2 shown]
	v_cvt_f64_i32_e32 v[82:83], v1
	v_mul_f64 v[86:87], v[82:83], s[26:27]
	v_fma_f64 v[88:89], v[82:83], s[26:27], -v[86:87]
	v_fmac_f64_e32 v[88:89], s[28:29], v[82:83]
	v_add_f64 v[82:83], v[86:87], v[88:89]
	v_add_f64 v[86:87], v[82:83], -v[86:87]
	v_mul_f64 v[78:79], v[80:81], v[78:79]
	v_add_f64 v[86:87], v[88:89], -v[86:87]
	v_ldexp_f64 v[88:89], v[80:81], 1
	v_mul_f64 v[78:79], v[78:79], v[84:85]
	v_add_f64 v[80:81], v[88:89], v[78:79]
	v_add_f64 v[84:85], v[80:81], -v[88:89]
	v_ldexp_f64 v[74:75], v[74:75], 1
	v_add_f64 v[78:79], v[78:79], -v[84:85]
	v_add_f64 v[74:75], v[74:75], v[78:79]
	v_add_f64 v[78:79], v[80:81], v[74:75]
	v_add_f64 v[80:81], v[78:79], -v[80:81]
	v_add_f64 v[74:75], v[74:75], -v[80:81]
	v_add_f64 v[80:81], v[82:83], v[78:79]
	v_add_f64 v[84:85], v[80:81], -v[82:83]
	v_add_f64 v[88:89], v[80:81], -v[84:85]
	;; [unrolled: 1-line block ×4, first 2 shown]
	v_add_f64 v[78:79], v[78:79], v[82:83]
	v_add_f64 v[82:83], v[86:87], v[74:75]
	v_add_f64 v[84:85], v[82:83], -v[86:87]
	v_add_f64 v[78:79], v[82:83], v[78:79]
	v_add_f64 v[88:89], v[82:83], -v[84:85]
	;; [unrolled: 2-line block ×3, first 2 shown]
	v_add_f64 v[74:75], v[74:75], -v[84:85]
	v_add_f64 v[80:81], v[82:83], -v[80:81]
	v_add_f64 v[74:75], v[74:75], v[86:87]
	v_add_f64 v[78:79], v[78:79], -v[80:81]
	v_add_f64 v[74:75], v[74:75], v[78:79]
	v_max_f64 v[78:79], |v[8:9]|, |v[8:9]|
	v_max_f64 v[80:81], |v[6:7]|, |v[6:7]|
	v_add_f64 v[74:75], v[82:83], v[74:75]
	v_max_f64 v[82:83], v[80:81], v[78:79]
	v_min_f64 v[78:79], v[80:81], v[78:79]
	v_div_scale_f64 v[80:81], s[2:3], v[82:83], v[82:83], v[78:79]
	v_cmp_eq_f64_e32 vcc, s[30:31], v[76:77]
	v_rcp_f64_e32 v[84:85], v[80:81]
	v_cndmask_b32_e32 v75, v75, v77, vcc
	v_cndmask_b32_e32 v74, v74, v76, vcc
	v_mul_f64 v[74:75], v[74:75], 0.5
	v_cmp_ngt_f64_e32 vcc, -1.0, v[76:77]
	v_cndmask_b32_e32 v1, v107, v75, vcc
	v_cmp_nge_f64_e32 vcc, -1.0, v[76:77]
	v_cndmask_b32_e32 v74, 0, v74, vcc
	v_cmp_neq_f64_e32 vcc, -1.0, v[76:77]
	v_fma_f64 v[76:77], -v[80:81], v[84:85], 1.0
	v_fmac_f64_e32 v[84:85], v[84:85], v[76:77]
	v_fma_f64 v[76:77], -v[80:81], v[84:85], 1.0
	v_cndmask_b32_e32 v75, v108, v1, vcc
	v_fmac_f64_e32 v[84:85], v[84:85], v[76:77]
	v_div_scale_f64 v[76:77], vcc, v[78:79], v[82:83], v[78:79]
	v_mul_f64 v[86:87], v[76:77], v[84:85]
	v_fma_f64 v[76:77], -v[80:81], v[86:87], v[76:77]
	v_pk_mov_b32 v[80:81], v[32:33], v[32:33] op_sel:[0,1]
	s_nop 0
	v_div_fmas_f64 v[76:77], v[76:77], v[84:85], v[86:87]
	v_div_fixup_f64 v[76:77], v[76:77], v[82:83], v[78:79]
	v_mul_f64 v[78:79], v[76:77], v[76:77]
	v_fmac_f64_e32 v[80:81], s[34:35], v[78:79]
	v_pk_mov_b32 v[82:83], v[34:35], v[34:35] op_sel:[0,1]
	v_fmac_f64_e32 v[82:83], v[78:79], v[80:81]
	v_pk_mov_b32 v[80:81], v[36:37], v[36:37] op_sel:[0,1]
	;; [unrolled: 2-line block ×18, first 2 shown]
	v_fmac_f64_e32 v[80:81], v[78:79], v[82:83]
	v_cmp_gt_i32_e32 vcc, 0, v7
	v_mul_f64 v[78:79], v[78:79], v[80:81]
	v_cmp_class_f64_e64 s[62:63], v[6:7], s67
	v_cndmask_b32_e32 v6, v111, v112, vcc
	v_fmac_f64_e32 v[76:77], v[76:77], v[78:79]
	v_bfi_b32 v19, s8, v6, v9
	v_ashrrev_i32_e32 v6, 31, v7
	v_and_b32_e32 v78, 0x400921fb, v6
	v_and_b32_e32 v79, 0x54442d18, v6
	v_add_f64 v[6:7], -v[76:77], s[36:37]
	v_cndmask_b32_e64 v7, v77, v7, s[0:1]
	v_cndmask_b32_e64 v6, v76, v6, s[0:1]
	s_mov_b32 s38, s36
	v_add_f64 v[76:77], -v[6:7], s[38:39]
	v_cmp_class_f64_e64 s[2:3], v[8:9], s67
	v_cndmask_b32_e32 v1, v109, v110, vcc
	v_cndmask_b32_e32 v7, v7, v77, vcc
	;; [unrolled: 1-line block ×3, first 2 shown]
	v_cmp_eq_f64_e32 vcc, 0, v[8:9]
	v_cndmask_b32_e32 v6, v6, v79, vcc
	v_cndmask_b32_e32 v7, v7, v78, vcc
	s_and_b64 vcc, s[62:63], s[2:3]
	v_cndmask_b32_e32 v77, v7, v19, vcc
	v_cndmask_b32_e32 v76, v6, v1, vcc
.LBB180_18:                             ;   in Loop: Header=BB180_5 Depth=1
	s_or_b64 exec, exec, s[60:61]
.LBB180_19:                             ;   in Loop: Header=BB180_5 Depth=1
	s_or_b64 exec, exec, s[58:59]
.LBB180_20:                             ;   in Loop: Header=BB180_5 Depth=1
	s_andn2_saveexec_b64 s[56:57], s[56:57]
	s_cbranch_execz .LBB180_22
; %bb.21:                               ;   in Loop: Header=BB180_5 Depth=1
	v_max_f64 v[74:75], |v[8:9]|, |v[8:9]|
	v_max_f64 v[76:77], |v[6:7]|, |v[6:7]|
	v_max_f64 v[78:79], v[76:77], v[74:75]
	v_frexp_exp_i32_f64_e32 v1, v[78:79]
	v_sub_u32_e32 v19, 0, v1
	v_ldexp_f64 v[82:83], |v[8:9]|, v19
	v_ldexp_f64 v[80:81], |v[6:7]|, v19
	v_mul_f64 v[82:83], v[82:83], v[82:83]
	v_fmac_f64_e32 v[82:83], v[80:81], v[80:81]
	v_rsq_f64_e32 v[80:81], v[82:83]
	v_cmp_eq_f64_e32 vcc, 0, v[82:83]
	v_cmp_class_f64_e64 s[58:59], v[6:7], s67
	v_cmp_class_f64_e64 s[60:61], v[8:9], s67
	v_mul_f64 v[84:85], v[82:83], v[80:81]
	v_mul_f64 v[80:81], v[80:81], 0.5
	v_fma_f64 v[86:87], -v[80:81], v[84:85], 0.5
	v_fmac_f64_e32 v[84:85], v[84:85], v[86:87]
	v_fmac_f64_e32 v[80:81], v[80:81], v[86:87]
	v_fma_f64 v[86:87], -v[84:85], v[84:85], v[82:83]
	v_fmac_f64_e32 v[84:85], v[86:87], v[80:81]
	v_cndmask_b32_e32 v81, v85, v83, vcc
	v_cndmask_b32_e32 v80, v84, v82, vcc
	v_ldexp_f64 v[80:81], v[80:81], v1
	s_or_b64 vcc, s[58:59], s[60:61]
	v_cndmask_b32_e32 v83, v81, v114, vcc
	v_cndmask_b32_e64 v82, v80, 0, vcc
	v_frexp_mant_f64_e32 v[84:85], v[82:83]
	v_cmp_gt_f64_e64 s[2:3], s[22:23], v[84:85]
	v_cndmask_b32_e64 v19, v113, 2.0, s[2:3]
	v_mul_f64 v[84:85], v[84:85], v[18:19]
	v_add_f64 v[86:87], v[84:85], 1.0
	v_rcp_f64_e32 v[88:89], v[86:87]
	v_add_f64 v[92:93], v[86:87], -1.0
	v_add_f64 v[90:91], v[84:85], -1.0
	v_add_f64 v[84:85], v[84:85], -v[92:93]
	v_fma_f64 v[92:93], -v[86:87], v[88:89], 1.0
	v_fmac_f64_e32 v[88:89], v[92:93], v[88:89]
	v_fma_f64 v[92:93], -v[86:87], v[88:89], 1.0
	v_fmac_f64_e32 v[88:89], v[92:93], v[88:89]
	v_mul_f64 v[92:93], v[90:91], v[88:89]
	v_mul_f64 v[94:95], v[86:87], v[92:93]
	v_fma_f64 v[86:87], v[92:93], v[86:87], -v[94:95]
	v_fmac_f64_e32 v[86:87], v[92:93], v[84:85]
	v_add_f64 v[84:85], v[94:95], v[86:87]
	v_add_f64 v[96:97], v[90:91], -v[84:85]
	v_add_f64 v[94:95], v[84:85], -v[94:95]
	;; [unrolled: 1-line block ×5, first 2 shown]
	v_add_f64 v[84:85], v[86:87], v[84:85]
	v_add_f64 v[84:85], v[96:97], v[84:85]
	v_mul_f64 v[84:85], v[88:89], v[84:85]
	v_add_f64 v[86:87], v[92:93], v[84:85]
	v_add_f64 v[88:89], v[86:87], -v[92:93]
	v_add_f64 v[84:85], v[84:85], -v[88:89]
	v_mul_f64 v[88:89], v[86:87], v[86:87]
	v_pk_mov_b32 v[90:91], v[20:21], v[20:21] op_sel:[0,1]
	v_fmac_f64_e32 v[90:91], s[24:25], v[88:89]
	v_pk_mov_b32 v[92:93], v[22:23], v[22:23] op_sel:[0,1]
	v_fmac_f64_e32 v[92:93], v[88:89], v[90:91]
	;; [unrolled: 2-line block ×6, first 2 shown]
	v_ldexp_f64 v[90:91], v[86:87], 1
	v_mul_f64 v[86:87], v[86:87], v[88:89]
	v_mul_f64 v[86:87], v[86:87], v[92:93]
	v_add_f64 v[88:89], v[90:91], v[86:87]
	v_add_f64 v[90:91], v[88:89], -v[90:91]
	v_ldexp_f64 v[84:85], v[84:85], 1
	v_add_f64 v[86:87], v[86:87], -v[90:91]
	v_add_f64 v[84:85], v[84:85], v[86:87]
	v_frexp_exp_i32_f64_e32 v1, v[82:83]
	v_add_f64 v[86:87], v[88:89], v[84:85]
	v_subbrev_co_u32_e64 v1, s[2:3], 0, v1, s[2:3]
	v_add_f64 v[88:89], v[86:87], -v[88:89]
	v_add_f64 v[84:85], v[84:85], -v[88:89]
	v_cvt_f64_i32_e32 v[88:89], v1
	v_mul_f64 v[90:91], v[88:89], s[26:27]
	v_fma_f64 v[92:93], v[88:89], s[26:27], -v[90:91]
	v_fmac_f64_e32 v[92:93], s[28:29], v[88:89]
	v_add_f64 v[88:89], v[90:91], v[92:93]
	v_add_f64 v[90:91], v[88:89], -v[90:91]
	v_add_f64 v[90:91], v[92:93], -v[90:91]
	v_add_f64 v[92:93], v[88:89], v[86:87]
	v_add_f64 v[94:95], v[92:93], -v[88:89]
	v_add_f64 v[96:97], v[92:93], -v[94:95]
	;; [unrolled: 1-line block ×4, first 2 shown]
	v_add_f64 v[86:87], v[86:87], v[88:89]
	v_add_f64 v[88:89], v[90:91], v[84:85]
	v_add_f64 v[94:95], v[88:89], -v[90:91]
	v_add_f64 v[96:97], v[88:89], -v[94:95]
	v_add_f64 v[86:87], v[88:89], v[86:87]
	v_add_f64 v[90:91], v[90:91], -v[96:97]
	v_add_f64 v[84:85], v[84:85], -v[94:95]
	v_add_f64 v[88:89], v[92:93], v[86:87]
	v_add_f64 v[84:85], v[84:85], v[90:91]
	v_add_f64 v[90:91], v[88:89], -v[92:93]
	v_add_f64 v[86:87], v[86:87], -v[90:91]
	v_add_f64 v[84:85], v[84:85], v[86:87]
	v_add_f64 v[84:85], v[88:89], v[84:85]
	v_cmp_class_f64_e64 s[2:3], v[80:81], s67
	v_min_f64 v[76:77], v[76:77], v[74:75]
	v_cndmask_b32_e64 v1, v85, v81, s[2:3]
	v_cndmask_b32_e64 v6, v84, v80, s[2:3]
	v_div_scale_f64 v[80:81], s[2:3], v[78:79], v[78:79], v[76:77]
	v_rcp_f64_e32 v[84:85], v[80:81]
	v_cndmask_b32_e64 v6, v6, 0, vcc
	v_cndmask_b32_e32 v1, v1, v114, vcc
	v_cmp_ngt_f64_e32 vcc, 0, v[82:83]
	v_cndmask_b32_e32 v1, v107, v1, vcc
	v_cmp_nge_f64_e32 vcc, 0, v[82:83]
	v_cndmask_b32_e32 v74, 0, v6, vcc
	v_cmp_neq_f64_e32 vcc, 0, v[82:83]
	v_fma_f64 v[82:83], -v[80:81], v[84:85], 1.0
	v_fmac_f64_e32 v[84:85], v[84:85], v[82:83]
	v_fma_f64 v[82:83], -v[80:81], v[84:85], 1.0
	v_cndmask_b32_e32 v75, v108, v1, vcc
	v_fmac_f64_e32 v[84:85], v[84:85], v[82:83]
	v_div_scale_f64 v[82:83], vcc, v[76:77], v[78:79], v[76:77]
	v_mul_f64 v[86:87], v[82:83], v[84:85]
	v_fma_f64 v[80:81], -v[80:81], v[86:87], v[82:83]
	v_pk_mov_b32 v[82:83], v[34:35], v[34:35] op_sel:[0,1]
	s_nop 0
	v_div_fmas_f64 v[80:81], v[80:81], v[84:85], v[86:87]
	v_div_fixup_f64 v[76:77], v[80:81], v[78:79], v[76:77]
	v_mul_f64 v[78:79], v[76:77], v[76:77]
	v_pk_mov_b32 v[80:81], v[32:33], v[32:33] op_sel:[0,1]
	v_fmac_f64_e32 v[80:81], s[34:35], v[78:79]
	v_fmac_f64_e32 v[82:83], v[78:79], v[80:81]
	v_pk_mov_b32 v[80:81], v[36:37], v[36:37] op_sel:[0,1]
	v_fmac_f64_e32 v[80:81], v[78:79], v[82:83]
	v_pk_mov_b32 v[82:83], v[38:39], v[38:39] op_sel:[0,1]
	;; [unrolled: 2-line block ×17, first 2 shown]
	v_fmac_f64_e32 v[80:81], v[78:79], v[82:83]
	v_cmp_gt_i32_e32 vcc, 0, v7
	v_mul_f64 v[78:79], v[78:79], v[80:81]
	v_cndmask_b32_e32 v6, v111, v112, vcc
	v_fmac_f64_e32 v[76:77], v[76:77], v[78:79]
	v_bfi_b32 v19, s8, v6, v9
	v_ashrrev_i32_e32 v6, 31, v7
	v_and_b32_e32 v78, 0x400921fb, v6
	v_and_b32_e32 v79, 0x54442d18, v6
	v_add_f64 v[6:7], -v[76:77], s[36:37]
	v_cndmask_b32_e64 v7, v77, v7, s[0:1]
	v_cndmask_b32_e64 v6, v76, v6, s[0:1]
	s_mov_b32 s38, s36
	v_add_f64 v[76:77], -v[6:7], s[38:39]
	v_cndmask_b32_e32 v1, v109, v110, vcc
	v_cndmask_b32_e32 v7, v7, v77, vcc
	;; [unrolled: 1-line block ×3, first 2 shown]
	v_cmp_eq_f64_e32 vcc, 0, v[8:9]
	v_cndmask_b32_e32 v6, v6, v79, vcc
	v_cndmask_b32_e32 v7, v7, v78, vcc
	s_and_b64 vcc, s[58:59], s[60:61]
	v_cndmask_b32_e32 v77, v7, v19, vcc
	v_cndmask_b32_e32 v76, v6, v1, vcc
.LBB180_22:                             ;   in Loop: Header=BB180_5 Depth=1
	s_or_b64 exec, exec, s[56:57]
                                        ; implicit-def: $vgpr78_vgpr79
.LBB180_23:                             ;   in Loop: Header=BB180_5 Depth=1
	s_andn2_saveexec_b64 s[2:3], s[54:55]
	s_cbranch_execz .LBB180_29
; %bb.24:                               ;   in Loop: Header=BB180_5 Depth=1
	v_cmp_ngt_f64_e32 vcc, s[42:43], v[78:79]
                                        ; implicit-def: $vgpr74_vgpr75
                                        ; implicit-def: $vgpr76_vgpr77
	s_and_saveexec_b64 s[54:55], vcc
	s_xor_b64 s[54:55], exec, s[54:55]
	s_cbranch_execz .LBB180_26
; %bb.25:                               ;   in Loop: Header=BB180_5 Depth=1
	v_mul_f64 v[74:75], v[78:79], v[78:79]
	v_add_f64 v[76:77], v[74:75], 1.0
	v_add_f64 v[78:79], v[76:77], -1.0
	v_add_f64 v[80:81], v[78:79], -v[76:77]
	v_add_f64 v[80:81], v[80:81], 1.0
	v_add_f64 v[78:79], v[74:75], -v[78:79]
	v_add_f64 v[78:79], v[78:79], v[80:81]
	v_frexp_mant_f64_e32 v[80:81], v[76:77]
	v_frexp_exp_i32_f64_e32 v1, v[76:77]
	v_cmp_gt_f64_e32 vcc, s[22:23], v[80:81]
	v_subbrev_co_u32_e32 v1, vcc, 0, v1, vcc
	v_sub_u32_e32 v19, 0, v1
	v_ldexp_f64 v[76:77], v[76:77], v19
	v_add_f64 v[80:81], v[76:77], -1.0
	v_add_f64 v[86:87], v[76:77], 1.0
	v_add_f64 v[82:83], v[80:81], 1.0
	v_add_f64 v[88:89], v[86:87], -1.0
	v_ldexp_f64 v[78:79], v[78:79], v19
	v_add_f64 v[82:83], v[76:77], -v[82:83]
	v_add_f64 v[76:77], v[76:77], -v[88:89]
	v_add_f64 v[76:77], v[78:79], v[76:77]
	v_add_f64 v[82:83], v[78:79], v[82:83]
	;; [unrolled: 1-line block ×3, first 2 shown]
	v_rcp_f64_e32 v[88:89], v[78:79]
	v_add_f64 v[84:85], v[80:81], v[82:83]
	v_add_f64 v[80:81], v[80:81], -v[84:85]
	v_add_f64 v[80:81], v[82:83], v[80:81]
	v_add_f64 v[82:83], v[86:87], -v[78:79]
	v_add_f64 v[76:77], v[76:77], v[82:83]
	v_fma_f64 v[82:83], -v[78:79], v[88:89], 1.0
	v_fmac_f64_e32 v[88:89], v[82:83], v[88:89]
	v_fma_f64 v[82:83], -v[78:79], v[88:89], 1.0
	v_fmac_f64_e32 v[88:89], v[82:83], v[88:89]
	v_mul_f64 v[82:83], v[84:85], v[88:89]
	v_mul_f64 v[86:87], v[78:79], v[82:83]
	v_fma_f64 v[90:91], v[82:83], v[78:79], -v[86:87]
	v_fmac_f64_e32 v[90:91], v[82:83], v[76:77]
	v_add_f64 v[92:93], v[86:87], v[90:91]
	v_add_f64 v[94:95], v[84:85], -v[92:93]
	v_add_f64 v[84:85], v[84:85], -v[94:95]
	;; [unrolled: 1-line block ×4, first 2 shown]
	v_add_f64 v[80:81], v[80:81], v[84:85]
	v_add_f64 v[84:85], v[86:87], -v[90:91]
	v_add_f64 v[80:81], v[84:85], v[80:81]
	v_add_f64 v[84:85], v[94:95], v[80:81]
	v_add_f64 v[86:87], v[94:95], -v[84:85]
	v_add_f64 v[80:81], v[80:81], v[86:87]
	v_mul_f64 v[86:87], v[88:89], v[84:85]
	v_mul_f64 v[90:91], v[78:79], v[86:87]
	v_fma_f64 v[78:79], v[86:87], v[78:79], -v[90:91]
	v_fmac_f64_e32 v[78:79], v[86:87], v[76:77]
	v_add_f64 v[76:77], v[90:91], v[78:79]
	v_add_f64 v[92:93], v[84:85], -v[76:77]
	v_add_f64 v[84:85], v[84:85], -v[92:93]
	v_add_f64 v[90:91], v[76:77], -v[90:91]
	v_add_f64 v[76:77], v[84:85], -v[76:77]
	v_add_f64 v[76:77], v[80:81], v[76:77]
	v_add_f64 v[78:79], v[90:91], -v[78:79]
	v_add_f64 v[76:77], v[78:79], v[76:77]
	v_add_f64 v[78:79], v[82:83], v[86:87]
	;; [unrolled: 1-line block ×3, first 2 shown]
	v_add_f64 v[80:81], v[78:79], -v[82:83]
	v_mul_f64 v[76:77], v[88:89], v[76:77]
	v_add_f64 v[80:81], v[86:87], -v[80:81]
	v_add_f64 v[76:77], v[80:81], v[76:77]
	v_add_f64 v[80:81], v[78:79], v[76:77]
	v_add_f64 v[78:79], v[80:81], -v[78:79]
	v_add_f64 v[76:77], v[76:77], -v[78:79]
	v_mul_f64 v[78:79], v[80:81], v[80:81]
	v_pk_mov_b32 v[82:83], v[20:21], v[20:21] op_sel:[0,1]
	v_fmac_f64_e32 v[82:83], s[24:25], v[78:79]
	v_pk_mov_b32 v[84:85], v[22:23], v[22:23] op_sel:[0,1]
	v_fmac_f64_e32 v[84:85], v[78:79], v[82:83]
	;; [unrolled: 2-line block ×6, first 2 shown]
	v_cvt_f64_i32_e32 v[82:83], v1
	v_mul_f64 v[86:87], v[82:83], s[26:27]
	v_fma_f64 v[88:89], v[82:83], s[26:27], -v[86:87]
	v_fmac_f64_e32 v[88:89], s[28:29], v[82:83]
	v_add_f64 v[82:83], v[86:87], v[88:89]
	v_add_f64 v[86:87], v[82:83], -v[86:87]
	v_mul_f64 v[78:79], v[80:81], v[78:79]
	v_add_f64 v[86:87], v[88:89], -v[86:87]
	v_ldexp_f64 v[88:89], v[80:81], 1
	v_mul_f64 v[78:79], v[78:79], v[84:85]
	v_add_f64 v[80:81], v[88:89], v[78:79]
	v_add_f64 v[84:85], v[80:81], -v[88:89]
	v_ldexp_f64 v[76:77], v[76:77], 1
	v_add_f64 v[78:79], v[78:79], -v[84:85]
	v_add_f64 v[76:77], v[76:77], v[78:79]
	v_add_f64 v[78:79], v[80:81], v[76:77]
	v_add_f64 v[80:81], v[78:79], -v[80:81]
	v_add_f64 v[76:77], v[76:77], -v[80:81]
	v_add_f64 v[80:81], v[82:83], v[78:79]
	v_add_f64 v[84:85], v[80:81], -v[82:83]
	v_add_f64 v[88:89], v[80:81], -v[84:85]
	;; [unrolled: 1-line block ×4, first 2 shown]
	v_add_f64 v[78:79], v[78:79], v[82:83]
	v_add_f64 v[82:83], v[86:87], v[76:77]
	v_add_f64 v[84:85], v[82:83], -v[86:87]
	v_add_f64 v[78:79], v[82:83], v[78:79]
	v_add_f64 v[88:89], v[82:83], -v[84:85]
	;; [unrolled: 2-line block ×3, first 2 shown]
	v_add_f64 v[76:77], v[76:77], -v[84:85]
	v_add_f64 v[80:81], v[82:83], -v[80:81]
	v_add_f64 v[76:77], v[76:77], v[86:87]
	v_add_f64 v[78:79], v[78:79], -v[80:81]
	v_add_f64 v[76:77], v[76:77], v[78:79]
	v_max_f64 v[78:79], |v[8:9]|, |v[8:9]|
	v_max_f64 v[80:81], |v[6:7]|, |v[6:7]|
	v_add_f64 v[76:77], v[82:83], v[76:77]
	v_max_f64 v[82:83], v[80:81], v[78:79]
	v_min_f64 v[78:79], v[80:81], v[78:79]
	v_div_scale_f64 v[80:81], s[56:57], v[82:83], v[82:83], v[78:79]
	v_rcp_f64_e32 v[84:85], v[80:81]
	v_cmp_eq_f64_e32 vcc, s[30:31], v[74:75]
	v_cndmask_b32_e32 v75, v77, v75, vcc
	v_cndmask_b32_e32 v74, v76, v74, vcc
	v_fma_f64 v[76:77], -v[80:81], v[84:85], 1.0
	v_fmac_f64_e32 v[84:85], v[84:85], v[76:77]
	v_fma_f64 v[76:77], -v[80:81], v[84:85], 1.0
	v_fmac_f64_e32 v[84:85], v[84:85], v[76:77]
	v_div_scale_f64 v[76:77], vcc, v[78:79], v[82:83], v[78:79]
	v_mul_f64 v[86:87], v[76:77], v[84:85]
	v_fma_f64 v[76:77], -v[80:81], v[86:87], v[76:77]
	v_pk_mov_b32 v[80:81], v[32:33], v[32:33] op_sel:[0,1]
	s_nop 0
	v_div_fmas_f64 v[76:77], v[76:77], v[84:85], v[86:87]
	v_div_fixup_f64 v[76:77], v[76:77], v[82:83], v[78:79]
	v_mul_f64 v[78:79], v[76:77], v[76:77]
	v_fmac_f64_e32 v[80:81], s[34:35], v[78:79]
	v_pk_mov_b32 v[82:83], v[34:35], v[34:35] op_sel:[0,1]
	v_fmac_f64_e32 v[82:83], v[78:79], v[80:81]
	v_pk_mov_b32 v[80:81], v[36:37], v[36:37] op_sel:[0,1]
	;; [unrolled: 2-line block ×18, first 2 shown]
	v_fmac_f64_e32 v[80:81], v[78:79], v[82:83]
	v_cmp_gt_i32_e32 vcc, 0, v7
	v_mul_f64 v[78:79], v[78:79], v[80:81]
	v_cmp_class_f64_e64 s[58:59], v[6:7], s67
	v_cndmask_b32_e32 v6, v111, v112, vcc
	v_fmac_f64_e32 v[76:77], v[76:77], v[78:79]
	v_bfi_b32 v19, s8, v6, v9
	v_ashrrev_i32_e32 v6, 31, v7
	v_and_b32_e32 v78, 0x400921fb, v6
	v_and_b32_e32 v79, 0x54442d18, v6
	v_add_f64 v[6:7], -v[76:77], s[36:37]
	v_cndmask_b32_e64 v7, v77, v7, s[0:1]
	v_cndmask_b32_e64 v6, v76, v6, s[0:1]
	s_mov_b32 s38, s36
	v_add_f64 v[76:77], -v[6:7], s[38:39]
	v_cmp_class_f64_e64 s[56:57], v[8:9], s67
	v_cndmask_b32_e32 v1, v109, v110, vcc
	v_cndmask_b32_e32 v7, v7, v77, vcc
	;; [unrolled: 1-line block ×3, first 2 shown]
	v_cmp_eq_f64_e32 vcc, 0, v[8:9]
	v_cndmask_b32_e32 v6, v6, v79, vcc
	v_cndmask_b32_e32 v7, v7, v78, vcc
	s_and_b64 vcc, s[58:59], s[56:57]
	v_mul_f64 v[74:75], v[74:75], 0.5
	v_cndmask_b32_e32 v77, v7, v19, vcc
	v_cndmask_b32_e32 v76, v6, v1, vcc
                                        ; implicit-def: $vgpr78_vgpr79
.LBB180_26:                             ;   in Loop: Header=BB180_5 Depth=1
	s_andn2_saveexec_b64 s[54:55], s[54:55]
	s_cbranch_execz .LBB180_28
; %bb.27:                               ;   in Loop: Header=BB180_5 Depth=1
	v_max_f64 v[74:75], |v[8:9]|, |v[8:9]|
	v_max_f64 v[76:77], |v[6:7]|, |v[6:7]|
	v_max_f64 v[80:81], v[76:77], v[74:75]
	v_min_f64 v[76:77], v[76:77], v[74:75]
	v_div_scale_f64 v[82:83], s[56:57], v[80:81], v[80:81], v[76:77]
	v_rcp_f64_e32 v[84:85], v[82:83]
	v_mul_f64 v[74:75], v[78:79], 0.5
	v_mul_f64 v[74:75], v[78:79], v[74:75]
	v_cmp_class_f64_e64 s[58:59], v[6:7], s67
	v_fma_f64 v[78:79], -v[82:83], v[84:85], 1.0
	v_fmac_f64_e32 v[84:85], v[84:85], v[78:79]
	v_fma_f64 v[78:79], -v[82:83], v[84:85], 1.0
	v_fmac_f64_e32 v[84:85], v[84:85], v[78:79]
	v_div_scale_f64 v[78:79], vcc, v[76:77], v[80:81], v[76:77]
	v_mul_f64 v[86:87], v[78:79], v[84:85]
	v_fma_f64 v[78:79], -v[82:83], v[86:87], v[78:79]
	v_pk_mov_b32 v[82:83], v[34:35], v[34:35] op_sel:[0,1]
	s_nop 0
	v_div_fmas_f64 v[78:79], v[78:79], v[84:85], v[86:87]
	v_div_fixup_f64 v[76:77], v[78:79], v[80:81], v[76:77]
	v_mul_f64 v[78:79], v[76:77], v[76:77]
	v_pk_mov_b32 v[80:81], v[32:33], v[32:33] op_sel:[0,1]
	v_fmac_f64_e32 v[80:81], s[34:35], v[78:79]
	v_fmac_f64_e32 v[82:83], v[78:79], v[80:81]
	v_pk_mov_b32 v[80:81], v[36:37], v[36:37] op_sel:[0,1]
	v_fmac_f64_e32 v[80:81], v[78:79], v[82:83]
	v_pk_mov_b32 v[82:83], v[38:39], v[38:39] op_sel:[0,1]
	;; [unrolled: 2-line block ×17, first 2 shown]
	v_fmac_f64_e32 v[80:81], v[78:79], v[82:83]
	v_cmp_gt_i32_e32 vcc, 0, v7
	v_mul_f64 v[78:79], v[78:79], v[80:81]
	v_cndmask_b32_e32 v6, v111, v112, vcc
	v_fmac_f64_e32 v[76:77], v[76:77], v[78:79]
	v_bfi_b32 v19, s8, v6, v9
	v_ashrrev_i32_e32 v6, 31, v7
	v_and_b32_e32 v78, 0x400921fb, v6
	v_and_b32_e32 v79, 0x54442d18, v6
	v_add_f64 v[6:7], -v[76:77], s[36:37]
	v_cndmask_b32_e64 v7, v77, v7, s[0:1]
	v_cndmask_b32_e64 v6, v76, v6, s[0:1]
	s_mov_b32 s38, s36
	v_add_f64 v[76:77], -v[6:7], s[38:39]
	v_cmp_class_f64_e64 s[56:57], v[8:9], s67
	v_cndmask_b32_e32 v1, v109, v110, vcc
	v_cndmask_b32_e32 v7, v7, v77, vcc
	;; [unrolled: 1-line block ×3, first 2 shown]
	v_cmp_eq_f64_e32 vcc, 0, v[8:9]
	v_cndmask_b32_e32 v6, v6, v79, vcc
	v_cndmask_b32_e32 v7, v7, v78, vcc
	s_and_b64 vcc, s[58:59], s[56:57]
	v_cndmask_b32_e32 v77, v7, v19, vcc
	v_cndmask_b32_e32 v76, v6, v1, vcc
.LBB180_28:                             ;   in Loop: Header=BB180_5 Depth=1
	s_or_b64 exec, exec, s[54:55]
.LBB180_29:                             ;   in Loop: Header=BB180_5 Depth=1
	s_or_b64 exec, exec, s[2:3]
.LBB180_30:                             ;   in Loop: Header=BB180_5 Depth=1
	s_andn2_saveexec_b64 s[54:55], s[6:7]
	s_cbranch_execz .LBB180_32
; %bb.31:                               ;   in Loop: Header=BB180_5 Depth=1
	v_div_scale_f64 v[74:75], s[2:3], s[44:45], s[44:45], v[6:7]
	v_rcp_f64_e32 v[76:77], v[74:75]
	v_div_scale_f64 v[78:79], vcc, v[6:7], s[44:45], v[6:7]
	s_mov_b32 s38, s36
	v_fma_f64 v[80:81], -v[74:75], v[76:77], 1.0
	v_fmac_f64_e32 v[76:77], v[76:77], v[80:81]
	v_fma_f64 v[80:81], -v[74:75], v[76:77], 1.0
	v_fmac_f64_e32 v[76:77], v[76:77], v[80:81]
	v_mul_f64 v[80:81], v[78:79], v[76:77]
	v_fma_f64 v[74:75], -v[74:75], v[80:81], v[78:79]
	v_div_scale_f64 v[78:79], s[2:3], s[44:45], s[44:45], v[8:9]
	v_rcp_f64_e32 v[82:83], v[78:79]
	v_div_fmas_f64 v[74:75], v[74:75], v[76:77], v[80:81]
	v_div_fixup_f64 v[74:75], v[74:75], s[44:45], v[6:7]
	v_cmp_class_f64_e64 s[6:7], v[74:75], s67
	v_fma_f64 v[76:77], -v[78:79], v[82:83], 1.0
	v_fmac_f64_e32 v[82:83], v[82:83], v[76:77]
	v_fma_f64 v[76:77], -v[78:79], v[82:83], 1.0
	v_fmac_f64_e32 v[82:83], v[82:83], v[76:77]
	v_div_scale_f64 v[76:77], vcc, v[8:9], s[44:45], v[8:9]
	v_mul_f64 v[80:81], v[76:77], v[82:83]
	v_fma_f64 v[76:77], -v[78:79], v[80:81], v[76:77]
	s_nop 1
	v_div_fmas_f64 v[76:77], v[76:77], v[82:83], v[80:81]
	v_div_fixup_f64 v[76:77], v[76:77], s[44:45], v[8:9]
	v_max_f64 v[78:79], |v[74:75]|, |v[76:77]|
	v_frexp_exp_i32_f64_e32 v1, v[78:79]
	v_sub_u32_e32 v19, 0, v1
	v_ldexp_f64 v[80:81], |v[76:77]|, v19
	v_ldexp_f64 v[78:79], |v[74:75]|, v19
	v_mul_f64 v[80:81], v[80:81], v[80:81]
	v_fmac_f64_e32 v[80:81], v[78:79], v[78:79]
	v_rsq_f64_e32 v[78:79], v[80:81]
	v_cmp_eq_f64_e32 vcc, 0, v[80:81]
	v_cmp_o_f64_e64 s[2:3], v[74:75], v[76:77]
	v_cmp_class_f64_e64 s[56:57], v[76:77], s67
	v_mul_f64 v[82:83], v[80:81], v[78:79]
	v_mul_f64 v[78:79], v[78:79], 0.5
	v_fma_f64 v[84:85], -v[78:79], v[82:83], 0.5
	v_fmac_f64_e32 v[82:83], v[82:83], v[84:85]
	v_fmac_f64_e32 v[78:79], v[78:79], v[84:85]
	v_fma_f64 v[84:85], -v[82:83], v[82:83], v[80:81]
	v_fmac_f64_e32 v[82:83], v[84:85], v[78:79]
	v_cndmask_b32_e32 v79, v83, v81, vcc
	v_cndmask_b32_e32 v78, v82, v80, vcc
	v_ldexp_f64 v[78:79], v[78:79], v1
	v_cndmask_b32_e64 v1, 0, v78, s[2:3]
	v_cndmask_b32_e64 v92, v107, v79, s[2:3]
	s_or_b64 vcc, s[6:7], s[56:57]
	v_cndmask_b32_e32 v77, v92, v114, vcc
	v_cndmask_b32_e64 v76, v1, 0, vcc
	v_frexp_mant_f64_e32 v[74:75], v[76:77]
	v_cmp_gt_f64_e64 s[6:7], s[22:23], v[74:75]
	v_cndmask_b32_e64 v19, v113, 2.0, s[6:7]
	v_frexp_exp_i32_f64_e32 v80, v[76:77]
	v_mul_f64 v[74:75], v[74:75], v[18:19]
	v_subbrev_co_u32_e64 v19, s[6:7], 0, v80, s[6:7]
	v_add_f64 v[80:81], v[74:75], 1.0
	v_rcp_f64_e32 v[82:83], v[80:81]
	v_add_f64 v[86:87], v[80:81], -1.0
	v_add_f64 v[84:85], v[74:75], -1.0
	v_add_f64 v[74:75], v[74:75], -v[86:87]
	v_fma_f64 v[86:87], -v[80:81], v[82:83], 1.0
	v_fmac_f64_e32 v[82:83], v[86:87], v[82:83]
	v_fma_f64 v[86:87], -v[80:81], v[82:83], 1.0
	v_fmac_f64_e32 v[82:83], v[86:87], v[82:83]
	v_mul_f64 v[86:87], v[84:85], v[82:83]
	v_mul_f64 v[88:89], v[80:81], v[86:87]
	v_fma_f64 v[80:81], v[86:87], v[80:81], -v[88:89]
	v_fmac_f64_e32 v[80:81], v[86:87], v[74:75]
	v_add_f64 v[74:75], v[88:89], v[80:81]
	v_add_f64 v[90:91], v[84:85], -v[74:75]
	v_add_f64 v[88:89], v[74:75], -v[88:89]
	;; [unrolled: 1-line block ×5, first 2 shown]
	v_add_f64 v[74:75], v[80:81], v[74:75]
	v_add_f64 v[74:75], v[90:91], v[74:75]
	v_mul_f64 v[74:75], v[82:83], v[74:75]
	v_add_f64 v[80:81], v[86:87], v[74:75]
	v_add_f64 v[82:83], v[80:81], -v[86:87]
	v_add_f64 v[74:75], v[74:75], -v[82:83]
	v_mul_f64 v[82:83], v[80:81], v[80:81]
	v_pk_mov_b32 v[84:85], v[20:21], v[20:21] op_sel:[0,1]
	v_fmac_f64_e32 v[84:85], s[24:25], v[82:83]
	v_pk_mov_b32 v[86:87], v[22:23], v[22:23] op_sel:[0,1]
	v_fmac_f64_e32 v[86:87], v[82:83], v[84:85]
	;; [unrolled: 2-line block ×6, first 2 shown]
	v_ldexp_f64 v[84:85], v[80:81], 1
	v_mul_f64 v[80:81], v[80:81], v[82:83]
	v_mul_f64 v[80:81], v[80:81], v[86:87]
	v_add_f64 v[82:83], v[84:85], v[80:81]
	v_add_f64 v[84:85], v[82:83], -v[84:85]
	v_ldexp_f64 v[74:75], v[74:75], 1
	v_add_f64 v[80:81], v[80:81], -v[84:85]
	v_add_f64 v[74:75], v[74:75], v[80:81]
	v_add_f64 v[80:81], v[82:83], v[74:75]
	v_add_f64 v[82:83], v[80:81], -v[82:83]
	v_add_f64 v[74:75], v[74:75], -v[82:83]
	v_cvt_f64_i32_e32 v[82:83], v19
	v_mul_f64 v[84:85], v[82:83], s[26:27]
	v_fma_f64 v[86:87], v[82:83], s[26:27], -v[84:85]
	v_fmac_f64_e32 v[86:87], s[28:29], v[82:83]
	v_add_f64 v[82:83], v[84:85], v[86:87]
	v_add_f64 v[84:85], v[82:83], -v[84:85]
	v_add_f64 v[84:85], v[86:87], -v[84:85]
	v_add_f64 v[86:87], v[82:83], v[80:81]
	v_add_f64 v[88:89], v[86:87], -v[82:83]
	v_add_f64 v[90:91], v[86:87], -v[88:89]
	;; [unrolled: 1-line block ×4, first 2 shown]
	v_add_f64 v[80:81], v[80:81], v[82:83]
	v_add_f64 v[82:83], v[84:85], v[74:75]
	v_add_f64 v[88:89], v[82:83], -v[84:85]
	v_add_f64 v[90:91], v[82:83], -v[88:89]
	v_add_f64 v[80:81], v[82:83], v[80:81]
	v_add_f64 v[84:85], v[84:85], -v[90:91]
	v_add_f64 v[74:75], v[74:75], -v[88:89]
	v_add_f64 v[82:83], v[86:87], v[80:81]
	v_add_f64 v[74:75], v[74:75], v[84:85]
	v_add_f64 v[84:85], v[82:83], -v[86:87]
	v_add_f64 v[80:81], v[80:81], -v[84:85]
	v_and_b32_e32 v79, 0x7fffffff, v79
	v_add_f64 v[74:75], v[74:75], v[80:81]
	v_cmp_eq_f64_e64 s[6:7], s[30:31], v[78:79]
	v_add_f64 v[74:75], v[82:83], v[74:75]
	s_and_b64 s[2:3], s[2:3], s[6:7]
	v_cndmask_b32_e64 v75, v75, v92, s[2:3]
	v_cndmask_b32_e64 v74, v74, v1, s[2:3]
	v_add_f64 v[74:75], v[74:75], 1.0
	v_cndmask_b32_e64 v1, v74, 0, vcc
	v_cndmask_b32_e32 v19, v75, v114, vcc
	v_max_f64 v[74:75], |v[8:9]|, |v[8:9]|
	v_max_f64 v[78:79], |v[6:7]|, |v[6:7]|
	v_max_f64 v[80:81], v[78:79], v[74:75]
	v_min_f64 v[78:79], v[78:79], v[74:75]
	v_div_scale_f64 v[82:83], s[2:3], v[80:81], v[80:81], v[78:79]
	v_rcp_f64_e32 v[84:85], v[82:83]
	v_cmp_ngt_f64_e32 vcc, 0, v[76:77]
	v_cndmask_b32_e32 v19, v107, v19, vcc
	v_cmp_nge_f64_e32 vcc, 0, v[76:77]
	v_cndmask_b32_e32 v74, 0, v1, vcc
	v_cmp_neq_f64_e32 vcc, 0, v[76:77]
	v_fma_f64 v[76:77], -v[82:83], v[84:85], 1.0
	v_fmac_f64_e32 v[84:85], v[84:85], v[76:77]
	v_fma_f64 v[76:77], -v[82:83], v[84:85], 1.0
	v_cndmask_b32_e32 v75, v108, v19, vcc
	v_fmac_f64_e32 v[84:85], v[84:85], v[76:77]
	v_div_scale_f64 v[76:77], vcc, v[78:79], v[80:81], v[78:79]
	v_mul_f64 v[86:87], v[76:77], v[84:85]
	v_fma_f64 v[76:77], -v[82:83], v[86:87], v[76:77]
	v_pk_mov_b32 v[82:83], v[34:35], v[34:35] op_sel:[0,1]
	s_nop 0
	v_div_fmas_f64 v[76:77], v[76:77], v[84:85], v[86:87]
	v_div_fixup_f64 v[76:77], v[76:77], v[80:81], v[78:79]
	v_mul_f64 v[78:79], v[76:77], v[76:77]
	v_pk_mov_b32 v[80:81], v[32:33], v[32:33] op_sel:[0,1]
	v_fmac_f64_e32 v[80:81], s[34:35], v[78:79]
	v_fmac_f64_e32 v[82:83], v[78:79], v[80:81]
	v_pk_mov_b32 v[80:81], v[36:37], v[36:37] op_sel:[0,1]
	v_fmac_f64_e32 v[80:81], v[78:79], v[82:83]
	v_pk_mov_b32 v[82:83], v[38:39], v[38:39] op_sel:[0,1]
	;; [unrolled: 2-line block ×17, first 2 shown]
	v_fmac_f64_e32 v[80:81], v[78:79], v[82:83]
	v_cmp_gt_i32_e32 vcc, 0, v7
	v_mul_f64 v[78:79], v[78:79], v[80:81]
	v_cmp_class_f64_e64 s[6:7], v[6:7], s67
	v_cndmask_b32_e32 v6, v111, v112, vcc
	v_fmac_f64_e32 v[76:77], v[76:77], v[78:79]
	v_bfi_b32 v19, s8, v6, v9
	v_ashrrev_i32_e32 v6, 31, v7
	v_and_b32_e32 v78, 0x400921fb, v6
	v_and_b32_e32 v79, 0x54442d18, v6
	v_add_f64 v[6:7], -v[76:77], s[36:37]
	v_cndmask_b32_e64 v7, v77, v7, s[0:1]
	v_cndmask_b32_e64 v6, v76, v6, s[0:1]
	v_add_f64 v[76:77], -v[6:7], s[38:39]
	v_cmp_class_f64_e64 s[2:3], v[8:9], s67
	v_cndmask_b32_e32 v1, v109, v110, vcc
	v_cndmask_b32_e32 v7, v7, v77, vcc
	;; [unrolled: 1-line block ×3, first 2 shown]
	v_cmp_eq_f64_e32 vcc, 0, v[8:9]
	v_cndmask_b32_e32 v6, v6, v79, vcc
	v_cndmask_b32_e32 v7, v7, v78, vcc
	s_and_b64 vcc, s[6:7], s[2:3]
	v_cndmask_b32_e32 v77, v7, v19, vcc
	v_cndmask_b32_e32 v76, v6, v1, vcc
.LBB180_32:                             ;   in Loop: Header=BB180_5 Depth=1
	s_or_b64 exec, exec, s[54:55]
.LBB180_33:                             ;   in Loop: Header=BB180_5 Depth=1
	s_andn2_saveexec_b64 s[0:1], s[52:53]
	s_cbranch_execz .LBB180_39
; %bb.34:                               ;   in Loop: Header=BB180_5 Depth=1
	v_cmp_nlt_f64_e64 s[2:3], |v[6:7]|, s[46:47]
	v_cmp_nlt_f64_e64 s[6:7], |v[8:9]|, s[46:47]
	s_or_b64 s[2:3], s[2:3], s[6:7]
                                        ; implicit-def: $vgpr76_vgpr77
	s_and_saveexec_b64 s[6:7], s[2:3]
	s_xor_b64 s[2:3], exec, s[6:7]
; %bb.35:                               ;   in Loop: Header=BB180_5 Depth=1
	v_mul_f64 v[76:77], v[8:9], v[8:9]
	v_fmac_f64_e32 v[76:77], v[6:7], v[6:7]
; %bb.36:                               ;   in Loop: Header=BB180_5 Depth=1
	s_andn2_saveexec_b64 s[2:3], s[2:3]
; %bb.37:                               ;   in Loop: Header=BB180_5 Depth=1
	v_mul_f64 v[74:75], v[8:9], 4.0
	v_mul_f64 v[6:7], v[6:7], 4.0
	v_mul_f64 v[74:75], v[74:75], v[74:75]
	v_fmac_f64_e32 v[74:75], v[6:7], v[6:7]
	v_ldexp_f64 v[76:77], v[74:75], -4
; %bb.38:                               ;   in Loop: Header=BB180_5 Depth=1
	s_or_b64 exec, exec, s[2:3]
	v_frexp_mant_f64_e32 v[6:7], v[76:77]
	v_cmp_gt_f64_e32 vcc, s[22:23], v[6:7]
	v_cndmask_b32_e64 v19, v113, 2.0, vcc
	v_mul_f64 v[6:7], v[6:7], v[18:19]
	v_add_f64 v[74:75], v[6:7], 1.0
	v_rcp_f64_e32 v[78:79], v[74:75]
	v_add_f64 v[82:83], v[74:75], -1.0
	v_add_f64 v[80:81], v[6:7], -1.0
	v_add_f64 v[6:7], v[6:7], -v[82:83]
	v_fma_f64 v[82:83], -v[74:75], v[78:79], 1.0
	v_fmac_f64_e32 v[78:79], v[82:83], v[78:79]
	v_fma_f64 v[82:83], -v[74:75], v[78:79], 1.0
	v_fmac_f64_e32 v[78:79], v[82:83], v[78:79]
	v_mul_f64 v[82:83], v[80:81], v[78:79]
	v_mul_f64 v[84:85], v[74:75], v[82:83]
	v_fma_f64 v[74:75], v[82:83], v[74:75], -v[84:85]
	v_fmac_f64_e32 v[74:75], v[82:83], v[6:7]
	v_add_f64 v[6:7], v[84:85], v[74:75]
	v_add_f64 v[86:87], v[80:81], -v[6:7]
	v_add_f64 v[84:85], v[6:7], -v[84:85]
	;; [unrolled: 1-line block ×5, first 2 shown]
	v_add_f64 v[6:7], v[74:75], v[6:7]
	v_add_f64 v[6:7], v[86:87], v[6:7]
	v_mul_f64 v[6:7], v[78:79], v[6:7]
	v_add_f64 v[74:75], v[82:83], v[6:7]
	v_add_f64 v[78:79], v[74:75], -v[82:83]
	v_add_f64 v[6:7], v[6:7], -v[78:79]
	v_mul_f64 v[78:79], v[74:75], v[74:75]
	v_pk_mov_b32 v[80:81], v[20:21], v[20:21] op_sel:[0,1]
	v_fmac_f64_e32 v[80:81], s[24:25], v[78:79]
	v_pk_mov_b32 v[82:83], v[22:23], v[22:23] op_sel:[0,1]
	v_fmac_f64_e32 v[82:83], v[78:79], v[80:81]
	v_pk_mov_b32 v[80:81], v[24:25], v[24:25] op_sel:[0,1]
	v_fmac_f64_e32 v[80:81], v[78:79], v[82:83]
	v_pk_mov_b32 v[82:83], v[26:27], v[26:27] op_sel:[0,1]
	v_fmac_f64_e32 v[82:83], v[78:79], v[80:81]
	v_pk_mov_b32 v[80:81], v[28:29], v[28:29] op_sel:[0,1]
	v_fmac_f64_e32 v[80:81], v[78:79], v[82:83]
	v_pk_mov_b32 v[82:83], v[30:31], v[30:31] op_sel:[0,1]
	v_fmac_f64_e32 v[82:83], v[78:79], v[80:81]
	v_ldexp_f64 v[80:81], v[74:75], 1
	v_mul_f64 v[74:75], v[74:75], v[78:79]
	v_mul_f64 v[74:75], v[74:75], v[82:83]
	v_add_f64 v[78:79], v[80:81], v[74:75]
	v_add_f64 v[80:81], v[78:79], -v[80:81]
	v_ldexp_f64 v[6:7], v[6:7], 1
	v_add_f64 v[74:75], v[74:75], -v[80:81]
	v_add_f64 v[6:7], v[6:7], v[74:75]
	v_frexp_exp_i32_f64_e32 v1, v[76:77]
	v_add_f64 v[74:75], v[78:79], v[6:7]
	v_subbrev_co_u32_e32 v1, vcc, 0, v1, vcc
	v_add_f64 v[78:79], v[74:75], -v[78:79]
	v_add_f64 v[6:7], v[6:7], -v[78:79]
	v_cvt_f64_i32_e32 v[78:79], v1
	v_mul_f64 v[80:81], v[78:79], s[26:27]
	v_fma_f64 v[82:83], v[78:79], s[26:27], -v[80:81]
	v_fmac_f64_e32 v[82:83], s[28:29], v[78:79]
	v_add_f64 v[78:79], v[80:81], v[82:83]
	v_add_f64 v[80:81], v[78:79], -v[80:81]
	v_add_f64 v[80:81], v[82:83], -v[80:81]
	v_add_f64 v[82:83], v[78:79], v[74:75]
	v_add_f64 v[84:85], v[82:83], -v[78:79]
	v_add_f64 v[86:87], v[82:83], -v[84:85]
	;; [unrolled: 1-line block ×4, first 2 shown]
	v_add_f64 v[74:75], v[74:75], v[78:79]
	v_add_f64 v[78:79], v[80:81], v[6:7]
	v_add_f64 v[84:85], v[78:79], -v[80:81]
	v_add_f64 v[86:87], v[78:79], -v[84:85]
	v_add_f64 v[74:75], v[78:79], v[74:75]
	v_add_f64 v[80:81], v[80:81], -v[86:87]
	v_add_f64 v[6:7], v[6:7], -v[84:85]
	v_add_f64 v[78:79], v[82:83], v[74:75]
	v_add_f64 v[6:7], v[6:7], v[80:81]
	v_add_f64 v[80:81], v[78:79], -v[82:83]
	v_add_f64 v[74:75], v[74:75], -v[80:81]
	v_add_f64 v[6:7], v[6:7], v[74:75]
	v_add_f64 v[6:7], v[78:79], v[6:7]
	v_cmp_class_f64_e64 vcc, v[76:77], s67
	v_cndmask_b32_e32 v1, v6, v76, vcc
	v_cndmask_b32_e32 v6, v7, v77, vcc
	v_cmp_ngt_f64_e32 vcc, 0, v[76:77]
	v_cndmask_b32_e32 v6, v107, v6, vcc
	v_cmp_nge_f64_e32 vcc, 0, v[76:77]
	v_cndmask_b32_e32 v74, 0, v1, vcc
	v_cmp_neq_f64_e32 vcc, 0, v[76:77]
	v_mov_b32_e32 v76, 0
	v_cndmask_b32_e32 v75, v108, v6, vcc
	v_mov_b32_e32 v77, 0x7ff80000
.LBB180_39:                             ;   in Loop: Header=BB180_5 Depth=1
	s_or_b64 exec, exec, s[0:1]
	v_cmp_o_f64_e32 vcc, v[10:11], v[12:13]
                                        ; implicit-def: $vgpr6_vgpr7
                                        ; implicit-def: $vgpr78_vgpr79
	s_and_saveexec_b64 s[0:1], vcc
	s_xor_b64 s[52:53], exec, s[0:1]
	s_cbranch_execz .LBB180_67
; %bb.40:                               ;   in Loop: Header=BB180_5 Depth=1
	v_and_b32_e32 v19, 0x7fffffff, v11
	v_and_b32_e32 v1, 0x7fffffff, v13
	v_mov_b32_e32 v8, v12
	v_cmp_lt_f64_e64 s[0:1], |v[10:11]|, |v[12:13]|
	v_cndmask_b32_e64 v81, v1, v19, s[0:1]
	v_cndmask_b32_e64 v80, v8, v10, s[0:1]
	v_cmp_nlt_f64_e32 vcc, s[16:17], v[80:81]
                                        ; implicit-def: $vgpr6_vgpr7
                                        ; implicit-def: $vgpr78_vgpr79
	s_and_saveexec_b64 s[2:3], vcc
	s_xor_b64 s[6:7], exec, s[2:3]
	s_cbranch_execz .LBB180_64
; %bb.41:                               ;   in Loop: Header=BB180_5 Depth=1
	v_cndmask_b32_e64 v85, v19, v1, s[0:1]
	v_cndmask_b32_e64 v84, v10, v8, s[0:1]
	v_cmp_neq_f64_e32 vcc, 1.0, v[84:85]
                                        ; implicit-def: $vgpr6_vgpr7
                                        ; implicit-def: $vgpr78_vgpr79
	s_and_saveexec_b64 s[2:3], vcc
	s_xor_b64 s[54:55], exec, s[2:3]
	s_cbranch_execz .LBB180_57
; %bb.42:                               ;   in Loop: Header=BB180_5 Depth=1
	v_max_f64 v[6:7], v[80:81], v[80:81]
	v_max_f64 v[78:79], v[84:85], v[84:85]
	v_min_f64 v[82:83], v[78:79], v[6:7]
	v_max_f64 v[6:7], v[78:79], v[6:7]
	v_cmp_ngt_f64_e32 vcc, s[18:19], v[82:83]
	v_cmp_nlt_f64_e64 s[2:3], s[20:21], v[6:7]
	s_and_b64 s[2:3], s[2:3], vcc
                                        ; implicit-def: $vgpr6_vgpr7
                                        ; implicit-def: $vgpr78_vgpr79
	s_and_saveexec_b64 s[56:57], s[2:3]
	s_xor_b64 s[56:57], exec, s[56:57]
	s_cbranch_execz .LBB180_54
; %bb.43:                               ;   in Loop: Header=BB180_5 Depth=1
	v_cmp_le_f64_e32 vcc, 1.0, v[84:85]
                                        ; implicit-def: $vgpr6_vgpr7
                                        ; implicit-def: $vgpr78_vgpr79
	s_and_saveexec_b64 s[2:3], vcc
	s_xor_b64 s[2:3], exec, s[2:3]
	s_cbranch_execz .LBB180_45
; %bb.44:                               ;   in Loop: Header=BB180_5 Depth=1
	v_add_f64 v[6:7], v[84:85], -1.0
	v_add_f64 v[78:79], v[84:85], 1.0
	v_mul_f64 v[78:79], v[6:7], v[78:79]
	v_fmac_f64_e32 v[78:79], v[80:81], v[80:81]
	v_add_f64 v[6:7], v[78:79], 1.0
	v_add_f64 v[80:81], v[6:7], -1.0
	v_add_f64 v[82:83], v[80:81], -v[6:7]
	v_add_f64 v[82:83], v[82:83], 1.0
	v_add_f64 v[80:81], v[78:79], -v[80:81]
	v_add_f64 v[80:81], v[80:81], v[82:83]
	v_frexp_mant_f64_e32 v[82:83], v[6:7]
	v_frexp_exp_i32_f64_e32 v1, v[6:7]
	v_cmp_gt_f64_e32 vcc, s[22:23], v[82:83]
	v_subbrev_co_u32_e32 v1, vcc, 0, v1, vcc
	v_sub_u32_e32 v8, 0, v1
	v_ldexp_f64 v[6:7], v[6:7], v8
	v_add_f64 v[82:83], v[6:7], -1.0
	v_add_f64 v[88:89], v[6:7], 1.0
	v_add_f64 v[84:85], v[82:83], 1.0
	v_add_f64 v[90:91], v[88:89], -1.0
	v_ldexp_f64 v[80:81], v[80:81], v8
	v_add_f64 v[84:85], v[6:7], -v[84:85]
	v_add_f64 v[6:7], v[6:7], -v[90:91]
	v_add_f64 v[6:7], v[80:81], v[6:7]
	v_add_f64 v[84:85], v[80:81], v[84:85]
	;; [unrolled: 1-line block ×3, first 2 shown]
	v_rcp_f64_e32 v[90:91], v[80:81]
	v_add_f64 v[86:87], v[82:83], v[84:85]
	v_add_f64 v[82:83], v[86:87], -v[82:83]
	v_add_f64 v[82:83], v[84:85], -v[82:83]
	;; [unrolled: 1-line block ×4, first 2 shown]
	v_fma_f64 v[84:85], -v[80:81], v[90:91], 1.0
	v_fmac_f64_e32 v[90:91], v[84:85], v[90:91]
	v_fma_f64 v[84:85], -v[80:81], v[90:91], 1.0
	v_fmac_f64_e32 v[90:91], v[84:85], v[90:91]
	v_mul_f64 v[84:85], v[86:87], v[90:91]
	v_mul_f64 v[88:89], v[80:81], v[84:85]
	v_fma_f64 v[92:93], v[84:85], v[80:81], -v[88:89]
	v_fmac_f64_e32 v[92:93], v[84:85], v[6:7]
	v_add_f64 v[94:95], v[88:89], v[92:93]
	v_add_f64 v[96:97], v[86:87], -v[94:95]
	v_add_f64 v[86:87], v[86:87], -v[96:97]
	;; [unrolled: 1-line block ×4, first 2 shown]
	v_add_f64 v[82:83], v[82:83], v[86:87]
	v_add_f64 v[86:87], v[88:89], -v[92:93]
	v_add_f64 v[82:83], v[86:87], v[82:83]
	v_add_f64 v[86:87], v[96:97], v[82:83]
	v_add_f64 v[88:89], v[96:97], -v[86:87]
	v_add_f64 v[82:83], v[82:83], v[88:89]
	v_mul_f64 v[88:89], v[90:91], v[86:87]
	v_mul_f64 v[92:93], v[80:81], v[88:89]
	v_fma_f64 v[80:81], v[88:89], v[80:81], -v[92:93]
	v_fmac_f64_e32 v[80:81], v[88:89], v[6:7]
	v_add_f64 v[6:7], v[92:93], v[80:81]
	v_add_f64 v[94:95], v[86:87], -v[6:7]
	v_add_f64 v[86:87], v[86:87], -v[94:95]
	;; [unrolled: 1-line block ×4, first 2 shown]
	v_add_f64 v[6:7], v[82:83], v[6:7]
	v_add_f64 v[80:81], v[92:93], -v[80:81]
	v_add_f64 v[6:7], v[80:81], v[6:7]
	v_add_f64 v[80:81], v[84:85], v[88:89]
	;; [unrolled: 1-line block ×3, first 2 shown]
	v_add_f64 v[82:83], v[80:81], -v[84:85]
	v_mul_f64 v[6:7], v[90:91], v[6:7]
	v_add_f64 v[82:83], v[88:89], -v[82:83]
	v_add_f64 v[6:7], v[82:83], v[6:7]
	v_add_f64 v[82:83], v[80:81], v[6:7]
	v_add_f64 v[80:81], v[82:83], -v[80:81]
	v_add_f64 v[6:7], v[6:7], -v[80:81]
	v_mul_f64 v[80:81], v[82:83], v[82:83]
	v_pk_mov_b32 v[84:85], v[20:21], v[20:21] op_sel:[0,1]
	v_fmac_f64_e32 v[84:85], s[24:25], v[80:81]
	v_pk_mov_b32 v[86:87], v[22:23], v[22:23] op_sel:[0,1]
	v_fmac_f64_e32 v[86:87], v[80:81], v[84:85]
	;; [unrolled: 2-line block ×6, first 2 shown]
	v_cvt_f64_i32_e32 v[84:85], v1
	v_mul_f64 v[88:89], v[84:85], s[26:27]
	v_fma_f64 v[90:91], v[84:85], s[26:27], -v[88:89]
	v_fmac_f64_e32 v[90:91], s[28:29], v[84:85]
	v_add_f64 v[84:85], v[88:89], v[90:91]
	v_add_f64 v[88:89], v[84:85], -v[88:89]
	v_mul_f64 v[80:81], v[82:83], v[80:81]
	v_add_f64 v[88:89], v[90:91], -v[88:89]
	v_ldexp_f64 v[90:91], v[82:83], 1
	v_mul_f64 v[80:81], v[80:81], v[86:87]
	v_add_f64 v[82:83], v[90:91], v[80:81]
	v_add_f64 v[86:87], v[82:83], -v[90:91]
	v_ldexp_f64 v[6:7], v[6:7], 1
	v_add_f64 v[80:81], v[80:81], -v[86:87]
	v_add_f64 v[6:7], v[6:7], v[80:81]
	v_add_f64 v[80:81], v[82:83], v[6:7]
	v_add_f64 v[82:83], v[80:81], -v[82:83]
	v_add_f64 v[6:7], v[6:7], -v[82:83]
	v_add_f64 v[82:83], v[84:85], v[80:81]
	v_add_f64 v[86:87], v[82:83], -v[84:85]
	v_add_f64 v[90:91], v[82:83], -v[86:87]
	;; [unrolled: 1-line block ×4, first 2 shown]
	v_add_f64 v[80:81], v[80:81], v[84:85]
	v_add_f64 v[84:85], v[88:89], v[6:7]
	v_add_f64 v[86:87], v[84:85], -v[88:89]
	v_add_f64 v[80:81], v[84:85], v[80:81]
	v_add_f64 v[90:91], v[84:85], -v[86:87]
	v_add_f64 v[84:85], v[82:83], v[80:81]
	v_add_f64 v[88:89], v[88:89], -v[90:91]
	v_add_f64 v[6:7], v[6:7], -v[86:87]
	v_add_f64 v[82:83], v[84:85], -v[82:83]
	v_add_f64 v[6:7], v[6:7], v[88:89]
	v_add_f64 v[80:81], v[80:81], -v[82:83]
	v_add_f64 v[6:7], v[6:7], v[80:81]
	v_max_f64 v[80:81], |v[12:13]|, |v[12:13]|
	v_max_f64 v[82:83], |v[10:11]|, |v[10:11]|
	v_add_f64 v[6:7], v[84:85], v[6:7]
	v_max_f64 v[84:85], v[82:83], v[80:81]
	v_min_f64 v[80:81], v[82:83], v[80:81]
	v_div_scale_f64 v[82:83], s[58:59], v[84:85], v[84:85], v[80:81]
	v_cmp_eq_f64_e32 vcc, s[30:31], v[78:79]
	v_rcp_f64_e32 v[86:87], v[82:83]
	v_cndmask_b32_e32 v7, v7, v79, vcc
	v_cndmask_b32_e32 v6, v6, v78, vcc
	v_mul_f64 v[6:7], v[6:7], 0.5
	v_cmp_ngt_f64_e32 vcc, -1.0, v[78:79]
	v_cndmask_b32_e32 v1, v107, v7, vcc
	v_cmp_nge_f64_e32 vcc, -1.0, v[78:79]
	v_cndmask_b32_e32 v6, 0, v6, vcc
	v_cmp_neq_f64_e32 vcc, -1.0, v[78:79]
	v_fma_f64 v[78:79], -v[82:83], v[86:87], 1.0
	v_fmac_f64_e32 v[86:87], v[86:87], v[78:79]
	v_fma_f64 v[78:79], -v[82:83], v[86:87], 1.0
	v_cndmask_b32_e32 v7, v108, v1, vcc
	v_fmac_f64_e32 v[86:87], v[86:87], v[78:79]
	v_div_scale_f64 v[78:79], vcc, v[80:81], v[84:85], v[80:81]
	v_mul_f64 v[88:89], v[78:79], v[86:87]
	v_fma_f64 v[78:79], -v[82:83], v[88:89], v[78:79]
	v_pk_mov_b32 v[82:83], v[32:33], v[32:33] op_sel:[0,1]
	s_nop 0
	v_div_fmas_f64 v[78:79], v[78:79], v[86:87], v[88:89]
	v_div_fixup_f64 v[78:79], v[78:79], v[84:85], v[80:81]
	v_mul_f64 v[80:81], v[78:79], v[78:79]
	v_fmac_f64_e32 v[82:83], s[34:35], v[80:81]
	v_pk_mov_b32 v[84:85], v[34:35], v[34:35] op_sel:[0,1]
	v_fmac_f64_e32 v[84:85], v[80:81], v[82:83]
	v_pk_mov_b32 v[82:83], v[36:37], v[36:37] op_sel:[0,1]
	;; [unrolled: 2-line block ×18, first 2 shown]
	v_fmac_f64_e32 v[82:83], v[80:81], v[84:85]
	v_mul_f64 v[80:81], v[80:81], v[82:83]
	v_fmac_f64_e32 v[78:79], v[78:79], v[80:81]
	v_cmp_class_f64_e64 s[60:61], v[10:11], s67
	v_ashrrev_i32_e32 v10, 31, v11
	v_cmp_gt_i32_e32 vcc, 0, v11
	v_and_b32_e32 v19, 0x400921fb, v10
	v_and_b32_e32 v80, 0x54442d18, v10
	v_add_f64 v[10:11], -v[78:79], s[36:37]
	v_cndmask_b32_e64 v11, v79, v11, s[0:1]
	v_cndmask_b32_e64 v10, v78, v10, s[0:1]
	s_mov_b32 s38, s36
	v_add_f64 v[78:79], -v[10:11], s[38:39]
	v_cmp_class_f64_e64 s[58:59], v[12:13], s67
	v_cndmask_b32_e32 v1, v109, v110, vcc
	v_cndmask_b32_e32 v8, v111, v112, vcc
	v_cndmask_b32_e32 v11, v11, v79, vcc
	v_cndmask_b32_e32 v10, v10, v78, vcc
	v_cmp_eq_f64_e32 vcc, 0, v[12:13]
	v_bfi_b32 v8, s8, v8, v13
	v_cndmask_b32_e32 v10, v10, v80, vcc
	v_cndmask_b32_e32 v11, v11, v19, vcc
	s_and_b64 vcc, s[60:61], s[58:59]
	v_cndmask_b32_e32 v79, v11, v8, vcc
	v_cndmask_b32_e32 v78, v10, v1, vcc
                                        ; implicit-def: $vgpr80_vgpr81
                                        ; implicit-def: $vgpr84_vgpr85
.LBB180_45:                             ;   in Loop: Header=BB180_5 Depth=1
	s_andn2_saveexec_b64 s[58:59], s[2:3]
	s_cbranch_execz .LBB180_53
; %bb.46:                               ;   in Loop: Header=BB180_5 Depth=1
	v_mul_f64 v[82:83], v[80:81], v[80:81]
	v_fmac_f64_e32 v[82:83], v[84:85], v[84:85]
	v_cmp_ge_f64_e32 vcc, s[40:41], v[82:83]
                                        ; implicit-def: $vgpr6_vgpr7
                                        ; implicit-def: $vgpr78_vgpr79
	s_and_saveexec_b64 s[2:3], vcc
	s_xor_b64 s[2:3], exec, s[2:3]
	s_cbranch_execz .LBB180_48
; %bb.47:                               ;   in Loop: Header=BB180_5 Depth=1
	v_frexp_mant_f64_e32 v[6:7], v[82:83]
	v_cmp_gt_f64_e32 vcc, s[22:23], v[6:7]
	v_cndmask_b32_e64 v19, v113, 2.0, vcc
	v_mul_f64 v[6:7], v[6:7], v[18:19]
	v_add_f64 v[78:79], v[6:7], 1.0
	v_rcp_f64_e32 v[80:81], v[78:79]
	v_add_f64 v[86:87], v[78:79], -1.0
	v_add_f64 v[84:85], v[6:7], -1.0
	v_add_f64 v[6:7], v[6:7], -v[86:87]
	v_fma_f64 v[86:87], -v[78:79], v[80:81], 1.0
	v_fmac_f64_e32 v[80:81], v[86:87], v[80:81]
	v_fma_f64 v[86:87], -v[78:79], v[80:81], 1.0
	v_fmac_f64_e32 v[80:81], v[86:87], v[80:81]
	v_mul_f64 v[86:87], v[84:85], v[80:81]
	v_mul_f64 v[88:89], v[78:79], v[86:87]
	v_fma_f64 v[78:79], v[86:87], v[78:79], -v[88:89]
	v_fmac_f64_e32 v[78:79], v[86:87], v[6:7]
	v_add_f64 v[6:7], v[88:89], v[78:79]
	v_add_f64 v[90:91], v[84:85], -v[6:7]
	v_add_f64 v[88:89], v[6:7], -v[88:89]
	;; [unrolled: 1-line block ×5, first 2 shown]
	v_add_f64 v[6:7], v[78:79], v[6:7]
	v_add_f64 v[6:7], v[90:91], v[6:7]
	v_mul_f64 v[6:7], v[80:81], v[6:7]
	v_add_f64 v[78:79], v[86:87], v[6:7]
	v_add_f64 v[80:81], v[78:79], -v[86:87]
	v_add_f64 v[6:7], v[6:7], -v[80:81]
	v_mul_f64 v[80:81], v[78:79], v[78:79]
	v_pk_mov_b32 v[84:85], v[20:21], v[20:21] op_sel:[0,1]
	v_fmac_f64_e32 v[84:85], s[24:25], v[80:81]
	v_pk_mov_b32 v[86:87], v[22:23], v[22:23] op_sel:[0,1]
	v_fmac_f64_e32 v[86:87], v[80:81], v[84:85]
	;; [unrolled: 2-line block ×6, first 2 shown]
	v_ldexp_f64 v[84:85], v[78:79], 1
	v_mul_f64 v[78:79], v[78:79], v[80:81]
	v_mul_f64 v[78:79], v[78:79], v[86:87]
	v_add_f64 v[80:81], v[84:85], v[78:79]
	v_add_f64 v[84:85], v[80:81], -v[84:85]
	v_ldexp_f64 v[6:7], v[6:7], 1
	v_add_f64 v[78:79], v[78:79], -v[84:85]
	v_add_f64 v[6:7], v[6:7], v[78:79]
	v_frexp_exp_i32_f64_e32 v1, v[82:83]
	v_add_f64 v[78:79], v[80:81], v[6:7]
	v_subbrev_co_u32_e32 v1, vcc, 0, v1, vcc
	v_add_f64 v[80:81], v[78:79], -v[80:81]
	v_add_f64 v[6:7], v[6:7], -v[80:81]
	v_cvt_f64_i32_e32 v[80:81], v1
	v_mul_f64 v[84:85], v[80:81], s[26:27]
	v_fma_f64 v[86:87], v[80:81], s[26:27], -v[84:85]
	v_fmac_f64_e32 v[86:87], s[28:29], v[80:81]
	v_add_f64 v[80:81], v[84:85], v[86:87]
	v_add_f64 v[84:85], v[80:81], -v[84:85]
	v_add_f64 v[84:85], v[86:87], -v[84:85]
	v_add_f64 v[86:87], v[80:81], v[78:79]
	v_add_f64 v[88:89], v[86:87], -v[80:81]
	v_add_f64 v[90:91], v[86:87], -v[88:89]
	;; [unrolled: 1-line block ×4, first 2 shown]
	v_add_f64 v[78:79], v[78:79], v[80:81]
	v_add_f64 v[80:81], v[84:85], v[6:7]
	v_add_f64 v[88:89], v[80:81], -v[84:85]
	v_add_f64 v[90:91], v[80:81], -v[88:89]
	v_add_f64 v[78:79], v[80:81], v[78:79]
	v_add_f64 v[84:85], v[84:85], -v[90:91]
	v_add_f64 v[6:7], v[6:7], -v[88:89]
	v_add_f64 v[80:81], v[86:87], v[78:79]
	v_add_f64 v[6:7], v[6:7], v[84:85]
	v_add_f64 v[84:85], v[80:81], -v[86:87]
	v_add_f64 v[78:79], v[78:79], -v[84:85]
	v_add_f64 v[6:7], v[6:7], v[78:79]
	v_add_f64 v[6:7], v[80:81], v[6:7]
	v_max_f64 v[78:79], |v[12:13]|, |v[12:13]|
	v_max_f64 v[80:81], |v[10:11]|, |v[10:11]|
	v_max_f64 v[84:85], v[80:81], v[78:79]
	v_min_f64 v[78:79], v[80:81], v[78:79]
	v_div_scale_f64 v[80:81], s[60:61], v[84:85], v[84:85], v[78:79]
	v_rcp_f64_e32 v[86:87], v[80:81]
	v_cmp_neq_f64_e32 vcc, 0, v[82:83]
	v_mul_f64 v[6:7], v[6:7], 0.5
	v_cndmask_b32_e32 v7, v108, v7, vcc
	v_fma_f64 v[82:83], -v[80:81], v[86:87], 1.0
	v_fmac_f64_e32 v[86:87], v[86:87], v[82:83]
	v_fma_f64 v[82:83], -v[80:81], v[86:87], 1.0
	v_cndmask_b32_e32 v6, 0, v6, vcc
	v_fmac_f64_e32 v[86:87], v[86:87], v[82:83]
	v_div_scale_f64 v[82:83], vcc, v[78:79], v[84:85], v[78:79]
	v_mul_f64 v[88:89], v[82:83], v[86:87]
	v_fma_f64 v[80:81], -v[80:81], v[88:89], v[82:83]
	v_pk_mov_b32 v[82:83], v[32:33], v[32:33] op_sel:[0,1]
	s_nop 0
	v_div_fmas_f64 v[80:81], v[80:81], v[86:87], v[88:89]
	v_div_fixup_f64 v[78:79], v[80:81], v[84:85], v[78:79]
	v_mul_f64 v[80:81], v[78:79], v[78:79]
	v_fmac_f64_e32 v[82:83], s[34:35], v[80:81]
	v_pk_mov_b32 v[84:85], v[34:35], v[34:35] op_sel:[0,1]
	v_fmac_f64_e32 v[84:85], v[80:81], v[82:83]
	v_pk_mov_b32 v[82:83], v[36:37], v[36:37] op_sel:[0,1]
	;; [unrolled: 2-line block ×18, first 2 shown]
	v_fmac_f64_e32 v[82:83], v[80:81], v[84:85]
	v_mul_f64 v[80:81], v[80:81], v[82:83]
	v_fmac_f64_e32 v[78:79], v[78:79], v[80:81]
	v_cmp_class_f64_e64 s[62:63], v[10:11], s67
	v_ashrrev_i32_e32 v10, 31, v11
	v_cmp_gt_i32_e32 vcc, 0, v11
	v_and_b32_e32 v19, 0x400921fb, v10
	v_and_b32_e32 v80, 0x54442d18, v10
	v_add_f64 v[10:11], -v[78:79], s[36:37]
	v_cndmask_b32_e64 v11, v79, v11, s[0:1]
	v_cndmask_b32_e64 v10, v78, v10, s[0:1]
	s_mov_b32 s38, s36
	v_add_f64 v[78:79], -v[10:11], s[38:39]
	v_cmp_class_f64_e64 s[60:61], v[12:13], s67
	v_cndmask_b32_e32 v1, v109, v110, vcc
	v_cndmask_b32_e32 v8, v111, v112, vcc
	;; [unrolled: 1-line block ×4, first 2 shown]
	v_cmp_eq_f64_e32 vcc, 0, v[12:13]
	v_bfi_b32 v8, s8, v8, v13
	v_cndmask_b32_e32 v10, v10, v80, vcc
	v_cndmask_b32_e32 v11, v11, v19, vcc
	s_and_b64 vcc, s[62:63], s[60:61]
	v_cndmask_b32_e32 v79, v11, v8, vcc
	v_cndmask_b32_e32 v78, v10, v1, vcc
                                        ; implicit-def: $vgpr84_vgpr85
                                        ; implicit-def: $vgpr80_vgpr81
.LBB180_48:                             ;   in Loop: Header=BB180_5 Depth=1
	s_andn2_saveexec_b64 s[60:61], s[2:3]
	s_cbranch_execz .LBB180_52
; %bb.49:                               ;   in Loop: Header=BB180_5 Depth=1
	v_and_b32_e32 v19, 0x7ffffff8, v85
	v_add_f64 v[6:7], v[84:85], -v[18:19]
	v_and_b32_e32 v93, -8, v7
	v_mov_b32_e32 v92, v18
	v_and_b32_e32 v83, 0x7ffffff8, v81
	v_mov_b32_e32 v82, v18
	v_add_f64 v[96:97], v[6:7], -v[92:93]
	v_add_f64 v[6:7], v[80:81], -v[82:83]
	v_and_b32_e32 v95, -8, v7
	v_mov_b32_e32 v94, v18
	v_add_f64 v[86:87], v[18:19], v[18:19]
	v_add_f64 v[100:101], v[82:83], v[82:83]
	v_add_f64 v[98:99], v[6:7], -v[94:95]
	v_mul_f64 v[78:79], v[82:83], v[82:83]
	v_mul_f64 v[84:85], v[86:87], v[92:93]
	;; [unrolled: 1-line block ×5, first 2 shown]
	v_add_f64 v[92:93], v[92:93], v[92:93]
	v_add_f64 v[94:95], v[94:95], v[94:95]
	v_mul_f64 v[6:7], v[18:19], v[18:19]
	v_mul_f64 v[88:89], v[86:87], v[96:97]
	;; [unrolled: 1-line block ×7, first 2 shown]
	s_mov_b64 s[62:63], 0
.LBB180_50:                             ;   Parent Loop BB180_5 Depth=1
                                        ; =>  This Inner Loop Header: Depth=2
	v_cmp_nlt_f64_e32 vcc, v[6:7], v[78:79]
	v_cndmask_b32_e32 v101, v7, v79, vcc
	v_cndmask_b32_e32 v100, v6, v78, vcc
	v_cmp_nlt_f64_e64 s[2:3], v[100:101], v[84:85]
	v_cndmask_b32_e64 v103, v101, v85, s[2:3]
	v_cndmask_b32_e64 v102, v100, v84, s[2:3]
	v_cndmask_b32_e32 v7, v79, v7, vcc
	v_cndmask_b32_e32 v6, v78, v6, vcc
	s_and_b64 s[64:65], vcc, s[2:3]
	v_cmp_nlt_f64_e32 vcc, v[102:103], v[82:83]
	v_cndmask_b32_e64 v79, v85, v101, s[2:3]
	v_cndmask_b32_e64 v78, v84, v100, s[2:3]
	v_cndmask_b32_e32 v101, v103, v83, vcc
	v_cndmask_b32_e32 v100, v102, v82, vcc
	v_cmp_nlt_f64_e64 s[2:3], v[100:101], v[90:91]
	v_cndmask_b32_e32 v85, v83, v103, vcc
	v_cndmask_b32_e32 v84, v82, v102, vcc
	v_cndmask_b32_e64 v103, v101, v91, s[2:3]
	v_cndmask_b32_e64 v102, v100, v90, s[2:3]
	s_and_b64 s[72:73], vcc, s[2:3]
	v_cmp_nlt_f64_e32 vcc, v[102:103], v[80:81]
	v_cndmask_b32_e64 v83, v91, v101, s[2:3]
	v_cndmask_b32_e64 v82, v90, v100, s[2:3]
	v_cndmask_b32_e32 v101, v103, v81, vcc
	v_cndmask_b32_e32 v100, v102, v80, vcc
	v_cmp_nlt_f64_e64 s[2:3], v[100:101], v[88:89]
	v_cndmask_b32_e32 v91, v81, v103, vcc
	v_cndmask_b32_e32 v90, v80, v102, vcc
	v_cndmask_b32_e64 v103, v101, v89, s[2:3]
	v_cndmask_b32_e64 v102, v100, v88, s[2:3]
	;; [unrolled: 1-line block ×4, first 2 shown]
	s_and_b64 s[2:3], vcc, s[2:3]
	v_cmp_nlt_f64_e32 vcc, v[102:103], v[86:87]
	v_cndmask_b32_e32 v101, v103, v87, vcc
	v_cndmask_b32_e32 v100, v102, v86, vcc
	v_cndmask_b32_e32 v89, v87, v103, vcc
	v_cndmask_b32_e32 v88, v86, v102, vcc
	s_and_b64 s[2:3], s[2:3], vcc
	v_cmp_nlt_f64_e32 vcc, v[100:101], v[92:93]
	v_cndmask_b32_e32 v103, v101, v93, vcc
	v_cndmask_b32_e32 v102, v100, v92, vcc
	v_cndmask_b32_e32 v87, v93, v101, vcc
	v_cndmask_b32_e32 v86, v92, v100, vcc
	s_and_b64 s[2:3], s[2:3], vcc
	;; [unrolled: 6-line block ×4, first 2 shown]
	v_cmp_nlt_f64_e32 vcc, v[102:103], v[98:99]
	s_and_b64 s[2:3], s[2:3], vcc
	s_and_b64 s[2:3], s[2:3], s[72:73]
	s_and_b64 s[2:3], s[2:3], s[64:65]
	v_cndmask_b32_e32 v101, v103, v99, vcc
	v_cndmask_b32_e32 v100, v102, v98, vcc
	s_and_b64 s[2:3], exec, s[2:3]
	v_cndmask_b32_e32 v97, v99, v103, vcc
	v_cndmask_b32_e32 v96, v98, v102, vcc
	s_or_b64 s[62:63], s[2:3], s[62:63]
	v_pk_mov_b32 v[98:99], v[100:101], v[100:101] op_sel:[0,1]
	s_andn2_b64 exec, exec, s[62:63]
	s_cbranch_execnz .LBB180_50
; %bb.51:                               ;   in Loop: Header=BB180_5 Depth=1
	s_or_b64 exec, exec, s[62:63]
	v_add_f64 v[6:7], v[6:7], -1.0
	v_add_f64 v[6:7], v[6:7], v[78:79]
	v_add_f64 v[6:7], v[6:7], v[84:85]
	;; [unrolled: 1-line block ×11, first 2 shown]
	v_add_f64 v[6:7], v[78:79], 1.0
	v_add_f64 v[80:81], v[6:7], -1.0
	v_add_f64 v[82:83], v[80:81], -v[6:7]
	v_add_f64 v[82:83], v[82:83], 1.0
	v_add_f64 v[80:81], v[78:79], -v[80:81]
	v_add_f64 v[80:81], v[80:81], v[82:83]
	v_frexp_mant_f64_e32 v[82:83], v[6:7]
	v_frexp_exp_i32_f64_e32 v1, v[6:7]
	v_cmp_gt_f64_e32 vcc, s[22:23], v[82:83]
	v_subbrev_co_u32_e32 v1, vcc, 0, v1, vcc
	v_sub_u32_e32 v8, 0, v1
	v_ldexp_f64 v[6:7], v[6:7], v8
	v_add_f64 v[82:83], v[6:7], -1.0
	v_add_f64 v[88:89], v[6:7], 1.0
	v_add_f64 v[84:85], v[82:83], 1.0
	v_add_f64 v[90:91], v[88:89], -1.0
	v_ldexp_f64 v[80:81], v[80:81], v8
	v_add_f64 v[84:85], v[6:7], -v[84:85]
	v_add_f64 v[6:7], v[6:7], -v[90:91]
	v_add_f64 v[6:7], v[80:81], v[6:7]
	v_add_f64 v[84:85], v[80:81], v[84:85]
	;; [unrolled: 1-line block ×3, first 2 shown]
	v_rcp_f64_e32 v[90:91], v[80:81]
	v_add_f64 v[86:87], v[82:83], v[84:85]
	v_add_f64 v[82:83], v[86:87], -v[82:83]
	v_add_f64 v[82:83], v[84:85], -v[82:83]
	;; [unrolled: 1-line block ×4, first 2 shown]
	v_fma_f64 v[84:85], -v[80:81], v[90:91], 1.0
	v_fmac_f64_e32 v[90:91], v[84:85], v[90:91]
	v_fma_f64 v[84:85], -v[80:81], v[90:91], 1.0
	v_fmac_f64_e32 v[90:91], v[84:85], v[90:91]
	v_mul_f64 v[84:85], v[86:87], v[90:91]
	v_mul_f64 v[88:89], v[80:81], v[84:85]
	v_fma_f64 v[92:93], v[84:85], v[80:81], -v[88:89]
	v_fmac_f64_e32 v[92:93], v[84:85], v[6:7]
	v_add_f64 v[94:95], v[88:89], v[92:93]
	v_add_f64 v[96:97], v[86:87], -v[94:95]
	v_add_f64 v[86:87], v[86:87], -v[96:97]
	;; [unrolled: 1-line block ×4, first 2 shown]
	v_add_f64 v[82:83], v[82:83], v[86:87]
	v_add_f64 v[86:87], v[88:89], -v[92:93]
	v_add_f64 v[82:83], v[86:87], v[82:83]
	v_add_f64 v[86:87], v[96:97], v[82:83]
	v_add_f64 v[88:89], v[96:97], -v[86:87]
	v_add_f64 v[82:83], v[82:83], v[88:89]
	v_mul_f64 v[88:89], v[90:91], v[86:87]
	v_mul_f64 v[92:93], v[80:81], v[88:89]
	v_fma_f64 v[80:81], v[88:89], v[80:81], -v[92:93]
	v_fmac_f64_e32 v[80:81], v[88:89], v[6:7]
	v_add_f64 v[6:7], v[92:93], v[80:81]
	v_add_f64 v[94:95], v[86:87], -v[6:7]
	v_add_f64 v[86:87], v[86:87], -v[94:95]
	;; [unrolled: 1-line block ×4, first 2 shown]
	v_add_f64 v[6:7], v[82:83], v[6:7]
	v_add_f64 v[80:81], v[92:93], -v[80:81]
	v_add_f64 v[6:7], v[80:81], v[6:7]
	v_add_f64 v[80:81], v[84:85], v[88:89]
	;; [unrolled: 1-line block ×3, first 2 shown]
	v_add_f64 v[82:83], v[80:81], -v[84:85]
	v_mul_f64 v[6:7], v[90:91], v[6:7]
	v_add_f64 v[82:83], v[88:89], -v[82:83]
	v_add_f64 v[6:7], v[82:83], v[6:7]
	v_add_f64 v[82:83], v[80:81], v[6:7]
	v_add_f64 v[80:81], v[82:83], -v[80:81]
	v_add_f64 v[6:7], v[6:7], -v[80:81]
	v_mul_f64 v[80:81], v[82:83], v[82:83]
	v_pk_mov_b32 v[84:85], v[20:21], v[20:21] op_sel:[0,1]
	v_fmac_f64_e32 v[84:85], s[24:25], v[80:81]
	v_pk_mov_b32 v[86:87], v[22:23], v[22:23] op_sel:[0,1]
	v_fmac_f64_e32 v[86:87], v[80:81], v[84:85]
	;; [unrolled: 2-line block ×6, first 2 shown]
	v_cvt_f64_i32_e32 v[84:85], v1
	v_mul_f64 v[88:89], v[84:85], s[26:27]
	v_fma_f64 v[90:91], v[84:85], s[26:27], -v[88:89]
	v_fmac_f64_e32 v[90:91], s[28:29], v[84:85]
	v_add_f64 v[84:85], v[88:89], v[90:91]
	v_add_f64 v[88:89], v[84:85], -v[88:89]
	v_mul_f64 v[80:81], v[82:83], v[80:81]
	v_add_f64 v[88:89], v[90:91], -v[88:89]
	v_ldexp_f64 v[90:91], v[82:83], 1
	v_mul_f64 v[80:81], v[80:81], v[86:87]
	v_add_f64 v[82:83], v[90:91], v[80:81]
	v_add_f64 v[86:87], v[82:83], -v[90:91]
	v_ldexp_f64 v[6:7], v[6:7], 1
	v_add_f64 v[80:81], v[80:81], -v[86:87]
	v_add_f64 v[6:7], v[6:7], v[80:81]
	v_add_f64 v[80:81], v[82:83], v[6:7]
	v_add_f64 v[82:83], v[80:81], -v[82:83]
	v_add_f64 v[6:7], v[6:7], -v[82:83]
	v_add_f64 v[82:83], v[84:85], v[80:81]
	v_add_f64 v[86:87], v[82:83], -v[84:85]
	v_add_f64 v[90:91], v[82:83], -v[86:87]
	;; [unrolled: 1-line block ×4, first 2 shown]
	v_add_f64 v[80:81], v[80:81], v[84:85]
	v_add_f64 v[84:85], v[88:89], v[6:7]
	v_add_f64 v[86:87], v[84:85], -v[88:89]
	v_add_f64 v[80:81], v[84:85], v[80:81]
	v_add_f64 v[90:91], v[84:85], -v[86:87]
	;; [unrolled: 2-line block ×3, first 2 shown]
	v_add_f64 v[6:7], v[6:7], -v[86:87]
	v_add_f64 v[82:83], v[84:85], -v[82:83]
	v_add_f64 v[6:7], v[6:7], v[88:89]
	v_add_f64 v[80:81], v[80:81], -v[82:83]
	v_add_f64 v[6:7], v[6:7], v[80:81]
	v_max_f64 v[80:81], |v[12:13]|, |v[12:13]|
	v_max_f64 v[82:83], |v[10:11]|, |v[10:11]|
	v_add_f64 v[6:7], v[84:85], v[6:7]
	v_max_f64 v[84:85], v[82:83], v[80:81]
	v_min_f64 v[80:81], v[82:83], v[80:81]
	v_div_scale_f64 v[82:83], s[2:3], v[84:85], v[84:85], v[80:81]
	v_cmp_eq_f64_e32 vcc, s[30:31], v[78:79]
	v_rcp_f64_e32 v[86:87], v[82:83]
	v_cndmask_b32_e32 v7, v7, v79, vcc
	v_cndmask_b32_e32 v6, v6, v78, vcc
	v_mul_f64 v[6:7], v[6:7], 0.5
	v_cmp_ngt_f64_e32 vcc, -1.0, v[78:79]
	v_cndmask_b32_e32 v1, v107, v7, vcc
	v_cmp_nge_f64_e32 vcc, -1.0, v[78:79]
	v_cndmask_b32_e32 v6, 0, v6, vcc
	v_cmp_neq_f64_e32 vcc, -1.0, v[78:79]
	v_fma_f64 v[78:79], -v[82:83], v[86:87], 1.0
	v_fmac_f64_e32 v[86:87], v[86:87], v[78:79]
	v_fma_f64 v[78:79], -v[82:83], v[86:87], 1.0
	v_cndmask_b32_e32 v7, v108, v1, vcc
	v_fmac_f64_e32 v[86:87], v[86:87], v[78:79]
	v_div_scale_f64 v[78:79], vcc, v[80:81], v[84:85], v[80:81]
	v_mul_f64 v[88:89], v[78:79], v[86:87]
	v_fma_f64 v[78:79], -v[82:83], v[88:89], v[78:79]
	v_pk_mov_b32 v[82:83], v[32:33], v[32:33] op_sel:[0,1]
	s_nop 0
	v_div_fmas_f64 v[78:79], v[78:79], v[86:87], v[88:89]
	v_div_fixup_f64 v[78:79], v[78:79], v[84:85], v[80:81]
	v_mul_f64 v[80:81], v[78:79], v[78:79]
	v_fmac_f64_e32 v[82:83], s[34:35], v[80:81]
	v_pk_mov_b32 v[84:85], v[34:35], v[34:35] op_sel:[0,1]
	v_fmac_f64_e32 v[84:85], v[80:81], v[82:83]
	v_pk_mov_b32 v[82:83], v[36:37], v[36:37] op_sel:[0,1]
	;; [unrolled: 2-line block ×18, first 2 shown]
	v_fmac_f64_e32 v[82:83], v[80:81], v[84:85]
	v_mul_f64 v[80:81], v[80:81], v[82:83]
	v_fmac_f64_e32 v[78:79], v[78:79], v[80:81]
	v_cmp_class_f64_e64 s[62:63], v[10:11], s67
	v_ashrrev_i32_e32 v10, 31, v11
	v_cmp_gt_i32_e32 vcc, 0, v11
	v_and_b32_e32 v19, 0x400921fb, v10
	v_and_b32_e32 v80, 0x54442d18, v10
	v_add_f64 v[10:11], -v[78:79], s[36:37]
	v_cndmask_b32_e64 v11, v79, v11, s[0:1]
	v_cndmask_b32_e64 v10, v78, v10, s[0:1]
	s_mov_b32 s38, s36
	v_add_f64 v[78:79], -v[10:11], s[38:39]
	v_cmp_class_f64_e64 s[2:3], v[12:13], s67
	v_cndmask_b32_e32 v1, v109, v110, vcc
	v_cndmask_b32_e32 v8, v111, v112, vcc
	;; [unrolled: 1-line block ×4, first 2 shown]
	v_cmp_eq_f64_e32 vcc, 0, v[12:13]
	v_bfi_b32 v8, s8, v8, v13
	v_cndmask_b32_e32 v10, v10, v80, vcc
	v_cndmask_b32_e32 v11, v11, v19, vcc
	s_and_b64 vcc, s[62:63], s[2:3]
	v_cndmask_b32_e32 v79, v11, v8, vcc
	v_cndmask_b32_e32 v78, v10, v1, vcc
.LBB180_52:                             ;   in Loop: Header=BB180_5 Depth=1
	s_or_b64 exec, exec, s[60:61]
.LBB180_53:                             ;   in Loop: Header=BB180_5 Depth=1
	s_or_b64 exec, exec, s[58:59]
.LBB180_54:                             ;   in Loop: Header=BB180_5 Depth=1
	s_andn2_saveexec_b64 s[56:57], s[56:57]
	s_cbranch_execz .LBB180_56
; %bb.55:                               ;   in Loop: Header=BB180_5 Depth=1
	v_max_f64 v[6:7], |v[12:13]|, |v[12:13]|
	v_max_f64 v[78:79], |v[10:11]|, |v[10:11]|
	v_max_f64 v[80:81], v[78:79], v[6:7]
	v_frexp_exp_i32_f64_e32 v1, v[80:81]
	v_sub_u32_e32 v8, 0, v1
	v_ldexp_f64 v[84:85], |v[12:13]|, v8
	v_ldexp_f64 v[82:83], |v[10:11]|, v8
	v_mul_f64 v[84:85], v[84:85], v[84:85]
	v_fmac_f64_e32 v[84:85], v[82:83], v[82:83]
	v_rsq_f64_e32 v[82:83], v[84:85]
	v_cmp_eq_f64_e32 vcc, 0, v[84:85]
	v_cmp_class_f64_e64 s[58:59], v[10:11], s67
	v_cmp_class_f64_e64 s[60:61], v[12:13], s67
	v_mul_f64 v[86:87], v[84:85], v[82:83]
	v_mul_f64 v[82:83], v[82:83], 0.5
	v_fma_f64 v[88:89], -v[82:83], v[86:87], 0.5
	v_fmac_f64_e32 v[86:87], v[86:87], v[88:89]
	v_fmac_f64_e32 v[82:83], v[82:83], v[88:89]
	v_fma_f64 v[88:89], -v[86:87], v[86:87], v[84:85]
	v_fmac_f64_e32 v[86:87], v[88:89], v[82:83]
	v_cndmask_b32_e32 v83, v87, v85, vcc
	v_cndmask_b32_e32 v82, v86, v84, vcc
	v_ldexp_f64 v[82:83], v[82:83], v1
	s_or_b64 vcc, s[58:59], s[60:61]
	v_cndmask_b32_e32 v85, v83, v114, vcc
	v_cndmask_b32_e64 v84, v82, 0, vcc
	v_frexp_mant_f64_e32 v[86:87], v[84:85]
	v_cmp_gt_f64_e64 s[2:3], s[22:23], v[86:87]
	v_cndmask_b32_e64 v19, v113, 2.0, s[2:3]
	v_mul_f64 v[86:87], v[86:87], v[18:19]
	v_add_f64 v[88:89], v[86:87], 1.0
	v_rcp_f64_e32 v[90:91], v[88:89]
	v_add_f64 v[94:95], v[88:89], -1.0
	v_add_f64 v[92:93], v[86:87], -1.0
	v_add_f64 v[86:87], v[86:87], -v[94:95]
	v_fma_f64 v[94:95], -v[88:89], v[90:91], 1.0
	v_fmac_f64_e32 v[90:91], v[94:95], v[90:91]
	v_fma_f64 v[94:95], -v[88:89], v[90:91], 1.0
	v_fmac_f64_e32 v[90:91], v[94:95], v[90:91]
	v_mul_f64 v[94:95], v[92:93], v[90:91]
	v_mul_f64 v[96:97], v[88:89], v[94:95]
	v_fma_f64 v[88:89], v[94:95], v[88:89], -v[96:97]
	v_fmac_f64_e32 v[88:89], v[94:95], v[86:87]
	v_add_f64 v[86:87], v[96:97], v[88:89]
	v_add_f64 v[98:99], v[92:93], -v[86:87]
	v_add_f64 v[96:97], v[86:87], -v[96:97]
	;; [unrolled: 1-line block ×5, first 2 shown]
	v_add_f64 v[86:87], v[88:89], v[86:87]
	v_add_f64 v[86:87], v[98:99], v[86:87]
	v_mul_f64 v[86:87], v[90:91], v[86:87]
	v_add_f64 v[88:89], v[94:95], v[86:87]
	v_add_f64 v[90:91], v[88:89], -v[94:95]
	v_add_f64 v[86:87], v[86:87], -v[90:91]
	v_mul_f64 v[90:91], v[88:89], v[88:89]
	v_pk_mov_b32 v[92:93], v[20:21], v[20:21] op_sel:[0,1]
	v_fmac_f64_e32 v[92:93], s[24:25], v[90:91]
	v_pk_mov_b32 v[94:95], v[22:23], v[22:23] op_sel:[0,1]
	v_fmac_f64_e32 v[94:95], v[90:91], v[92:93]
	;; [unrolled: 2-line block ×6, first 2 shown]
	v_ldexp_f64 v[92:93], v[88:89], 1
	v_mul_f64 v[88:89], v[88:89], v[90:91]
	v_mul_f64 v[88:89], v[88:89], v[94:95]
	v_add_f64 v[90:91], v[92:93], v[88:89]
	v_add_f64 v[92:93], v[90:91], -v[92:93]
	v_ldexp_f64 v[86:87], v[86:87], 1
	v_add_f64 v[88:89], v[88:89], -v[92:93]
	v_add_f64 v[86:87], v[86:87], v[88:89]
	v_frexp_exp_i32_f64_e32 v1, v[84:85]
	v_add_f64 v[88:89], v[90:91], v[86:87]
	v_subbrev_co_u32_e64 v1, s[2:3], 0, v1, s[2:3]
	v_add_f64 v[90:91], v[88:89], -v[90:91]
	v_add_f64 v[86:87], v[86:87], -v[90:91]
	v_cvt_f64_i32_e32 v[90:91], v1
	v_mul_f64 v[92:93], v[90:91], s[26:27]
	v_fma_f64 v[94:95], v[90:91], s[26:27], -v[92:93]
	v_fmac_f64_e32 v[94:95], s[28:29], v[90:91]
	v_add_f64 v[90:91], v[92:93], v[94:95]
	v_add_f64 v[92:93], v[90:91], -v[92:93]
	v_add_f64 v[92:93], v[94:95], -v[92:93]
	v_add_f64 v[94:95], v[90:91], v[88:89]
	v_add_f64 v[96:97], v[94:95], -v[90:91]
	v_add_f64 v[98:99], v[94:95], -v[96:97]
	;; [unrolled: 1-line block ×4, first 2 shown]
	v_add_f64 v[88:89], v[88:89], v[90:91]
	v_add_f64 v[90:91], v[92:93], v[86:87]
	v_add_f64 v[96:97], v[90:91], -v[92:93]
	v_add_f64 v[98:99], v[90:91], -v[96:97]
	v_add_f64 v[88:89], v[90:91], v[88:89]
	v_add_f64 v[92:93], v[92:93], -v[98:99]
	v_add_f64 v[86:87], v[86:87], -v[96:97]
	v_add_f64 v[90:91], v[94:95], v[88:89]
	v_add_f64 v[86:87], v[86:87], v[92:93]
	v_add_f64 v[92:93], v[90:91], -v[94:95]
	v_add_f64 v[88:89], v[88:89], -v[92:93]
	v_add_f64 v[86:87], v[86:87], v[88:89]
	v_add_f64 v[86:87], v[90:91], v[86:87]
	v_cmp_class_f64_e64 s[2:3], v[82:83], s67
	v_min_f64 v[78:79], v[78:79], v[6:7]
	v_cndmask_b32_e64 v1, v87, v83, s[2:3]
	v_cndmask_b32_e64 v8, v86, v82, s[2:3]
	v_div_scale_f64 v[82:83], s[2:3], v[80:81], v[80:81], v[78:79]
	v_rcp_f64_e32 v[86:87], v[82:83]
	v_cndmask_b32_e64 v8, v8, 0, vcc
	v_cndmask_b32_e32 v1, v1, v114, vcc
	v_cmp_ngt_f64_e32 vcc, 0, v[84:85]
	v_cndmask_b32_e32 v1, v107, v1, vcc
	v_cmp_nge_f64_e32 vcc, 0, v[84:85]
	v_cndmask_b32_e32 v6, 0, v8, vcc
	v_cmp_neq_f64_e32 vcc, 0, v[84:85]
	v_fma_f64 v[84:85], -v[82:83], v[86:87], 1.0
	v_fmac_f64_e32 v[86:87], v[86:87], v[84:85]
	v_fma_f64 v[84:85], -v[82:83], v[86:87], 1.0
	v_cndmask_b32_e32 v7, v108, v1, vcc
	v_fmac_f64_e32 v[86:87], v[86:87], v[84:85]
	v_div_scale_f64 v[84:85], vcc, v[78:79], v[80:81], v[78:79]
	v_mul_f64 v[88:89], v[84:85], v[86:87]
	v_fma_f64 v[82:83], -v[82:83], v[88:89], v[84:85]
	v_pk_mov_b32 v[84:85], v[34:35], v[34:35] op_sel:[0,1]
	s_nop 0
	v_div_fmas_f64 v[82:83], v[82:83], v[86:87], v[88:89]
	v_div_fixup_f64 v[78:79], v[82:83], v[80:81], v[78:79]
	v_mul_f64 v[80:81], v[78:79], v[78:79]
	v_pk_mov_b32 v[82:83], v[32:33], v[32:33] op_sel:[0,1]
	v_fmac_f64_e32 v[82:83], s[34:35], v[80:81]
	v_fmac_f64_e32 v[84:85], v[80:81], v[82:83]
	v_pk_mov_b32 v[82:83], v[36:37], v[36:37] op_sel:[0,1]
	v_fmac_f64_e32 v[82:83], v[80:81], v[84:85]
	v_pk_mov_b32 v[84:85], v[38:39], v[38:39] op_sel:[0,1]
	;; [unrolled: 2-line block ×17, first 2 shown]
	v_fmac_f64_e32 v[82:83], v[80:81], v[84:85]
	v_mul_f64 v[80:81], v[80:81], v[82:83]
	v_fmac_f64_e32 v[78:79], v[78:79], v[80:81]
	v_ashrrev_i32_e32 v10, 31, v11
	v_cmp_gt_i32_e32 vcc, 0, v11
	v_and_b32_e32 v19, 0x400921fb, v10
	v_and_b32_e32 v80, 0x54442d18, v10
	v_add_f64 v[10:11], -v[78:79], s[36:37]
	v_cndmask_b32_e64 v11, v79, v11, s[0:1]
	v_cndmask_b32_e64 v10, v78, v10, s[0:1]
	s_mov_b32 s38, s36
	v_add_f64 v[78:79], -v[10:11], s[38:39]
	v_cndmask_b32_e32 v1, v109, v110, vcc
	v_cndmask_b32_e32 v8, v111, v112, vcc
	;; [unrolled: 1-line block ×4, first 2 shown]
	v_cmp_eq_f64_e32 vcc, 0, v[12:13]
	v_bfi_b32 v8, s8, v8, v13
	v_cndmask_b32_e32 v10, v10, v80, vcc
	v_cndmask_b32_e32 v11, v11, v19, vcc
	s_and_b64 vcc, s[58:59], s[60:61]
	v_cndmask_b32_e32 v79, v11, v8, vcc
	v_cndmask_b32_e32 v78, v10, v1, vcc
.LBB180_56:                             ;   in Loop: Header=BB180_5 Depth=1
	s_or_b64 exec, exec, s[56:57]
                                        ; implicit-def: $vgpr80_vgpr81
.LBB180_57:                             ;   in Loop: Header=BB180_5 Depth=1
	s_andn2_saveexec_b64 s[2:3], s[54:55]
	s_cbranch_execz .LBB180_63
; %bb.58:                               ;   in Loop: Header=BB180_5 Depth=1
	v_cmp_ngt_f64_e32 vcc, s[42:43], v[80:81]
                                        ; implicit-def: $vgpr6_vgpr7
                                        ; implicit-def: $vgpr78_vgpr79
	s_and_saveexec_b64 s[54:55], vcc
	s_xor_b64 s[54:55], exec, s[54:55]
	s_cbranch_execz .LBB180_60
; %bb.59:                               ;   in Loop: Header=BB180_5 Depth=1
	v_mul_f64 v[6:7], v[80:81], v[80:81]
	v_add_f64 v[78:79], v[6:7], 1.0
	v_add_f64 v[80:81], v[78:79], -1.0
	v_add_f64 v[82:83], v[80:81], -v[78:79]
	v_add_f64 v[82:83], v[82:83], 1.0
	v_add_f64 v[80:81], v[6:7], -v[80:81]
	v_add_f64 v[80:81], v[80:81], v[82:83]
	v_frexp_mant_f64_e32 v[82:83], v[78:79]
	v_frexp_exp_i32_f64_e32 v1, v[78:79]
	v_cmp_gt_f64_e32 vcc, s[22:23], v[82:83]
	v_subbrev_co_u32_e32 v1, vcc, 0, v1, vcc
	v_sub_u32_e32 v8, 0, v1
	v_ldexp_f64 v[78:79], v[78:79], v8
	v_add_f64 v[82:83], v[78:79], -1.0
	v_add_f64 v[88:89], v[78:79], 1.0
	v_add_f64 v[84:85], v[82:83], 1.0
	v_add_f64 v[90:91], v[88:89], -1.0
	v_ldexp_f64 v[80:81], v[80:81], v8
	v_add_f64 v[84:85], v[78:79], -v[84:85]
	v_add_f64 v[78:79], v[78:79], -v[90:91]
	v_add_f64 v[78:79], v[80:81], v[78:79]
	v_add_f64 v[84:85], v[80:81], v[84:85]
	;; [unrolled: 1-line block ×3, first 2 shown]
	v_rcp_f64_e32 v[90:91], v[80:81]
	v_add_f64 v[86:87], v[82:83], v[84:85]
	v_add_f64 v[82:83], v[82:83], -v[86:87]
	v_add_f64 v[82:83], v[84:85], v[82:83]
	v_add_f64 v[84:85], v[88:89], -v[80:81]
	v_add_f64 v[78:79], v[78:79], v[84:85]
	v_fma_f64 v[84:85], -v[80:81], v[90:91], 1.0
	v_fmac_f64_e32 v[90:91], v[84:85], v[90:91]
	v_fma_f64 v[84:85], -v[80:81], v[90:91], 1.0
	v_fmac_f64_e32 v[90:91], v[84:85], v[90:91]
	v_mul_f64 v[84:85], v[86:87], v[90:91]
	v_mul_f64 v[88:89], v[80:81], v[84:85]
	v_fma_f64 v[92:93], v[84:85], v[80:81], -v[88:89]
	v_fmac_f64_e32 v[92:93], v[84:85], v[78:79]
	v_add_f64 v[94:95], v[88:89], v[92:93]
	v_add_f64 v[96:97], v[86:87], -v[94:95]
	v_add_f64 v[86:87], v[86:87], -v[96:97]
	v_add_f64 v[88:89], v[94:95], -v[88:89]
	v_add_f64 v[86:87], v[86:87], -v[94:95]
	v_add_f64 v[82:83], v[82:83], v[86:87]
	v_add_f64 v[86:87], v[88:89], -v[92:93]
	v_add_f64 v[82:83], v[86:87], v[82:83]
	v_add_f64 v[86:87], v[96:97], v[82:83]
	v_add_f64 v[88:89], v[96:97], -v[86:87]
	v_add_f64 v[82:83], v[82:83], v[88:89]
	v_mul_f64 v[88:89], v[90:91], v[86:87]
	v_mul_f64 v[92:93], v[80:81], v[88:89]
	v_fma_f64 v[80:81], v[88:89], v[80:81], -v[92:93]
	v_fmac_f64_e32 v[80:81], v[88:89], v[78:79]
	v_add_f64 v[78:79], v[92:93], v[80:81]
	v_add_f64 v[94:95], v[86:87], -v[78:79]
	v_add_f64 v[86:87], v[86:87], -v[94:95]
	;; [unrolled: 1-line block ×4, first 2 shown]
	v_add_f64 v[78:79], v[82:83], v[78:79]
	v_add_f64 v[80:81], v[92:93], -v[80:81]
	v_add_f64 v[78:79], v[80:81], v[78:79]
	v_add_f64 v[80:81], v[84:85], v[88:89]
	;; [unrolled: 1-line block ×3, first 2 shown]
	v_add_f64 v[82:83], v[80:81], -v[84:85]
	v_mul_f64 v[78:79], v[90:91], v[78:79]
	v_add_f64 v[82:83], v[88:89], -v[82:83]
	v_add_f64 v[78:79], v[82:83], v[78:79]
	v_add_f64 v[82:83], v[80:81], v[78:79]
	v_add_f64 v[80:81], v[82:83], -v[80:81]
	v_add_f64 v[78:79], v[78:79], -v[80:81]
	v_mul_f64 v[80:81], v[82:83], v[82:83]
	v_pk_mov_b32 v[84:85], v[20:21], v[20:21] op_sel:[0,1]
	v_fmac_f64_e32 v[84:85], s[24:25], v[80:81]
	v_pk_mov_b32 v[86:87], v[22:23], v[22:23] op_sel:[0,1]
	v_fmac_f64_e32 v[86:87], v[80:81], v[84:85]
	;; [unrolled: 2-line block ×6, first 2 shown]
	v_cvt_f64_i32_e32 v[84:85], v1
	v_mul_f64 v[88:89], v[84:85], s[26:27]
	v_fma_f64 v[90:91], v[84:85], s[26:27], -v[88:89]
	v_fmac_f64_e32 v[90:91], s[28:29], v[84:85]
	v_add_f64 v[84:85], v[88:89], v[90:91]
	v_add_f64 v[88:89], v[84:85], -v[88:89]
	v_mul_f64 v[80:81], v[82:83], v[80:81]
	v_add_f64 v[88:89], v[90:91], -v[88:89]
	v_ldexp_f64 v[90:91], v[82:83], 1
	v_mul_f64 v[80:81], v[80:81], v[86:87]
	v_add_f64 v[82:83], v[90:91], v[80:81]
	v_add_f64 v[86:87], v[82:83], -v[90:91]
	v_ldexp_f64 v[78:79], v[78:79], 1
	v_add_f64 v[80:81], v[80:81], -v[86:87]
	v_add_f64 v[78:79], v[78:79], v[80:81]
	v_add_f64 v[80:81], v[82:83], v[78:79]
	v_add_f64 v[82:83], v[80:81], -v[82:83]
	v_add_f64 v[78:79], v[78:79], -v[82:83]
	v_add_f64 v[82:83], v[84:85], v[80:81]
	v_add_f64 v[86:87], v[82:83], -v[84:85]
	v_add_f64 v[90:91], v[82:83], -v[86:87]
	;; [unrolled: 1-line block ×4, first 2 shown]
	v_add_f64 v[80:81], v[80:81], v[84:85]
	v_add_f64 v[84:85], v[88:89], v[78:79]
	v_add_f64 v[86:87], v[84:85], -v[88:89]
	v_add_f64 v[80:81], v[84:85], v[80:81]
	v_add_f64 v[90:91], v[84:85], -v[86:87]
	;; [unrolled: 2-line block ×3, first 2 shown]
	v_add_f64 v[78:79], v[78:79], -v[86:87]
	v_add_f64 v[82:83], v[84:85], -v[82:83]
	v_add_f64 v[78:79], v[78:79], v[88:89]
	v_add_f64 v[80:81], v[80:81], -v[82:83]
	v_add_f64 v[78:79], v[78:79], v[80:81]
	v_max_f64 v[80:81], |v[12:13]|, |v[12:13]|
	v_max_f64 v[82:83], |v[10:11]|, |v[10:11]|
	v_add_f64 v[78:79], v[84:85], v[78:79]
	v_max_f64 v[84:85], v[82:83], v[80:81]
	v_min_f64 v[80:81], v[82:83], v[80:81]
	v_div_scale_f64 v[82:83], s[56:57], v[84:85], v[84:85], v[80:81]
	v_rcp_f64_e32 v[86:87], v[82:83]
	v_cmp_eq_f64_e32 vcc, s[30:31], v[6:7]
	v_cndmask_b32_e32 v7, v79, v7, vcc
	v_cndmask_b32_e32 v6, v78, v6, vcc
	v_fma_f64 v[78:79], -v[82:83], v[86:87], 1.0
	v_fmac_f64_e32 v[86:87], v[86:87], v[78:79]
	v_fma_f64 v[78:79], -v[82:83], v[86:87], 1.0
	v_fmac_f64_e32 v[86:87], v[86:87], v[78:79]
	v_div_scale_f64 v[78:79], vcc, v[80:81], v[84:85], v[80:81]
	v_mul_f64 v[88:89], v[78:79], v[86:87]
	v_fma_f64 v[78:79], -v[82:83], v[88:89], v[78:79]
	v_pk_mov_b32 v[82:83], v[32:33], v[32:33] op_sel:[0,1]
	s_nop 0
	v_div_fmas_f64 v[78:79], v[78:79], v[86:87], v[88:89]
	v_div_fixup_f64 v[78:79], v[78:79], v[84:85], v[80:81]
	v_mul_f64 v[80:81], v[78:79], v[78:79]
	v_fmac_f64_e32 v[82:83], s[34:35], v[80:81]
	v_pk_mov_b32 v[84:85], v[34:35], v[34:35] op_sel:[0,1]
	v_fmac_f64_e32 v[84:85], v[80:81], v[82:83]
	v_pk_mov_b32 v[82:83], v[36:37], v[36:37] op_sel:[0,1]
	;; [unrolled: 2-line block ×18, first 2 shown]
	v_fmac_f64_e32 v[82:83], v[80:81], v[84:85]
	v_mul_f64 v[80:81], v[80:81], v[82:83]
	v_fmac_f64_e32 v[78:79], v[78:79], v[80:81]
	v_cmp_class_f64_e64 s[58:59], v[10:11], s67
	v_ashrrev_i32_e32 v10, 31, v11
	v_cmp_gt_i32_e32 vcc, 0, v11
	v_and_b32_e32 v19, 0x400921fb, v10
	v_and_b32_e32 v80, 0x54442d18, v10
	v_add_f64 v[10:11], -v[78:79], s[36:37]
	v_cndmask_b32_e64 v11, v79, v11, s[0:1]
	v_cndmask_b32_e64 v10, v78, v10, s[0:1]
	s_mov_b32 s38, s36
	v_add_f64 v[78:79], -v[10:11], s[38:39]
	v_cmp_class_f64_e64 s[56:57], v[12:13], s67
	v_cndmask_b32_e32 v1, v109, v110, vcc
	v_cndmask_b32_e32 v8, v111, v112, vcc
	;; [unrolled: 1-line block ×4, first 2 shown]
	v_cmp_eq_f64_e32 vcc, 0, v[12:13]
	v_bfi_b32 v8, s8, v8, v13
	v_cndmask_b32_e32 v10, v10, v80, vcc
	v_cndmask_b32_e32 v11, v11, v19, vcc
	s_and_b64 vcc, s[58:59], s[56:57]
	v_mul_f64 v[6:7], v[6:7], 0.5
	v_cndmask_b32_e32 v79, v11, v8, vcc
	v_cndmask_b32_e32 v78, v10, v1, vcc
                                        ; implicit-def: $vgpr80_vgpr81
.LBB180_60:                             ;   in Loop: Header=BB180_5 Depth=1
	s_andn2_saveexec_b64 s[54:55], s[54:55]
	s_cbranch_execz .LBB180_62
; %bb.61:                               ;   in Loop: Header=BB180_5 Depth=1
	v_max_f64 v[6:7], |v[12:13]|, |v[12:13]|
	v_max_f64 v[78:79], |v[10:11]|, |v[10:11]|
	v_max_f64 v[82:83], v[78:79], v[6:7]
	v_min_f64 v[78:79], v[78:79], v[6:7]
	v_div_scale_f64 v[84:85], s[56:57], v[82:83], v[82:83], v[78:79]
	v_rcp_f64_e32 v[86:87], v[84:85]
	v_mul_f64 v[6:7], v[80:81], 0.5
	v_mul_f64 v[6:7], v[80:81], v[6:7]
	v_cmp_class_f64_e64 s[58:59], v[10:11], s67
	v_fma_f64 v[80:81], -v[84:85], v[86:87], 1.0
	v_fmac_f64_e32 v[86:87], v[86:87], v[80:81]
	v_fma_f64 v[80:81], -v[84:85], v[86:87], 1.0
	v_fmac_f64_e32 v[86:87], v[86:87], v[80:81]
	v_div_scale_f64 v[80:81], vcc, v[78:79], v[82:83], v[78:79]
	v_mul_f64 v[88:89], v[80:81], v[86:87]
	v_fma_f64 v[80:81], -v[84:85], v[88:89], v[80:81]
	v_pk_mov_b32 v[84:85], v[34:35], v[34:35] op_sel:[0,1]
	s_nop 0
	v_div_fmas_f64 v[80:81], v[80:81], v[86:87], v[88:89]
	v_div_fixup_f64 v[78:79], v[80:81], v[82:83], v[78:79]
	v_mul_f64 v[80:81], v[78:79], v[78:79]
	v_pk_mov_b32 v[82:83], v[32:33], v[32:33] op_sel:[0,1]
	v_fmac_f64_e32 v[82:83], s[34:35], v[80:81]
	v_fmac_f64_e32 v[84:85], v[80:81], v[82:83]
	v_pk_mov_b32 v[82:83], v[36:37], v[36:37] op_sel:[0,1]
	v_fmac_f64_e32 v[82:83], v[80:81], v[84:85]
	v_pk_mov_b32 v[84:85], v[38:39], v[38:39] op_sel:[0,1]
	;; [unrolled: 2-line block ×17, first 2 shown]
	v_fmac_f64_e32 v[82:83], v[80:81], v[84:85]
	v_mul_f64 v[80:81], v[80:81], v[82:83]
	v_fmac_f64_e32 v[78:79], v[78:79], v[80:81]
	v_ashrrev_i32_e32 v10, 31, v11
	v_cmp_gt_i32_e32 vcc, 0, v11
	v_and_b32_e32 v19, 0x400921fb, v10
	v_and_b32_e32 v80, 0x54442d18, v10
	v_add_f64 v[10:11], -v[78:79], s[36:37]
	v_cndmask_b32_e64 v11, v79, v11, s[0:1]
	v_cndmask_b32_e64 v10, v78, v10, s[0:1]
	s_mov_b32 s38, s36
	v_add_f64 v[78:79], -v[10:11], s[38:39]
	v_cmp_class_f64_e64 s[56:57], v[12:13], s67
	v_cndmask_b32_e32 v1, v109, v110, vcc
	v_cndmask_b32_e32 v8, v111, v112, vcc
	;; [unrolled: 1-line block ×4, first 2 shown]
	v_cmp_eq_f64_e32 vcc, 0, v[12:13]
	v_bfi_b32 v8, s8, v8, v13
	v_cndmask_b32_e32 v10, v10, v80, vcc
	v_cndmask_b32_e32 v11, v11, v19, vcc
	s_and_b64 vcc, s[58:59], s[56:57]
	v_cndmask_b32_e32 v79, v11, v8, vcc
	v_cndmask_b32_e32 v78, v10, v1, vcc
.LBB180_62:                             ;   in Loop: Header=BB180_5 Depth=1
	s_or_b64 exec, exec, s[54:55]
.LBB180_63:                             ;   in Loop: Header=BB180_5 Depth=1
	s_or_b64 exec, exec, s[2:3]
.LBB180_64:                             ;   in Loop: Header=BB180_5 Depth=1
	s_andn2_saveexec_b64 s[54:55], s[6:7]
	s_cbranch_execz .LBB180_66
; %bb.65:                               ;   in Loop: Header=BB180_5 Depth=1
	v_div_scale_f64 v[6:7], s[2:3], s[44:45], s[44:45], v[10:11]
	v_rcp_f64_e32 v[78:79], v[6:7]
	v_div_scale_f64 v[80:81], vcc, v[10:11], s[44:45], v[10:11]
	s_mov_b32 s38, s36
	v_fma_f64 v[82:83], -v[6:7], v[78:79], 1.0
	v_fmac_f64_e32 v[78:79], v[78:79], v[82:83]
	v_fma_f64 v[82:83], -v[6:7], v[78:79], 1.0
	v_fmac_f64_e32 v[78:79], v[78:79], v[82:83]
	v_mul_f64 v[82:83], v[80:81], v[78:79]
	v_fma_f64 v[6:7], -v[6:7], v[82:83], v[80:81]
	v_div_scale_f64 v[80:81], s[2:3], s[44:45], s[44:45], v[12:13]
	v_rcp_f64_e32 v[84:85], v[80:81]
	v_div_fmas_f64 v[6:7], v[6:7], v[78:79], v[82:83]
	v_div_fixup_f64 v[6:7], v[6:7], s[44:45], v[10:11]
	v_cmp_class_f64_e64 s[6:7], v[6:7], s67
	v_fma_f64 v[78:79], -v[80:81], v[84:85], 1.0
	v_fmac_f64_e32 v[84:85], v[84:85], v[78:79]
	v_fma_f64 v[78:79], -v[80:81], v[84:85], 1.0
	v_fmac_f64_e32 v[84:85], v[84:85], v[78:79]
	v_div_scale_f64 v[78:79], vcc, v[12:13], s[44:45], v[12:13]
	v_mul_f64 v[82:83], v[78:79], v[84:85]
	v_fma_f64 v[78:79], -v[80:81], v[82:83], v[78:79]
	s_nop 1
	v_div_fmas_f64 v[78:79], v[78:79], v[84:85], v[82:83]
	v_div_fixup_f64 v[78:79], v[78:79], s[44:45], v[12:13]
	v_max_f64 v[80:81], |v[6:7]|, |v[78:79]|
	v_frexp_exp_i32_f64_e32 v1, v[80:81]
	v_sub_u32_e32 v8, 0, v1
	v_ldexp_f64 v[82:83], |v[78:79]|, v8
	v_ldexp_f64 v[80:81], |v[6:7]|, v8
	v_mul_f64 v[82:83], v[82:83], v[82:83]
	v_fmac_f64_e32 v[82:83], v[80:81], v[80:81]
	v_rsq_f64_e32 v[80:81], v[82:83]
	v_cmp_eq_f64_e32 vcc, 0, v[82:83]
	v_cmp_o_f64_e64 s[2:3], v[6:7], v[78:79]
	v_cmp_class_f64_e64 s[56:57], v[78:79], s67
	v_mul_f64 v[84:85], v[82:83], v[80:81]
	v_mul_f64 v[80:81], v[80:81], 0.5
	v_fma_f64 v[86:87], -v[80:81], v[84:85], 0.5
	v_fmac_f64_e32 v[84:85], v[84:85], v[86:87]
	v_fmac_f64_e32 v[80:81], v[80:81], v[86:87]
	v_fma_f64 v[86:87], -v[84:85], v[84:85], v[82:83]
	v_fmac_f64_e32 v[84:85], v[86:87], v[80:81]
	v_cndmask_b32_e32 v81, v85, v83, vcc
	v_cndmask_b32_e32 v80, v84, v82, vcc
	v_ldexp_f64 v[80:81], v[80:81], v1
	v_cndmask_b32_e64 v1, 0, v80, s[2:3]
	v_cndmask_b32_e64 v8, v107, v81, s[2:3]
	s_or_b64 vcc, s[6:7], s[56:57]
	v_cndmask_b32_e32 v79, v8, v114, vcc
	v_cndmask_b32_e64 v78, v1, 0, vcc
	v_frexp_mant_f64_e32 v[6:7], v[78:79]
	v_cmp_gt_f64_e64 s[6:7], s[22:23], v[6:7]
	v_cndmask_b32_e64 v19, v113, 2.0, s[6:7]
	v_frexp_exp_i32_f64_e32 v82, v[78:79]
	v_mul_f64 v[6:7], v[6:7], v[18:19]
	v_subbrev_co_u32_e64 v19, s[6:7], 0, v82, s[6:7]
	v_add_f64 v[82:83], v[6:7], 1.0
	v_rcp_f64_e32 v[84:85], v[82:83]
	v_add_f64 v[88:89], v[82:83], -1.0
	v_add_f64 v[86:87], v[6:7], -1.0
	v_add_f64 v[6:7], v[6:7], -v[88:89]
	v_fma_f64 v[88:89], -v[82:83], v[84:85], 1.0
	v_fmac_f64_e32 v[84:85], v[88:89], v[84:85]
	v_fma_f64 v[88:89], -v[82:83], v[84:85], 1.0
	v_fmac_f64_e32 v[84:85], v[88:89], v[84:85]
	v_mul_f64 v[88:89], v[86:87], v[84:85]
	v_mul_f64 v[90:91], v[82:83], v[88:89]
	v_fma_f64 v[82:83], v[88:89], v[82:83], -v[90:91]
	v_fmac_f64_e32 v[82:83], v[88:89], v[6:7]
	v_add_f64 v[6:7], v[90:91], v[82:83]
	v_add_f64 v[92:93], v[86:87], -v[6:7]
	v_add_f64 v[90:91], v[6:7], -v[90:91]
	;; [unrolled: 1-line block ×5, first 2 shown]
	v_add_f64 v[6:7], v[82:83], v[6:7]
	v_add_f64 v[6:7], v[92:93], v[6:7]
	v_mul_f64 v[6:7], v[84:85], v[6:7]
	v_add_f64 v[82:83], v[88:89], v[6:7]
	v_add_f64 v[84:85], v[82:83], -v[88:89]
	v_add_f64 v[6:7], v[6:7], -v[84:85]
	v_mul_f64 v[84:85], v[82:83], v[82:83]
	v_pk_mov_b32 v[86:87], v[20:21], v[20:21] op_sel:[0,1]
	v_fmac_f64_e32 v[86:87], s[24:25], v[84:85]
	v_pk_mov_b32 v[88:89], v[22:23], v[22:23] op_sel:[0,1]
	v_fmac_f64_e32 v[88:89], v[84:85], v[86:87]
	;; [unrolled: 2-line block ×6, first 2 shown]
	v_ldexp_f64 v[86:87], v[82:83], 1
	v_mul_f64 v[82:83], v[82:83], v[84:85]
	v_mul_f64 v[82:83], v[82:83], v[88:89]
	v_add_f64 v[84:85], v[86:87], v[82:83]
	v_add_f64 v[86:87], v[84:85], -v[86:87]
	v_ldexp_f64 v[6:7], v[6:7], 1
	v_add_f64 v[82:83], v[82:83], -v[86:87]
	v_add_f64 v[6:7], v[6:7], v[82:83]
	v_add_f64 v[82:83], v[84:85], v[6:7]
	v_add_f64 v[84:85], v[82:83], -v[84:85]
	v_add_f64 v[6:7], v[6:7], -v[84:85]
	v_cvt_f64_i32_e32 v[84:85], v19
	v_mul_f64 v[86:87], v[84:85], s[26:27]
	v_fma_f64 v[88:89], v[84:85], s[26:27], -v[86:87]
	v_fmac_f64_e32 v[88:89], s[28:29], v[84:85]
	v_add_f64 v[84:85], v[86:87], v[88:89]
	v_add_f64 v[86:87], v[84:85], -v[86:87]
	v_add_f64 v[86:87], v[88:89], -v[86:87]
	v_add_f64 v[88:89], v[84:85], v[82:83]
	v_add_f64 v[90:91], v[88:89], -v[84:85]
	v_add_f64 v[92:93], v[88:89], -v[90:91]
	;; [unrolled: 1-line block ×4, first 2 shown]
	v_add_f64 v[82:83], v[82:83], v[84:85]
	v_add_f64 v[84:85], v[86:87], v[6:7]
	v_add_f64 v[90:91], v[84:85], -v[86:87]
	v_add_f64 v[92:93], v[84:85], -v[90:91]
	v_add_f64 v[82:83], v[84:85], v[82:83]
	v_add_f64 v[86:87], v[86:87], -v[92:93]
	v_add_f64 v[6:7], v[6:7], -v[90:91]
	v_add_f64 v[84:85], v[88:89], v[82:83]
	v_add_f64 v[6:7], v[6:7], v[86:87]
	v_add_f64 v[86:87], v[84:85], -v[88:89]
	v_add_f64 v[82:83], v[82:83], -v[86:87]
	v_and_b32_e32 v81, 0x7fffffff, v81
	v_add_f64 v[6:7], v[6:7], v[82:83]
	v_cmp_eq_f64_e64 s[6:7], s[30:31], v[80:81]
	v_add_f64 v[6:7], v[84:85], v[6:7]
	s_and_b64 s[2:3], s[2:3], s[6:7]
	v_cndmask_b32_e64 v7, v7, v8, s[2:3]
	v_cndmask_b32_e64 v6, v6, v1, s[2:3]
	v_add_f64 v[6:7], v[6:7], 1.0
	v_cndmask_b32_e64 v1, v6, 0, vcc
	v_cndmask_b32_e32 v6, v7, v114, vcc
	v_cmp_ngt_f64_e32 vcc, 0, v[78:79]
	v_cndmask_b32_e32 v8, v107, v6, vcc
	v_max_f64 v[6:7], |v[12:13]|, |v[12:13]|
	v_max_f64 v[80:81], |v[10:11]|, |v[10:11]|
	v_max_f64 v[82:83], v[80:81], v[6:7]
	v_min_f64 v[80:81], v[80:81], v[6:7]
	v_div_scale_f64 v[84:85], s[2:3], v[82:83], v[82:83], v[80:81]
	v_rcp_f64_e32 v[86:87], v[84:85]
	v_cmp_nge_f64_e32 vcc, 0, v[78:79]
	v_cndmask_b32_e32 v6, 0, v1, vcc
	v_cmp_neq_f64_e32 vcc, 0, v[78:79]
	v_fma_f64 v[78:79], -v[84:85], v[86:87], 1.0
	v_fmac_f64_e32 v[86:87], v[86:87], v[78:79]
	v_fma_f64 v[78:79], -v[84:85], v[86:87], 1.0
	v_cndmask_b32_e32 v7, v108, v8, vcc
	v_fmac_f64_e32 v[86:87], v[86:87], v[78:79]
	v_div_scale_f64 v[78:79], vcc, v[80:81], v[82:83], v[80:81]
	v_mul_f64 v[88:89], v[78:79], v[86:87]
	v_fma_f64 v[78:79], -v[84:85], v[88:89], v[78:79]
	v_pk_mov_b32 v[84:85], v[34:35], v[34:35] op_sel:[0,1]
	s_nop 0
	v_div_fmas_f64 v[78:79], v[78:79], v[86:87], v[88:89]
	v_div_fixup_f64 v[78:79], v[78:79], v[82:83], v[80:81]
	v_mul_f64 v[80:81], v[78:79], v[78:79]
	v_pk_mov_b32 v[82:83], v[32:33], v[32:33] op_sel:[0,1]
	v_fmac_f64_e32 v[82:83], s[34:35], v[80:81]
	v_fmac_f64_e32 v[84:85], v[80:81], v[82:83]
	v_pk_mov_b32 v[82:83], v[36:37], v[36:37] op_sel:[0,1]
	v_fmac_f64_e32 v[82:83], v[80:81], v[84:85]
	v_pk_mov_b32 v[84:85], v[38:39], v[38:39] op_sel:[0,1]
	;; [unrolled: 2-line block ×17, first 2 shown]
	v_fmac_f64_e32 v[82:83], v[80:81], v[84:85]
	v_mul_f64 v[80:81], v[80:81], v[82:83]
	v_fmac_f64_e32 v[78:79], v[78:79], v[80:81]
	v_cmp_class_f64_e64 s[6:7], v[10:11], s67
	v_ashrrev_i32_e32 v10, 31, v11
	v_cmp_gt_i32_e32 vcc, 0, v11
	v_and_b32_e32 v19, 0x400921fb, v10
	v_and_b32_e32 v80, 0x54442d18, v10
	v_add_f64 v[10:11], -v[78:79], s[36:37]
	v_cndmask_b32_e64 v11, v79, v11, s[0:1]
	v_cndmask_b32_e64 v10, v78, v10, s[0:1]
	v_add_f64 v[78:79], -v[10:11], s[38:39]
	v_cmp_class_f64_e64 s[2:3], v[12:13], s67
	v_cndmask_b32_e32 v1, v109, v110, vcc
	v_cndmask_b32_e32 v8, v111, v112, vcc
	;; [unrolled: 1-line block ×4, first 2 shown]
	v_cmp_eq_f64_e32 vcc, 0, v[12:13]
	v_bfi_b32 v8, s8, v8, v13
	v_cndmask_b32_e32 v10, v10, v80, vcc
	v_cndmask_b32_e32 v11, v11, v19, vcc
	s_and_b64 vcc, s[6:7], s[2:3]
	v_cndmask_b32_e32 v79, v11, v8, vcc
	v_cndmask_b32_e32 v78, v10, v1, vcc
.LBB180_66:                             ;   in Loop: Header=BB180_5 Depth=1
	s_or_b64 exec, exec, s[54:55]
.LBB180_67:                             ;   in Loop: Header=BB180_5 Depth=1
	s_andn2_saveexec_b64 s[0:1], s[52:53]
	s_cbranch_execz .LBB180_73
; %bb.68:                               ;   in Loop: Header=BB180_5 Depth=1
	v_cmp_nlt_f64_e64 s[2:3], |v[10:11]|, s[46:47]
	v_cmp_nlt_f64_e64 s[6:7], |v[12:13]|, s[46:47]
	s_or_b64 s[2:3], s[2:3], s[6:7]
                                        ; implicit-def: $vgpr78_vgpr79
	s_and_saveexec_b64 s[6:7], s[2:3]
	s_xor_b64 s[2:3], exec, s[6:7]
; %bb.69:                               ;   in Loop: Header=BB180_5 Depth=1
	v_mul_f64 v[78:79], v[12:13], v[12:13]
	v_fmac_f64_e32 v[78:79], v[10:11], v[10:11]
; %bb.70:                               ;   in Loop: Header=BB180_5 Depth=1
	s_andn2_saveexec_b64 s[2:3], s[2:3]
; %bb.71:                               ;   in Loop: Header=BB180_5 Depth=1
	v_mul_f64 v[6:7], v[10:11], 4.0
	v_mul_f64 v[10:11], v[12:13], 4.0
	v_mul_f64 v[10:11], v[10:11], v[10:11]
	v_fmac_f64_e32 v[10:11], v[6:7], v[6:7]
	v_ldexp_f64 v[78:79], v[10:11], -4
; %bb.72:                               ;   in Loop: Header=BB180_5 Depth=1
	s_or_b64 exec, exec, s[2:3]
	v_frexp_mant_f64_e32 v[6:7], v[78:79]
	v_cmp_gt_f64_e32 vcc, s[22:23], v[6:7]
	v_cndmask_b32_e64 v19, v113, 2.0, vcc
	v_mul_f64 v[6:7], v[6:7], v[18:19]
	v_add_f64 v[10:11], v[6:7], 1.0
	v_rcp_f64_e32 v[80:81], v[10:11]
	v_add_f64 v[84:85], v[10:11], -1.0
	v_add_f64 v[82:83], v[6:7], -1.0
	v_add_f64 v[6:7], v[6:7], -v[84:85]
	v_fma_f64 v[84:85], -v[10:11], v[80:81], 1.0
	v_fmac_f64_e32 v[80:81], v[84:85], v[80:81]
	v_fma_f64 v[84:85], -v[10:11], v[80:81], 1.0
	v_fmac_f64_e32 v[80:81], v[84:85], v[80:81]
	v_mul_f64 v[84:85], v[82:83], v[80:81]
	v_mul_f64 v[86:87], v[10:11], v[84:85]
	v_fma_f64 v[10:11], v[84:85], v[10:11], -v[86:87]
	v_fmac_f64_e32 v[10:11], v[84:85], v[6:7]
	v_add_f64 v[6:7], v[86:87], v[10:11]
	v_add_f64 v[88:89], v[82:83], -v[6:7]
	v_add_f64 v[86:87], v[6:7], -v[86:87]
	;; [unrolled: 1-line block ×5, first 2 shown]
	v_add_f64 v[6:7], v[10:11], v[6:7]
	v_add_f64 v[6:7], v[88:89], v[6:7]
	v_mul_f64 v[6:7], v[80:81], v[6:7]
	v_add_f64 v[10:11], v[84:85], v[6:7]
	v_add_f64 v[80:81], v[10:11], -v[84:85]
	v_add_f64 v[6:7], v[6:7], -v[80:81]
	v_mul_f64 v[80:81], v[10:11], v[10:11]
	v_pk_mov_b32 v[82:83], v[20:21], v[20:21] op_sel:[0,1]
	v_fmac_f64_e32 v[82:83], s[24:25], v[80:81]
	v_pk_mov_b32 v[84:85], v[22:23], v[22:23] op_sel:[0,1]
	v_fmac_f64_e32 v[84:85], v[80:81], v[82:83]
	;; [unrolled: 2-line block ×6, first 2 shown]
	v_ldexp_f64 v[82:83], v[10:11], 1
	v_mul_f64 v[10:11], v[10:11], v[80:81]
	v_mul_f64 v[10:11], v[10:11], v[84:85]
	v_add_f64 v[80:81], v[82:83], v[10:11]
	v_add_f64 v[82:83], v[80:81], -v[82:83]
	v_ldexp_f64 v[6:7], v[6:7], 1
	v_add_f64 v[10:11], v[10:11], -v[82:83]
	v_add_f64 v[6:7], v[6:7], v[10:11]
	v_frexp_exp_i32_f64_e32 v1, v[78:79]
	v_add_f64 v[10:11], v[80:81], v[6:7]
	v_subbrev_co_u32_e32 v1, vcc, 0, v1, vcc
	v_add_f64 v[80:81], v[10:11], -v[80:81]
	v_add_f64 v[6:7], v[6:7], -v[80:81]
	v_cvt_f64_i32_e32 v[80:81], v1
	v_mul_f64 v[82:83], v[80:81], s[26:27]
	v_fma_f64 v[84:85], v[80:81], s[26:27], -v[82:83]
	v_fmac_f64_e32 v[84:85], s[28:29], v[80:81]
	v_add_f64 v[80:81], v[82:83], v[84:85]
	v_add_f64 v[82:83], v[80:81], -v[82:83]
	v_add_f64 v[82:83], v[84:85], -v[82:83]
	v_add_f64 v[84:85], v[80:81], v[10:11]
	v_add_f64 v[86:87], v[84:85], -v[80:81]
	v_add_f64 v[88:89], v[84:85], -v[86:87]
	;; [unrolled: 1-line block ×4, first 2 shown]
	v_add_f64 v[10:11], v[10:11], v[80:81]
	v_add_f64 v[80:81], v[82:83], v[6:7]
	v_add_f64 v[86:87], v[80:81], -v[82:83]
	v_add_f64 v[88:89], v[80:81], -v[86:87]
	v_add_f64 v[10:11], v[80:81], v[10:11]
	v_add_f64 v[82:83], v[82:83], -v[88:89]
	v_add_f64 v[6:7], v[6:7], -v[86:87]
	v_add_f64 v[80:81], v[84:85], v[10:11]
	v_add_f64 v[6:7], v[6:7], v[82:83]
	v_add_f64 v[82:83], v[80:81], -v[84:85]
	v_add_f64 v[10:11], v[10:11], -v[82:83]
	v_add_f64 v[6:7], v[6:7], v[10:11]
	v_add_f64 v[6:7], v[80:81], v[6:7]
	v_cmp_class_f64_e64 vcc, v[78:79], s67
	v_cndmask_b32_e32 v1, v6, v78, vcc
	v_cndmask_b32_e32 v6, v7, v79, vcc
	v_cmp_ngt_f64_e32 vcc, 0, v[78:79]
	v_cndmask_b32_e32 v7, v107, v6, vcc
	v_cmp_nge_f64_e32 vcc, 0, v[78:79]
	v_cndmask_b32_e32 v6, 0, v1, vcc
	v_cmp_neq_f64_e32 vcc, 0, v[78:79]
	v_mov_b32_e32 v78, 0
	v_cndmask_b32_e32 v7, v108, v7, vcc
	v_mov_b32_e32 v79, 0x7ff80000
.LBB180_73:                             ;   in Loop: Header=BB180_5 Depth=1
	s_or_b64 exec, exec, s[0:1]
	s_waitcnt vmcnt(0)
	v_cmp_o_f64_e32 vcc, v[14:15], v[16:17]
                                        ; implicit-def: $vgpr10_vgpr11
                                        ; implicit-def: $vgpr80_vgpr81
	s_and_saveexec_b64 s[0:1], vcc
	s_xor_b64 s[52:53], exec, s[0:1]
	s_cbranch_execz .LBB180_101
; %bb.74:                               ;   in Loop: Header=BB180_5 Depth=1
	v_and_b32_e32 v12, 0x7fffffff, v15
	v_and_b32_e32 v1, 0x7fffffff, v17
	v_mov_b32_e32 v8, v16
	v_cmp_lt_f64_e64 s[0:1], |v[14:15]|, |v[16:17]|
	v_cndmask_b32_e64 v83, v1, v12, s[0:1]
	v_cndmask_b32_e64 v82, v8, v14, s[0:1]
	v_cmp_nlt_f64_e32 vcc, s[16:17], v[82:83]
                                        ; implicit-def: $vgpr10_vgpr11
                                        ; implicit-def: $vgpr80_vgpr81
	s_and_saveexec_b64 s[2:3], vcc
	s_xor_b64 s[6:7], exec, s[2:3]
	s_cbranch_execz .LBB180_98
; %bb.75:                               ;   in Loop: Header=BB180_5 Depth=1
	v_cndmask_b32_e64 v87, v12, v1, s[0:1]
	v_cndmask_b32_e64 v86, v14, v8, s[0:1]
	v_cmp_neq_f64_e32 vcc, 1.0, v[86:87]
                                        ; implicit-def: $vgpr10_vgpr11
                                        ; implicit-def: $vgpr80_vgpr81
	s_and_saveexec_b64 s[2:3], vcc
	s_xor_b64 s[54:55], exec, s[2:3]
	s_cbranch_execz .LBB180_91
; %bb.76:                               ;   in Loop: Header=BB180_5 Depth=1
	v_max_f64 v[10:11], v[82:83], v[82:83]
	v_max_f64 v[80:81], v[86:87], v[86:87]
	v_min_f64 v[84:85], v[80:81], v[10:11]
	v_max_f64 v[10:11], v[80:81], v[10:11]
	v_cmp_ngt_f64_e32 vcc, s[18:19], v[84:85]
	v_cmp_nlt_f64_e64 s[2:3], s[20:21], v[10:11]
	s_and_b64 s[2:3], s[2:3], vcc
                                        ; implicit-def: $vgpr10_vgpr11
                                        ; implicit-def: $vgpr80_vgpr81
	s_and_saveexec_b64 s[56:57], s[2:3]
	s_xor_b64 s[56:57], exec, s[56:57]
	s_cbranch_execz .LBB180_88
; %bb.77:                               ;   in Loop: Header=BB180_5 Depth=1
	v_cmp_le_f64_e32 vcc, 1.0, v[86:87]
                                        ; implicit-def: $vgpr10_vgpr11
                                        ; implicit-def: $vgpr80_vgpr81
	s_and_saveexec_b64 s[2:3], vcc
	s_xor_b64 s[2:3], exec, s[2:3]
	s_cbranch_execz .LBB180_79
; %bb.78:                               ;   in Loop: Header=BB180_5 Depth=1
	v_add_f64 v[10:11], v[86:87], -1.0
	v_add_f64 v[80:81], v[86:87], 1.0
	v_mul_f64 v[80:81], v[10:11], v[80:81]
	v_fmac_f64_e32 v[80:81], v[82:83], v[82:83]
	v_add_f64 v[10:11], v[80:81], 1.0
	v_add_f64 v[82:83], v[10:11], -1.0
	v_add_f64 v[84:85], v[82:83], -v[10:11]
	v_add_f64 v[84:85], v[84:85], 1.0
	v_add_f64 v[82:83], v[80:81], -v[82:83]
	v_add_f64 v[82:83], v[82:83], v[84:85]
	v_frexp_mant_f64_e32 v[84:85], v[10:11]
	v_frexp_exp_i32_f64_e32 v1, v[10:11]
	v_cmp_gt_f64_e32 vcc, s[22:23], v[84:85]
	v_subbrev_co_u32_e32 v1, vcc, 0, v1, vcc
	v_sub_u32_e32 v8, 0, v1
	v_ldexp_f64 v[10:11], v[10:11], v8
	v_add_f64 v[84:85], v[10:11], -1.0
	v_add_f64 v[90:91], v[10:11], 1.0
	v_add_f64 v[86:87], v[84:85], 1.0
	v_add_f64 v[92:93], v[90:91], -1.0
	v_ldexp_f64 v[82:83], v[82:83], v8
	v_add_f64 v[86:87], v[10:11], -v[86:87]
	v_add_f64 v[10:11], v[10:11], -v[92:93]
	v_add_f64 v[10:11], v[82:83], v[10:11]
	v_add_f64 v[86:87], v[82:83], v[86:87]
	;; [unrolled: 1-line block ×3, first 2 shown]
	v_rcp_f64_e32 v[92:93], v[82:83]
	v_add_f64 v[88:89], v[84:85], v[86:87]
	v_add_f64 v[84:85], v[88:89], -v[84:85]
	v_add_f64 v[84:85], v[86:87], -v[84:85]
	;; [unrolled: 1-line block ×4, first 2 shown]
	v_fma_f64 v[86:87], -v[82:83], v[92:93], 1.0
	v_fmac_f64_e32 v[92:93], v[86:87], v[92:93]
	v_fma_f64 v[86:87], -v[82:83], v[92:93], 1.0
	v_fmac_f64_e32 v[92:93], v[86:87], v[92:93]
	v_mul_f64 v[86:87], v[88:89], v[92:93]
	v_mul_f64 v[90:91], v[82:83], v[86:87]
	v_fma_f64 v[94:95], v[86:87], v[82:83], -v[90:91]
	v_fmac_f64_e32 v[94:95], v[86:87], v[10:11]
	v_add_f64 v[96:97], v[90:91], v[94:95]
	v_add_f64 v[98:99], v[88:89], -v[96:97]
	v_add_f64 v[88:89], v[88:89], -v[98:99]
	;; [unrolled: 1-line block ×4, first 2 shown]
	v_add_f64 v[84:85], v[84:85], v[88:89]
	v_add_f64 v[88:89], v[90:91], -v[94:95]
	v_add_f64 v[84:85], v[88:89], v[84:85]
	v_add_f64 v[88:89], v[98:99], v[84:85]
	v_add_f64 v[90:91], v[98:99], -v[88:89]
	v_add_f64 v[84:85], v[84:85], v[90:91]
	v_mul_f64 v[90:91], v[92:93], v[88:89]
	v_mul_f64 v[94:95], v[82:83], v[90:91]
	v_fma_f64 v[82:83], v[90:91], v[82:83], -v[94:95]
	v_fmac_f64_e32 v[82:83], v[90:91], v[10:11]
	v_add_f64 v[10:11], v[94:95], v[82:83]
	v_add_f64 v[96:97], v[88:89], -v[10:11]
	v_add_f64 v[88:89], v[88:89], -v[96:97]
	;; [unrolled: 1-line block ×4, first 2 shown]
	v_add_f64 v[10:11], v[84:85], v[10:11]
	v_add_f64 v[82:83], v[94:95], -v[82:83]
	v_add_f64 v[10:11], v[82:83], v[10:11]
	v_add_f64 v[82:83], v[86:87], v[90:91]
	;; [unrolled: 1-line block ×3, first 2 shown]
	v_add_f64 v[84:85], v[82:83], -v[86:87]
	v_mul_f64 v[10:11], v[92:93], v[10:11]
	v_add_f64 v[84:85], v[90:91], -v[84:85]
	v_add_f64 v[10:11], v[84:85], v[10:11]
	v_add_f64 v[84:85], v[82:83], v[10:11]
	v_add_f64 v[82:83], v[84:85], -v[82:83]
	v_add_f64 v[10:11], v[10:11], -v[82:83]
	v_mul_f64 v[82:83], v[84:85], v[84:85]
	v_pk_mov_b32 v[86:87], v[20:21], v[20:21] op_sel:[0,1]
	v_fmac_f64_e32 v[86:87], s[24:25], v[82:83]
	v_pk_mov_b32 v[88:89], v[22:23], v[22:23] op_sel:[0,1]
	v_fmac_f64_e32 v[88:89], v[82:83], v[86:87]
	;; [unrolled: 2-line block ×6, first 2 shown]
	v_cvt_f64_i32_e32 v[86:87], v1
	v_mul_f64 v[90:91], v[86:87], s[26:27]
	v_fma_f64 v[92:93], v[86:87], s[26:27], -v[90:91]
	v_fmac_f64_e32 v[92:93], s[28:29], v[86:87]
	v_add_f64 v[86:87], v[90:91], v[92:93]
	v_add_f64 v[90:91], v[86:87], -v[90:91]
	v_mul_f64 v[82:83], v[84:85], v[82:83]
	v_add_f64 v[90:91], v[92:93], -v[90:91]
	v_ldexp_f64 v[92:93], v[84:85], 1
	v_mul_f64 v[82:83], v[82:83], v[88:89]
	v_add_f64 v[84:85], v[92:93], v[82:83]
	v_add_f64 v[88:89], v[84:85], -v[92:93]
	v_ldexp_f64 v[10:11], v[10:11], 1
	v_add_f64 v[82:83], v[82:83], -v[88:89]
	v_add_f64 v[10:11], v[10:11], v[82:83]
	v_add_f64 v[82:83], v[84:85], v[10:11]
	v_add_f64 v[84:85], v[82:83], -v[84:85]
	v_add_f64 v[10:11], v[10:11], -v[84:85]
	v_add_f64 v[84:85], v[86:87], v[82:83]
	v_add_f64 v[88:89], v[84:85], -v[86:87]
	v_add_f64 v[92:93], v[84:85], -v[88:89]
	;; [unrolled: 1-line block ×4, first 2 shown]
	v_add_f64 v[82:83], v[82:83], v[86:87]
	v_add_f64 v[86:87], v[90:91], v[10:11]
	v_add_f64 v[88:89], v[86:87], -v[90:91]
	v_add_f64 v[82:83], v[86:87], v[82:83]
	v_add_f64 v[92:93], v[86:87], -v[88:89]
	v_add_f64 v[86:87], v[84:85], v[82:83]
	v_add_f64 v[90:91], v[90:91], -v[92:93]
	v_add_f64 v[10:11], v[10:11], -v[88:89]
	v_add_f64 v[84:85], v[86:87], -v[84:85]
	v_add_f64 v[10:11], v[10:11], v[90:91]
	v_add_f64 v[82:83], v[82:83], -v[84:85]
	v_add_f64 v[10:11], v[10:11], v[82:83]
	v_max_f64 v[82:83], |v[16:17]|, |v[16:17]|
	v_max_f64 v[84:85], |v[14:15]|, |v[14:15]|
	v_add_f64 v[10:11], v[86:87], v[10:11]
	v_max_f64 v[86:87], v[84:85], v[82:83]
	v_min_f64 v[82:83], v[84:85], v[82:83]
	v_div_scale_f64 v[84:85], s[58:59], v[86:87], v[86:87], v[82:83]
	v_cmp_eq_f64_e32 vcc, s[30:31], v[80:81]
	v_rcp_f64_e32 v[88:89], v[84:85]
	v_cndmask_b32_e32 v11, v11, v81, vcc
	v_cndmask_b32_e32 v10, v10, v80, vcc
	v_mul_f64 v[10:11], v[10:11], 0.5
	v_cmp_ngt_f64_e32 vcc, -1.0, v[80:81]
	v_cndmask_b32_e32 v1, v107, v11, vcc
	v_cmp_nge_f64_e32 vcc, -1.0, v[80:81]
	v_cndmask_b32_e32 v10, 0, v10, vcc
	v_cmp_neq_f64_e32 vcc, -1.0, v[80:81]
	v_fma_f64 v[80:81], -v[84:85], v[88:89], 1.0
	v_fmac_f64_e32 v[88:89], v[88:89], v[80:81]
	v_fma_f64 v[80:81], -v[84:85], v[88:89], 1.0
	v_cndmask_b32_e32 v11, v108, v1, vcc
	v_fmac_f64_e32 v[88:89], v[88:89], v[80:81]
	v_div_scale_f64 v[80:81], vcc, v[82:83], v[86:87], v[82:83]
	v_mul_f64 v[90:91], v[80:81], v[88:89]
	v_fma_f64 v[80:81], -v[84:85], v[90:91], v[80:81]
	v_pk_mov_b32 v[84:85], v[32:33], v[32:33] op_sel:[0,1]
	s_nop 0
	v_div_fmas_f64 v[80:81], v[80:81], v[88:89], v[90:91]
	v_div_fixup_f64 v[80:81], v[80:81], v[86:87], v[82:83]
	v_mul_f64 v[82:83], v[80:81], v[80:81]
	v_fmac_f64_e32 v[84:85], s[34:35], v[82:83]
	v_pk_mov_b32 v[86:87], v[34:35], v[34:35] op_sel:[0,1]
	v_fmac_f64_e32 v[86:87], v[82:83], v[84:85]
	v_pk_mov_b32 v[84:85], v[36:37], v[36:37] op_sel:[0,1]
	;; [unrolled: 2-line block ×18, first 2 shown]
	v_fmac_f64_e32 v[84:85], v[82:83], v[86:87]
	v_mul_f64 v[82:83], v[82:83], v[84:85]
	v_fmac_f64_e32 v[80:81], v[80:81], v[82:83]
	v_cmp_class_f64_e64 s[60:61], v[14:15], s67
	v_cmp_gt_i32_e32 vcc, 0, v15
	v_ashrrev_i32_e32 v12, 31, v15
	v_add_f64 v[14:15], -v[80:81], s[36:37]
	v_cndmask_b32_e64 v15, v81, v15, s[0:1]
	v_cndmask_b32_e64 v14, v80, v14, s[0:1]
	s_mov_b32 s38, s36
	v_add_f64 v[80:81], -v[14:15], s[38:39]
	v_cmp_class_f64_e64 s[58:59], v[16:17], s67
	v_cndmask_b32_e32 v1, v109, v110, vcc
	v_cndmask_b32_e32 v8, v111, v112, vcc
	v_and_b32_e32 v19, 0x400921fb, v12
	v_and_b32_e32 v12, 0x54442d18, v12
	v_cndmask_b32_e32 v15, v15, v81, vcc
	v_cndmask_b32_e32 v14, v14, v80, vcc
	v_cmp_eq_f64_e32 vcc, 0, v[16:17]
	v_bfi_b32 v8, s8, v8, v17
	v_cndmask_b32_e32 v12, v14, v12, vcc
	v_cndmask_b32_e32 v14, v15, v19, vcc
	s_and_b64 vcc, s[60:61], s[58:59]
	v_cndmask_b32_e32 v81, v14, v8, vcc
	v_cndmask_b32_e32 v80, v12, v1, vcc
                                        ; implicit-def: $vgpr82_vgpr83
                                        ; implicit-def: $vgpr86_vgpr87
.LBB180_79:                             ;   in Loop: Header=BB180_5 Depth=1
	s_andn2_saveexec_b64 s[58:59], s[2:3]
	s_cbranch_execz .LBB180_87
; %bb.80:                               ;   in Loop: Header=BB180_5 Depth=1
	v_mul_f64 v[84:85], v[82:83], v[82:83]
	v_fmac_f64_e32 v[84:85], v[86:87], v[86:87]
	v_cmp_ge_f64_e32 vcc, s[40:41], v[84:85]
                                        ; implicit-def: $vgpr10_vgpr11
                                        ; implicit-def: $vgpr80_vgpr81
	s_and_saveexec_b64 s[2:3], vcc
	s_xor_b64 s[2:3], exec, s[2:3]
	s_cbranch_execz .LBB180_82
; %bb.81:                               ;   in Loop: Header=BB180_5 Depth=1
	v_frexp_mant_f64_e32 v[10:11], v[84:85]
	v_cmp_gt_f64_e32 vcc, s[22:23], v[10:11]
	v_cndmask_b32_e64 v19, v113, 2.0, vcc
	v_mul_f64 v[10:11], v[10:11], v[18:19]
	v_add_f64 v[80:81], v[10:11], 1.0
	v_rcp_f64_e32 v[82:83], v[80:81]
	v_add_f64 v[88:89], v[80:81], -1.0
	v_add_f64 v[86:87], v[10:11], -1.0
	v_add_f64 v[10:11], v[10:11], -v[88:89]
	v_fma_f64 v[88:89], -v[80:81], v[82:83], 1.0
	v_fmac_f64_e32 v[82:83], v[88:89], v[82:83]
	v_fma_f64 v[88:89], -v[80:81], v[82:83], 1.0
	v_fmac_f64_e32 v[82:83], v[88:89], v[82:83]
	v_mul_f64 v[88:89], v[86:87], v[82:83]
	v_mul_f64 v[90:91], v[80:81], v[88:89]
	v_fma_f64 v[80:81], v[88:89], v[80:81], -v[90:91]
	v_fmac_f64_e32 v[80:81], v[88:89], v[10:11]
	v_add_f64 v[10:11], v[90:91], v[80:81]
	v_add_f64 v[92:93], v[86:87], -v[10:11]
	v_add_f64 v[90:91], v[10:11], -v[90:91]
	v_add_f64 v[86:87], v[86:87], -v[92:93]
	v_add_f64 v[10:11], v[86:87], -v[10:11]
	v_add_f64 v[80:81], v[90:91], -v[80:81]
	v_add_f64 v[10:11], v[80:81], v[10:11]
	v_add_f64 v[10:11], v[92:93], v[10:11]
	v_mul_f64 v[10:11], v[82:83], v[10:11]
	v_add_f64 v[80:81], v[88:89], v[10:11]
	v_add_f64 v[82:83], v[80:81], -v[88:89]
	v_add_f64 v[10:11], v[10:11], -v[82:83]
	v_mul_f64 v[82:83], v[80:81], v[80:81]
	v_pk_mov_b32 v[86:87], v[20:21], v[20:21] op_sel:[0,1]
	v_fmac_f64_e32 v[86:87], s[24:25], v[82:83]
	v_pk_mov_b32 v[88:89], v[22:23], v[22:23] op_sel:[0,1]
	v_fmac_f64_e32 v[88:89], v[82:83], v[86:87]
	;; [unrolled: 2-line block ×6, first 2 shown]
	v_ldexp_f64 v[86:87], v[80:81], 1
	v_mul_f64 v[80:81], v[80:81], v[82:83]
	v_mul_f64 v[80:81], v[80:81], v[88:89]
	v_add_f64 v[82:83], v[86:87], v[80:81]
	v_add_f64 v[86:87], v[82:83], -v[86:87]
	v_ldexp_f64 v[10:11], v[10:11], 1
	v_add_f64 v[80:81], v[80:81], -v[86:87]
	v_add_f64 v[10:11], v[10:11], v[80:81]
	v_frexp_exp_i32_f64_e32 v1, v[84:85]
	v_add_f64 v[80:81], v[82:83], v[10:11]
	v_subbrev_co_u32_e32 v1, vcc, 0, v1, vcc
	v_add_f64 v[82:83], v[80:81], -v[82:83]
	v_add_f64 v[10:11], v[10:11], -v[82:83]
	v_cvt_f64_i32_e32 v[82:83], v1
	v_mul_f64 v[86:87], v[82:83], s[26:27]
	v_fma_f64 v[88:89], v[82:83], s[26:27], -v[86:87]
	v_fmac_f64_e32 v[88:89], s[28:29], v[82:83]
	v_add_f64 v[82:83], v[86:87], v[88:89]
	v_add_f64 v[86:87], v[82:83], -v[86:87]
	v_add_f64 v[86:87], v[88:89], -v[86:87]
	v_add_f64 v[88:89], v[82:83], v[80:81]
	v_add_f64 v[90:91], v[88:89], -v[82:83]
	v_add_f64 v[92:93], v[88:89], -v[90:91]
	;; [unrolled: 1-line block ×4, first 2 shown]
	v_add_f64 v[80:81], v[80:81], v[82:83]
	v_add_f64 v[82:83], v[86:87], v[10:11]
	v_add_f64 v[90:91], v[82:83], -v[86:87]
	v_add_f64 v[92:93], v[82:83], -v[90:91]
	v_add_f64 v[80:81], v[82:83], v[80:81]
	v_add_f64 v[86:87], v[86:87], -v[92:93]
	v_add_f64 v[10:11], v[10:11], -v[90:91]
	v_add_f64 v[82:83], v[88:89], v[80:81]
	v_add_f64 v[10:11], v[10:11], v[86:87]
	v_add_f64 v[86:87], v[82:83], -v[88:89]
	v_add_f64 v[80:81], v[80:81], -v[86:87]
	v_add_f64 v[10:11], v[10:11], v[80:81]
	v_add_f64 v[10:11], v[82:83], v[10:11]
	v_max_f64 v[80:81], |v[16:17]|, |v[16:17]|
	v_max_f64 v[82:83], |v[14:15]|, |v[14:15]|
	v_max_f64 v[86:87], v[82:83], v[80:81]
	v_min_f64 v[80:81], v[82:83], v[80:81]
	v_div_scale_f64 v[82:83], s[60:61], v[86:87], v[86:87], v[80:81]
	v_rcp_f64_e32 v[88:89], v[82:83]
	v_cmp_neq_f64_e32 vcc, 0, v[84:85]
	v_mul_f64 v[10:11], v[10:11], 0.5
	v_cndmask_b32_e32 v11, v108, v11, vcc
	v_fma_f64 v[84:85], -v[82:83], v[88:89], 1.0
	v_fmac_f64_e32 v[88:89], v[88:89], v[84:85]
	v_fma_f64 v[84:85], -v[82:83], v[88:89], 1.0
	v_cndmask_b32_e32 v10, 0, v10, vcc
	v_fmac_f64_e32 v[88:89], v[88:89], v[84:85]
	v_div_scale_f64 v[84:85], vcc, v[80:81], v[86:87], v[80:81]
	v_mul_f64 v[90:91], v[84:85], v[88:89]
	v_fma_f64 v[82:83], -v[82:83], v[90:91], v[84:85]
	v_pk_mov_b32 v[84:85], v[32:33], v[32:33] op_sel:[0,1]
	s_nop 0
	v_div_fmas_f64 v[82:83], v[82:83], v[88:89], v[90:91]
	v_div_fixup_f64 v[80:81], v[82:83], v[86:87], v[80:81]
	v_mul_f64 v[82:83], v[80:81], v[80:81]
	v_fmac_f64_e32 v[84:85], s[34:35], v[82:83]
	v_pk_mov_b32 v[86:87], v[34:35], v[34:35] op_sel:[0,1]
	v_fmac_f64_e32 v[86:87], v[82:83], v[84:85]
	v_pk_mov_b32 v[84:85], v[36:37], v[36:37] op_sel:[0,1]
	;; [unrolled: 2-line block ×18, first 2 shown]
	v_fmac_f64_e32 v[84:85], v[82:83], v[86:87]
	v_mul_f64 v[82:83], v[82:83], v[84:85]
	v_fmac_f64_e32 v[80:81], v[80:81], v[82:83]
	v_cmp_class_f64_e64 s[62:63], v[14:15], s67
	v_cmp_gt_i32_e32 vcc, 0, v15
	v_ashrrev_i32_e32 v12, 31, v15
	v_add_f64 v[14:15], -v[80:81], s[36:37]
	v_cndmask_b32_e64 v15, v81, v15, s[0:1]
	v_cndmask_b32_e64 v14, v80, v14, s[0:1]
	s_mov_b32 s38, s36
	v_add_f64 v[80:81], -v[14:15], s[38:39]
	v_cmp_class_f64_e64 s[60:61], v[16:17], s67
	v_cndmask_b32_e32 v1, v109, v110, vcc
	v_cndmask_b32_e32 v8, v111, v112, vcc
	v_and_b32_e32 v19, 0x400921fb, v12
	v_and_b32_e32 v12, 0x54442d18, v12
	v_cndmask_b32_e32 v15, v15, v81, vcc
	v_cndmask_b32_e32 v14, v14, v80, vcc
	v_cmp_eq_f64_e32 vcc, 0, v[16:17]
	v_bfi_b32 v8, s8, v8, v17
	v_cndmask_b32_e32 v12, v14, v12, vcc
	v_cndmask_b32_e32 v14, v15, v19, vcc
	s_and_b64 vcc, s[62:63], s[60:61]
	v_cndmask_b32_e32 v81, v14, v8, vcc
	v_cndmask_b32_e32 v80, v12, v1, vcc
                                        ; implicit-def: $vgpr86_vgpr87
                                        ; implicit-def: $vgpr82_vgpr83
.LBB180_82:                             ;   in Loop: Header=BB180_5 Depth=1
	s_andn2_saveexec_b64 s[60:61], s[2:3]
	s_cbranch_execz .LBB180_86
; %bb.83:                               ;   in Loop: Header=BB180_5 Depth=1
	v_and_b32_e32 v19, 0x7ffffff8, v87
	v_add_f64 v[10:11], v[86:87], -v[18:19]
	v_and_b32_e32 v95, -8, v11
	v_mov_b32_e32 v94, v18
	v_and_b32_e32 v85, 0x7ffffff8, v83
	v_mov_b32_e32 v84, v18
	v_add_f64 v[98:99], v[10:11], -v[94:95]
	v_add_f64 v[10:11], v[82:83], -v[84:85]
	v_and_b32_e32 v97, -8, v11
	v_mov_b32_e32 v96, v18
	v_add_f64 v[88:89], v[18:19], v[18:19]
	v_add_f64 v[102:103], v[84:85], v[84:85]
	v_add_f64 v[100:101], v[10:11], -v[96:97]
	v_mul_f64 v[80:81], v[84:85], v[84:85]
	v_mul_f64 v[86:87], v[88:89], v[94:95]
	;; [unrolled: 1-line block ×5, first 2 shown]
	v_add_f64 v[94:95], v[94:95], v[94:95]
	v_add_f64 v[96:97], v[96:97], v[96:97]
	v_mul_f64 v[10:11], v[18:19], v[18:19]
	v_mul_f64 v[90:91], v[88:89], v[98:99]
	;; [unrolled: 1-line block ×7, first 2 shown]
	s_mov_b64 s[62:63], 0
.LBB180_84:                             ;   Parent Loop BB180_5 Depth=1
                                        ; =>  This Inner Loop Header: Depth=2
	v_cmp_nlt_f64_e32 vcc, v[10:11], v[80:81]
	v_cndmask_b32_e32 v103, v11, v81, vcc
	v_cndmask_b32_e32 v102, v10, v80, vcc
	v_cmp_nlt_f64_e64 s[2:3], v[102:103], v[86:87]
	v_cndmask_b32_e64 v105, v103, v87, s[2:3]
	v_cndmask_b32_e64 v104, v102, v86, s[2:3]
	v_cndmask_b32_e32 v11, v81, v11, vcc
	v_cndmask_b32_e32 v10, v80, v10, vcc
	s_and_b64 s[64:65], vcc, s[2:3]
	v_cmp_nlt_f64_e32 vcc, v[104:105], v[84:85]
	v_cndmask_b32_e64 v81, v87, v103, s[2:3]
	v_cndmask_b32_e64 v80, v86, v102, s[2:3]
	v_cndmask_b32_e32 v103, v105, v85, vcc
	v_cndmask_b32_e32 v102, v104, v84, vcc
	v_cmp_nlt_f64_e64 s[2:3], v[102:103], v[92:93]
	v_cndmask_b32_e32 v87, v85, v105, vcc
	v_cndmask_b32_e32 v86, v84, v104, vcc
	v_cndmask_b32_e64 v105, v103, v93, s[2:3]
	v_cndmask_b32_e64 v104, v102, v92, s[2:3]
	s_and_b64 s[72:73], vcc, s[2:3]
	v_cmp_nlt_f64_e32 vcc, v[104:105], v[82:83]
	v_cndmask_b32_e64 v85, v93, v103, s[2:3]
	v_cndmask_b32_e64 v84, v92, v102, s[2:3]
	v_cndmask_b32_e32 v103, v105, v83, vcc
	v_cndmask_b32_e32 v102, v104, v82, vcc
	v_cmp_nlt_f64_e64 s[2:3], v[102:103], v[90:91]
	v_cndmask_b32_e32 v93, v83, v105, vcc
	v_cndmask_b32_e32 v92, v82, v104, vcc
	v_cndmask_b32_e64 v105, v103, v91, s[2:3]
	v_cndmask_b32_e64 v104, v102, v90, s[2:3]
	;; [unrolled: 1-line block ×4, first 2 shown]
	s_and_b64 s[2:3], vcc, s[2:3]
	v_cmp_nlt_f64_e32 vcc, v[104:105], v[88:89]
	v_cndmask_b32_e32 v103, v105, v89, vcc
	v_cndmask_b32_e32 v102, v104, v88, vcc
	v_cndmask_b32_e32 v91, v89, v105, vcc
	v_cndmask_b32_e32 v90, v88, v104, vcc
	s_and_b64 s[2:3], s[2:3], vcc
	v_cmp_nlt_f64_e32 vcc, v[102:103], v[94:95]
	v_cndmask_b32_e32 v105, v103, v95, vcc
	v_cndmask_b32_e32 v104, v102, v94, vcc
	v_cndmask_b32_e32 v89, v95, v103, vcc
	v_cndmask_b32_e32 v88, v94, v102, vcc
	s_and_b64 s[2:3], s[2:3], vcc
	;; [unrolled: 6-line block ×4, first 2 shown]
	v_cmp_nlt_f64_e32 vcc, v[104:105], v[100:101]
	s_and_b64 s[2:3], s[2:3], vcc
	s_and_b64 s[2:3], s[2:3], s[72:73]
	s_and_b64 s[2:3], s[2:3], s[64:65]
	v_cndmask_b32_e32 v103, v105, v101, vcc
	v_cndmask_b32_e32 v102, v104, v100, vcc
	s_and_b64 s[2:3], exec, s[2:3]
	v_cndmask_b32_e32 v99, v101, v105, vcc
	v_cndmask_b32_e32 v98, v100, v104, vcc
	s_or_b64 s[62:63], s[2:3], s[62:63]
	v_pk_mov_b32 v[100:101], v[102:103], v[102:103] op_sel:[0,1]
	s_andn2_b64 exec, exec, s[62:63]
	s_cbranch_execnz .LBB180_84
; %bb.85:                               ;   in Loop: Header=BB180_5 Depth=1
	s_or_b64 exec, exec, s[62:63]
	v_add_f64 v[10:11], v[10:11], -1.0
	v_add_f64 v[10:11], v[10:11], v[80:81]
	v_add_f64 v[10:11], v[10:11], v[86:87]
	v_add_f64 v[10:11], v[10:11], v[84:85]
	v_add_f64 v[10:11], v[10:11], v[92:93]
	v_add_f64 v[10:11], v[10:11], v[82:83]
	v_add_f64 v[10:11], v[10:11], v[90:91]
	v_add_f64 v[10:11], v[10:11], v[88:89]
	v_add_f64 v[10:11], v[10:11], v[94:95]
	v_add_f64 v[10:11], v[10:11], v[96:97]
	v_add_f64 v[10:11], v[10:11], v[98:99]
	v_add_f64 v[80:81], v[102:103], v[10:11]
	v_add_f64 v[10:11], v[80:81], 1.0
	v_add_f64 v[82:83], v[10:11], -1.0
	v_add_f64 v[84:85], v[82:83], -v[10:11]
	v_add_f64 v[84:85], v[84:85], 1.0
	v_add_f64 v[82:83], v[80:81], -v[82:83]
	v_add_f64 v[82:83], v[82:83], v[84:85]
	v_frexp_mant_f64_e32 v[84:85], v[10:11]
	v_frexp_exp_i32_f64_e32 v1, v[10:11]
	v_cmp_gt_f64_e32 vcc, s[22:23], v[84:85]
	v_subbrev_co_u32_e32 v1, vcc, 0, v1, vcc
	v_sub_u32_e32 v8, 0, v1
	v_ldexp_f64 v[10:11], v[10:11], v8
	v_add_f64 v[84:85], v[10:11], -1.0
	v_add_f64 v[90:91], v[10:11], 1.0
	v_add_f64 v[86:87], v[84:85], 1.0
	v_add_f64 v[92:93], v[90:91], -1.0
	v_ldexp_f64 v[82:83], v[82:83], v8
	v_add_f64 v[86:87], v[10:11], -v[86:87]
	v_add_f64 v[10:11], v[10:11], -v[92:93]
	v_add_f64 v[10:11], v[82:83], v[10:11]
	v_add_f64 v[86:87], v[82:83], v[86:87]
	v_add_f64 v[82:83], v[90:91], v[10:11]
	v_rcp_f64_e32 v[92:93], v[82:83]
	v_add_f64 v[88:89], v[84:85], v[86:87]
	v_add_f64 v[84:85], v[88:89], -v[84:85]
	v_add_f64 v[84:85], v[86:87], -v[84:85]
	;; [unrolled: 1-line block ×4, first 2 shown]
	v_fma_f64 v[86:87], -v[82:83], v[92:93], 1.0
	v_fmac_f64_e32 v[92:93], v[86:87], v[92:93]
	v_fma_f64 v[86:87], -v[82:83], v[92:93], 1.0
	v_fmac_f64_e32 v[92:93], v[86:87], v[92:93]
	v_mul_f64 v[86:87], v[88:89], v[92:93]
	v_mul_f64 v[90:91], v[82:83], v[86:87]
	v_fma_f64 v[94:95], v[86:87], v[82:83], -v[90:91]
	v_fmac_f64_e32 v[94:95], v[86:87], v[10:11]
	v_add_f64 v[96:97], v[90:91], v[94:95]
	v_add_f64 v[98:99], v[88:89], -v[96:97]
	v_add_f64 v[88:89], v[88:89], -v[98:99]
	;; [unrolled: 1-line block ×4, first 2 shown]
	v_add_f64 v[84:85], v[84:85], v[88:89]
	v_add_f64 v[88:89], v[90:91], -v[94:95]
	v_add_f64 v[84:85], v[88:89], v[84:85]
	v_add_f64 v[88:89], v[98:99], v[84:85]
	v_add_f64 v[90:91], v[98:99], -v[88:89]
	v_add_f64 v[84:85], v[84:85], v[90:91]
	v_mul_f64 v[90:91], v[92:93], v[88:89]
	v_mul_f64 v[94:95], v[82:83], v[90:91]
	v_fma_f64 v[82:83], v[90:91], v[82:83], -v[94:95]
	v_fmac_f64_e32 v[82:83], v[90:91], v[10:11]
	v_add_f64 v[10:11], v[94:95], v[82:83]
	v_add_f64 v[96:97], v[88:89], -v[10:11]
	v_add_f64 v[88:89], v[88:89], -v[96:97]
	v_add_f64 v[94:95], v[10:11], -v[94:95]
	v_add_f64 v[10:11], v[88:89], -v[10:11]
	v_add_f64 v[10:11], v[84:85], v[10:11]
	v_add_f64 v[82:83], v[94:95], -v[82:83]
	v_add_f64 v[10:11], v[82:83], v[10:11]
	v_add_f64 v[82:83], v[86:87], v[90:91]
	;; [unrolled: 1-line block ×3, first 2 shown]
	v_add_f64 v[84:85], v[82:83], -v[86:87]
	v_mul_f64 v[10:11], v[92:93], v[10:11]
	v_add_f64 v[84:85], v[90:91], -v[84:85]
	v_add_f64 v[10:11], v[84:85], v[10:11]
	v_add_f64 v[84:85], v[82:83], v[10:11]
	v_add_f64 v[82:83], v[84:85], -v[82:83]
	v_add_f64 v[10:11], v[10:11], -v[82:83]
	v_mul_f64 v[82:83], v[84:85], v[84:85]
	v_pk_mov_b32 v[86:87], v[20:21], v[20:21] op_sel:[0,1]
	v_fmac_f64_e32 v[86:87], s[24:25], v[82:83]
	v_pk_mov_b32 v[88:89], v[22:23], v[22:23] op_sel:[0,1]
	v_fmac_f64_e32 v[88:89], v[82:83], v[86:87]
	;; [unrolled: 2-line block ×6, first 2 shown]
	v_cvt_f64_i32_e32 v[86:87], v1
	v_mul_f64 v[90:91], v[86:87], s[26:27]
	v_fma_f64 v[92:93], v[86:87], s[26:27], -v[90:91]
	v_fmac_f64_e32 v[92:93], s[28:29], v[86:87]
	v_add_f64 v[86:87], v[90:91], v[92:93]
	v_add_f64 v[90:91], v[86:87], -v[90:91]
	v_mul_f64 v[82:83], v[84:85], v[82:83]
	v_add_f64 v[90:91], v[92:93], -v[90:91]
	v_ldexp_f64 v[92:93], v[84:85], 1
	v_mul_f64 v[82:83], v[82:83], v[88:89]
	v_add_f64 v[84:85], v[92:93], v[82:83]
	v_add_f64 v[88:89], v[84:85], -v[92:93]
	v_ldexp_f64 v[10:11], v[10:11], 1
	v_add_f64 v[82:83], v[82:83], -v[88:89]
	v_add_f64 v[10:11], v[10:11], v[82:83]
	v_add_f64 v[82:83], v[84:85], v[10:11]
	v_add_f64 v[84:85], v[82:83], -v[84:85]
	v_add_f64 v[10:11], v[10:11], -v[84:85]
	v_add_f64 v[84:85], v[86:87], v[82:83]
	v_add_f64 v[88:89], v[84:85], -v[86:87]
	v_add_f64 v[92:93], v[84:85], -v[88:89]
	;; [unrolled: 1-line block ×4, first 2 shown]
	v_add_f64 v[82:83], v[82:83], v[86:87]
	v_add_f64 v[86:87], v[90:91], v[10:11]
	v_add_f64 v[88:89], v[86:87], -v[90:91]
	v_add_f64 v[82:83], v[86:87], v[82:83]
	v_add_f64 v[92:93], v[86:87], -v[88:89]
	;; [unrolled: 2-line block ×3, first 2 shown]
	v_add_f64 v[10:11], v[10:11], -v[88:89]
	v_add_f64 v[84:85], v[86:87], -v[84:85]
	v_add_f64 v[10:11], v[10:11], v[90:91]
	v_add_f64 v[82:83], v[82:83], -v[84:85]
	v_add_f64 v[10:11], v[10:11], v[82:83]
	v_max_f64 v[82:83], |v[16:17]|, |v[16:17]|
	v_max_f64 v[84:85], |v[14:15]|, |v[14:15]|
	v_add_f64 v[10:11], v[86:87], v[10:11]
	v_max_f64 v[86:87], v[84:85], v[82:83]
	v_min_f64 v[82:83], v[84:85], v[82:83]
	v_div_scale_f64 v[84:85], s[2:3], v[86:87], v[86:87], v[82:83]
	v_cmp_eq_f64_e32 vcc, s[30:31], v[80:81]
	v_rcp_f64_e32 v[88:89], v[84:85]
	v_cndmask_b32_e32 v11, v11, v81, vcc
	v_cndmask_b32_e32 v10, v10, v80, vcc
	v_mul_f64 v[10:11], v[10:11], 0.5
	v_cmp_ngt_f64_e32 vcc, -1.0, v[80:81]
	v_cndmask_b32_e32 v1, v107, v11, vcc
	v_cmp_nge_f64_e32 vcc, -1.0, v[80:81]
	v_cndmask_b32_e32 v10, 0, v10, vcc
	v_cmp_neq_f64_e32 vcc, -1.0, v[80:81]
	v_fma_f64 v[80:81], -v[84:85], v[88:89], 1.0
	v_fmac_f64_e32 v[88:89], v[88:89], v[80:81]
	v_fma_f64 v[80:81], -v[84:85], v[88:89], 1.0
	v_cndmask_b32_e32 v11, v108, v1, vcc
	v_fmac_f64_e32 v[88:89], v[88:89], v[80:81]
	v_div_scale_f64 v[80:81], vcc, v[82:83], v[86:87], v[82:83]
	v_mul_f64 v[90:91], v[80:81], v[88:89]
	v_fma_f64 v[80:81], -v[84:85], v[90:91], v[80:81]
	v_pk_mov_b32 v[84:85], v[32:33], v[32:33] op_sel:[0,1]
	s_nop 0
	v_div_fmas_f64 v[80:81], v[80:81], v[88:89], v[90:91]
	v_div_fixup_f64 v[80:81], v[80:81], v[86:87], v[82:83]
	v_mul_f64 v[82:83], v[80:81], v[80:81]
	v_fmac_f64_e32 v[84:85], s[34:35], v[82:83]
	v_pk_mov_b32 v[86:87], v[34:35], v[34:35] op_sel:[0,1]
	v_fmac_f64_e32 v[86:87], v[82:83], v[84:85]
	v_pk_mov_b32 v[84:85], v[36:37], v[36:37] op_sel:[0,1]
	;; [unrolled: 2-line block ×18, first 2 shown]
	v_fmac_f64_e32 v[84:85], v[82:83], v[86:87]
	v_mul_f64 v[82:83], v[82:83], v[84:85]
	v_fmac_f64_e32 v[80:81], v[80:81], v[82:83]
	v_cmp_class_f64_e64 s[62:63], v[14:15], s67
	v_cmp_gt_i32_e32 vcc, 0, v15
	v_ashrrev_i32_e32 v12, 31, v15
	v_add_f64 v[14:15], -v[80:81], s[36:37]
	v_cndmask_b32_e64 v15, v81, v15, s[0:1]
	v_cndmask_b32_e64 v14, v80, v14, s[0:1]
	s_mov_b32 s38, s36
	v_add_f64 v[80:81], -v[14:15], s[38:39]
	v_cmp_class_f64_e64 s[2:3], v[16:17], s67
	v_cndmask_b32_e32 v1, v109, v110, vcc
	v_cndmask_b32_e32 v8, v111, v112, vcc
	v_and_b32_e32 v19, 0x400921fb, v12
	v_and_b32_e32 v12, 0x54442d18, v12
	v_cndmask_b32_e32 v15, v15, v81, vcc
	v_cndmask_b32_e32 v14, v14, v80, vcc
	v_cmp_eq_f64_e32 vcc, 0, v[16:17]
	v_bfi_b32 v8, s8, v8, v17
	v_cndmask_b32_e32 v12, v14, v12, vcc
	v_cndmask_b32_e32 v14, v15, v19, vcc
	s_and_b64 vcc, s[62:63], s[2:3]
	v_cndmask_b32_e32 v81, v14, v8, vcc
	v_cndmask_b32_e32 v80, v12, v1, vcc
.LBB180_86:                             ;   in Loop: Header=BB180_5 Depth=1
	s_or_b64 exec, exec, s[60:61]
.LBB180_87:                             ;   in Loop: Header=BB180_5 Depth=1
	s_or_b64 exec, exec, s[58:59]
.LBB180_88:                             ;   in Loop: Header=BB180_5 Depth=1
	s_andn2_saveexec_b64 s[56:57], s[56:57]
	s_cbranch_execz .LBB180_90
; %bb.89:                               ;   in Loop: Header=BB180_5 Depth=1
	v_max_f64 v[10:11], |v[16:17]|, |v[16:17]|
	v_max_f64 v[80:81], |v[14:15]|, |v[14:15]|
	v_max_f64 v[82:83], v[80:81], v[10:11]
	v_frexp_exp_i32_f64_e32 v1, v[82:83]
	v_sub_u32_e32 v8, 0, v1
	v_ldexp_f64 v[86:87], |v[16:17]|, v8
	v_ldexp_f64 v[84:85], |v[14:15]|, v8
	v_mul_f64 v[86:87], v[86:87], v[86:87]
	v_fmac_f64_e32 v[86:87], v[84:85], v[84:85]
	v_rsq_f64_e32 v[84:85], v[86:87]
	v_cmp_eq_f64_e32 vcc, 0, v[86:87]
	v_cmp_class_f64_e64 s[58:59], v[14:15], s67
	v_cmp_class_f64_e64 s[60:61], v[16:17], s67
	v_mul_f64 v[88:89], v[86:87], v[84:85]
	v_mul_f64 v[84:85], v[84:85], 0.5
	v_fma_f64 v[90:91], -v[84:85], v[88:89], 0.5
	v_fmac_f64_e32 v[88:89], v[88:89], v[90:91]
	v_fmac_f64_e32 v[84:85], v[84:85], v[90:91]
	v_fma_f64 v[90:91], -v[88:89], v[88:89], v[86:87]
	v_fmac_f64_e32 v[88:89], v[90:91], v[84:85]
	v_cndmask_b32_e32 v85, v89, v87, vcc
	v_cndmask_b32_e32 v84, v88, v86, vcc
	v_ldexp_f64 v[84:85], v[84:85], v1
	s_or_b64 vcc, s[58:59], s[60:61]
	v_cndmask_b32_e32 v87, v85, v114, vcc
	v_cndmask_b32_e64 v86, v84, 0, vcc
	v_frexp_mant_f64_e32 v[88:89], v[86:87]
	v_cmp_gt_f64_e64 s[2:3], s[22:23], v[88:89]
	v_cndmask_b32_e64 v19, v113, 2.0, s[2:3]
	v_mul_f64 v[88:89], v[88:89], v[18:19]
	v_add_f64 v[90:91], v[88:89], 1.0
	v_rcp_f64_e32 v[92:93], v[90:91]
	v_add_f64 v[96:97], v[90:91], -1.0
	v_add_f64 v[94:95], v[88:89], -1.0
	v_add_f64 v[88:89], v[88:89], -v[96:97]
	v_fma_f64 v[96:97], -v[90:91], v[92:93], 1.0
	v_fmac_f64_e32 v[92:93], v[96:97], v[92:93]
	v_fma_f64 v[96:97], -v[90:91], v[92:93], 1.0
	v_fmac_f64_e32 v[92:93], v[96:97], v[92:93]
	v_mul_f64 v[96:97], v[94:95], v[92:93]
	v_mul_f64 v[98:99], v[90:91], v[96:97]
	v_fma_f64 v[90:91], v[96:97], v[90:91], -v[98:99]
	v_fmac_f64_e32 v[90:91], v[96:97], v[88:89]
	v_add_f64 v[88:89], v[98:99], v[90:91]
	v_add_f64 v[100:101], v[94:95], -v[88:89]
	v_add_f64 v[98:99], v[88:89], -v[98:99]
	;; [unrolled: 1-line block ×5, first 2 shown]
	v_add_f64 v[88:89], v[90:91], v[88:89]
	v_add_f64 v[88:89], v[100:101], v[88:89]
	v_mul_f64 v[88:89], v[92:93], v[88:89]
	v_add_f64 v[90:91], v[96:97], v[88:89]
	v_add_f64 v[92:93], v[90:91], -v[96:97]
	v_add_f64 v[88:89], v[88:89], -v[92:93]
	v_mul_f64 v[92:93], v[90:91], v[90:91]
	v_pk_mov_b32 v[94:95], v[20:21], v[20:21] op_sel:[0,1]
	v_fmac_f64_e32 v[94:95], s[24:25], v[92:93]
	v_pk_mov_b32 v[96:97], v[22:23], v[22:23] op_sel:[0,1]
	v_fmac_f64_e32 v[96:97], v[92:93], v[94:95]
	;; [unrolled: 2-line block ×6, first 2 shown]
	v_ldexp_f64 v[94:95], v[90:91], 1
	v_mul_f64 v[90:91], v[90:91], v[92:93]
	v_mul_f64 v[90:91], v[90:91], v[96:97]
	v_add_f64 v[92:93], v[94:95], v[90:91]
	v_add_f64 v[94:95], v[92:93], -v[94:95]
	v_ldexp_f64 v[88:89], v[88:89], 1
	v_add_f64 v[90:91], v[90:91], -v[94:95]
	v_add_f64 v[88:89], v[88:89], v[90:91]
	v_frexp_exp_i32_f64_e32 v1, v[86:87]
	v_add_f64 v[90:91], v[92:93], v[88:89]
	v_subbrev_co_u32_e64 v1, s[2:3], 0, v1, s[2:3]
	v_add_f64 v[92:93], v[90:91], -v[92:93]
	v_add_f64 v[88:89], v[88:89], -v[92:93]
	v_cvt_f64_i32_e32 v[92:93], v1
	v_mul_f64 v[94:95], v[92:93], s[26:27]
	v_fma_f64 v[96:97], v[92:93], s[26:27], -v[94:95]
	v_fmac_f64_e32 v[96:97], s[28:29], v[92:93]
	v_add_f64 v[92:93], v[94:95], v[96:97]
	v_add_f64 v[94:95], v[92:93], -v[94:95]
	v_add_f64 v[94:95], v[96:97], -v[94:95]
	v_add_f64 v[96:97], v[92:93], v[90:91]
	v_add_f64 v[98:99], v[96:97], -v[92:93]
	v_add_f64 v[100:101], v[96:97], -v[98:99]
	;; [unrolled: 1-line block ×4, first 2 shown]
	v_add_f64 v[90:91], v[90:91], v[92:93]
	v_add_f64 v[92:93], v[94:95], v[88:89]
	v_add_f64 v[98:99], v[92:93], -v[94:95]
	v_add_f64 v[100:101], v[92:93], -v[98:99]
	v_add_f64 v[90:91], v[92:93], v[90:91]
	v_add_f64 v[94:95], v[94:95], -v[100:101]
	v_add_f64 v[88:89], v[88:89], -v[98:99]
	v_add_f64 v[92:93], v[96:97], v[90:91]
	v_add_f64 v[88:89], v[88:89], v[94:95]
	v_add_f64 v[94:95], v[92:93], -v[96:97]
	v_add_f64 v[90:91], v[90:91], -v[94:95]
	v_add_f64 v[88:89], v[88:89], v[90:91]
	v_add_f64 v[88:89], v[92:93], v[88:89]
	v_cmp_class_f64_e64 s[2:3], v[84:85], s67
	v_min_f64 v[80:81], v[80:81], v[10:11]
	v_cndmask_b32_e64 v1, v89, v85, s[2:3]
	v_cndmask_b32_e64 v8, v88, v84, s[2:3]
	v_div_scale_f64 v[84:85], s[2:3], v[82:83], v[82:83], v[80:81]
	v_rcp_f64_e32 v[88:89], v[84:85]
	v_cndmask_b32_e64 v8, v8, 0, vcc
	v_cndmask_b32_e32 v1, v1, v114, vcc
	v_cmp_ngt_f64_e32 vcc, 0, v[86:87]
	v_cndmask_b32_e32 v1, v107, v1, vcc
	v_cmp_nge_f64_e32 vcc, 0, v[86:87]
	v_cndmask_b32_e32 v10, 0, v8, vcc
	v_cmp_neq_f64_e32 vcc, 0, v[86:87]
	v_fma_f64 v[86:87], -v[84:85], v[88:89], 1.0
	v_fmac_f64_e32 v[88:89], v[88:89], v[86:87]
	v_fma_f64 v[86:87], -v[84:85], v[88:89], 1.0
	v_cndmask_b32_e32 v11, v108, v1, vcc
	v_fmac_f64_e32 v[88:89], v[88:89], v[86:87]
	v_div_scale_f64 v[86:87], vcc, v[80:81], v[82:83], v[80:81]
	v_mul_f64 v[90:91], v[86:87], v[88:89]
	v_fma_f64 v[84:85], -v[84:85], v[90:91], v[86:87]
	v_pk_mov_b32 v[86:87], v[34:35], v[34:35] op_sel:[0,1]
	s_nop 0
	v_div_fmas_f64 v[84:85], v[84:85], v[88:89], v[90:91]
	v_div_fixup_f64 v[80:81], v[84:85], v[82:83], v[80:81]
	v_mul_f64 v[82:83], v[80:81], v[80:81]
	v_pk_mov_b32 v[84:85], v[32:33], v[32:33] op_sel:[0,1]
	v_fmac_f64_e32 v[84:85], s[34:35], v[82:83]
	v_fmac_f64_e32 v[86:87], v[82:83], v[84:85]
	v_pk_mov_b32 v[84:85], v[36:37], v[36:37] op_sel:[0,1]
	v_fmac_f64_e32 v[84:85], v[82:83], v[86:87]
	v_pk_mov_b32 v[86:87], v[38:39], v[38:39] op_sel:[0,1]
	;; [unrolled: 2-line block ×17, first 2 shown]
	v_fmac_f64_e32 v[84:85], v[82:83], v[86:87]
	v_mul_f64 v[82:83], v[82:83], v[84:85]
	v_fmac_f64_e32 v[80:81], v[80:81], v[82:83]
	v_cmp_gt_i32_e32 vcc, 0, v15
	v_ashrrev_i32_e32 v12, 31, v15
	v_add_f64 v[14:15], -v[80:81], s[36:37]
	v_cndmask_b32_e64 v15, v81, v15, s[0:1]
	v_cndmask_b32_e64 v14, v80, v14, s[0:1]
	s_mov_b32 s38, s36
	v_add_f64 v[80:81], -v[14:15], s[38:39]
	v_cndmask_b32_e32 v1, v109, v110, vcc
	v_cndmask_b32_e32 v8, v111, v112, vcc
	v_and_b32_e32 v19, 0x400921fb, v12
	v_and_b32_e32 v12, 0x54442d18, v12
	v_cndmask_b32_e32 v15, v15, v81, vcc
	v_cndmask_b32_e32 v14, v14, v80, vcc
	v_cmp_eq_f64_e32 vcc, 0, v[16:17]
	v_bfi_b32 v8, s8, v8, v17
	v_cndmask_b32_e32 v12, v14, v12, vcc
	v_cndmask_b32_e32 v14, v15, v19, vcc
	s_and_b64 vcc, s[58:59], s[60:61]
	v_cndmask_b32_e32 v81, v14, v8, vcc
	v_cndmask_b32_e32 v80, v12, v1, vcc
.LBB180_90:                             ;   in Loop: Header=BB180_5 Depth=1
	s_or_b64 exec, exec, s[56:57]
                                        ; implicit-def: $vgpr82_vgpr83
.LBB180_91:                             ;   in Loop: Header=BB180_5 Depth=1
	s_andn2_saveexec_b64 s[2:3], s[54:55]
	s_cbranch_execz .LBB180_97
; %bb.92:                               ;   in Loop: Header=BB180_5 Depth=1
	v_cmp_ngt_f64_e32 vcc, s[42:43], v[82:83]
                                        ; implicit-def: $vgpr10_vgpr11
                                        ; implicit-def: $vgpr80_vgpr81
	s_and_saveexec_b64 s[54:55], vcc
	s_xor_b64 s[54:55], exec, s[54:55]
	s_cbranch_execz .LBB180_94
; %bb.93:                               ;   in Loop: Header=BB180_5 Depth=1
	v_mul_f64 v[10:11], v[82:83], v[82:83]
	v_add_f64 v[80:81], v[10:11], 1.0
	v_add_f64 v[82:83], v[80:81], -1.0
	v_add_f64 v[84:85], v[82:83], -v[80:81]
	v_add_f64 v[84:85], v[84:85], 1.0
	v_add_f64 v[82:83], v[10:11], -v[82:83]
	v_add_f64 v[82:83], v[82:83], v[84:85]
	v_frexp_mant_f64_e32 v[84:85], v[80:81]
	v_frexp_exp_i32_f64_e32 v1, v[80:81]
	v_cmp_gt_f64_e32 vcc, s[22:23], v[84:85]
	v_subbrev_co_u32_e32 v1, vcc, 0, v1, vcc
	v_sub_u32_e32 v8, 0, v1
	v_ldexp_f64 v[80:81], v[80:81], v8
	v_add_f64 v[84:85], v[80:81], -1.0
	v_add_f64 v[90:91], v[80:81], 1.0
	v_add_f64 v[86:87], v[84:85], 1.0
	v_add_f64 v[92:93], v[90:91], -1.0
	v_ldexp_f64 v[82:83], v[82:83], v8
	v_add_f64 v[86:87], v[80:81], -v[86:87]
	v_add_f64 v[80:81], v[80:81], -v[92:93]
	v_add_f64 v[80:81], v[82:83], v[80:81]
	v_add_f64 v[86:87], v[82:83], v[86:87]
	;; [unrolled: 1-line block ×3, first 2 shown]
	v_rcp_f64_e32 v[92:93], v[82:83]
	v_add_f64 v[88:89], v[84:85], v[86:87]
	v_add_f64 v[84:85], v[84:85], -v[88:89]
	v_add_f64 v[84:85], v[86:87], v[84:85]
	v_add_f64 v[86:87], v[90:91], -v[82:83]
	v_add_f64 v[80:81], v[80:81], v[86:87]
	v_fma_f64 v[86:87], -v[82:83], v[92:93], 1.0
	v_fmac_f64_e32 v[92:93], v[86:87], v[92:93]
	v_fma_f64 v[86:87], -v[82:83], v[92:93], 1.0
	v_fmac_f64_e32 v[92:93], v[86:87], v[92:93]
	v_mul_f64 v[86:87], v[88:89], v[92:93]
	v_mul_f64 v[90:91], v[82:83], v[86:87]
	v_fma_f64 v[94:95], v[86:87], v[82:83], -v[90:91]
	v_fmac_f64_e32 v[94:95], v[86:87], v[80:81]
	v_add_f64 v[96:97], v[90:91], v[94:95]
	v_add_f64 v[98:99], v[88:89], -v[96:97]
	v_add_f64 v[88:89], v[88:89], -v[98:99]
	;; [unrolled: 1-line block ×4, first 2 shown]
	v_add_f64 v[84:85], v[84:85], v[88:89]
	v_add_f64 v[88:89], v[90:91], -v[94:95]
	v_add_f64 v[84:85], v[88:89], v[84:85]
	v_add_f64 v[88:89], v[98:99], v[84:85]
	v_add_f64 v[90:91], v[98:99], -v[88:89]
	v_add_f64 v[84:85], v[84:85], v[90:91]
	v_mul_f64 v[90:91], v[92:93], v[88:89]
	v_mul_f64 v[94:95], v[82:83], v[90:91]
	v_fma_f64 v[82:83], v[90:91], v[82:83], -v[94:95]
	v_fmac_f64_e32 v[82:83], v[90:91], v[80:81]
	v_add_f64 v[80:81], v[94:95], v[82:83]
	v_add_f64 v[96:97], v[88:89], -v[80:81]
	v_add_f64 v[88:89], v[88:89], -v[96:97]
	;; [unrolled: 1-line block ×4, first 2 shown]
	v_add_f64 v[80:81], v[84:85], v[80:81]
	v_add_f64 v[82:83], v[94:95], -v[82:83]
	v_add_f64 v[80:81], v[82:83], v[80:81]
	v_add_f64 v[82:83], v[86:87], v[90:91]
	;; [unrolled: 1-line block ×3, first 2 shown]
	v_add_f64 v[84:85], v[82:83], -v[86:87]
	v_mul_f64 v[80:81], v[92:93], v[80:81]
	v_add_f64 v[84:85], v[90:91], -v[84:85]
	v_add_f64 v[80:81], v[84:85], v[80:81]
	v_add_f64 v[84:85], v[82:83], v[80:81]
	v_add_f64 v[82:83], v[84:85], -v[82:83]
	v_add_f64 v[80:81], v[80:81], -v[82:83]
	v_mul_f64 v[82:83], v[84:85], v[84:85]
	v_pk_mov_b32 v[86:87], v[20:21], v[20:21] op_sel:[0,1]
	v_fmac_f64_e32 v[86:87], s[24:25], v[82:83]
	v_pk_mov_b32 v[88:89], v[22:23], v[22:23] op_sel:[0,1]
	v_fmac_f64_e32 v[88:89], v[82:83], v[86:87]
	v_pk_mov_b32 v[86:87], v[24:25], v[24:25] op_sel:[0,1]
	v_fmac_f64_e32 v[86:87], v[82:83], v[88:89]
	v_pk_mov_b32 v[88:89], v[26:27], v[26:27] op_sel:[0,1]
	v_fmac_f64_e32 v[88:89], v[82:83], v[86:87]
	v_pk_mov_b32 v[86:87], v[28:29], v[28:29] op_sel:[0,1]
	v_fmac_f64_e32 v[86:87], v[82:83], v[88:89]
	v_pk_mov_b32 v[88:89], v[30:31], v[30:31] op_sel:[0,1]
	v_fmac_f64_e32 v[88:89], v[82:83], v[86:87]
	v_cvt_f64_i32_e32 v[86:87], v1
	v_mul_f64 v[90:91], v[86:87], s[26:27]
	v_fma_f64 v[92:93], v[86:87], s[26:27], -v[90:91]
	v_fmac_f64_e32 v[92:93], s[28:29], v[86:87]
	v_add_f64 v[86:87], v[90:91], v[92:93]
	v_add_f64 v[90:91], v[86:87], -v[90:91]
	v_mul_f64 v[82:83], v[84:85], v[82:83]
	v_add_f64 v[90:91], v[92:93], -v[90:91]
	v_ldexp_f64 v[92:93], v[84:85], 1
	v_mul_f64 v[82:83], v[82:83], v[88:89]
	v_add_f64 v[84:85], v[92:93], v[82:83]
	v_add_f64 v[88:89], v[84:85], -v[92:93]
	v_ldexp_f64 v[80:81], v[80:81], 1
	v_add_f64 v[82:83], v[82:83], -v[88:89]
	v_add_f64 v[80:81], v[80:81], v[82:83]
	v_add_f64 v[82:83], v[84:85], v[80:81]
	v_add_f64 v[84:85], v[82:83], -v[84:85]
	v_add_f64 v[80:81], v[80:81], -v[84:85]
	v_add_f64 v[84:85], v[86:87], v[82:83]
	v_add_f64 v[88:89], v[84:85], -v[86:87]
	v_add_f64 v[92:93], v[84:85], -v[88:89]
	;; [unrolled: 1-line block ×4, first 2 shown]
	v_add_f64 v[82:83], v[82:83], v[86:87]
	v_add_f64 v[86:87], v[90:91], v[80:81]
	v_add_f64 v[88:89], v[86:87], -v[90:91]
	v_add_f64 v[82:83], v[86:87], v[82:83]
	v_add_f64 v[92:93], v[86:87], -v[88:89]
	;; [unrolled: 2-line block ×3, first 2 shown]
	v_add_f64 v[80:81], v[80:81], -v[88:89]
	v_add_f64 v[84:85], v[86:87], -v[84:85]
	v_add_f64 v[80:81], v[80:81], v[90:91]
	v_add_f64 v[82:83], v[82:83], -v[84:85]
	v_add_f64 v[80:81], v[80:81], v[82:83]
	v_max_f64 v[82:83], |v[16:17]|, |v[16:17]|
	v_max_f64 v[84:85], |v[14:15]|, |v[14:15]|
	v_add_f64 v[80:81], v[86:87], v[80:81]
	v_max_f64 v[86:87], v[84:85], v[82:83]
	v_min_f64 v[82:83], v[84:85], v[82:83]
	v_div_scale_f64 v[84:85], s[56:57], v[86:87], v[86:87], v[82:83]
	v_rcp_f64_e32 v[88:89], v[84:85]
	v_cmp_eq_f64_e32 vcc, s[30:31], v[10:11]
	v_cndmask_b32_e32 v11, v81, v11, vcc
	v_cndmask_b32_e32 v10, v80, v10, vcc
	v_fma_f64 v[80:81], -v[84:85], v[88:89], 1.0
	v_fmac_f64_e32 v[88:89], v[88:89], v[80:81]
	v_fma_f64 v[80:81], -v[84:85], v[88:89], 1.0
	v_fmac_f64_e32 v[88:89], v[88:89], v[80:81]
	v_div_scale_f64 v[80:81], vcc, v[82:83], v[86:87], v[82:83]
	v_mul_f64 v[90:91], v[80:81], v[88:89]
	v_fma_f64 v[80:81], -v[84:85], v[90:91], v[80:81]
	v_pk_mov_b32 v[84:85], v[32:33], v[32:33] op_sel:[0,1]
	s_nop 0
	v_div_fmas_f64 v[80:81], v[80:81], v[88:89], v[90:91]
	v_div_fixup_f64 v[80:81], v[80:81], v[86:87], v[82:83]
	v_mul_f64 v[82:83], v[80:81], v[80:81]
	v_fmac_f64_e32 v[84:85], s[34:35], v[82:83]
	v_pk_mov_b32 v[86:87], v[34:35], v[34:35] op_sel:[0,1]
	v_fmac_f64_e32 v[86:87], v[82:83], v[84:85]
	v_pk_mov_b32 v[84:85], v[36:37], v[36:37] op_sel:[0,1]
	;; [unrolled: 2-line block ×18, first 2 shown]
	v_fmac_f64_e32 v[84:85], v[82:83], v[86:87]
	v_mul_f64 v[82:83], v[82:83], v[84:85]
	v_fmac_f64_e32 v[80:81], v[80:81], v[82:83]
	v_cmp_class_f64_e64 s[58:59], v[14:15], s67
	v_cmp_gt_i32_e32 vcc, 0, v15
	v_ashrrev_i32_e32 v12, 31, v15
	v_add_f64 v[14:15], -v[80:81], s[36:37]
	v_cndmask_b32_e64 v15, v81, v15, s[0:1]
	v_cndmask_b32_e64 v14, v80, v14, s[0:1]
	s_mov_b32 s38, s36
	v_add_f64 v[80:81], -v[14:15], s[38:39]
	v_cmp_class_f64_e64 s[56:57], v[16:17], s67
	v_cndmask_b32_e32 v1, v109, v110, vcc
	v_cndmask_b32_e32 v8, v111, v112, vcc
	v_and_b32_e32 v19, 0x400921fb, v12
	v_and_b32_e32 v12, 0x54442d18, v12
	v_cndmask_b32_e32 v15, v15, v81, vcc
	v_cndmask_b32_e32 v14, v14, v80, vcc
	v_cmp_eq_f64_e32 vcc, 0, v[16:17]
	v_bfi_b32 v8, s8, v8, v17
	v_cndmask_b32_e32 v12, v14, v12, vcc
	v_cndmask_b32_e32 v14, v15, v19, vcc
	s_and_b64 vcc, s[58:59], s[56:57]
	v_mul_f64 v[10:11], v[10:11], 0.5
	v_cndmask_b32_e32 v81, v14, v8, vcc
	v_cndmask_b32_e32 v80, v12, v1, vcc
                                        ; implicit-def: $vgpr82_vgpr83
.LBB180_94:                             ;   in Loop: Header=BB180_5 Depth=1
	s_andn2_saveexec_b64 s[54:55], s[54:55]
	s_cbranch_execz .LBB180_96
; %bb.95:                               ;   in Loop: Header=BB180_5 Depth=1
	v_max_f64 v[10:11], |v[16:17]|, |v[16:17]|
	v_max_f64 v[80:81], |v[14:15]|, |v[14:15]|
	v_max_f64 v[84:85], v[80:81], v[10:11]
	v_min_f64 v[80:81], v[80:81], v[10:11]
	v_div_scale_f64 v[86:87], s[56:57], v[84:85], v[84:85], v[80:81]
	v_rcp_f64_e32 v[88:89], v[86:87]
	v_mul_f64 v[10:11], v[82:83], 0.5
	v_mul_f64 v[10:11], v[82:83], v[10:11]
	v_cmp_class_f64_e64 s[58:59], v[14:15], s67
	v_fma_f64 v[82:83], -v[86:87], v[88:89], 1.0
	v_fmac_f64_e32 v[88:89], v[88:89], v[82:83]
	v_fma_f64 v[82:83], -v[86:87], v[88:89], 1.0
	v_fmac_f64_e32 v[88:89], v[88:89], v[82:83]
	v_div_scale_f64 v[82:83], vcc, v[80:81], v[84:85], v[80:81]
	v_mul_f64 v[90:91], v[82:83], v[88:89]
	v_fma_f64 v[82:83], -v[86:87], v[90:91], v[82:83]
	v_pk_mov_b32 v[86:87], v[34:35], v[34:35] op_sel:[0,1]
	s_nop 0
	v_div_fmas_f64 v[82:83], v[82:83], v[88:89], v[90:91]
	v_div_fixup_f64 v[80:81], v[82:83], v[84:85], v[80:81]
	v_mul_f64 v[82:83], v[80:81], v[80:81]
	v_pk_mov_b32 v[84:85], v[32:33], v[32:33] op_sel:[0,1]
	v_fmac_f64_e32 v[84:85], s[34:35], v[82:83]
	v_fmac_f64_e32 v[86:87], v[82:83], v[84:85]
	v_pk_mov_b32 v[84:85], v[36:37], v[36:37] op_sel:[0,1]
	v_fmac_f64_e32 v[84:85], v[82:83], v[86:87]
	v_pk_mov_b32 v[86:87], v[38:39], v[38:39] op_sel:[0,1]
	;; [unrolled: 2-line block ×17, first 2 shown]
	v_fmac_f64_e32 v[84:85], v[82:83], v[86:87]
	v_mul_f64 v[82:83], v[82:83], v[84:85]
	v_fmac_f64_e32 v[80:81], v[80:81], v[82:83]
	v_cmp_gt_i32_e32 vcc, 0, v15
	v_ashrrev_i32_e32 v12, 31, v15
	v_add_f64 v[14:15], -v[80:81], s[36:37]
	v_cndmask_b32_e64 v15, v81, v15, s[0:1]
	v_cndmask_b32_e64 v14, v80, v14, s[0:1]
	s_mov_b32 s38, s36
	v_add_f64 v[80:81], -v[14:15], s[38:39]
	v_cmp_class_f64_e64 s[56:57], v[16:17], s67
	v_cndmask_b32_e32 v1, v109, v110, vcc
	v_cndmask_b32_e32 v8, v111, v112, vcc
	v_and_b32_e32 v19, 0x400921fb, v12
	v_and_b32_e32 v12, 0x54442d18, v12
	v_cndmask_b32_e32 v15, v15, v81, vcc
	v_cndmask_b32_e32 v14, v14, v80, vcc
	v_cmp_eq_f64_e32 vcc, 0, v[16:17]
	v_bfi_b32 v8, s8, v8, v17
	v_cndmask_b32_e32 v12, v14, v12, vcc
	v_cndmask_b32_e32 v14, v15, v19, vcc
	s_and_b64 vcc, s[58:59], s[56:57]
	v_cndmask_b32_e32 v81, v14, v8, vcc
	v_cndmask_b32_e32 v80, v12, v1, vcc
.LBB180_96:                             ;   in Loop: Header=BB180_5 Depth=1
	s_or_b64 exec, exec, s[54:55]
.LBB180_97:                             ;   in Loop: Header=BB180_5 Depth=1
	s_or_b64 exec, exec, s[2:3]
.LBB180_98:                             ;   in Loop: Header=BB180_5 Depth=1
	s_andn2_saveexec_b64 s[54:55], s[6:7]
	s_cbranch_execz .LBB180_100
; %bb.99:                               ;   in Loop: Header=BB180_5 Depth=1
	v_div_scale_f64 v[10:11], s[2:3], s[44:45], s[44:45], v[14:15]
	v_rcp_f64_e32 v[80:81], v[10:11]
	v_div_scale_f64 v[82:83], vcc, v[14:15], s[44:45], v[14:15]
	s_mov_b32 s38, s36
	v_fma_f64 v[84:85], -v[10:11], v[80:81], 1.0
	v_fmac_f64_e32 v[80:81], v[80:81], v[84:85]
	v_fma_f64 v[84:85], -v[10:11], v[80:81], 1.0
	v_fmac_f64_e32 v[80:81], v[80:81], v[84:85]
	v_mul_f64 v[84:85], v[82:83], v[80:81]
	v_fma_f64 v[10:11], -v[10:11], v[84:85], v[82:83]
	v_div_scale_f64 v[82:83], s[2:3], s[44:45], s[44:45], v[16:17]
	v_rcp_f64_e32 v[86:87], v[82:83]
	v_div_fmas_f64 v[10:11], v[10:11], v[80:81], v[84:85]
	v_div_fixup_f64 v[10:11], v[10:11], s[44:45], v[14:15]
	v_cmp_class_f64_e64 s[6:7], v[10:11], s67
	v_fma_f64 v[80:81], -v[82:83], v[86:87], 1.0
	v_fmac_f64_e32 v[86:87], v[86:87], v[80:81]
	v_fma_f64 v[80:81], -v[82:83], v[86:87], 1.0
	v_fmac_f64_e32 v[86:87], v[86:87], v[80:81]
	v_div_scale_f64 v[80:81], vcc, v[16:17], s[44:45], v[16:17]
	v_mul_f64 v[84:85], v[80:81], v[86:87]
	v_fma_f64 v[80:81], -v[82:83], v[84:85], v[80:81]
	s_nop 1
	v_div_fmas_f64 v[80:81], v[80:81], v[86:87], v[84:85]
	v_div_fixup_f64 v[80:81], v[80:81], s[44:45], v[16:17]
	v_max_f64 v[82:83], |v[10:11]|, |v[80:81]|
	v_frexp_exp_i32_f64_e32 v1, v[82:83]
	v_sub_u32_e32 v8, 0, v1
	v_ldexp_f64 v[84:85], |v[80:81]|, v8
	v_ldexp_f64 v[82:83], |v[10:11]|, v8
	v_mul_f64 v[84:85], v[84:85], v[84:85]
	v_fmac_f64_e32 v[84:85], v[82:83], v[82:83]
	v_rsq_f64_e32 v[82:83], v[84:85]
	v_cmp_eq_f64_e32 vcc, 0, v[84:85]
	v_cmp_o_f64_e64 s[2:3], v[10:11], v[80:81]
	v_cmp_class_f64_e64 s[56:57], v[80:81], s67
	v_mul_f64 v[86:87], v[84:85], v[82:83]
	v_mul_f64 v[82:83], v[82:83], 0.5
	v_fma_f64 v[88:89], -v[82:83], v[86:87], 0.5
	v_fmac_f64_e32 v[86:87], v[86:87], v[88:89]
	v_fmac_f64_e32 v[82:83], v[82:83], v[88:89]
	v_fma_f64 v[88:89], -v[86:87], v[86:87], v[84:85]
	v_fmac_f64_e32 v[86:87], v[88:89], v[82:83]
	v_cndmask_b32_e32 v83, v87, v85, vcc
	v_cndmask_b32_e32 v82, v86, v84, vcc
	v_ldexp_f64 v[82:83], v[82:83], v1
	v_cndmask_b32_e64 v1, 0, v82, s[2:3]
	v_cndmask_b32_e64 v8, v107, v83, s[2:3]
	s_or_b64 vcc, s[6:7], s[56:57]
	v_cndmask_b32_e32 v81, v8, v114, vcc
	v_cndmask_b32_e64 v80, v1, 0, vcc
	v_frexp_mant_f64_e32 v[10:11], v[80:81]
	v_cmp_gt_f64_e64 s[6:7], s[22:23], v[10:11]
	v_cndmask_b32_e64 v19, v113, 2.0, s[6:7]
	v_mul_f64 v[10:11], v[10:11], v[18:19]
	v_add_f64 v[84:85], v[10:11], 1.0
	v_rcp_f64_e32 v[86:87], v[84:85]
	v_add_f64 v[90:91], v[84:85], -1.0
	v_add_f64 v[88:89], v[10:11], -1.0
	v_add_f64 v[10:11], v[10:11], -v[90:91]
	v_fma_f64 v[90:91], -v[84:85], v[86:87], 1.0
	v_fmac_f64_e32 v[86:87], v[90:91], v[86:87]
	v_fma_f64 v[90:91], -v[84:85], v[86:87], 1.0
	v_fmac_f64_e32 v[86:87], v[90:91], v[86:87]
	v_mul_f64 v[90:91], v[88:89], v[86:87]
	v_mul_f64 v[92:93], v[84:85], v[90:91]
	v_fma_f64 v[84:85], v[90:91], v[84:85], -v[92:93]
	v_fmac_f64_e32 v[84:85], v[90:91], v[10:11]
	v_add_f64 v[10:11], v[92:93], v[84:85]
	v_add_f64 v[94:95], v[88:89], -v[10:11]
	v_add_f64 v[92:93], v[10:11], -v[92:93]
	;; [unrolled: 1-line block ×5, first 2 shown]
	v_add_f64 v[10:11], v[84:85], v[10:11]
	v_add_f64 v[10:11], v[94:95], v[10:11]
	v_mul_f64 v[10:11], v[86:87], v[10:11]
	v_add_f64 v[84:85], v[90:91], v[10:11]
	v_add_f64 v[86:87], v[84:85], -v[90:91]
	v_add_f64 v[10:11], v[10:11], -v[86:87]
	v_mul_f64 v[86:87], v[84:85], v[84:85]
	v_pk_mov_b32 v[88:89], v[20:21], v[20:21] op_sel:[0,1]
	v_fmac_f64_e32 v[88:89], s[24:25], v[86:87]
	v_pk_mov_b32 v[90:91], v[22:23], v[22:23] op_sel:[0,1]
	v_fmac_f64_e32 v[90:91], v[86:87], v[88:89]
	;; [unrolled: 2-line block ×6, first 2 shown]
	v_ldexp_f64 v[88:89], v[84:85], 1
	v_mul_f64 v[84:85], v[84:85], v[86:87]
	v_mul_f64 v[84:85], v[84:85], v[90:91]
	v_add_f64 v[86:87], v[88:89], v[84:85]
	v_add_f64 v[88:89], v[86:87], -v[88:89]
	v_ldexp_f64 v[10:11], v[10:11], 1
	v_add_f64 v[84:85], v[84:85], -v[88:89]
	v_add_f64 v[10:11], v[10:11], v[84:85]
	v_frexp_exp_i32_f64_e32 v12, v[80:81]
	v_add_f64 v[84:85], v[86:87], v[10:11]
	v_subbrev_co_u32_e64 v12, s[6:7], 0, v12, s[6:7]
	v_add_f64 v[86:87], v[84:85], -v[86:87]
	v_add_f64 v[10:11], v[10:11], -v[86:87]
	v_cvt_f64_i32_e32 v[86:87], v12
	v_mul_f64 v[88:89], v[86:87], s[26:27]
	v_fma_f64 v[90:91], v[86:87], s[26:27], -v[88:89]
	v_fmac_f64_e32 v[90:91], s[28:29], v[86:87]
	v_add_f64 v[86:87], v[88:89], v[90:91]
	v_add_f64 v[88:89], v[86:87], -v[88:89]
	v_add_f64 v[88:89], v[90:91], -v[88:89]
	v_add_f64 v[90:91], v[86:87], v[84:85]
	v_add_f64 v[92:93], v[90:91], -v[86:87]
	v_add_f64 v[94:95], v[90:91], -v[92:93]
	;; [unrolled: 1-line block ×4, first 2 shown]
	v_add_f64 v[84:85], v[84:85], v[86:87]
	v_add_f64 v[86:87], v[88:89], v[10:11]
	v_add_f64 v[92:93], v[86:87], -v[88:89]
	v_add_f64 v[94:95], v[86:87], -v[92:93]
	v_add_f64 v[84:85], v[86:87], v[84:85]
	v_add_f64 v[88:89], v[88:89], -v[94:95]
	v_add_f64 v[10:11], v[10:11], -v[92:93]
	v_add_f64 v[86:87], v[90:91], v[84:85]
	v_add_f64 v[10:11], v[10:11], v[88:89]
	v_add_f64 v[88:89], v[86:87], -v[90:91]
	v_add_f64 v[84:85], v[84:85], -v[88:89]
	v_and_b32_e32 v83, 0x7fffffff, v83
	v_add_f64 v[10:11], v[10:11], v[84:85]
	v_cmp_eq_f64_e64 s[6:7], s[30:31], v[82:83]
	v_add_f64 v[10:11], v[86:87], v[10:11]
	s_and_b64 s[2:3], s[2:3], s[6:7]
	v_cndmask_b32_e64 v11, v11, v8, s[2:3]
	v_cndmask_b32_e64 v10, v10, v1, s[2:3]
	v_add_f64 v[10:11], v[10:11], 1.0
	v_cndmask_b32_e64 v1, v10, 0, vcc
	v_cndmask_b32_e32 v8, v11, v114, vcc
	v_max_f64 v[10:11], |v[16:17]|, |v[16:17]|
	v_max_f64 v[82:83], |v[14:15]|, |v[14:15]|
	v_max_f64 v[84:85], v[82:83], v[10:11]
	v_min_f64 v[82:83], v[82:83], v[10:11]
	v_div_scale_f64 v[86:87], s[2:3], v[84:85], v[84:85], v[82:83]
	v_rcp_f64_e32 v[88:89], v[86:87]
	v_cmp_ngt_f64_e32 vcc, 0, v[80:81]
	v_cndmask_b32_e32 v8, v107, v8, vcc
	v_cmp_nge_f64_e32 vcc, 0, v[80:81]
	v_cndmask_b32_e32 v10, 0, v1, vcc
	v_cmp_neq_f64_e32 vcc, 0, v[80:81]
	v_fma_f64 v[80:81], -v[86:87], v[88:89], 1.0
	v_fmac_f64_e32 v[88:89], v[88:89], v[80:81]
	v_fma_f64 v[80:81], -v[86:87], v[88:89], 1.0
	v_cndmask_b32_e32 v11, v108, v8, vcc
	v_fmac_f64_e32 v[88:89], v[88:89], v[80:81]
	v_div_scale_f64 v[80:81], vcc, v[82:83], v[84:85], v[82:83]
	v_mul_f64 v[90:91], v[80:81], v[88:89]
	v_fma_f64 v[80:81], -v[86:87], v[90:91], v[80:81]
	v_pk_mov_b32 v[86:87], v[34:35], v[34:35] op_sel:[0,1]
	s_nop 0
	v_div_fmas_f64 v[80:81], v[80:81], v[88:89], v[90:91]
	v_div_fixup_f64 v[80:81], v[80:81], v[84:85], v[82:83]
	v_mul_f64 v[82:83], v[80:81], v[80:81]
	v_pk_mov_b32 v[84:85], v[32:33], v[32:33] op_sel:[0,1]
	v_fmac_f64_e32 v[84:85], s[34:35], v[82:83]
	v_fmac_f64_e32 v[86:87], v[82:83], v[84:85]
	v_pk_mov_b32 v[84:85], v[36:37], v[36:37] op_sel:[0,1]
	v_fmac_f64_e32 v[84:85], v[82:83], v[86:87]
	v_pk_mov_b32 v[86:87], v[38:39], v[38:39] op_sel:[0,1]
	;; [unrolled: 2-line block ×17, first 2 shown]
	v_fmac_f64_e32 v[84:85], v[82:83], v[86:87]
	v_mul_f64 v[82:83], v[82:83], v[84:85]
	v_fmac_f64_e32 v[80:81], v[80:81], v[82:83]
	v_cmp_class_f64_e64 s[6:7], v[14:15], s67
	v_cmp_gt_i32_e32 vcc, 0, v15
	v_ashrrev_i32_e32 v12, 31, v15
	v_add_f64 v[14:15], -v[80:81], s[36:37]
	v_cndmask_b32_e64 v15, v81, v15, s[0:1]
	v_cndmask_b32_e64 v14, v80, v14, s[0:1]
	v_add_f64 v[80:81], -v[14:15], s[38:39]
	v_cmp_class_f64_e64 s[2:3], v[16:17], s67
	v_cndmask_b32_e32 v1, v109, v110, vcc
	v_cndmask_b32_e32 v8, v111, v112, vcc
	v_and_b32_e32 v19, 0x400921fb, v12
	v_and_b32_e32 v12, 0x54442d18, v12
	v_cndmask_b32_e32 v15, v15, v81, vcc
	v_cndmask_b32_e32 v14, v14, v80, vcc
	v_cmp_eq_f64_e32 vcc, 0, v[16:17]
	v_bfi_b32 v8, s8, v8, v17
	v_cndmask_b32_e32 v12, v14, v12, vcc
	v_cndmask_b32_e32 v14, v15, v19, vcc
	s_and_b64 vcc, s[6:7], s[2:3]
	v_cndmask_b32_e32 v81, v14, v8, vcc
	v_cndmask_b32_e32 v80, v12, v1, vcc
.LBB180_100:                            ;   in Loop: Header=BB180_5 Depth=1
	s_or_b64 exec, exec, s[54:55]
.LBB180_101:                            ;   in Loop: Header=BB180_5 Depth=1
	s_andn2_saveexec_b64 s[0:1], s[52:53]
	s_cbranch_execz .LBB180_107
; %bb.102:                              ;   in Loop: Header=BB180_5 Depth=1
	v_cmp_nlt_f64_e64 s[2:3], |v[14:15]|, s[46:47]
	v_cmp_nlt_f64_e64 s[6:7], |v[16:17]|, s[46:47]
	s_or_b64 s[2:3], s[2:3], s[6:7]
                                        ; implicit-def: $vgpr80_vgpr81
	s_and_saveexec_b64 s[6:7], s[2:3]
	s_xor_b64 s[2:3], exec, s[6:7]
; %bb.103:                              ;   in Loop: Header=BB180_5 Depth=1
	v_mul_f64 v[80:81], v[16:17], v[16:17]
	v_fmac_f64_e32 v[80:81], v[14:15], v[14:15]
; %bb.104:                              ;   in Loop: Header=BB180_5 Depth=1
	s_andn2_saveexec_b64 s[2:3], s[2:3]
; %bb.105:                              ;   in Loop: Header=BB180_5 Depth=1
	v_mul_f64 v[10:11], v[14:15], 4.0
	v_mul_f64 v[14:15], v[16:17], 4.0
	v_mul_f64 v[14:15], v[14:15], v[14:15]
	v_fmac_f64_e32 v[14:15], v[10:11], v[10:11]
	v_ldexp_f64 v[80:81], v[14:15], -4
; %bb.106:                              ;   in Loop: Header=BB180_5 Depth=1
	s_or_b64 exec, exec, s[2:3]
	v_frexp_mant_f64_e32 v[10:11], v[80:81]
	v_cmp_gt_f64_e32 vcc, s[22:23], v[10:11]
	v_cndmask_b32_e64 v19, v113, 2.0, vcc
	v_mul_f64 v[10:11], v[10:11], v[18:19]
	v_add_f64 v[14:15], v[10:11], 1.0
	v_rcp_f64_e32 v[82:83], v[14:15]
	v_add_f64 v[86:87], v[14:15], -1.0
	v_add_f64 v[84:85], v[10:11], -1.0
	v_add_f64 v[10:11], v[10:11], -v[86:87]
	v_fma_f64 v[86:87], -v[14:15], v[82:83], 1.0
	v_fmac_f64_e32 v[82:83], v[86:87], v[82:83]
	v_fma_f64 v[86:87], -v[14:15], v[82:83], 1.0
	v_fmac_f64_e32 v[82:83], v[86:87], v[82:83]
	v_mul_f64 v[86:87], v[84:85], v[82:83]
	v_mul_f64 v[88:89], v[14:15], v[86:87]
	v_fma_f64 v[14:15], v[86:87], v[14:15], -v[88:89]
	v_fmac_f64_e32 v[14:15], v[86:87], v[10:11]
	v_add_f64 v[10:11], v[88:89], v[14:15]
	v_add_f64 v[90:91], v[84:85], -v[10:11]
	v_add_f64 v[88:89], v[10:11], -v[88:89]
	;; [unrolled: 1-line block ×5, first 2 shown]
	v_add_f64 v[10:11], v[14:15], v[10:11]
	v_add_f64 v[10:11], v[90:91], v[10:11]
	v_mul_f64 v[10:11], v[82:83], v[10:11]
	v_add_f64 v[14:15], v[86:87], v[10:11]
	v_add_f64 v[82:83], v[14:15], -v[86:87]
	v_add_f64 v[10:11], v[10:11], -v[82:83]
	v_mul_f64 v[82:83], v[14:15], v[14:15]
	v_pk_mov_b32 v[84:85], v[20:21], v[20:21] op_sel:[0,1]
	v_fmac_f64_e32 v[84:85], s[24:25], v[82:83]
	v_pk_mov_b32 v[86:87], v[22:23], v[22:23] op_sel:[0,1]
	v_fmac_f64_e32 v[86:87], v[82:83], v[84:85]
	;; [unrolled: 2-line block ×6, first 2 shown]
	v_ldexp_f64 v[84:85], v[14:15], 1
	v_mul_f64 v[14:15], v[14:15], v[82:83]
	v_mul_f64 v[14:15], v[14:15], v[86:87]
	v_add_f64 v[82:83], v[84:85], v[14:15]
	v_add_f64 v[84:85], v[82:83], -v[84:85]
	v_ldexp_f64 v[10:11], v[10:11], 1
	v_add_f64 v[14:15], v[14:15], -v[84:85]
	v_add_f64 v[10:11], v[10:11], v[14:15]
	v_frexp_exp_i32_f64_e32 v1, v[80:81]
	v_add_f64 v[14:15], v[82:83], v[10:11]
	v_subbrev_co_u32_e32 v1, vcc, 0, v1, vcc
	v_add_f64 v[82:83], v[14:15], -v[82:83]
	v_add_f64 v[10:11], v[10:11], -v[82:83]
	v_cvt_f64_i32_e32 v[82:83], v1
	v_mul_f64 v[84:85], v[82:83], s[26:27]
	v_fma_f64 v[86:87], v[82:83], s[26:27], -v[84:85]
	v_fmac_f64_e32 v[86:87], s[28:29], v[82:83]
	v_add_f64 v[82:83], v[84:85], v[86:87]
	v_add_f64 v[84:85], v[82:83], -v[84:85]
	v_add_f64 v[84:85], v[86:87], -v[84:85]
	v_add_f64 v[86:87], v[82:83], v[14:15]
	v_add_f64 v[88:89], v[86:87], -v[82:83]
	v_add_f64 v[90:91], v[86:87], -v[88:89]
	;; [unrolled: 1-line block ×4, first 2 shown]
	v_add_f64 v[14:15], v[14:15], v[82:83]
	v_add_f64 v[82:83], v[84:85], v[10:11]
	v_add_f64 v[88:89], v[82:83], -v[84:85]
	v_add_f64 v[90:91], v[82:83], -v[88:89]
	v_add_f64 v[14:15], v[82:83], v[14:15]
	v_add_f64 v[84:85], v[84:85], -v[90:91]
	v_add_f64 v[10:11], v[10:11], -v[88:89]
	v_add_f64 v[82:83], v[86:87], v[14:15]
	v_add_f64 v[10:11], v[10:11], v[84:85]
	v_add_f64 v[84:85], v[82:83], -v[86:87]
	v_add_f64 v[14:15], v[14:15], -v[84:85]
	v_add_f64 v[10:11], v[10:11], v[14:15]
	v_add_f64 v[10:11], v[82:83], v[10:11]
	v_cmp_class_f64_e64 vcc, v[80:81], s67
	v_cndmask_b32_e32 v1, v10, v80, vcc
	v_cndmask_b32_e32 v8, v11, v81, vcc
	v_cmp_ngt_f64_e32 vcc, 0, v[80:81]
	v_cndmask_b32_e32 v8, v107, v8, vcc
	v_cmp_nge_f64_e32 vcc, 0, v[80:81]
	v_cndmask_b32_e32 v10, 0, v1, vcc
	v_cmp_neq_f64_e32 vcc, 0, v[80:81]
	v_mov_b32_e32 v80, 0
	v_cndmask_b32_e32 v11, v108, v8, vcc
	v_mov_b32_e32 v81, 0x7ff80000
.LBB180_107:                            ;   in Loop: Header=BB180_5 Depth=1
	s_or_b64 exec, exec, s[0:1]
	v_cmp_o_f64_e32 vcc, v[2:3], v[4:5]
                                        ; implicit-def: $vgpr14_vgpr15
                                        ; implicit-def: $vgpr82_vgpr83
	s_and_saveexec_b64 s[0:1], vcc
	s_xor_b64 s[52:53], exec, s[0:1]
	s_cbranch_execz .LBB180_135
; %bb.108:                              ;   in Loop: Header=BB180_5 Depth=1
	v_and_b32_e32 v12, 0x7fffffff, v3
	v_and_b32_e32 v1, 0x7fffffff, v5
	v_mov_b32_e32 v8, v4
	v_cmp_lt_f64_e64 s[0:1], |v[2:3]|, |v[4:5]|
	v_cndmask_b32_e64 v85, v1, v12, s[0:1]
	v_cndmask_b32_e64 v84, v8, v2, s[0:1]
	v_cmp_nlt_f64_e32 vcc, s[16:17], v[84:85]
                                        ; implicit-def: $vgpr14_vgpr15
                                        ; implicit-def: $vgpr82_vgpr83
	s_and_saveexec_b64 s[2:3], vcc
	s_xor_b64 s[6:7], exec, s[2:3]
	s_cbranch_execz .LBB180_132
; %bb.109:                              ;   in Loop: Header=BB180_5 Depth=1
	v_cndmask_b32_e64 v89, v12, v1, s[0:1]
	v_cndmask_b32_e64 v88, v2, v8, s[0:1]
	v_cmp_neq_f64_e32 vcc, 1.0, v[88:89]
                                        ; implicit-def: $vgpr14_vgpr15
                                        ; implicit-def: $vgpr82_vgpr83
	s_and_saveexec_b64 s[2:3], vcc
	s_xor_b64 s[54:55], exec, s[2:3]
	s_cbranch_execz .LBB180_125
; %bb.110:                              ;   in Loop: Header=BB180_5 Depth=1
	v_max_f64 v[14:15], v[84:85], v[84:85]
	v_max_f64 v[82:83], v[88:89], v[88:89]
	v_min_f64 v[86:87], v[82:83], v[14:15]
	v_max_f64 v[14:15], v[82:83], v[14:15]
	v_cmp_ngt_f64_e32 vcc, s[18:19], v[86:87]
	v_cmp_nlt_f64_e64 s[2:3], s[20:21], v[14:15]
	s_and_b64 s[2:3], s[2:3], vcc
                                        ; implicit-def: $vgpr14_vgpr15
                                        ; implicit-def: $vgpr82_vgpr83
	s_and_saveexec_b64 s[56:57], s[2:3]
	s_xor_b64 s[56:57], exec, s[56:57]
	s_cbranch_execz .LBB180_122
; %bb.111:                              ;   in Loop: Header=BB180_5 Depth=1
	v_cmp_le_f64_e32 vcc, 1.0, v[88:89]
                                        ; implicit-def: $vgpr14_vgpr15
                                        ; implicit-def: $vgpr82_vgpr83
	s_and_saveexec_b64 s[2:3], vcc
	s_xor_b64 s[2:3], exec, s[2:3]
	s_cbranch_execz .LBB180_113
; %bb.112:                              ;   in Loop: Header=BB180_5 Depth=1
	v_add_f64 v[14:15], v[88:89], -1.0
	v_add_f64 v[82:83], v[88:89], 1.0
	v_mul_f64 v[82:83], v[14:15], v[82:83]
	v_fmac_f64_e32 v[82:83], v[84:85], v[84:85]
	v_add_f64 v[14:15], v[82:83], 1.0
	v_add_f64 v[84:85], v[14:15], -1.0
	v_add_f64 v[86:87], v[84:85], -v[14:15]
	v_add_f64 v[86:87], v[86:87], 1.0
	v_add_f64 v[84:85], v[82:83], -v[84:85]
	v_add_f64 v[84:85], v[84:85], v[86:87]
	v_frexp_mant_f64_e32 v[86:87], v[14:15]
	v_frexp_exp_i32_f64_e32 v1, v[14:15]
	v_cmp_gt_f64_e32 vcc, s[22:23], v[86:87]
	v_subbrev_co_u32_e32 v1, vcc, 0, v1, vcc
	v_sub_u32_e32 v8, 0, v1
	v_ldexp_f64 v[14:15], v[14:15], v8
	v_add_f64 v[86:87], v[14:15], -1.0
	v_add_f64 v[92:93], v[14:15], 1.0
	v_add_f64 v[88:89], v[86:87], 1.0
	v_add_f64 v[94:95], v[92:93], -1.0
	v_ldexp_f64 v[84:85], v[84:85], v8
	v_add_f64 v[88:89], v[14:15], -v[88:89]
	v_add_f64 v[14:15], v[14:15], -v[94:95]
	v_add_f64 v[14:15], v[84:85], v[14:15]
	v_add_f64 v[88:89], v[84:85], v[88:89]
	;; [unrolled: 1-line block ×3, first 2 shown]
	v_rcp_f64_e32 v[94:95], v[84:85]
	v_add_f64 v[90:91], v[86:87], v[88:89]
	v_add_f64 v[86:87], v[90:91], -v[86:87]
	v_add_f64 v[86:87], v[88:89], -v[86:87]
	;; [unrolled: 1-line block ×4, first 2 shown]
	v_fma_f64 v[88:89], -v[84:85], v[94:95], 1.0
	v_fmac_f64_e32 v[94:95], v[88:89], v[94:95]
	v_fma_f64 v[88:89], -v[84:85], v[94:95], 1.0
	v_fmac_f64_e32 v[94:95], v[88:89], v[94:95]
	v_mul_f64 v[88:89], v[90:91], v[94:95]
	v_mul_f64 v[92:93], v[84:85], v[88:89]
	v_fma_f64 v[96:97], v[88:89], v[84:85], -v[92:93]
	v_fmac_f64_e32 v[96:97], v[88:89], v[14:15]
	v_add_f64 v[98:99], v[92:93], v[96:97]
	v_add_f64 v[100:101], v[90:91], -v[98:99]
	v_add_f64 v[90:91], v[90:91], -v[100:101]
	;; [unrolled: 1-line block ×4, first 2 shown]
	v_add_f64 v[86:87], v[86:87], v[90:91]
	v_add_f64 v[90:91], v[92:93], -v[96:97]
	v_add_f64 v[86:87], v[90:91], v[86:87]
	v_add_f64 v[90:91], v[100:101], v[86:87]
	v_add_f64 v[92:93], v[100:101], -v[90:91]
	v_add_f64 v[86:87], v[86:87], v[92:93]
	v_mul_f64 v[92:93], v[94:95], v[90:91]
	v_mul_f64 v[96:97], v[84:85], v[92:93]
	v_fma_f64 v[84:85], v[92:93], v[84:85], -v[96:97]
	v_fmac_f64_e32 v[84:85], v[92:93], v[14:15]
	v_add_f64 v[14:15], v[96:97], v[84:85]
	v_add_f64 v[98:99], v[90:91], -v[14:15]
	v_add_f64 v[90:91], v[90:91], -v[98:99]
	;; [unrolled: 1-line block ×4, first 2 shown]
	v_add_f64 v[14:15], v[86:87], v[14:15]
	v_add_f64 v[84:85], v[96:97], -v[84:85]
	v_add_f64 v[14:15], v[84:85], v[14:15]
	v_add_f64 v[84:85], v[88:89], v[92:93]
	;; [unrolled: 1-line block ×3, first 2 shown]
	v_add_f64 v[86:87], v[84:85], -v[88:89]
	v_mul_f64 v[14:15], v[94:95], v[14:15]
	v_add_f64 v[86:87], v[92:93], -v[86:87]
	v_add_f64 v[14:15], v[86:87], v[14:15]
	v_add_f64 v[86:87], v[84:85], v[14:15]
	v_add_f64 v[84:85], v[86:87], -v[84:85]
	v_add_f64 v[14:15], v[14:15], -v[84:85]
	v_mul_f64 v[84:85], v[86:87], v[86:87]
	v_pk_mov_b32 v[88:89], v[20:21], v[20:21] op_sel:[0,1]
	v_fmac_f64_e32 v[88:89], s[24:25], v[84:85]
	v_pk_mov_b32 v[90:91], v[22:23], v[22:23] op_sel:[0,1]
	v_fmac_f64_e32 v[90:91], v[84:85], v[88:89]
	v_pk_mov_b32 v[88:89], v[24:25], v[24:25] op_sel:[0,1]
	v_fmac_f64_e32 v[88:89], v[84:85], v[90:91]
	v_pk_mov_b32 v[90:91], v[26:27], v[26:27] op_sel:[0,1]
	v_fmac_f64_e32 v[90:91], v[84:85], v[88:89]
	v_pk_mov_b32 v[88:89], v[28:29], v[28:29] op_sel:[0,1]
	v_fmac_f64_e32 v[88:89], v[84:85], v[90:91]
	v_pk_mov_b32 v[90:91], v[30:31], v[30:31] op_sel:[0,1]
	v_fmac_f64_e32 v[90:91], v[84:85], v[88:89]
	v_cvt_f64_i32_e32 v[88:89], v1
	v_mul_f64 v[92:93], v[88:89], s[26:27]
	v_fma_f64 v[94:95], v[88:89], s[26:27], -v[92:93]
	v_fmac_f64_e32 v[94:95], s[28:29], v[88:89]
	v_add_f64 v[88:89], v[92:93], v[94:95]
	v_add_f64 v[92:93], v[88:89], -v[92:93]
	v_mul_f64 v[84:85], v[86:87], v[84:85]
	v_add_f64 v[92:93], v[94:95], -v[92:93]
	v_ldexp_f64 v[94:95], v[86:87], 1
	v_mul_f64 v[84:85], v[84:85], v[90:91]
	v_add_f64 v[86:87], v[94:95], v[84:85]
	v_add_f64 v[90:91], v[86:87], -v[94:95]
	v_ldexp_f64 v[14:15], v[14:15], 1
	v_add_f64 v[84:85], v[84:85], -v[90:91]
	v_add_f64 v[14:15], v[14:15], v[84:85]
	v_add_f64 v[84:85], v[86:87], v[14:15]
	v_add_f64 v[86:87], v[84:85], -v[86:87]
	v_add_f64 v[14:15], v[14:15], -v[86:87]
	v_add_f64 v[86:87], v[88:89], v[84:85]
	v_add_f64 v[90:91], v[86:87], -v[88:89]
	v_add_f64 v[94:95], v[86:87], -v[90:91]
	;; [unrolled: 1-line block ×4, first 2 shown]
	v_add_f64 v[84:85], v[84:85], v[88:89]
	v_add_f64 v[88:89], v[92:93], v[14:15]
	v_add_f64 v[90:91], v[88:89], -v[92:93]
	v_add_f64 v[84:85], v[88:89], v[84:85]
	v_add_f64 v[94:95], v[88:89], -v[90:91]
	;; [unrolled: 2-line block ×3, first 2 shown]
	v_add_f64 v[14:15], v[14:15], -v[90:91]
	v_add_f64 v[86:87], v[88:89], -v[86:87]
	v_add_f64 v[14:15], v[14:15], v[92:93]
	v_add_f64 v[84:85], v[84:85], -v[86:87]
	v_add_f64 v[14:15], v[14:15], v[84:85]
	v_max_f64 v[84:85], |v[4:5]|, |v[4:5]|
	v_max_f64 v[86:87], |v[2:3]|, |v[2:3]|
	v_add_f64 v[14:15], v[88:89], v[14:15]
	v_max_f64 v[88:89], v[86:87], v[84:85]
	v_min_f64 v[84:85], v[86:87], v[84:85]
	v_div_scale_f64 v[86:87], s[58:59], v[88:89], v[88:89], v[84:85]
	v_cmp_eq_f64_e32 vcc, s[30:31], v[82:83]
	v_rcp_f64_e32 v[90:91], v[86:87]
	v_cndmask_b32_e32 v15, v15, v83, vcc
	v_cndmask_b32_e32 v14, v14, v82, vcc
	v_mul_f64 v[14:15], v[14:15], 0.5
	v_cmp_ngt_f64_e32 vcc, -1.0, v[82:83]
	v_cndmask_b32_e32 v1, v107, v15, vcc
	v_cmp_nge_f64_e32 vcc, -1.0, v[82:83]
	v_cndmask_b32_e32 v14, 0, v14, vcc
	v_cmp_neq_f64_e32 vcc, -1.0, v[82:83]
	v_fma_f64 v[82:83], -v[86:87], v[90:91], 1.0
	v_fmac_f64_e32 v[90:91], v[90:91], v[82:83]
	v_fma_f64 v[82:83], -v[86:87], v[90:91], 1.0
	v_cndmask_b32_e32 v15, v108, v1, vcc
	v_fmac_f64_e32 v[90:91], v[90:91], v[82:83]
	v_div_scale_f64 v[82:83], vcc, v[84:85], v[88:89], v[84:85]
	v_mul_f64 v[92:93], v[82:83], v[90:91]
	v_fma_f64 v[82:83], -v[86:87], v[92:93], v[82:83]
	v_pk_mov_b32 v[86:87], v[32:33], v[32:33] op_sel:[0,1]
	s_nop 0
	v_div_fmas_f64 v[82:83], v[82:83], v[90:91], v[92:93]
	v_div_fixup_f64 v[82:83], v[82:83], v[88:89], v[84:85]
	v_mul_f64 v[84:85], v[82:83], v[82:83]
	v_fmac_f64_e32 v[86:87], s[34:35], v[84:85]
	v_pk_mov_b32 v[88:89], v[34:35], v[34:35] op_sel:[0,1]
	v_fmac_f64_e32 v[88:89], v[84:85], v[86:87]
	v_pk_mov_b32 v[86:87], v[36:37], v[36:37] op_sel:[0,1]
	v_fmac_f64_e32 v[86:87], v[84:85], v[88:89]
	v_pk_mov_b32 v[88:89], v[38:39], v[38:39] op_sel:[0,1]
	v_fmac_f64_e32 v[88:89], v[84:85], v[86:87]
	v_pk_mov_b32 v[86:87], v[40:41], v[40:41] op_sel:[0,1]
	v_fmac_f64_e32 v[86:87], v[84:85], v[88:89]
	v_pk_mov_b32 v[88:89], v[42:43], v[42:43] op_sel:[0,1]
	v_fmac_f64_e32 v[88:89], v[84:85], v[86:87]
	v_pk_mov_b32 v[86:87], v[44:45], v[44:45] op_sel:[0,1]
	v_fmac_f64_e32 v[86:87], v[84:85], v[88:89]
	v_pk_mov_b32 v[88:89], v[46:47], v[46:47] op_sel:[0,1]
	v_fmac_f64_e32 v[88:89], v[84:85], v[86:87]
	v_pk_mov_b32 v[86:87], v[48:49], v[48:49] op_sel:[0,1]
	v_fmac_f64_e32 v[86:87], v[84:85], v[88:89]
	v_pk_mov_b32 v[88:89], v[50:51], v[50:51] op_sel:[0,1]
	v_fmac_f64_e32 v[88:89], v[84:85], v[86:87]
	v_pk_mov_b32 v[86:87], v[52:53], v[52:53] op_sel:[0,1]
	v_fmac_f64_e32 v[86:87], v[84:85], v[88:89]
	v_pk_mov_b32 v[88:89], v[54:55], v[54:55] op_sel:[0,1]
	v_fmac_f64_e32 v[88:89], v[84:85], v[86:87]
	v_pk_mov_b32 v[86:87], v[56:57], v[56:57] op_sel:[0,1]
	v_fmac_f64_e32 v[86:87], v[84:85], v[88:89]
	v_pk_mov_b32 v[88:89], v[58:59], v[58:59] op_sel:[0,1]
	v_fmac_f64_e32 v[88:89], v[84:85], v[86:87]
	v_pk_mov_b32 v[86:87], v[60:61], v[60:61] op_sel:[0,1]
	v_fmac_f64_e32 v[86:87], v[84:85], v[88:89]
	v_pk_mov_b32 v[88:89], v[62:63], v[62:63] op_sel:[0,1]
	v_fmac_f64_e32 v[88:89], v[84:85], v[86:87]
	v_pk_mov_b32 v[86:87], v[64:65], v[64:65] op_sel:[0,1]
	v_fmac_f64_e32 v[86:87], v[84:85], v[88:89]
	v_pk_mov_b32 v[88:89], v[66:67], v[66:67] op_sel:[0,1]
	v_fmac_f64_e32 v[88:89], v[84:85], v[86:87]
	v_pk_mov_b32 v[86:87], v[68:69], v[68:69] op_sel:[0,1]
	v_fmac_f64_e32 v[86:87], v[84:85], v[88:89]
	v_cmp_gt_i32_e32 vcc, 0, v3
	v_mul_f64 v[84:85], v[84:85], v[86:87]
	v_cmp_class_f64_e64 s[60:61], v[2:3], s67
	v_cndmask_b32_e32 v2, v111, v112, vcc
	v_fmac_f64_e32 v[82:83], v[82:83], v[84:85]
	v_bfi_b32 v8, s8, v2, v5
	v_ashrrev_i32_e32 v2, 31, v3
	v_and_b32_e32 v12, 0x400921fb, v2
	v_and_b32_e32 v16, 0x54442d18, v2
	v_add_f64 v[2:3], -v[82:83], s[36:37]
	v_cndmask_b32_e64 v3, v83, v3, s[0:1]
	v_cndmask_b32_e64 v2, v82, v2, s[0:1]
	s_mov_b32 s38, s36
	v_add_f64 v[82:83], -v[2:3], s[38:39]
	v_cmp_class_f64_e64 s[58:59], v[4:5], s67
	v_cndmask_b32_e32 v1, v109, v110, vcc
	v_cndmask_b32_e32 v3, v3, v83, vcc
	;; [unrolled: 1-line block ×3, first 2 shown]
	v_cmp_eq_f64_e32 vcc, 0, v[4:5]
	v_cndmask_b32_e32 v2, v2, v16, vcc
	v_cndmask_b32_e32 v3, v3, v12, vcc
	s_and_b64 vcc, s[60:61], s[58:59]
	v_cndmask_b32_e32 v83, v3, v8, vcc
	v_cndmask_b32_e32 v82, v2, v1, vcc
                                        ; implicit-def: $vgpr84_vgpr85
                                        ; implicit-def: $vgpr88_vgpr89
.LBB180_113:                            ;   in Loop: Header=BB180_5 Depth=1
	s_andn2_saveexec_b64 s[58:59], s[2:3]
	s_cbranch_execz .LBB180_121
; %bb.114:                              ;   in Loop: Header=BB180_5 Depth=1
	v_mul_f64 v[86:87], v[84:85], v[84:85]
	v_fmac_f64_e32 v[86:87], v[88:89], v[88:89]
	v_cmp_ge_f64_e32 vcc, s[40:41], v[86:87]
                                        ; implicit-def: $vgpr14_vgpr15
                                        ; implicit-def: $vgpr82_vgpr83
	s_and_saveexec_b64 s[2:3], vcc
	s_xor_b64 s[2:3], exec, s[2:3]
	s_cbranch_execz .LBB180_116
; %bb.115:                              ;   in Loop: Header=BB180_5 Depth=1
	v_frexp_mant_f64_e32 v[14:15], v[86:87]
	v_cmp_gt_f64_e32 vcc, s[22:23], v[14:15]
	v_cndmask_b32_e64 v19, v113, 2.0, vcc
	v_mul_f64 v[14:15], v[14:15], v[18:19]
	v_add_f64 v[82:83], v[14:15], 1.0
	v_rcp_f64_e32 v[84:85], v[82:83]
	v_add_f64 v[90:91], v[82:83], -1.0
	v_add_f64 v[88:89], v[14:15], -1.0
	v_add_f64 v[14:15], v[14:15], -v[90:91]
	v_fma_f64 v[90:91], -v[82:83], v[84:85], 1.0
	v_fmac_f64_e32 v[84:85], v[90:91], v[84:85]
	v_fma_f64 v[90:91], -v[82:83], v[84:85], 1.0
	v_fmac_f64_e32 v[84:85], v[90:91], v[84:85]
	v_mul_f64 v[90:91], v[88:89], v[84:85]
	v_mul_f64 v[92:93], v[82:83], v[90:91]
	v_fma_f64 v[82:83], v[90:91], v[82:83], -v[92:93]
	v_fmac_f64_e32 v[82:83], v[90:91], v[14:15]
	v_add_f64 v[14:15], v[92:93], v[82:83]
	v_add_f64 v[94:95], v[88:89], -v[14:15]
	v_add_f64 v[92:93], v[14:15], -v[92:93]
	;; [unrolled: 1-line block ×5, first 2 shown]
	v_add_f64 v[14:15], v[82:83], v[14:15]
	v_add_f64 v[14:15], v[94:95], v[14:15]
	v_mul_f64 v[14:15], v[84:85], v[14:15]
	v_add_f64 v[82:83], v[90:91], v[14:15]
	v_add_f64 v[84:85], v[82:83], -v[90:91]
	v_add_f64 v[14:15], v[14:15], -v[84:85]
	v_mul_f64 v[84:85], v[82:83], v[82:83]
	v_pk_mov_b32 v[88:89], v[20:21], v[20:21] op_sel:[0,1]
	v_fmac_f64_e32 v[88:89], s[24:25], v[84:85]
	v_pk_mov_b32 v[90:91], v[22:23], v[22:23] op_sel:[0,1]
	v_fmac_f64_e32 v[90:91], v[84:85], v[88:89]
	;; [unrolled: 2-line block ×6, first 2 shown]
	v_ldexp_f64 v[88:89], v[82:83], 1
	v_mul_f64 v[82:83], v[82:83], v[84:85]
	v_mul_f64 v[82:83], v[82:83], v[90:91]
	v_add_f64 v[84:85], v[88:89], v[82:83]
	v_add_f64 v[88:89], v[84:85], -v[88:89]
	v_ldexp_f64 v[14:15], v[14:15], 1
	v_add_f64 v[82:83], v[82:83], -v[88:89]
	v_add_f64 v[14:15], v[14:15], v[82:83]
	v_frexp_exp_i32_f64_e32 v1, v[86:87]
	v_add_f64 v[82:83], v[84:85], v[14:15]
	v_subbrev_co_u32_e32 v1, vcc, 0, v1, vcc
	v_add_f64 v[84:85], v[82:83], -v[84:85]
	v_add_f64 v[14:15], v[14:15], -v[84:85]
	v_cvt_f64_i32_e32 v[84:85], v1
	v_mul_f64 v[88:89], v[84:85], s[26:27]
	v_fma_f64 v[90:91], v[84:85], s[26:27], -v[88:89]
	v_fmac_f64_e32 v[90:91], s[28:29], v[84:85]
	v_add_f64 v[84:85], v[88:89], v[90:91]
	v_add_f64 v[88:89], v[84:85], -v[88:89]
	v_add_f64 v[88:89], v[90:91], -v[88:89]
	v_add_f64 v[90:91], v[84:85], v[82:83]
	v_add_f64 v[92:93], v[90:91], -v[84:85]
	v_add_f64 v[94:95], v[90:91], -v[92:93]
	;; [unrolled: 1-line block ×4, first 2 shown]
	v_add_f64 v[82:83], v[82:83], v[84:85]
	v_add_f64 v[84:85], v[88:89], v[14:15]
	v_add_f64 v[92:93], v[84:85], -v[88:89]
	v_add_f64 v[94:95], v[84:85], -v[92:93]
	v_add_f64 v[82:83], v[84:85], v[82:83]
	v_add_f64 v[88:89], v[88:89], -v[94:95]
	v_add_f64 v[14:15], v[14:15], -v[92:93]
	v_add_f64 v[84:85], v[90:91], v[82:83]
	v_add_f64 v[14:15], v[14:15], v[88:89]
	v_add_f64 v[88:89], v[84:85], -v[90:91]
	v_add_f64 v[82:83], v[82:83], -v[88:89]
	v_add_f64 v[14:15], v[14:15], v[82:83]
	v_add_f64 v[14:15], v[84:85], v[14:15]
	v_max_f64 v[82:83], |v[4:5]|, |v[4:5]|
	v_max_f64 v[84:85], |v[2:3]|, |v[2:3]|
	v_max_f64 v[88:89], v[84:85], v[82:83]
	v_min_f64 v[82:83], v[84:85], v[82:83]
	v_div_scale_f64 v[84:85], s[60:61], v[88:89], v[88:89], v[82:83]
	v_rcp_f64_e32 v[90:91], v[84:85]
	v_cmp_neq_f64_e32 vcc, 0, v[86:87]
	v_mul_f64 v[14:15], v[14:15], 0.5
	v_cndmask_b32_e32 v15, v108, v15, vcc
	v_fma_f64 v[86:87], -v[84:85], v[90:91], 1.0
	v_fmac_f64_e32 v[90:91], v[90:91], v[86:87]
	v_fma_f64 v[86:87], -v[84:85], v[90:91], 1.0
	v_cndmask_b32_e32 v14, 0, v14, vcc
	v_fmac_f64_e32 v[90:91], v[90:91], v[86:87]
	v_div_scale_f64 v[86:87], vcc, v[82:83], v[88:89], v[82:83]
	v_mul_f64 v[92:93], v[86:87], v[90:91]
	v_fma_f64 v[84:85], -v[84:85], v[92:93], v[86:87]
	v_pk_mov_b32 v[86:87], v[32:33], v[32:33] op_sel:[0,1]
	s_nop 0
	v_div_fmas_f64 v[84:85], v[84:85], v[90:91], v[92:93]
	v_div_fixup_f64 v[82:83], v[84:85], v[88:89], v[82:83]
	v_mul_f64 v[84:85], v[82:83], v[82:83]
	v_fmac_f64_e32 v[86:87], s[34:35], v[84:85]
	v_pk_mov_b32 v[88:89], v[34:35], v[34:35] op_sel:[0,1]
	v_fmac_f64_e32 v[88:89], v[84:85], v[86:87]
	v_pk_mov_b32 v[86:87], v[36:37], v[36:37] op_sel:[0,1]
	;; [unrolled: 2-line block ×18, first 2 shown]
	v_fmac_f64_e32 v[86:87], v[84:85], v[88:89]
	v_cmp_gt_i32_e32 vcc, 0, v3
	v_mul_f64 v[84:85], v[84:85], v[86:87]
	v_cmp_class_f64_e64 s[62:63], v[2:3], s67
	v_cndmask_b32_e32 v2, v111, v112, vcc
	v_fmac_f64_e32 v[82:83], v[82:83], v[84:85]
	v_bfi_b32 v8, s8, v2, v5
	v_ashrrev_i32_e32 v2, 31, v3
	v_and_b32_e32 v12, 0x400921fb, v2
	v_and_b32_e32 v16, 0x54442d18, v2
	v_add_f64 v[2:3], -v[82:83], s[36:37]
	v_cndmask_b32_e64 v3, v83, v3, s[0:1]
	v_cndmask_b32_e64 v2, v82, v2, s[0:1]
	s_mov_b32 s38, s36
	v_add_f64 v[82:83], -v[2:3], s[38:39]
	v_cmp_class_f64_e64 s[60:61], v[4:5], s67
	v_cndmask_b32_e32 v1, v109, v110, vcc
	v_cndmask_b32_e32 v3, v3, v83, vcc
	;; [unrolled: 1-line block ×3, first 2 shown]
	v_cmp_eq_f64_e32 vcc, 0, v[4:5]
	v_cndmask_b32_e32 v2, v2, v16, vcc
	v_cndmask_b32_e32 v3, v3, v12, vcc
	s_and_b64 vcc, s[62:63], s[60:61]
	v_cndmask_b32_e32 v83, v3, v8, vcc
	v_cndmask_b32_e32 v82, v2, v1, vcc
                                        ; implicit-def: $vgpr88_vgpr89
                                        ; implicit-def: $vgpr84_vgpr85
.LBB180_116:                            ;   in Loop: Header=BB180_5 Depth=1
	s_andn2_saveexec_b64 s[60:61], s[2:3]
	s_cbranch_execz .LBB180_120
; %bb.117:                              ;   in Loop: Header=BB180_5 Depth=1
	v_and_b32_e32 v19, 0x7ffffff8, v89
	v_add_f64 v[14:15], v[88:89], -v[18:19]
	v_and_b32_e32 v97, -8, v15
	v_mov_b32_e32 v96, v18
	v_and_b32_e32 v87, 0x7ffffff8, v85
	v_mov_b32_e32 v86, v18
	v_add_f64 v[100:101], v[14:15], -v[96:97]
	v_add_f64 v[14:15], v[84:85], -v[86:87]
	v_and_b32_e32 v99, -8, v15
	v_mov_b32_e32 v98, v18
	v_add_f64 v[90:91], v[18:19], v[18:19]
	v_add_f64 v[104:105], v[86:87], v[86:87]
	v_add_f64 v[102:103], v[14:15], -v[98:99]
	v_mul_f64 v[82:83], v[86:87], v[86:87]
	v_mul_f64 v[88:89], v[90:91], v[96:97]
	v_mul_f64 v[86:87], v[104:105], v[98:99]
	v_mul_f64 v[94:95], v[96:97], v[96:97]
	v_mul_f64 v[84:85], v[98:99], v[98:99]
	v_add_f64 v[96:97], v[96:97], v[96:97]
	v_add_f64 v[98:99], v[98:99], v[98:99]
	v_mul_f64 v[14:15], v[18:19], v[18:19]
	v_mul_f64 v[92:93], v[90:91], v[100:101]
	;; [unrolled: 1-line block ×7, first 2 shown]
	s_mov_b64 s[62:63], 0
.LBB180_118:                            ;   Parent Loop BB180_5 Depth=1
                                        ; =>  This Inner Loop Header: Depth=2
	v_cmp_nlt_f64_e32 vcc, v[14:15], v[82:83]
	v_cndmask_b32_e32 v105, v15, v83, vcc
	v_cndmask_b32_e32 v104, v14, v82, vcc
	v_cmp_nlt_f64_e64 s[2:3], v[104:105], v[88:89]
	v_cndmask_b32_e64 v117, v105, v89, s[2:3]
	v_cndmask_b32_e64 v116, v104, v88, s[2:3]
	v_cndmask_b32_e32 v15, v83, v15, vcc
	v_cndmask_b32_e32 v14, v82, v14, vcc
	s_and_b64 s[64:65], vcc, s[2:3]
	v_cmp_nlt_f64_e32 vcc, v[116:117], v[86:87]
	v_cndmask_b32_e64 v83, v89, v105, s[2:3]
	v_cndmask_b32_e64 v82, v88, v104, s[2:3]
	v_cndmask_b32_e32 v105, v117, v87, vcc
	v_cndmask_b32_e32 v104, v116, v86, vcc
	v_cmp_nlt_f64_e64 s[2:3], v[104:105], v[94:95]
	v_cndmask_b32_e32 v89, v87, v117, vcc
	v_cndmask_b32_e32 v88, v86, v116, vcc
	v_cndmask_b32_e64 v117, v105, v95, s[2:3]
	v_cndmask_b32_e64 v116, v104, v94, s[2:3]
	s_and_b64 s[72:73], vcc, s[2:3]
	v_cmp_nlt_f64_e32 vcc, v[116:117], v[84:85]
	v_cndmask_b32_e64 v87, v95, v105, s[2:3]
	v_cndmask_b32_e64 v86, v94, v104, s[2:3]
	v_cndmask_b32_e32 v105, v117, v85, vcc
	v_cndmask_b32_e32 v104, v116, v84, vcc
	v_cmp_nlt_f64_e64 s[2:3], v[104:105], v[92:93]
	v_cndmask_b32_e32 v95, v85, v117, vcc
	v_cndmask_b32_e32 v94, v84, v116, vcc
	v_cndmask_b32_e64 v117, v105, v93, s[2:3]
	v_cndmask_b32_e64 v116, v104, v92, s[2:3]
	;; [unrolled: 1-line block ×4, first 2 shown]
	s_and_b64 s[2:3], vcc, s[2:3]
	v_cmp_nlt_f64_e32 vcc, v[116:117], v[90:91]
	v_cndmask_b32_e32 v105, v117, v91, vcc
	v_cndmask_b32_e32 v104, v116, v90, vcc
	v_cndmask_b32_e32 v93, v91, v117, vcc
	v_cndmask_b32_e32 v92, v90, v116, vcc
	s_and_b64 s[2:3], s[2:3], vcc
	v_cmp_nlt_f64_e32 vcc, v[104:105], v[96:97]
	v_cndmask_b32_e32 v117, v105, v97, vcc
	v_cndmask_b32_e32 v116, v104, v96, vcc
	v_cndmask_b32_e32 v91, v97, v105, vcc
	v_cndmask_b32_e32 v90, v96, v104, vcc
	s_and_b64 s[2:3], s[2:3], vcc
	;; [unrolled: 6-line block ×4, first 2 shown]
	v_cmp_nlt_f64_e32 vcc, v[116:117], v[102:103]
	s_and_b64 s[2:3], s[2:3], vcc
	s_and_b64 s[2:3], s[2:3], s[72:73]
	s_and_b64 s[2:3], s[2:3], s[64:65]
	v_cndmask_b32_e32 v105, v117, v103, vcc
	v_cndmask_b32_e32 v104, v116, v102, vcc
	s_and_b64 s[2:3], exec, s[2:3]
	v_cndmask_b32_e32 v101, v103, v117, vcc
	v_cndmask_b32_e32 v100, v102, v116, vcc
	s_or_b64 s[62:63], s[2:3], s[62:63]
	v_pk_mov_b32 v[102:103], v[104:105], v[104:105] op_sel:[0,1]
	s_andn2_b64 exec, exec, s[62:63]
	s_cbranch_execnz .LBB180_118
; %bb.119:                              ;   in Loop: Header=BB180_5 Depth=1
	s_or_b64 exec, exec, s[62:63]
	v_add_f64 v[14:15], v[14:15], -1.0
	v_add_f64 v[14:15], v[14:15], v[82:83]
	v_add_f64 v[14:15], v[14:15], v[88:89]
	;; [unrolled: 1-line block ×11, first 2 shown]
	v_add_f64 v[14:15], v[82:83], 1.0
	v_add_f64 v[84:85], v[14:15], -1.0
	v_add_f64 v[86:87], v[84:85], -v[14:15]
	v_add_f64 v[86:87], v[86:87], 1.0
	v_add_f64 v[84:85], v[82:83], -v[84:85]
	v_add_f64 v[84:85], v[84:85], v[86:87]
	v_frexp_mant_f64_e32 v[86:87], v[14:15]
	v_frexp_exp_i32_f64_e32 v1, v[14:15]
	v_cmp_gt_f64_e32 vcc, s[22:23], v[86:87]
	v_subbrev_co_u32_e32 v1, vcc, 0, v1, vcc
	v_sub_u32_e32 v8, 0, v1
	v_ldexp_f64 v[14:15], v[14:15], v8
	v_add_f64 v[86:87], v[14:15], -1.0
	v_add_f64 v[92:93], v[14:15], 1.0
	v_add_f64 v[88:89], v[86:87], 1.0
	v_add_f64 v[94:95], v[92:93], -1.0
	v_ldexp_f64 v[84:85], v[84:85], v8
	v_add_f64 v[88:89], v[14:15], -v[88:89]
	v_add_f64 v[14:15], v[14:15], -v[94:95]
	v_add_f64 v[14:15], v[84:85], v[14:15]
	v_add_f64 v[88:89], v[84:85], v[88:89]
	;; [unrolled: 1-line block ×3, first 2 shown]
	v_rcp_f64_e32 v[94:95], v[84:85]
	v_add_f64 v[90:91], v[86:87], v[88:89]
	v_add_f64 v[86:87], v[90:91], -v[86:87]
	v_add_f64 v[86:87], v[88:89], -v[86:87]
	;; [unrolled: 1-line block ×4, first 2 shown]
	v_fma_f64 v[88:89], -v[84:85], v[94:95], 1.0
	v_fmac_f64_e32 v[94:95], v[88:89], v[94:95]
	v_fma_f64 v[88:89], -v[84:85], v[94:95], 1.0
	v_fmac_f64_e32 v[94:95], v[88:89], v[94:95]
	v_mul_f64 v[88:89], v[90:91], v[94:95]
	v_mul_f64 v[92:93], v[84:85], v[88:89]
	v_fma_f64 v[96:97], v[88:89], v[84:85], -v[92:93]
	v_fmac_f64_e32 v[96:97], v[88:89], v[14:15]
	v_add_f64 v[98:99], v[92:93], v[96:97]
	v_add_f64 v[100:101], v[90:91], -v[98:99]
	v_add_f64 v[90:91], v[90:91], -v[100:101]
	;; [unrolled: 1-line block ×4, first 2 shown]
	v_add_f64 v[86:87], v[86:87], v[90:91]
	v_add_f64 v[90:91], v[92:93], -v[96:97]
	v_add_f64 v[86:87], v[90:91], v[86:87]
	v_add_f64 v[90:91], v[100:101], v[86:87]
	v_add_f64 v[92:93], v[100:101], -v[90:91]
	v_add_f64 v[86:87], v[86:87], v[92:93]
	v_mul_f64 v[92:93], v[94:95], v[90:91]
	v_mul_f64 v[96:97], v[84:85], v[92:93]
	v_fma_f64 v[84:85], v[92:93], v[84:85], -v[96:97]
	v_fmac_f64_e32 v[84:85], v[92:93], v[14:15]
	v_add_f64 v[14:15], v[96:97], v[84:85]
	v_add_f64 v[98:99], v[90:91], -v[14:15]
	v_add_f64 v[90:91], v[90:91], -v[98:99]
	;; [unrolled: 1-line block ×4, first 2 shown]
	v_add_f64 v[14:15], v[86:87], v[14:15]
	v_add_f64 v[84:85], v[96:97], -v[84:85]
	v_add_f64 v[14:15], v[84:85], v[14:15]
	v_add_f64 v[84:85], v[88:89], v[92:93]
	;; [unrolled: 1-line block ×3, first 2 shown]
	v_add_f64 v[86:87], v[84:85], -v[88:89]
	v_mul_f64 v[14:15], v[94:95], v[14:15]
	v_add_f64 v[86:87], v[92:93], -v[86:87]
	v_add_f64 v[14:15], v[86:87], v[14:15]
	v_add_f64 v[86:87], v[84:85], v[14:15]
	v_add_f64 v[84:85], v[86:87], -v[84:85]
	v_add_f64 v[14:15], v[14:15], -v[84:85]
	v_mul_f64 v[84:85], v[86:87], v[86:87]
	v_pk_mov_b32 v[88:89], v[20:21], v[20:21] op_sel:[0,1]
	v_fmac_f64_e32 v[88:89], s[24:25], v[84:85]
	v_pk_mov_b32 v[90:91], v[22:23], v[22:23] op_sel:[0,1]
	v_fmac_f64_e32 v[90:91], v[84:85], v[88:89]
	;; [unrolled: 2-line block ×6, first 2 shown]
	v_cvt_f64_i32_e32 v[88:89], v1
	v_mul_f64 v[92:93], v[88:89], s[26:27]
	v_fma_f64 v[94:95], v[88:89], s[26:27], -v[92:93]
	v_fmac_f64_e32 v[94:95], s[28:29], v[88:89]
	v_add_f64 v[88:89], v[92:93], v[94:95]
	v_add_f64 v[92:93], v[88:89], -v[92:93]
	v_mul_f64 v[84:85], v[86:87], v[84:85]
	v_add_f64 v[92:93], v[94:95], -v[92:93]
	v_ldexp_f64 v[94:95], v[86:87], 1
	v_mul_f64 v[84:85], v[84:85], v[90:91]
	v_add_f64 v[86:87], v[94:95], v[84:85]
	v_add_f64 v[90:91], v[86:87], -v[94:95]
	v_ldexp_f64 v[14:15], v[14:15], 1
	v_add_f64 v[84:85], v[84:85], -v[90:91]
	v_add_f64 v[14:15], v[14:15], v[84:85]
	v_add_f64 v[84:85], v[86:87], v[14:15]
	v_add_f64 v[86:87], v[84:85], -v[86:87]
	v_add_f64 v[14:15], v[14:15], -v[86:87]
	v_add_f64 v[86:87], v[88:89], v[84:85]
	v_add_f64 v[90:91], v[86:87], -v[88:89]
	v_add_f64 v[94:95], v[86:87], -v[90:91]
	;; [unrolled: 1-line block ×4, first 2 shown]
	v_add_f64 v[84:85], v[84:85], v[88:89]
	v_add_f64 v[88:89], v[92:93], v[14:15]
	v_add_f64 v[90:91], v[88:89], -v[92:93]
	v_add_f64 v[84:85], v[88:89], v[84:85]
	v_add_f64 v[94:95], v[88:89], -v[90:91]
	v_add_f64 v[88:89], v[86:87], v[84:85]
	v_add_f64 v[92:93], v[92:93], -v[94:95]
	v_add_f64 v[14:15], v[14:15], -v[90:91]
	v_add_f64 v[86:87], v[88:89], -v[86:87]
	v_add_f64 v[14:15], v[14:15], v[92:93]
	v_add_f64 v[84:85], v[84:85], -v[86:87]
	v_add_f64 v[14:15], v[14:15], v[84:85]
	v_max_f64 v[84:85], |v[4:5]|, |v[4:5]|
	v_max_f64 v[86:87], |v[2:3]|, |v[2:3]|
	v_add_f64 v[14:15], v[88:89], v[14:15]
	v_max_f64 v[88:89], v[86:87], v[84:85]
	v_min_f64 v[84:85], v[86:87], v[84:85]
	v_div_scale_f64 v[86:87], s[2:3], v[88:89], v[88:89], v[84:85]
	v_cmp_eq_f64_e32 vcc, s[30:31], v[82:83]
	v_rcp_f64_e32 v[90:91], v[86:87]
	v_cndmask_b32_e32 v15, v15, v83, vcc
	v_cndmask_b32_e32 v14, v14, v82, vcc
	v_mul_f64 v[14:15], v[14:15], 0.5
	v_cmp_ngt_f64_e32 vcc, -1.0, v[82:83]
	v_cndmask_b32_e32 v1, v107, v15, vcc
	v_cmp_nge_f64_e32 vcc, -1.0, v[82:83]
	v_cndmask_b32_e32 v14, 0, v14, vcc
	v_cmp_neq_f64_e32 vcc, -1.0, v[82:83]
	v_fma_f64 v[82:83], -v[86:87], v[90:91], 1.0
	v_fmac_f64_e32 v[90:91], v[90:91], v[82:83]
	v_fma_f64 v[82:83], -v[86:87], v[90:91], 1.0
	v_cndmask_b32_e32 v15, v108, v1, vcc
	v_fmac_f64_e32 v[90:91], v[90:91], v[82:83]
	v_div_scale_f64 v[82:83], vcc, v[84:85], v[88:89], v[84:85]
	v_mul_f64 v[92:93], v[82:83], v[90:91]
	v_fma_f64 v[82:83], -v[86:87], v[92:93], v[82:83]
	v_pk_mov_b32 v[86:87], v[32:33], v[32:33] op_sel:[0,1]
	s_nop 0
	v_div_fmas_f64 v[82:83], v[82:83], v[90:91], v[92:93]
	v_div_fixup_f64 v[82:83], v[82:83], v[88:89], v[84:85]
	v_mul_f64 v[84:85], v[82:83], v[82:83]
	v_fmac_f64_e32 v[86:87], s[34:35], v[84:85]
	v_pk_mov_b32 v[88:89], v[34:35], v[34:35] op_sel:[0,1]
	v_fmac_f64_e32 v[88:89], v[84:85], v[86:87]
	v_pk_mov_b32 v[86:87], v[36:37], v[36:37] op_sel:[0,1]
	;; [unrolled: 2-line block ×18, first 2 shown]
	v_fmac_f64_e32 v[86:87], v[84:85], v[88:89]
	v_cmp_gt_i32_e32 vcc, 0, v3
	v_mul_f64 v[84:85], v[84:85], v[86:87]
	v_cmp_class_f64_e64 s[62:63], v[2:3], s67
	v_cndmask_b32_e32 v2, v111, v112, vcc
	v_fmac_f64_e32 v[82:83], v[82:83], v[84:85]
	v_bfi_b32 v8, s8, v2, v5
	v_ashrrev_i32_e32 v2, 31, v3
	v_and_b32_e32 v12, 0x400921fb, v2
	v_and_b32_e32 v16, 0x54442d18, v2
	v_add_f64 v[2:3], -v[82:83], s[36:37]
	v_cndmask_b32_e64 v3, v83, v3, s[0:1]
	v_cndmask_b32_e64 v2, v82, v2, s[0:1]
	s_mov_b32 s38, s36
	v_add_f64 v[82:83], -v[2:3], s[38:39]
	v_cmp_class_f64_e64 s[2:3], v[4:5], s67
	v_cndmask_b32_e32 v1, v109, v110, vcc
	v_cndmask_b32_e32 v3, v3, v83, vcc
	;; [unrolled: 1-line block ×3, first 2 shown]
	v_cmp_eq_f64_e32 vcc, 0, v[4:5]
	v_cndmask_b32_e32 v2, v2, v16, vcc
	v_cndmask_b32_e32 v3, v3, v12, vcc
	s_and_b64 vcc, s[62:63], s[2:3]
	v_cndmask_b32_e32 v83, v3, v8, vcc
	v_cndmask_b32_e32 v82, v2, v1, vcc
.LBB180_120:                            ;   in Loop: Header=BB180_5 Depth=1
	s_or_b64 exec, exec, s[60:61]
.LBB180_121:                            ;   in Loop: Header=BB180_5 Depth=1
	s_or_b64 exec, exec, s[58:59]
.LBB180_122:                            ;   in Loop: Header=BB180_5 Depth=1
	s_andn2_saveexec_b64 s[56:57], s[56:57]
	s_cbranch_execz .LBB180_124
; %bb.123:                              ;   in Loop: Header=BB180_5 Depth=1
	v_max_f64 v[14:15], |v[4:5]|, |v[4:5]|
	v_max_f64 v[82:83], |v[2:3]|, |v[2:3]|
	v_max_f64 v[84:85], v[82:83], v[14:15]
	v_frexp_exp_i32_f64_e32 v1, v[84:85]
	v_sub_u32_e32 v8, 0, v1
	v_ldexp_f64 v[88:89], |v[4:5]|, v8
	v_ldexp_f64 v[86:87], |v[2:3]|, v8
	v_mul_f64 v[88:89], v[88:89], v[88:89]
	v_fmac_f64_e32 v[88:89], v[86:87], v[86:87]
	v_rsq_f64_e32 v[86:87], v[88:89]
	v_cmp_eq_f64_e32 vcc, 0, v[88:89]
	v_cmp_class_f64_e64 s[58:59], v[2:3], s67
	v_cmp_class_f64_e64 s[60:61], v[4:5], s67
	v_mul_f64 v[90:91], v[88:89], v[86:87]
	v_mul_f64 v[86:87], v[86:87], 0.5
	v_fma_f64 v[92:93], -v[86:87], v[90:91], 0.5
	v_fmac_f64_e32 v[90:91], v[90:91], v[92:93]
	v_fmac_f64_e32 v[86:87], v[86:87], v[92:93]
	v_fma_f64 v[92:93], -v[90:91], v[90:91], v[88:89]
	v_fmac_f64_e32 v[90:91], v[92:93], v[86:87]
	v_cndmask_b32_e32 v87, v91, v89, vcc
	v_cndmask_b32_e32 v86, v90, v88, vcc
	v_ldexp_f64 v[86:87], v[86:87], v1
	s_or_b64 vcc, s[58:59], s[60:61]
	v_cndmask_b32_e32 v89, v87, v114, vcc
	v_cndmask_b32_e64 v88, v86, 0, vcc
	v_frexp_mant_f64_e32 v[90:91], v[88:89]
	v_cmp_gt_f64_e64 s[2:3], s[22:23], v[90:91]
	v_cndmask_b32_e64 v19, v113, 2.0, s[2:3]
	v_mul_f64 v[90:91], v[90:91], v[18:19]
	v_add_f64 v[92:93], v[90:91], 1.0
	v_rcp_f64_e32 v[94:95], v[92:93]
	v_add_f64 v[98:99], v[92:93], -1.0
	v_add_f64 v[96:97], v[90:91], -1.0
	v_add_f64 v[90:91], v[90:91], -v[98:99]
	v_fma_f64 v[98:99], -v[92:93], v[94:95], 1.0
	v_fmac_f64_e32 v[94:95], v[98:99], v[94:95]
	v_fma_f64 v[98:99], -v[92:93], v[94:95], 1.0
	v_fmac_f64_e32 v[94:95], v[98:99], v[94:95]
	v_mul_f64 v[98:99], v[96:97], v[94:95]
	v_mul_f64 v[100:101], v[92:93], v[98:99]
	v_fma_f64 v[92:93], v[98:99], v[92:93], -v[100:101]
	v_fmac_f64_e32 v[92:93], v[98:99], v[90:91]
	v_add_f64 v[90:91], v[100:101], v[92:93]
	v_add_f64 v[102:103], v[96:97], -v[90:91]
	v_add_f64 v[100:101], v[90:91], -v[100:101]
	;; [unrolled: 1-line block ×5, first 2 shown]
	v_add_f64 v[90:91], v[92:93], v[90:91]
	v_add_f64 v[90:91], v[102:103], v[90:91]
	v_mul_f64 v[90:91], v[94:95], v[90:91]
	v_add_f64 v[92:93], v[98:99], v[90:91]
	v_add_f64 v[94:95], v[92:93], -v[98:99]
	v_add_f64 v[90:91], v[90:91], -v[94:95]
	v_mul_f64 v[94:95], v[92:93], v[92:93]
	v_pk_mov_b32 v[96:97], v[20:21], v[20:21] op_sel:[0,1]
	v_fmac_f64_e32 v[96:97], s[24:25], v[94:95]
	v_pk_mov_b32 v[98:99], v[22:23], v[22:23] op_sel:[0,1]
	v_fmac_f64_e32 v[98:99], v[94:95], v[96:97]
	;; [unrolled: 2-line block ×6, first 2 shown]
	v_ldexp_f64 v[96:97], v[92:93], 1
	v_mul_f64 v[92:93], v[92:93], v[94:95]
	v_mul_f64 v[92:93], v[92:93], v[98:99]
	v_add_f64 v[94:95], v[96:97], v[92:93]
	v_add_f64 v[96:97], v[94:95], -v[96:97]
	v_ldexp_f64 v[90:91], v[90:91], 1
	v_add_f64 v[92:93], v[92:93], -v[96:97]
	v_add_f64 v[90:91], v[90:91], v[92:93]
	v_frexp_exp_i32_f64_e32 v1, v[88:89]
	v_add_f64 v[92:93], v[94:95], v[90:91]
	v_subbrev_co_u32_e64 v1, s[2:3], 0, v1, s[2:3]
	v_add_f64 v[94:95], v[92:93], -v[94:95]
	v_add_f64 v[90:91], v[90:91], -v[94:95]
	v_cvt_f64_i32_e32 v[94:95], v1
	v_mul_f64 v[96:97], v[94:95], s[26:27]
	v_fma_f64 v[98:99], v[94:95], s[26:27], -v[96:97]
	v_fmac_f64_e32 v[98:99], s[28:29], v[94:95]
	v_add_f64 v[94:95], v[96:97], v[98:99]
	v_add_f64 v[96:97], v[94:95], -v[96:97]
	v_add_f64 v[96:97], v[98:99], -v[96:97]
	v_add_f64 v[98:99], v[94:95], v[92:93]
	v_add_f64 v[100:101], v[98:99], -v[94:95]
	v_add_f64 v[102:103], v[98:99], -v[100:101]
	;; [unrolled: 1-line block ×4, first 2 shown]
	v_add_f64 v[92:93], v[92:93], v[94:95]
	v_add_f64 v[94:95], v[96:97], v[90:91]
	v_add_f64 v[100:101], v[94:95], -v[96:97]
	v_add_f64 v[102:103], v[94:95], -v[100:101]
	v_add_f64 v[92:93], v[94:95], v[92:93]
	v_add_f64 v[96:97], v[96:97], -v[102:103]
	v_add_f64 v[90:91], v[90:91], -v[100:101]
	v_add_f64 v[94:95], v[98:99], v[92:93]
	v_add_f64 v[90:91], v[90:91], v[96:97]
	v_add_f64 v[96:97], v[94:95], -v[98:99]
	v_add_f64 v[92:93], v[92:93], -v[96:97]
	v_add_f64 v[90:91], v[90:91], v[92:93]
	v_add_f64 v[90:91], v[94:95], v[90:91]
	v_cmp_class_f64_e64 s[2:3], v[86:87], s67
	v_min_f64 v[82:83], v[82:83], v[14:15]
	v_cndmask_b32_e64 v1, v91, v87, s[2:3]
	v_cndmask_b32_e64 v2, v90, v86, s[2:3]
	v_div_scale_f64 v[86:87], s[2:3], v[84:85], v[84:85], v[82:83]
	v_rcp_f64_e32 v[90:91], v[86:87]
	v_cndmask_b32_e64 v2, v2, 0, vcc
	v_cndmask_b32_e32 v1, v1, v114, vcc
	v_cmp_ngt_f64_e32 vcc, 0, v[88:89]
	v_cndmask_b32_e32 v1, v107, v1, vcc
	v_cmp_nge_f64_e32 vcc, 0, v[88:89]
	v_cndmask_b32_e32 v14, 0, v2, vcc
	v_cmp_neq_f64_e32 vcc, 0, v[88:89]
	v_fma_f64 v[88:89], -v[86:87], v[90:91], 1.0
	v_fmac_f64_e32 v[90:91], v[90:91], v[88:89]
	v_fma_f64 v[88:89], -v[86:87], v[90:91], 1.0
	v_cndmask_b32_e32 v15, v108, v1, vcc
	v_fmac_f64_e32 v[90:91], v[90:91], v[88:89]
	v_div_scale_f64 v[88:89], vcc, v[82:83], v[84:85], v[82:83]
	v_mul_f64 v[92:93], v[88:89], v[90:91]
	v_fma_f64 v[86:87], -v[86:87], v[92:93], v[88:89]
	v_pk_mov_b32 v[88:89], v[34:35], v[34:35] op_sel:[0,1]
	s_nop 0
	v_div_fmas_f64 v[86:87], v[86:87], v[90:91], v[92:93]
	v_div_fixup_f64 v[82:83], v[86:87], v[84:85], v[82:83]
	v_mul_f64 v[84:85], v[82:83], v[82:83]
	v_pk_mov_b32 v[86:87], v[32:33], v[32:33] op_sel:[0,1]
	v_fmac_f64_e32 v[86:87], s[34:35], v[84:85]
	v_fmac_f64_e32 v[88:89], v[84:85], v[86:87]
	v_pk_mov_b32 v[86:87], v[36:37], v[36:37] op_sel:[0,1]
	v_fmac_f64_e32 v[86:87], v[84:85], v[88:89]
	v_pk_mov_b32 v[88:89], v[38:39], v[38:39] op_sel:[0,1]
	;; [unrolled: 2-line block ×17, first 2 shown]
	v_fmac_f64_e32 v[86:87], v[84:85], v[88:89]
	v_cmp_gt_i32_e32 vcc, 0, v3
	v_mul_f64 v[84:85], v[84:85], v[86:87]
	v_cndmask_b32_e32 v2, v111, v112, vcc
	v_fmac_f64_e32 v[82:83], v[82:83], v[84:85]
	v_bfi_b32 v8, s8, v2, v5
	v_ashrrev_i32_e32 v2, 31, v3
	v_and_b32_e32 v12, 0x400921fb, v2
	v_and_b32_e32 v16, 0x54442d18, v2
	v_add_f64 v[2:3], -v[82:83], s[36:37]
	v_cndmask_b32_e64 v3, v83, v3, s[0:1]
	v_cndmask_b32_e64 v2, v82, v2, s[0:1]
	s_mov_b32 s38, s36
	v_add_f64 v[82:83], -v[2:3], s[38:39]
	v_cndmask_b32_e32 v1, v109, v110, vcc
	v_cndmask_b32_e32 v3, v3, v83, vcc
	v_cndmask_b32_e32 v2, v2, v82, vcc
	v_cmp_eq_f64_e32 vcc, 0, v[4:5]
	v_cndmask_b32_e32 v2, v2, v16, vcc
	v_cndmask_b32_e32 v3, v3, v12, vcc
	s_and_b64 vcc, s[58:59], s[60:61]
	v_cndmask_b32_e32 v83, v3, v8, vcc
	v_cndmask_b32_e32 v82, v2, v1, vcc
.LBB180_124:                            ;   in Loop: Header=BB180_5 Depth=1
	s_or_b64 exec, exec, s[56:57]
                                        ; implicit-def: $vgpr84_vgpr85
.LBB180_125:                            ;   in Loop: Header=BB180_5 Depth=1
	s_andn2_saveexec_b64 s[2:3], s[54:55]
	s_cbranch_execz .LBB180_131
; %bb.126:                              ;   in Loop: Header=BB180_5 Depth=1
	v_cmp_ngt_f64_e32 vcc, s[42:43], v[84:85]
                                        ; implicit-def: $vgpr14_vgpr15
                                        ; implicit-def: $vgpr82_vgpr83
	s_and_saveexec_b64 s[54:55], vcc
	s_xor_b64 s[54:55], exec, s[54:55]
	s_cbranch_execz .LBB180_128
; %bb.127:                              ;   in Loop: Header=BB180_5 Depth=1
	v_mul_f64 v[14:15], v[84:85], v[84:85]
	v_add_f64 v[82:83], v[14:15], 1.0
	v_add_f64 v[84:85], v[82:83], -1.0
	v_add_f64 v[86:87], v[84:85], -v[82:83]
	v_add_f64 v[86:87], v[86:87], 1.0
	v_add_f64 v[84:85], v[14:15], -v[84:85]
	v_add_f64 v[84:85], v[84:85], v[86:87]
	v_frexp_mant_f64_e32 v[86:87], v[82:83]
	v_frexp_exp_i32_f64_e32 v1, v[82:83]
	v_cmp_gt_f64_e32 vcc, s[22:23], v[86:87]
	v_subbrev_co_u32_e32 v1, vcc, 0, v1, vcc
	v_sub_u32_e32 v8, 0, v1
	v_ldexp_f64 v[82:83], v[82:83], v8
	v_add_f64 v[86:87], v[82:83], -1.0
	v_add_f64 v[92:93], v[82:83], 1.0
	v_add_f64 v[88:89], v[86:87], 1.0
	v_add_f64 v[94:95], v[92:93], -1.0
	v_ldexp_f64 v[84:85], v[84:85], v8
	v_add_f64 v[88:89], v[82:83], -v[88:89]
	v_add_f64 v[82:83], v[82:83], -v[94:95]
	v_add_f64 v[82:83], v[84:85], v[82:83]
	v_add_f64 v[88:89], v[84:85], v[88:89]
	;; [unrolled: 1-line block ×3, first 2 shown]
	v_rcp_f64_e32 v[94:95], v[84:85]
	v_add_f64 v[90:91], v[86:87], v[88:89]
	v_add_f64 v[86:87], v[86:87], -v[90:91]
	v_add_f64 v[86:87], v[88:89], v[86:87]
	v_add_f64 v[88:89], v[92:93], -v[84:85]
	v_add_f64 v[82:83], v[82:83], v[88:89]
	v_fma_f64 v[88:89], -v[84:85], v[94:95], 1.0
	v_fmac_f64_e32 v[94:95], v[88:89], v[94:95]
	v_fma_f64 v[88:89], -v[84:85], v[94:95], 1.0
	v_fmac_f64_e32 v[94:95], v[88:89], v[94:95]
	v_mul_f64 v[88:89], v[90:91], v[94:95]
	v_mul_f64 v[92:93], v[84:85], v[88:89]
	v_fma_f64 v[96:97], v[88:89], v[84:85], -v[92:93]
	v_fmac_f64_e32 v[96:97], v[88:89], v[82:83]
	v_add_f64 v[98:99], v[92:93], v[96:97]
	v_add_f64 v[100:101], v[90:91], -v[98:99]
	v_add_f64 v[90:91], v[90:91], -v[100:101]
	;; [unrolled: 1-line block ×4, first 2 shown]
	v_add_f64 v[86:87], v[86:87], v[90:91]
	v_add_f64 v[90:91], v[92:93], -v[96:97]
	v_add_f64 v[86:87], v[90:91], v[86:87]
	v_add_f64 v[90:91], v[100:101], v[86:87]
	v_add_f64 v[92:93], v[100:101], -v[90:91]
	v_add_f64 v[86:87], v[86:87], v[92:93]
	v_mul_f64 v[92:93], v[94:95], v[90:91]
	v_mul_f64 v[96:97], v[84:85], v[92:93]
	v_fma_f64 v[84:85], v[92:93], v[84:85], -v[96:97]
	v_fmac_f64_e32 v[84:85], v[92:93], v[82:83]
	v_add_f64 v[82:83], v[96:97], v[84:85]
	v_add_f64 v[98:99], v[90:91], -v[82:83]
	v_add_f64 v[90:91], v[90:91], -v[98:99]
	;; [unrolled: 1-line block ×4, first 2 shown]
	v_add_f64 v[82:83], v[86:87], v[82:83]
	v_add_f64 v[84:85], v[96:97], -v[84:85]
	v_add_f64 v[82:83], v[84:85], v[82:83]
	v_add_f64 v[84:85], v[88:89], v[92:93]
	;; [unrolled: 1-line block ×3, first 2 shown]
	v_add_f64 v[86:87], v[84:85], -v[88:89]
	v_mul_f64 v[82:83], v[94:95], v[82:83]
	v_add_f64 v[86:87], v[92:93], -v[86:87]
	v_add_f64 v[82:83], v[86:87], v[82:83]
	v_add_f64 v[86:87], v[84:85], v[82:83]
	v_add_f64 v[84:85], v[86:87], -v[84:85]
	v_add_f64 v[82:83], v[82:83], -v[84:85]
	v_mul_f64 v[84:85], v[86:87], v[86:87]
	v_pk_mov_b32 v[88:89], v[20:21], v[20:21] op_sel:[0,1]
	v_fmac_f64_e32 v[88:89], s[24:25], v[84:85]
	v_pk_mov_b32 v[90:91], v[22:23], v[22:23] op_sel:[0,1]
	v_fmac_f64_e32 v[90:91], v[84:85], v[88:89]
	;; [unrolled: 2-line block ×6, first 2 shown]
	v_cvt_f64_i32_e32 v[88:89], v1
	v_mul_f64 v[92:93], v[88:89], s[26:27]
	v_fma_f64 v[94:95], v[88:89], s[26:27], -v[92:93]
	v_fmac_f64_e32 v[94:95], s[28:29], v[88:89]
	v_add_f64 v[88:89], v[92:93], v[94:95]
	v_add_f64 v[92:93], v[88:89], -v[92:93]
	v_mul_f64 v[84:85], v[86:87], v[84:85]
	v_add_f64 v[92:93], v[94:95], -v[92:93]
	v_ldexp_f64 v[94:95], v[86:87], 1
	v_mul_f64 v[84:85], v[84:85], v[90:91]
	v_add_f64 v[86:87], v[94:95], v[84:85]
	v_add_f64 v[90:91], v[86:87], -v[94:95]
	v_ldexp_f64 v[82:83], v[82:83], 1
	v_add_f64 v[84:85], v[84:85], -v[90:91]
	v_add_f64 v[82:83], v[82:83], v[84:85]
	v_add_f64 v[84:85], v[86:87], v[82:83]
	v_add_f64 v[86:87], v[84:85], -v[86:87]
	v_add_f64 v[82:83], v[82:83], -v[86:87]
	v_add_f64 v[86:87], v[88:89], v[84:85]
	v_add_f64 v[90:91], v[86:87], -v[88:89]
	v_add_f64 v[94:95], v[86:87], -v[90:91]
	;; [unrolled: 1-line block ×4, first 2 shown]
	v_add_f64 v[84:85], v[84:85], v[88:89]
	v_add_f64 v[88:89], v[92:93], v[82:83]
	v_add_f64 v[90:91], v[88:89], -v[92:93]
	v_add_f64 v[84:85], v[88:89], v[84:85]
	v_add_f64 v[94:95], v[88:89], -v[90:91]
	;; [unrolled: 2-line block ×3, first 2 shown]
	v_add_f64 v[82:83], v[82:83], -v[90:91]
	v_add_f64 v[86:87], v[88:89], -v[86:87]
	v_add_f64 v[82:83], v[82:83], v[92:93]
	v_add_f64 v[84:85], v[84:85], -v[86:87]
	v_add_f64 v[82:83], v[82:83], v[84:85]
	v_max_f64 v[84:85], |v[4:5]|, |v[4:5]|
	v_max_f64 v[86:87], |v[2:3]|, |v[2:3]|
	v_add_f64 v[82:83], v[88:89], v[82:83]
	v_max_f64 v[88:89], v[86:87], v[84:85]
	v_min_f64 v[84:85], v[86:87], v[84:85]
	v_div_scale_f64 v[86:87], s[56:57], v[88:89], v[88:89], v[84:85]
	v_rcp_f64_e32 v[90:91], v[86:87]
	v_cmp_eq_f64_e32 vcc, s[30:31], v[14:15]
	v_cndmask_b32_e32 v15, v83, v15, vcc
	v_cndmask_b32_e32 v14, v82, v14, vcc
	v_fma_f64 v[82:83], -v[86:87], v[90:91], 1.0
	v_fmac_f64_e32 v[90:91], v[90:91], v[82:83]
	v_fma_f64 v[82:83], -v[86:87], v[90:91], 1.0
	v_fmac_f64_e32 v[90:91], v[90:91], v[82:83]
	v_div_scale_f64 v[82:83], vcc, v[84:85], v[88:89], v[84:85]
	v_mul_f64 v[92:93], v[82:83], v[90:91]
	v_fma_f64 v[82:83], -v[86:87], v[92:93], v[82:83]
	v_pk_mov_b32 v[86:87], v[32:33], v[32:33] op_sel:[0,1]
	s_nop 0
	v_div_fmas_f64 v[82:83], v[82:83], v[90:91], v[92:93]
	v_div_fixup_f64 v[82:83], v[82:83], v[88:89], v[84:85]
	v_mul_f64 v[84:85], v[82:83], v[82:83]
	v_fmac_f64_e32 v[86:87], s[34:35], v[84:85]
	v_pk_mov_b32 v[88:89], v[34:35], v[34:35] op_sel:[0,1]
	v_fmac_f64_e32 v[88:89], v[84:85], v[86:87]
	v_pk_mov_b32 v[86:87], v[36:37], v[36:37] op_sel:[0,1]
	;; [unrolled: 2-line block ×18, first 2 shown]
	v_fmac_f64_e32 v[86:87], v[84:85], v[88:89]
	v_cmp_gt_i32_e32 vcc, 0, v3
	v_mul_f64 v[84:85], v[84:85], v[86:87]
	v_cmp_class_f64_e64 s[58:59], v[2:3], s67
	v_cndmask_b32_e32 v2, v111, v112, vcc
	v_fmac_f64_e32 v[82:83], v[82:83], v[84:85]
	v_bfi_b32 v8, s8, v2, v5
	v_ashrrev_i32_e32 v2, 31, v3
	v_and_b32_e32 v12, 0x400921fb, v2
	v_and_b32_e32 v16, 0x54442d18, v2
	v_add_f64 v[2:3], -v[82:83], s[36:37]
	v_cndmask_b32_e64 v3, v83, v3, s[0:1]
	v_cndmask_b32_e64 v2, v82, v2, s[0:1]
	s_mov_b32 s38, s36
	v_add_f64 v[82:83], -v[2:3], s[38:39]
	v_cmp_class_f64_e64 s[56:57], v[4:5], s67
	v_cndmask_b32_e32 v1, v109, v110, vcc
	v_cndmask_b32_e32 v3, v3, v83, vcc
	;; [unrolled: 1-line block ×3, first 2 shown]
	v_cmp_eq_f64_e32 vcc, 0, v[4:5]
	v_cndmask_b32_e32 v2, v2, v16, vcc
	v_cndmask_b32_e32 v3, v3, v12, vcc
	s_and_b64 vcc, s[58:59], s[56:57]
	v_mul_f64 v[14:15], v[14:15], 0.5
	v_cndmask_b32_e32 v83, v3, v8, vcc
	v_cndmask_b32_e32 v82, v2, v1, vcc
                                        ; implicit-def: $vgpr84_vgpr85
.LBB180_128:                            ;   in Loop: Header=BB180_5 Depth=1
	s_andn2_saveexec_b64 s[54:55], s[54:55]
	s_cbranch_execz .LBB180_130
; %bb.129:                              ;   in Loop: Header=BB180_5 Depth=1
	v_max_f64 v[14:15], |v[4:5]|, |v[4:5]|
	v_max_f64 v[82:83], |v[2:3]|, |v[2:3]|
	v_max_f64 v[86:87], v[82:83], v[14:15]
	v_min_f64 v[82:83], v[82:83], v[14:15]
	v_div_scale_f64 v[88:89], s[56:57], v[86:87], v[86:87], v[82:83]
	v_rcp_f64_e32 v[90:91], v[88:89]
	v_mul_f64 v[14:15], v[84:85], 0.5
	v_mul_f64 v[14:15], v[84:85], v[14:15]
	v_cmp_class_f64_e64 s[58:59], v[2:3], s67
	v_fma_f64 v[84:85], -v[88:89], v[90:91], 1.0
	v_fmac_f64_e32 v[90:91], v[90:91], v[84:85]
	v_fma_f64 v[84:85], -v[88:89], v[90:91], 1.0
	v_fmac_f64_e32 v[90:91], v[90:91], v[84:85]
	v_div_scale_f64 v[84:85], vcc, v[82:83], v[86:87], v[82:83]
	v_mul_f64 v[92:93], v[84:85], v[90:91]
	v_fma_f64 v[84:85], -v[88:89], v[92:93], v[84:85]
	v_pk_mov_b32 v[88:89], v[34:35], v[34:35] op_sel:[0,1]
	s_nop 0
	v_div_fmas_f64 v[84:85], v[84:85], v[90:91], v[92:93]
	v_div_fixup_f64 v[82:83], v[84:85], v[86:87], v[82:83]
	v_mul_f64 v[84:85], v[82:83], v[82:83]
	v_pk_mov_b32 v[86:87], v[32:33], v[32:33] op_sel:[0,1]
	v_fmac_f64_e32 v[86:87], s[34:35], v[84:85]
	v_fmac_f64_e32 v[88:89], v[84:85], v[86:87]
	v_pk_mov_b32 v[86:87], v[36:37], v[36:37] op_sel:[0,1]
	v_fmac_f64_e32 v[86:87], v[84:85], v[88:89]
	v_pk_mov_b32 v[88:89], v[38:39], v[38:39] op_sel:[0,1]
	;; [unrolled: 2-line block ×17, first 2 shown]
	v_fmac_f64_e32 v[86:87], v[84:85], v[88:89]
	v_cmp_gt_i32_e32 vcc, 0, v3
	v_mul_f64 v[84:85], v[84:85], v[86:87]
	v_cndmask_b32_e32 v2, v111, v112, vcc
	v_fmac_f64_e32 v[82:83], v[82:83], v[84:85]
	v_bfi_b32 v8, s8, v2, v5
	v_ashrrev_i32_e32 v2, 31, v3
	v_and_b32_e32 v12, 0x400921fb, v2
	v_and_b32_e32 v16, 0x54442d18, v2
	v_add_f64 v[2:3], -v[82:83], s[36:37]
	v_cndmask_b32_e64 v3, v83, v3, s[0:1]
	v_cndmask_b32_e64 v2, v82, v2, s[0:1]
	s_mov_b32 s38, s36
	v_add_f64 v[82:83], -v[2:3], s[38:39]
	v_cmp_class_f64_e64 s[56:57], v[4:5], s67
	v_cndmask_b32_e32 v1, v109, v110, vcc
	v_cndmask_b32_e32 v3, v3, v83, vcc
	;; [unrolled: 1-line block ×3, first 2 shown]
	v_cmp_eq_f64_e32 vcc, 0, v[4:5]
	v_cndmask_b32_e32 v2, v2, v16, vcc
	v_cndmask_b32_e32 v3, v3, v12, vcc
	s_and_b64 vcc, s[58:59], s[56:57]
	v_cndmask_b32_e32 v83, v3, v8, vcc
	v_cndmask_b32_e32 v82, v2, v1, vcc
.LBB180_130:                            ;   in Loop: Header=BB180_5 Depth=1
	s_or_b64 exec, exec, s[54:55]
.LBB180_131:                            ;   in Loop: Header=BB180_5 Depth=1
	s_or_b64 exec, exec, s[2:3]
.LBB180_132:                            ;   in Loop: Header=BB180_5 Depth=1
	s_andn2_saveexec_b64 s[54:55], s[6:7]
	s_cbranch_execz .LBB180_134
; %bb.133:                              ;   in Loop: Header=BB180_5 Depth=1
	v_div_scale_f64 v[14:15], s[2:3], s[44:45], s[44:45], v[2:3]
	v_rcp_f64_e32 v[82:83], v[14:15]
	v_div_scale_f64 v[84:85], vcc, v[2:3], s[44:45], v[2:3]
	s_mov_b32 s38, s36
	v_fma_f64 v[86:87], -v[14:15], v[82:83], 1.0
	v_fmac_f64_e32 v[82:83], v[82:83], v[86:87]
	v_fma_f64 v[86:87], -v[14:15], v[82:83], 1.0
	v_fmac_f64_e32 v[82:83], v[82:83], v[86:87]
	v_mul_f64 v[86:87], v[84:85], v[82:83]
	v_fma_f64 v[14:15], -v[14:15], v[86:87], v[84:85]
	v_div_scale_f64 v[84:85], s[2:3], s[44:45], s[44:45], v[4:5]
	v_rcp_f64_e32 v[88:89], v[84:85]
	v_div_fmas_f64 v[14:15], v[14:15], v[82:83], v[86:87]
	v_div_fixup_f64 v[14:15], v[14:15], s[44:45], v[2:3]
	v_cmp_class_f64_e64 s[6:7], v[14:15], s67
	v_fma_f64 v[82:83], -v[84:85], v[88:89], 1.0
	v_fmac_f64_e32 v[88:89], v[88:89], v[82:83]
	v_fma_f64 v[82:83], -v[84:85], v[88:89], 1.0
	v_fmac_f64_e32 v[88:89], v[88:89], v[82:83]
	v_div_scale_f64 v[82:83], vcc, v[4:5], s[44:45], v[4:5]
	v_mul_f64 v[86:87], v[82:83], v[88:89]
	v_fma_f64 v[82:83], -v[84:85], v[86:87], v[82:83]
	s_nop 1
	v_div_fmas_f64 v[82:83], v[82:83], v[88:89], v[86:87]
	v_div_fixup_f64 v[82:83], v[82:83], s[44:45], v[4:5]
	v_max_f64 v[84:85], |v[14:15]|, |v[82:83]|
	v_frexp_exp_i32_f64_e32 v1, v[84:85]
	v_sub_u32_e32 v8, 0, v1
	v_ldexp_f64 v[86:87], |v[82:83]|, v8
	v_ldexp_f64 v[84:85], |v[14:15]|, v8
	v_mul_f64 v[86:87], v[86:87], v[86:87]
	v_fmac_f64_e32 v[86:87], v[84:85], v[84:85]
	v_rsq_f64_e32 v[84:85], v[86:87]
	v_cmp_eq_f64_e32 vcc, 0, v[86:87]
	v_cmp_o_f64_e64 s[2:3], v[14:15], v[82:83]
	v_cmp_class_f64_e64 s[56:57], v[82:83], s67
	v_mul_f64 v[88:89], v[86:87], v[84:85]
	v_mul_f64 v[84:85], v[84:85], 0.5
	v_fma_f64 v[90:91], -v[84:85], v[88:89], 0.5
	v_fmac_f64_e32 v[88:89], v[88:89], v[90:91]
	v_fmac_f64_e32 v[84:85], v[84:85], v[90:91]
	v_fma_f64 v[90:91], -v[88:89], v[88:89], v[86:87]
	v_fmac_f64_e32 v[88:89], v[90:91], v[84:85]
	v_cndmask_b32_e32 v85, v89, v87, vcc
	v_cndmask_b32_e32 v84, v88, v86, vcc
	v_ldexp_f64 v[84:85], v[84:85], v1
	v_cndmask_b32_e64 v1, 0, v84, s[2:3]
	v_cndmask_b32_e64 v8, v107, v85, s[2:3]
	s_or_b64 vcc, s[6:7], s[56:57]
	v_cndmask_b32_e32 v83, v8, v114, vcc
	v_cndmask_b32_e64 v82, v1, 0, vcc
	v_frexp_mant_f64_e32 v[14:15], v[82:83]
	v_cmp_gt_f64_e64 s[6:7], s[22:23], v[14:15]
	v_cndmask_b32_e64 v19, v113, 2.0, s[6:7]
	v_mul_f64 v[14:15], v[14:15], v[18:19]
	v_add_f64 v[86:87], v[14:15], 1.0
	v_rcp_f64_e32 v[88:89], v[86:87]
	v_add_f64 v[92:93], v[86:87], -1.0
	v_add_f64 v[90:91], v[14:15], -1.0
	v_add_f64 v[14:15], v[14:15], -v[92:93]
	v_fma_f64 v[92:93], -v[86:87], v[88:89], 1.0
	v_fmac_f64_e32 v[88:89], v[92:93], v[88:89]
	v_fma_f64 v[92:93], -v[86:87], v[88:89], 1.0
	v_fmac_f64_e32 v[88:89], v[92:93], v[88:89]
	v_mul_f64 v[92:93], v[90:91], v[88:89]
	v_mul_f64 v[94:95], v[86:87], v[92:93]
	v_fma_f64 v[86:87], v[92:93], v[86:87], -v[94:95]
	v_fmac_f64_e32 v[86:87], v[92:93], v[14:15]
	v_add_f64 v[14:15], v[94:95], v[86:87]
	v_add_f64 v[96:97], v[90:91], -v[14:15]
	v_add_f64 v[94:95], v[14:15], -v[94:95]
	;; [unrolled: 1-line block ×5, first 2 shown]
	v_add_f64 v[14:15], v[86:87], v[14:15]
	v_add_f64 v[14:15], v[96:97], v[14:15]
	v_mul_f64 v[14:15], v[88:89], v[14:15]
	v_add_f64 v[86:87], v[92:93], v[14:15]
	v_add_f64 v[88:89], v[86:87], -v[92:93]
	v_add_f64 v[14:15], v[14:15], -v[88:89]
	v_mul_f64 v[88:89], v[86:87], v[86:87]
	v_pk_mov_b32 v[90:91], v[20:21], v[20:21] op_sel:[0,1]
	v_fmac_f64_e32 v[90:91], s[24:25], v[88:89]
	v_pk_mov_b32 v[92:93], v[22:23], v[22:23] op_sel:[0,1]
	v_fmac_f64_e32 v[92:93], v[88:89], v[90:91]
	;; [unrolled: 2-line block ×6, first 2 shown]
	v_ldexp_f64 v[90:91], v[86:87], 1
	v_mul_f64 v[86:87], v[86:87], v[88:89]
	v_mul_f64 v[86:87], v[86:87], v[92:93]
	v_add_f64 v[88:89], v[90:91], v[86:87]
	v_add_f64 v[90:91], v[88:89], -v[90:91]
	v_ldexp_f64 v[14:15], v[14:15], 1
	v_add_f64 v[86:87], v[86:87], -v[90:91]
	v_add_f64 v[14:15], v[14:15], v[86:87]
	v_frexp_exp_i32_f64_e32 v12, v[82:83]
	v_add_f64 v[86:87], v[88:89], v[14:15]
	v_subbrev_co_u32_e64 v12, s[6:7], 0, v12, s[6:7]
	v_add_f64 v[88:89], v[86:87], -v[88:89]
	v_add_f64 v[14:15], v[14:15], -v[88:89]
	v_cvt_f64_i32_e32 v[88:89], v12
	v_mul_f64 v[90:91], v[88:89], s[26:27]
	v_fma_f64 v[92:93], v[88:89], s[26:27], -v[90:91]
	v_fmac_f64_e32 v[92:93], s[28:29], v[88:89]
	v_add_f64 v[88:89], v[90:91], v[92:93]
	v_add_f64 v[90:91], v[88:89], -v[90:91]
	v_add_f64 v[90:91], v[92:93], -v[90:91]
	v_add_f64 v[92:93], v[88:89], v[86:87]
	v_add_f64 v[94:95], v[92:93], -v[88:89]
	v_add_f64 v[96:97], v[92:93], -v[94:95]
	;; [unrolled: 1-line block ×4, first 2 shown]
	v_add_f64 v[86:87], v[86:87], v[88:89]
	v_add_f64 v[88:89], v[90:91], v[14:15]
	v_add_f64 v[94:95], v[88:89], -v[90:91]
	v_add_f64 v[96:97], v[88:89], -v[94:95]
	v_add_f64 v[86:87], v[88:89], v[86:87]
	v_add_f64 v[90:91], v[90:91], -v[96:97]
	v_add_f64 v[14:15], v[14:15], -v[94:95]
	v_add_f64 v[88:89], v[92:93], v[86:87]
	v_add_f64 v[14:15], v[14:15], v[90:91]
	v_add_f64 v[90:91], v[88:89], -v[92:93]
	v_add_f64 v[86:87], v[86:87], -v[90:91]
	v_and_b32_e32 v85, 0x7fffffff, v85
	v_add_f64 v[14:15], v[14:15], v[86:87]
	v_cmp_eq_f64_e64 s[6:7], s[30:31], v[84:85]
	v_add_f64 v[14:15], v[88:89], v[14:15]
	s_and_b64 s[2:3], s[2:3], s[6:7]
	v_cndmask_b32_e64 v15, v15, v8, s[2:3]
	v_cndmask_b32_e64 v14, v14, v1, s[2:3]
	v_add_f64 v[14:15], v[14:15], 1.0
	v_cndmask_b32_e64 v1, v14, 0, vcc
	v_cndmask_b32_e32 v8, v15, v114, vcc
	v_max_f64 v[14:15], |v[4:5]|, |v[4:5]|
	v_max_f64 v[84:85], |v[2:3]|, |v[2:3]|
	v_max_f64 v[86:87], v[84:85], v[14:15]
	v_min_f64 v[84:85], v[84:85], v[14:15]
	v_div_scale_f64 v[88:89], s[2:3], v[86:87], v[86:87], v[84:85]
	v_rcp_f64_e32 v[90:91], v[88:89]
	v_cmp_ngt_f64_e32 vcc, 0, v[82:83]
	v_cndmask_b32_e32 v8, v107, v8, vcc
	v_cmp_nge_f64_e32 vcc, 0, v[82:83]
	v_cndmask_b32_e32 v14, 0, v1, vcc
	v_cmp_neq_f64_e32 vcc, 0, v[82:83]
	v_fma_f64 v[82:83], -v[88:89], v[90:91], 1.0
	v_fmac_f64_e32 v[90:91], v[90:91], v[82:83]
	v_fma_f64 v[82:83], -v[88:89], v[90:91], 1.0
	v_cndmask_b32_e32 v15, v108, v8, vcc
	v_fmac_f64_e32 v[90:91], v[90:91], v[82:83]
	v_div_scale_f64 v[82:83], vcc, v[84:85], v[86:87], v[84:85]
	v_mul_f64 v[92:93], v[82:83], v[90:91]
	v_fma_f64 v[82:83], -v[88:89], v[92:93], v[82:83]
	v_pk_mov_b32 v[88:89], v[34:35], v[34:35] op_sel:[0,1]
	s_nop 0
	v_div_fmas_f64 v[82:83], v[82:83], v[90:91], v[92:93]
	v_div_fixup_f64 v[82:83], v[82:83], v[86:87], v[84:85]
	v_mul_f64 v[84:85], v[82:83], v[82:83]
	v_pk_mov_b32 v[86:87], v[32:33], v[32:33] op_sel:[0,1]
	v_fmac_f64_e32 v[86:87], s[34:35], v[84:85]
	v_fmac_f64_e32 v[88:89], v[84:85], v[86:87]
	v_pk_mov_b32 v[86:87], v[36:37], v[36:37] op_sel:[0,1]
	v_fmac_f64_e32 v[86:87], v[84:85], v[88:89]
	v_pk_mov_b32 v[88:89], v[38:39], v[38:39] op_sel:[0,1]
	;; [unrolled: 2-line block ×17, first 2 shown]
	v_fmac_f64_e32 v[86:87], v[84:85], v[88:89]
	v_cmp_gt_i32_e32 vcc, 0, v3
	v_mul_f64 v[84:85], v[84:85], v[86:87]
	v_cmp_class_f64_e64 s[6:7], v[2:3], s67
	v_cndmask_b32_e32 v2, v111, v112, vcc
	v_fmac_f64_e32 v[82:83], v[82:83], v[84:85]
	v_bfi_b32 v8, s8, v2, v5
	v_ashrrev_i32_e32 v2, 31, v3
	v_and_b32_e32 v12, 0x400921fb, v2
	v_and_b32_e32 v16, 0x54442d18, v2
	v_add_f64 v[2:3], -v[82:83], s[36:37]
	v_cndmask_b32_e64 v3, v83, v3, s[0:1]
	v_cndmask_b32_e64 v2, v82, v2, s[0:1]
	v_add_f64 v[82:83], -v[2:3], s[38:39]
	v_cmp_class_f64_e64 s[2:3], v[4:5], s67
	v_cndmask_b32_e32 v1, v109, v110, vcc
	v_cndmask_b32_e32 v3, v3, v83, vcc
	;; [unrolled: 1-line block ×3, first 2 shown]
	v_cmp_eq_f64_e32 vcc, 0, v[4:5]
	v_cndmask_b32_e32 v2, v2, v16, vcc
	v_cndmask_b32_e32 v3, v3, v12, vcc
	s_and_b64 vcc, s[6:7], s[2:3]
	v_cndmask_b32_e32 v83, v3, v8, vcc
	v_cndmask_b32_e32 v82, v2, v1, vcc
.LBB180_134:                            ;   in Loop: Header=BB180_5 Depth=1
	s_or_b64 exec, exec, s[54:55]
.LBB180_135:                            ;   in Loop: Header=BB180_5 Depth=1
	s_andn2_saveexec_b64 s[0:1], s[52:53]
	s_cbranch_execz .LBB180_4
; %bb.136:                              ;   in Loop: Header=BB180_5 Depth=1
	v_cmp_nlt_f64_e64 s[2:3], |v[2:3]|, s[46:47]
	v_cmp_nlt_f64_e64 s[6:7], |v[4:5]|, s[46:47]
	s_or_b64 s[2:3], s[2:3], s[6:7]
                                        ; implicit-def: $vgpr82_vgpr83
	s_and_saveexec_b64 s[6:7], s[2:3]
	s_xor_b64 s[2:3], exec, s[6:7]
; %bb.137:                              ;   in Loop: Header=BB180_5 Depth=1
	v_mul_f64 v[82:83], v[4:5], v[4:5]
	v_fmac_f64_e32 v[82:83], v[2:3], v[2:3]
; %bb.138:                              ;   in Loop: Header=BB180_5 Depth=1
	s_andn2_saveexec_b64 s[2:3], s[2:3]
	s_cbranch_execz .LBB180_3
; %bb.139:                              ;   in Loop: Header=BB180_5 Depth=1
	v_mul_f64 v[14:15], v[4:5], 4.0
	v_mul_f64 v[2:3], v[2:3], 4.0
	v_mul_f64 v[14:15], v[14:15], v[14:15]
	v_fmac_f64_e32 v[14:15], v[2:3], v[2:3]
	v_ldexp_f64 v[82:83], v[14:15], -4
	s_branch .LBB180_3
.LBB180_140:
	s_or_b64 exec, exec, s[10:11]
	s_mov_b64 s[0:1], 0
.LBB180_141:
	s_andn2_b64 vcc, exec, s[0:1]
	s_cbranch_vccnz .LBB180_297
; %bb.142:
	v_cmp_lt_i64_e64 s[0:1], s[14:15], 1
	s_and_b64 vcc, exec, s[0:1]
	s_cbranch_vccnz .LBB180_297
; %bb.143:
	s_load_dword s0, s[4:5], 0xc5c
	v_mov_b32_e32 v2, 0x10000
	v_mov_b32_e32 v3, 0
	v_cmp_lt_u64_e32 vcc, s[14:15], v[2:3]
	s_mov_b32 s2, 0
	s_waitcnt lgkmcnt(0)
	s_and_b32 s71, s0, 0xffff
	s_and_b64 s[0:1], vcc, exec
	s_mov_b32 s20, 0x85ebc8a0
	s_mov_b32 s22, 0x4ad4b81f
	;; [unrolled: 1-line block ×15, first 2 shown]
	s_cselect_b32 s17, s15, 0
	s_cselect_b32 s16, s14, 0x10000
	s_lshl_b32 s72, s71, 1
	s_mul_i32 s73, s71, 3
	s_mov_b32 s74, s2
	s_lshl_b32 s75, s71, 2
	s_mov_b64 s[18:19], 0
	v_mov_b32_e32 v110, s2
	v_mov_b32_e32 v111, s2
	s_brev_b32 s76, -2
	s_mov_b32 s21, 0x7fd1ccf3
	s_mov_b32 s23, 0x358dee7a
	;; [unrolled: 1-line block ×9, first 2 shown]
	s_movk_i32 s77, 0x204
	s_mov_b32 s41, 0x3ff921fb
	s_mov_b32 s43, 0x400921fb
	;; [unrolled: 1-line block ×5, first 2 shown]
	s_brev_b32 s51, 4
	s_mov_b32 s53, 0x40026bb1
	v_mov_b32_e32 v18, 0x6b47b09a
	v_mov_b32_e32 v19, 0x3fc38538
	v_mov_b32_e32 v20, 0xd7f4df2e
	v_mov_b32_e32 v21, 0x3fc7474d
	v_mov_b32_e32 v22, 0x16291751
	v_mov_b32_e32 v23, 0x3fcc71c0
	v_mov_b32_e32 v24, 0x9b27acf1
	v_mov_b32_e32 v25, 0x3fd24924
	v_mov_b32_e32 v26, 0x998ef7b6
	v_mov_b32_e32 v27, 0x3fd99999
	v_mov_b32_e32 v28, 0x55555780
	v_mov_b32_e32 v29, 0x3fe55555
	v_mov_b32_e32 v112, 0x7ff80000
	v_mov_b32_e32 v113, 0xfff00000
	v_mov_b32_e32 v30, 0xbd3237f4
	v_mov_b32_e32 v31, 0xbf23e260
	v_mov_b32_e32 v32, 0x69efb384
	v_mov_b32_e32 v33, 0x3f4b2bb0
	v_mov_b32_e32 v34, 0xaf56de9b
	v_mov_b32_e32 v35, 0xbf67952d
	v_mov_b32_e32 v36, 0xa595c56f
	v_mov_b32_e32 v37, 0x3f7d6d43
	v_mov_b32_e32 v38, 0xa57d9582
	v_mov_b32_e32 v39, 0xbf8c6ea4
	v_mov_b32_e32 v40, 0x5f08b19f
	v_mov_b32_e32 v41, 0x3f967e29
	v_mov_b32_e32 v42, 0xfc27006a
	v_mov_b32_e32 v43, 0xbf9e9ae6
	v_mov_b32_e32 v44, 0x5711927a
	v_mov_b32_e32 v45, 0x3fa2c15b
	v_mov_b32_e32 v46, 0xe82d3ff0
	v_mov_b32_e32 v47, 0xbfa59976
	v_mov_b32_e32 v48, 0x6ef28734
	v_mov_b32_e32 v49, 0x3fa82d5d
	v_mov_b32_e32 v50, 0x6a214619
	v_mov_b32_e32 v51, 0xbfaae5ce
	v_mov_b32_e32 v52, 0x8427b883
	v_mov_b32_e32 v53, 0x3fae1bb4
	v_mov_b32_e32 v54, 0x8b207f05
	v_mov_b32_e32 v55, 0xbfb110e4
	v_mov_b32_e32 v56, 0x57b87036
	v_mov_b32_e32 v57, 0x3fb3b136
	v_mov_b32_e32 v58, 0x19378e4f
	v_mov_b32_e32 v59, 0xbfb745d1
	v_mov_b32_e32 v60, 0x17e1913c
	v_mov_b32_e32 v61, 0x3fbc71c7
	v_mov_b32_e32 v62, 0x92376b7d
	v_mov_b32_e32 v63, 0xbfc24924
	v_mov_b32_e32 v64, 0x999952cc
	v_mov_b32_e32 v65, 0x3fc99999
	v_mov_b32_e32 v66, 0x55555523
	v_mov_b32_e32 v67, 0xbfd55555
	v_mov_b32_e32 v114, 0x54442d18
	v_mov_b32_e32 v115, 0x7f3321d2
	v_mov_b32_e32 v116, 0x3fe921fb
	v_mov_b32_e32 v117, 0x4002d97c
	v_mov_b32_e32 v118, 0x3ff00000
	v_mov_b32_e32 v119, 0x7ff00000
	v_mov_b32_e32 v68, 0
	s_branch .LBB180_145
.LBB180_144:                            ;   in Loop: Header=BB180_145 Depth=1
	s_or_b64 exec, exec, s[2:3]
	s_add_u32 s18, s18, s75
	s_addc_u32 s19, s19, 0
	v_pk_mov_b32 v[2:3], s[14:15], s[14:15] op_sel:[0,1]
	v_cmp_ge_i64_e32 vcc, s[18:19], v[2:3]
	v_mov_b32_e32 v2, 0xffff
	v_mov_b32_e32 v3, 0
	v_cmp_gt_u64_e64 s[0:1], s[18:19], v[2:3]
	s_or_b64 s[0:1], vcc, s[0:1]
	s_and_b64 vcc, exec, s[0:1]
	s_cbranch_vccnz .LBB180_297
.LBB180_145:                            ; =>This Loop Header: Depth=1
                                        ;     Child Loop BB180_164 Depth 2
                                        ;     Child Loop BB180_198 Depth 2
	;; [unrolled: 1-line block ×4, first 2 shown]
	v_mov_b32_e32 v1, s19
	v_add_co_u32_e32 v76, vcc, s18, v0
	v_addc_co_u32_e32 v77, vcc, 0, v1, vcc
	v_pk_mov_b32 v[8:9], 0, 0
	v_cmp_gt_u64_e64 s[6:7], s[16:17], v[76:77]
	v_pk_mov_b32 v[16:17], v[8:9], v[8:9] op_sel:[0,1]
	v_pk_mov_b32 v[14:15], v[8:9], v[8:9] op_sel:[0,1]
	s_and_saveexec_b64 s[0:1], s[6:7]
	s_cbranch_execz .LBB180_147
; %bb.146:                              ;   in Loop: Header=BB180_145 Depth=1
	v_lshlrev_b64 v[2:3], 4, v[76:77]
	v_mov_b32_e32 v1, s68
	v_add_co_u32_e32 v2, vcc, s33, v2
	v_addc_co_u32_e32 v3, vcc, v1, v3, vcc
	global_load_dwordx4 v[14:17], v[2:3], off
.LBB180_147:                            ;   in Loop: Header=BB180_145 Depth=1
	s_or_b64 exec, exec, s[0:1]
	v_add_co_u32_e32 v74, vcc, s71, v76
	v_addc_co_u32_e32 v75, vcc, v77, v110, vcc
	v_cmp_gt_u64_e64 s[4:5], s[16:17], v[74:75]
	v_pk_mov_b32 v[6:7], v[8:9], v[8:9] op_sel:[0,1]
	s_and_saveexec_b64 s[0:1], s[4:5]
	s_cbranch_execz .LBB180_149
; %bb.148:                              ;   in Loop: Header=BB180_145 Depth=1
	v_lshlrev_b64 v[2:3], 4, v[74:75]
	v_mov_b32_e32 v1, s68
	v_add_co_u32_e32 v2, vcc, s33, v2
	v_addc_co_u32_e32 v3, vcc, v1, v3, vcc
	global_load_dwordx4 v[6:9], v[2:3], off
.LBB180_149:                            ;   in Loop: Header=BB180_145 Depth=1
	s_or_b64 exec, exec, s[0:1]
	v_add_co_u32_e32 v72, vcc, s72, v76
	v_addc_co_u32_e32 v73, vcc, v77, v111, vcc
	v_pk_mov_b32 v[4:5], 0, 0
	v_cmp_gt_u64_e64 s[2:3], s[16:17], v[72:73]
	v_pk_mov_b32 v[12:13], v[4:5], v[4:5] op_sel:[0,1]
	v_pk_mov_b32 v[10:11], v[4:5], v[4:5] op_sel:[0,1]
	s_and_saveexec_b64 s[0:1], s[2:3]
	s_cbranch_execz .LBB180_151
; %bb.150:                              ;   in Loop: Header=BB180_145 Depth=1
	v_lshlrev_b64 v[2:3], 4, v[72:73]
	v_mov_b32_e32 v1, s68
	v_add_co_u32_e32 v2, vcc, s33, v2
	v_addc_co_u32_e32 v3, vcc, v1, v3, vcc
	global_load_dwordx4 v[10:13], v[2:3], off
.LBB180_151:                            ;   in Loop: Header=BB180_145 Depth=1
	s_or_b64 exec, exec, s[0:1]
	v_mov_b32_e32 v1, s74
	v_add_co_u32_e32 v70, vcc, s73, v76
	v_addc_co_u32_e32 v71, vcc, v77, v1, vcc
	v_cmp_gt_u64_e64 s[0:1], s[16:17], v[70:71]
	v_pk_mov_b32 v[2:3], v[4:5], v[4:5] op_sel:[0,1]
	s_and_saveexec_b64 s[8:9], s[0:1]
	s_cbranch_execz .LBB180_153
; %bb.152:                              ;   in Loop: Header=BB180_145 Depth=1
	v_lshlrev_b64 v[2:3], 4, v[70:71]
	v_mov_b32_e32 v1, s68
	v_add_co_u32_e32 v2, vcc, s33, v2
	v_addc_co_u32_e32 v3, vcc, v1, v3, vcc
	global_load_dwordx4 v[2:5], v[2:3], off
.LBB180_153:                            ;   in Loop: Header=BB180_145 Depth=1
	s_or_b64 exec, exec, s[8:9]
	s_waitcnt vmcnt(0)
	v_cmp_o_f64_e32 vcc, v[14:15], v[16:17]
                                        ; implicit-def: $vgpr78_vgpr79
                                        ; implicit-def: $vgpr80_vgpr81
	s_and_saveexec_b64 s[8:9], vcc
	s_xor_b64 s[54:55], exec, s[8:9]
	s_cbranch_execz .LBB180_181
; %bb.154:                              ;   in Loop: Header=BB180_145 Depth=1
	v_and_b32_e32 v69, 0x7fffffff, v15
	v_and_b32_e32 v1, 0x7fffffff, v17
	v_mov_b32_e32 v84, v16
	v_cmp_lt_f64_e64 s[8:9], |v[14:15]|, |v[16:17]|
	v_cndmask_b32_e64 v83, v1, v69, s[8:9]
	v_cndmask_b32_e64 v82, v84, v14, s[8:9]
	v_cmp_nlt_f64_e32 vcc, s[20:21], v[82:83]
                                        ; implicit-def: $vgpr78_vgpr79
                                        ; implicit-def: $vgpr80_vgpr81
	s_and_saveexec_b64 s[10:11], vcc
	s_xor_b64 s[12:13], exec, s[10:11]
	s_cbranch_execz .LBB180_178
; %bb.155:                              ;   in Loop: Header=BB180_145 Depth=1
	v_cndmask_b32_e64 v87, v69, v1, s[8:9]
	v_cndmask_b32_e64 v86, v14, v84, s[8:9]
	v_cmp_neq_f64_e32 vcc, 1.0, v[86:87]
                                        ; implicit-def: $vgpr78_vgpr79
                                        ; implicit-def: $vgpr80_vgpr81
	s_and_saveexec_b64 s[10:11], vcc
	s_xor_b64 s[56:57], exec, s[10:11]
	s_cbranch_execz .LBB180_171
; %bb.156:                              ;   in Loop: Header=BB180_145 Depth=1
	v_max_f64 v[78:79], v[82:83], v[82:83]
	v_max_f64 v[80:81], v[86:87], v[86:87]
	v_min_f64 v[84:85], v[80:81], v[78:79]
	v_max_f64 v[78:79], v[80:81], v[78:79]
	v_cmp_ngt_f64_e32 vcc, s[22:23], v[84:85]
	v_cmp_nlt_f64_e64 s[10:11], s[24:25], v[78:79]
	s_and_b64 s[10:11], s[10:11], vcc
                                        ; implicit-def: $vgpr78_vgpr79
                                        ; implicit-def: $vgpr80_vgpr81
	s_and_saveexec_b64 s[58:59], s[10:11]
	s_xor_b64 s[58:59], exec, s[58:59]
	s_cbranch_execz .LBB180_168
; %bb.157:                              ;   in Loop: Header=BB180_145 Depth=1
	v_cmp_le_f64_e32 vcc, 1.0, v[86:87]
                                        ; implicit-def: $vgpr78_vgpr79
                                        ; implicit-def: $vgpr80_vgpr81
	s_and_saveexec_b64 s[10:11], vcc
	s_xor_b64 s[10:11], exec, s[10:11]
	s_cbranch_execz .LBB180_159
; %bb.158:                              ;   in Loop: Header=BB180_145 Depth=1
	v_add_f64 v[78:79], v[86:87], -1.0
	v_add_f64 v[80:81], v[86:87], 1.0
	v_mul_f64 v[80:81], v[78:79], v[80:81]
	v_fmac_f64_e32 v[80:81], v[82:83], v[82:83]
	v_add_f64 v[78:79], v[80:81], 1.0
	v_add_f64 v[82:83], v[78:79], -1.0
	v_add_f64 v[84:85], v[82:83], -v[78:79]
	v_add_f64 v[84:85], v[84:85], 1.0
	v_add_f64 v[82:83], v[80:81], -v[82:83]
	v_add_f64 v[82:83], v[82:83], v[84:85]
	v_frexp_mant_f64_e32 v[84:85], v[78:79]
	v_frexp_exp_i32_f64_e32 v1, v[78:79]
	v_cmp_gt_f64_e32 vcc, s[26:27], v[84:85]
	v_subbrev_co_u32_e32 v1, vcc, 0, v1, vcc
	v_sub_u32_e32 v69, 0, v1
	v_ldexp_f64 v[78:79], v[78:79], v69
	v_add_f64 v[84:85], v[78:79], -1.0
	v_add_f64 v[90:91], v[78:79], 1.0
	v_add_f64 v[86:87], v[84:85], 1.0
	v_add_f64 v[92:93], v[90:91], -1.0
	v_ldexp_f64 v[82:83], v[82:83], v69
	v_add_f64 v[86:87], v[78:79], -v[86:87]
	v_add_f64 v[78:79], v[78:79], -v[92:93]
	v_add_f64 v[78:79], v[82:83], v[78:79]
	v_add_f64 v[86:87], v[82:83], v[86:87]
	;; [unrolled: 1-line block ×3, first 2 shown]
	v_rcp_f64_e32 v[92:93], v[82:83]
	v_add_f64 v[88:89], v[84:85], v[86:87]
	v_add_f64 v[84:85], v[88:89], -v[84:85]
	v_add_f64 v[84:85], v[86:87], -v[84:85]
	;; [unrolled: 1-line block ×4, first 2 shown]
	v_fma_f64 v[86:87], -v[82:83], v[92:93], 1.0
	v_fmac_f64_e32 v[92:93], v[86:87], v[92:93]
	v_fma_f64 v[86:87], -v[82:83], v[92:93], 1.0
	v_fmac_f64_e32 v[92:93], v[86:87], v[92:93]
	v_mul_f64 v[86:87], v[88:89], v[92:93]
	v_mul_f64 v[90:91], v[82:83], v[86:87]
	v_fma_f64 v[94:95], v[86:87], v[82:83], -v[90:91]
	v_fmac_f64_e32 v[94:95], v[86:87], v[78:79]
	v_add_f64 v[96:97], v[90:91], v[94:95]
	v_add_f64 v[98:99], v[88:89], -v[96:97]
	v_add_f64 v[88:89], v[88:89], -v[98:99]
	v_add_f64 v[90:91], v[96:97], -v[90:91]
	v_add_f64 v[88:89], v[88:89], -v[96:97]
	v_add_f64 v[84:85], v[84:85], v[88:89]
	v_add_f64 v[88:89], v[90:91], -v[94:95]
	v_add_f64 v[84:85], v[88:89], v[84:85]
	v_add_f64 v[88:89], v[98:99], v[84:85]
	v_add_f64 v[90:91], v[98:99], -v[88:89]
	v_add_f64 v[84:85], v[84:85], v[90:91]
	v_mul_f64 v[90:91], v[92:93], v[88:89]
	v_mul_f64 v[94:95], v[82:83], v[90:91]
	v_fma_f64 v[82:83], v[90:91], v[82:83], -v[94:95]
	v_fmac_f64_e32 v[82:83], v[90:91], v[78:79]
	v_add_f64 v[78:79], v[94:95], v[82:83]
	v_add_f64 v[96:97], v[88:89], -v[78:79]
	v_add_f64 v[88:89], v[88:89], -v[96:97]
	;; [unrolled: 1-line block ×4, first 2 shown]
	v_add_f64 v[78:79], v[84:85], v[78:79]
	v_add_f64 v[82:83], v[94:95], -v[82:83]
	v_add_f64 v[78:79], v[82:83], v[78:79]
	v_add_f64 v[82:83], v[86:87], v[90:91]
	;; [unrolled: 1-line block ×3, first 2 shown]
	v_add_f64 v[84:85], v[82:83], -v[86:87]
	v_mul_f64 v[78:79], v[92:93], v[78:79]
	v_add_f64 v[84:85], v[90:91], -v[84:85]
	v_add_f64 v[78:79], v[84:85], v[78:79]
	v_add_f64 v[84:85], v[82:83], v[78:79]
	v_add_f64 v[82:83], v[84:85], -v[82:83]
	v_add_f64 v[78:79], v[78:79], -v[82:83]
	v_mul_f64 v[82:83], v[84:85], v[84:85]
	v_pk_mov_b32 v[86:87], v[18:19], v[18:19] op_sel:[0,1]
	v_fmac_f64_e32 v[86:87], s[28:29], v[82:83]
	v_pk_mov_b32 v[88:89], v[20:21], v[20:21] op_sel:[0,1]
	v_fmac_f64_e32 v[88:89], v[82:83], v[86:87]
	;; [unrolled: 2-line block ×6, first 2 shown]
	v_cvt_f64_i32_e32 v[86:87], v1
	v_mul_f64 v[90:91], v[86:87], s[30:31]
	v_fma_f64 v[92:93], v[86:87], s[30:31], -v[90:91]
	v_fmac_f64_e32 v[92:93], s[34:35], v[86:87]
	v_add_f64 v[86:87], v[90:91], v[92:93]
	v_add_f64 v[90:91], v[86:87], -v[90:91]
	v_mul_f64 v[82:83], v[84:85], v[82:83]
	v_add_f64 v[90:91], v[92:93], -v[90:91]
	v_ldexp_f64 v[92:93], v[84:85], 1
	v_mul_f64 v[82:83], v[82:83], v[88:89]
	v_add_f64 v[84:85], v[92:93], v[82:83]
	v_add_f64 v[88:89], v[84:85], -v[92:93]
	v_ldexp_f64 v[78:79], v[78:79], 1
	v_add_f64 v[82:83], v[82:83], -v[88:89]
	v_add_f64 v[78:79], v[78:79], v[82:83]
	v_add_f64 v[82:83], v[84:85], v[78:79]
	v_add_f64 v[84:85], v[82:83], -v[84:85]
	v_add_f64 v[78:79], v[78:79], -v[84:85]
	v_add_f64 v[84:85], v[86:87], v[82:83]
	v_add_f64 v[88:89], v[84:85], -v[86:87]
	v_add_f64 v[92:93], v[84:85], -v[88:89]
	;; [unrolled: 1-line block ×4, first 2 shown]
	v_add_f64 v[82:83], v[82:83], v[86:87]
	v_add_f64 v[86:87], v[90:91], v[78:79]
	v_add_f64 v[88:89], v[86:87], -v[90:91]
	v_add_f64 v[82:83], v[86:87], v[82:83]
	v_add_f64 v[92:93], v[86:87], -v[88:89]
	;; [unrolled: 2-line block ×3, first 2 shown]
	v_add_f64 v[78:79], v[78:79], -v[88:89]
	v_add_f64 v[84:85], v[86:87], -v[84:85]
	v_add_f64 v[78:79], v[78:79], v[90:91]
	v_add_f64 v[82:83], v[82:83], -v[84:85]
	v_add_f64 v[78:79], v[78:79], v[82:83]
	v_max_f64 v[82:83], |v[16:17]|, |v[16:17]|
	v_max_f64 v[84:85], |v[14:15]|, |v[14:15]|
	v_add_f64 v[78:79], v[86:87], v[78:79]
	v_max_f64 v[86:87], v[84:85], v[82:83]
	v_min_f64 v[82:83], v[84:85], v[82:83]
	v_div_scale_f64 v[84:85], s[60:61], v[86:87], v[86:87], v[82:83]
	v_cmp_eq_f64_e32 vcc, s[36:37], v[80:81]
	v_rcp_f64_e32 v[88:89], v[84:85]
	v_cndmask_b32_e32 v79, v79, v81, vcc
	v_cndmask_b32_e32 v78, v78, v80, vcc
	v_mul_f64 v[78:79], v[78:79], 0.5
	v_cmp_ngt_f64_e32 vcc, -1.0, v[80:81]
	v_cndmask_b32_e32 v1, v112, v79, vcc
	v_cmp_nge_f64_e32 vcc, -1.0, v[80:81]
	v_cndmask_b32_e32 v78, 0, v78, vcc
	v_cmp_neq_f64_e32 vcc, -1.0, v[80:81]
	v_fma_f64 v[80:81], -v[84:85], v[88:89], 1.0
	v_fmac_f64_e32 v[88:89], v[88:89], v[80:81]
	v_fma_f64 v[80:81], -v[84:85], v[88:89], 1.0
	v_cndmask_b32_e32 v79, v113, v1, vcc
	v_fmac_f64_e32 v[88:89], v[88:89], v[80:81]
	v_div_scale_f64 v[80:81], vcc, v[82:83], v[86:87], v[82:83]
	v_mul_f64 v[90:91], v[80:81], v[88:89]
	v_fma_f64 v[80:81], -v[84:85], v[90:91], v[80:81]
	v_pk_mov_b32 v[84:85], v[30:31], v[30:31] op_sel:[0,1]
	s_nop 0
	v_div_fmas_f64 v[80:81], v[80:81], v[88:89], v[90:91]
	v_div_fixup_f64 v[80:81], v[80:81], v[86:87], v[82:83]
	v_mul_f64 v[82:83], v[80:81], v[80:81]
	v_fmac_f64_e32 v[84:85], s[38:39], v[82:83]
	v_pk_mov_b32 v[86:87], v[32:33], v[32:33] op_sel:[0,1]
	v_fmac_f64_e32 v[86:87], v[82:83], v[84:85]
	v_pk_mov_b32 v[84:85], v[34:35], v[34:35] op_sel:[0,1]
	;; [unrolled: 2-line block ×18, first 2 shown]
	v_fmac_f64_e32 v[84:85], v[82:83], v[86:87]
	v_cmp_gt_i32_e32 vcc, 0, v15
	v_mul_f64 v[82:83], v[82:83], v[84:85]
	v_cmp_class_f64_e64 s[62:63], v[14:15], s77
	v_cndmask_b32_e32 v14, v116, v117, vcc
	v_fmac_f64_e32 v[80:81], v[80:81], v[82:83]
	v_bfi_b32 v69, s76, v14, v17
	v_ashrrev_i32_e32 v14, 31, v15
	v_and_b32_e32 v82, 0x400921fb, v14
	v_and_b32_e32 v83, 0x54442d18, v14
	v_add_f64 v[14:15], -v[80:81], s[40:41]
	v_cndmask_b32_e64 v15, v81, v15, s[8:9]
	v_cndmask_b32_e64 v14, v80, v14, s[8:9]
	s_mov_b32 s42, s40
	v_add_f64 v[80:81], -v[14:15], s[42:43]
	v_cmp_class_f64_e64 s[60:61], v[16:17], s77
	v_cndmask_b32_e32 v1, v114, v115, vcc
	v_cndmask_b32_e32 v15, v15, v81, vcc
	;; [unrolled: 1-line block ×3, first 2 shown]
	v_cmp_eq_f64_e32 vcc, 0, v[16:17]
	v_cndmask_b32_e32 v14, v14, v83, vcc
	v_cndmask_b32_e32 v15, v15, v82, vcc
	s_and_b64 vcc, s[60:61], s[62:63]
	v_cndmask_b32_e32 v81, v15, v69, vcc
	v_cndmask_b32_e32 v80, v14, v1, vcc
                                        ; implicit-def: $vgpr82_vgpr83
                                        ; implicit-def: $vgpr86_vgpr87
.LBB180_159:                            ;   in Loop: Header=BB180_145 Depth=1
	s_andn2_saveexec_b64 s[60:61], s[10:11]
	s_cbranch_execz .LBB180_167
; %bb.160:                              ;   in Loop: Header=BB180_145 Depth=1
	v_mul_f64 v[84:85], v[82:83], v[82:83]
	v_fmac_f64_e32 v[84:85], v[86:87], v[86:87]
	v_cmp_ge_f64_e32 vcc, s[44:45], v[84:85]
                                        ; implicit-def: $vgpr78_vgpr79
                                        ; implicit-def: $vgpr80_vgpr81
	s_and_saveexec_b64 s[10:11], vcc
	s_xor_b64 s[10:11], exec, s[10:11]
	s_cbranch_execz .LBB180_162
; %bb.161:                              ;   in Loop: Header=BB180_145 Depth=1
	v_frexp_mant_f64_e32 v[78:79], v[84:85]
	v_cmp_gt_f64_e32 vcc, s[26:27], v[78:79]
	v_cndmask_b32_e64 v69, v118, 2.0, vcc
	v_mul_f64 v[78:79], v[78:79], v[68:69]
	v_add_f64 v[80:81], v[78:79], 1.0
	v_rcp_f64_e32 v[82:83], v[80:81]
	v_add_f64 v[88:89], v[80:81], -1.0
	v_add_f64 v[86:87], v[78:79], -1.0
	v_add_f64 v[78:79], v[78:79], -v[88:89]
	v_fma_f64 v[88:89], -v[80:81], v[82:83], 1.0
	v_fmac_f64_e32 v[82:83], v[88:89], v[82:83]
	v_fma_f64 v[88:89], -v[80:81], v[82:83], 1.0
	v_fmac_f64_e32 v[82:83], v[88:89], v[82:83]
	v_mul_f64 v[88:89], v[86:87], v[82:83]
	v_mul_f64 v[90:91], v[80:81], v[88:89]
	v_fma_f64 v[80:81], v[88:89], v[80:81], -v[90:91]
	v_fmac_f64_e32 v[80:81], v[88:89], v[78:79]
	v_add_f64 v[78:79], v[90:91], v[80:81]
	v_add_f64 v[92:93], v[86:87], -v[78:79]
	v_add_f64 v[90:91], v[78:79], -v[90:91]
	;; [unrolled: 1-line block ×5, first 2 shown]
	v_add_f64 v[78:79], v[80:81], v[78:79]
	v_add_f64 v[78:79], v[92:93], v[78:79]
	v_mul_f64 v[78:79], v[82:83], v[78:79]
	v_add_f64 v[80:81], v[88:89], v[78:79]
	v_add_f64 v[82:83], v[80:81], -v[88:89]
	v_add_f64 v[78:79], v[78:79], -v[82:83]
	v_mul_f64 v[82:83], v[80:81], v[80:81]
	v_pk_mov_b32 v[86:87], v[18:19], v[18:19] op_sel:[0,1]
	v_fmac_f64_e32 v[86:87], s[28:29], v[82:83]
	v_pk_mov_b32 v[88:89], v[20:21], v[20:21] op_sel:[0,1]
	v_fmac_f64_e32 v[88:89], v[82:83], v[86:87]
	;; [unrolled: 2-line block ×6, first 2 shown]
	v_ldexp_f64 v[86:87], v[80:81], 1
	v_mul_f64 v[80:81], v[80:81], v[82:83]
	v_mul_f64 v[80:81], v[80:81], v[88:89]
	v_add_f64 v[82:83], v[86:87], v[80:81]
	v_add_f64 v[86:87], v[82:83], -v[86:87]
	v_ldexp_f64 v[78:79], v[78:79], 1
	v_add_f64 v[80:81], v[80:81], -v[86:87]
	v_add_f64 v[78:79], v[78:79], v[80:81]
	v_frexp_exp_i32_f64_e32 v1, v[84:85]
	v_add_f64 v[80:81], v[82:83], v[78:79]
	v_subbrev_co_u32_e32 v1, vcc, 0, v1, vcc
	v_add_f64 v[82:83], v[80:81], -v[82:83]
	v_add_f64 v[78:79], v[78:79], -v[82:83]
	v_cvt_f64_i32_e32 v[82:83], v1
	v_mul_f64 v[86:87], v[82:83], s[30:31]
	v_fma_f64 v[88:89], v[82:83], s[30:31], -v[86:87]
	v_fmac_f64_e32 v[88:89], s[34:35], v[82:83]
	v_add_f64 v[82:83], v[86:87], v[88:89]
	v_add_f64 v[86:87], v[82:83], -v[86:87]
	v_add_f64 v[86:87], v[88:89], -v[86:87]
	v_add_f64 v[88:89], v[82:83], v[80:81]
	v_add_f64 v[90:91], v[88:89], -v[82:83]
	v_add_f64 v[92:93], v[88:89], -v[90:91]
	;; [unrolled: 1-line block ×4, first 2 shown]
	v_add_f64 v[80:81], v[80:81], v[82:83]
	v_add_f64 v[82:83], v[86:87], v[78:79]
	v_add_f64 v[90:91], v[82:83], -v[86:87]
	v_add_f64 v[92:93], v[82:83], -v[90:91]
	v_add_f64 v[80:81], v[82:83], v[80:81]
	v_add_f64 v[86:87], v[86:87], -v[92:93]
	v_add_f64 v[78:79], v[78:79], -v[90:91]
	v_add_f64 v[82:83], v[88:89], v[80:81]
	v_add_f64 v[78:79], v[78:79], v[86:87]
	v_add_f64 v[86:87], v[82:83], -v[88:89]
	v_add_f64 v[80:81], v[80:81], -v[86:87]
	v_add_f64 v[78:79], v[78:79], v[80:81]
	v_add_f64 v[78:79], v[82:83], v[78:79]
	v_max_f64 v[80:81], |v[16:17]|, |v[16:17]|
	v_max_f64 v[82:83], |v[14:15]|, |v[14:15]|
	v_max_f64 v[86:87], v[82:83], v[80:81]
	v_min_f64 v[80:81], v[82:83], v[80:81]
	v_div_scale_f64 v[82:83], s[62:63], v[86:87], v[86:87], v[80:81]
	v_rcp_f64_e32 v[88:89], v[82:83]
	v_cmp_neq_f64_e32 vcc, 0, v[84:85]
	v_mul_f64 v[78:79], v[78:79], 0.5
	v_cndmask_b32_e32 v79, v113, v79, vcc
	v_fma_f64 v[84:85], -v[82:83], v[88:89], 1.0
	v_fmac_f64_e32 v[88:89], v[88:89], v[84:85]
	v_fma_f64 v[84:85], -v[82:83], v[88:89], 1.0
	v_cndmask_b32_e32 v78, 0, v78, vcc
	v_fmac_f64_e32 v[88:89], v[88:89], v[84:85]
	v_div_scale_f64 v[84:85], vcc, v[80:81], v[86:87], v[80:81]
	v_mul_f64 v[90:91], v[84:85], v[88:89]
	v_fma_f64 v[82:83], -v[82:83], v[90:91], v[84:85]
	v_pk_mov_b32 v[84:85], v[30:31], v[30:31] op_sel:[0,1]
	s_nop 0
	v_div_fmas_f64 v[82:83], v[82:83], v[88:89], v[90:91]
	v_div_fixup_f64 v[80:81], v[82:83], v[86:87], v[80:81]
	v_mul_f64 v[82:83], v[80:81], v[80:81]
	v_fmac_f64_e32 v[84:85], s[38:39], v[82:83]
	v_pk_mov_b32 v[86:87], v[32:33], v[32:33] op_sel:[0,1]
	v_fmac_f64_e32 v[86:87], v[82:83], v[84:85]
	v_pk_mov_b32 v[84:85], v[34:35], v[34:35] op_sel:[0,1]
	;; [unrolled: 2-line block ×18, first 2 shown]
	v_fmac_f64_e32 v[84:85], v[82:83], v[86:87]
	v_cmp_gt_i32_e32 vcc, 0, v15
	v_mul_f64 v[82:83], v[82:83], v[84:85]
	v_cmp_class_f64_e64 s[64:65], v[14:15], s77
	v_cndmask_b32_e32 v14, v116, v117, vcc
	v_fmac_f64_e32 v[80:81], v[80:81], v[82:83]
	v_bfi_b32 v69, s76, v14, v17
	v_ashrrev_i32_e32 v14, 31, v15
	v_and_b32_e32 v82, 0x400921fb, v14
	v_and_b32_e32 v83, 0x54442d18, v14
	v_add_f64 v[14:15], -v[80:81], s[40:41]
	v_cndmask_b32_e64 v15, v81, v15, s[8:9]
	v_cndmask_b32_e64 v14, v80, v14, s[8:9]
	s_mov_b32 s42, s40
	v_add_f64 v[80:81], -v[14:15], s[42:43]
	v_cmp_class_f64_e64 s[62:63], v[16:17], s77
	v_cndmask_b32_e32 v1, v114, v115, vcc
	v_cndmask_b32_e32 v15, v15, v81, vcc
	;; [unrolled: 1-line block ×3, first 2 shown]
	v_cmp_eq_f64_e32 vcc, 0, v[16:17]
	v_cndmask_b32_e32 v14, v14, v83, vcc
	v_cndmask_b32_e32 v15, v15, v82, vcc
	s_and_b64 vcc, s[62:63], s[64:65]
	v_cndmask_b32_e32 v81, v15, v69, vcc
	v_cndmask_b32_e32 v80, v14, v1, vcc
                                        ; implicit-def: $vgpr86_vgpr87
                                        ; implicit-def: $vgpr82_vgpr83
.LBB180_162:                            ;   in Loop: Header=BB180_145 Depth=1
	s_andn2_saveexec_b64 s[62:63], s[10:11]
	s_cbranch_execz .LBB180_166
; %bb.163:                              ;   in Loop: Header=BB180_145 Depth=1
	v_and_b32_e32 v69, 0x7ffffff8, v87
	v_add_f64 v[78:79], v[86:87], -v[68:69]
	v_and_b32_e32 v95, -8, v79
	v_mov_b32_e32 v94, v68
	v_and_b32_e32 v85, 0x7ffffff8, v83
	v_mov_b32_e32 v84, v68
	v_add_f64 v[98:99], v[78:79], -v[94:95]
	v_add_f64 v[78:79], v[82:83], -v[84:85]
	v_and_b32_e32 v97, -8, v79
	v_mov_b32_e32 v96, v68
	v_add_f64 v[88:89], v[68:69], v[68:69]
	v_add_f64 v[102:103], v[84:85], v[84:85]
	v_add_f64 v[100:101], v[78:79], -v[96:97]
	v_mul_f64 v[80:81], v[84:85], v[84:85]
	v_mul_f64 v[86:87], v[88:89], v[94:95]
	;; [unrolled: 1-line block ×5, first 2 shown]
	v_add_f64 v[94:95], v[94:95], v[94:95]
	v_add_f64 v[96:97], v[96:97], v[96:97]
	v_mul_f64 v[78:79], v[68:69], v[68:69]
	v_mul_f64 v[90:91], v[88:89], v[98:99]
	;; [unrolled: 1-line block ×7, first 2 shown]
	s_mov_b64 s[64:65], 0
.LBB180_164:                            ;   Parent Loop BB180_145 Depth=1
                                        ; =>  This Inner Loop Header: Depth=2
	v_cmp_nlt_f64_e32 vcc, v[78:79], v[80:81]
	v_cndmask_b32_e32 v103, v79, v81, vcc
	v_cndmask_b32_e32 v102, v78, v80, vcc
	v_cmp_nlt_f64_e64 s[10:11], v[102:103], v[86:87]
	v_cndmask_b32_e64 v105, v103, v87, s[10:11]
	v_cndmask_b32_e64 v104, v102, v86, s[10:11]
	v_cndmask_b32_e32 v79, v81, v79, vcc
	v_cndmask_b32_e32 v78, v80, v78, vcc
	s_and_b64 s[66:67], vcc, s[10:11]
	v_cmp_nlt_f64_e32 vcc, v[104:105], v[84:85]
	v_cndmask_b32_e64 v81, v87, v103, s[10:11]
	v_cndmask_b32_e64 v80, v86, v102, s[10:11]
	v_cndmask_b32_e32 v103, v105, v85, vcc
	v_cndmask_b32_e32 v102, v104, v84, vcc
	v_cmp_nlt_f64_e64 s[10:11], v[102:103], v[92:93]
	v_cndmask_b32_e32 v87, v85, v105, vcc
	v_cndmask_b32_e32 v86, v84, v104, vcc
	v_cndmask_b32_e64 v105, v103, v93, s[10:11]
	v_cndmask_b32_e64 v104, v102, v92, s[10:11]
	s_and_b64 s[78:79], vcc, s[10:11]
	v_cmp_nlt_f64_e32 vcc, v[104:105], v[82:83]
	v_cndmask_b32_e64 v85, v93, v103, s[10:11]
	v_cndmask_b32_e64 v84, v92, v102, s[10:11]
	v_cndmask_b32_e32 v103, v105, v83, vcc
	v_cndmask_b32_e32 v102, v104, v82, vcc
	v_cmp_nlt_f64_e64 s[10:11], v[102:103], v[90:91]
	v_cndmask_b32_e32 v93, v83, v105, vcc
	v_cndmask_b32_e32 v92, v82, v104, vcc
	v_cndmask_b32_e64 v105, v103, v91, s[10:11]
	v_cndmask_b32_e64 v104, v102, v90, s[10:11]
	;; [unrolled: 1-line block ×4, first 2 shown]
	s_and_b64 s[10:11], vcc, s[10:11]
	v_cmp_nlt_f64_e32 vcc, v[104:105], v[88:89]
	v_cndmask_b32_e32 v103, v105, v89, vcc
	v_cndmask_b32_e32 v102, v104, v88, vcc
	v_cndmask_b32_e32 v91, v89, v105, vcc
	v_cndmask_b32_e32 v90, v88, v104, vcc
	s_and_b64 s[10:11], s[10:11], vcc
	v_cmp_nlt_f64_e32 vcc, v[102:103], v[94:95]
	v_cndmask_b32_e32 v105, v103, v95, vcc
	v_cndmask_b32_e32 v104, v102, v94, vcc
	v_cndmask_b32_e32 v89, v95, v103, vcc
	v_cndmask_b32_e32 v88, v94, v102, vcc
	s_and_b64 s[10:11], s[10:11], vcc
	;; [unrolled: 6-line block ×4, first 2 shown]
	v_cmp_nlt_f64_e32 vcc, v[104:105], v[100:101]
	s_and_b64 s[10:11], s[10:11], vcc
	s_and_b64 s[10:11], s[10:11], s[78:79]
	s_and_b64 s[10:11], s[10:11], s[66:67]
	v_cndmask_b32_e32 v103, v105, v101, vcc
	v_cndmask_b32_e32 v102, v104, v100, vcc
	s_and_b64 s[10:11], exec, s[10:11]
	v_cndmask_b32_e32 v99, v101, v105, vcc
	v_cndmask_b32_e32 v98, v100, v104, vcc
	s_or_b64 s[64:65], s[10:11], s[64:65]
	v_pk_mov_b32 v[100:101], v[102:103], v[102:103] op_sel:[0,1]
	s_andn2_b64 exec, exec, s[64:65]
	s_cbranch_execnz .LBB180_164
; %bb.165:                              ;   in Loop: Header=BB180_145 Depth=1
	s_or_b64 exec, exec, s[64:65]
	v_add_f64 v[78:79], v[78:79], -1.0
	v_add_f64 v[78:79], v[78:79], v[80:81]
	v_add_f64 v[78:79], v[78:79], v[86:87]
	;; [unrolled: 1-line block ×11, first 2 shown]
	v_add_f64 v[78:79], v[80:81], 1.0
	v_add_f64 v[82:83], v[78:79], -1.0
	v_add_f64 v[84:85], v[82:83], -v[78:79]
	v_add_f64 v[84:85], v[84:85], 1.0
	v_add_f64 v[82:83], v[80:81], -v[82:83]
	v_add_f64 v[82:83], v[82:83], v[84:85]
	v_frexp_mant_f64_e32 v[84:85], v[78:79]
	v_frexp_exp_i32_f64_e32 v1, v[78:79]
	v_cmp_gt_f64_e32 vcc, s[26:27], v[84:85]
	v_subbrev_co_u32_e32 v1, vcc, 0, v1, vcc
	v_sub_u32_e32 v69, 0, v1
	v_ldexp_f64 v[78:79], v[78:79], v69
	v_add_f64 v[84:85], v[78:79], -1.0
	v_add_f64 v[90:91], v[78:79], 1.0
	v_add_f64 v[86:87], v[84:85], 1.0
	v_add_f64 v[92:93], v[90:91], -1.0
	v_ldexp_f64 v[82:83], v[82:83], v69
	v_add_f64 v[86:87], v[78:79], -v[86:87]
	v_add_f64 v[78:79], v[78:79], -v[92:93]
	v_add_f64 v[78:79], v[82:83], v[78:79]
	v_add_f64 v[86:87], v[82:83], v[86:87]
	;; [unrolled: 1-line block ×3, first 2 shown]
	v_rcp_f64_e32 v[92:93], v[82:83]
	v_add_f64 v[88:89], v[84:85], v[86:87]
	v_add_f64 v[84:85], v[88:89], -v[84:85]
	v_add_f64 v[84:85], v[86:87], -v[84:85]
	;; [unrolled: 1-line block ×4, first 2 shown]
	v_fma_f64 v[86:87], -v[82:83], v[92:93], 1.0
	v_fmac_f64_e32 v[92:93], v[86:87], v[92:93]
	v_fma_f64 v[86:87], -v[82:83], v[92:93], 1.0
	v_fmac_f64_e32 v[92:93], v[86:87], v[92:93]
	v_mul_f64 v[86:87], v[88:89], v[92:93]
	v_mul_f64 v[90:91], v[82:83], v[86:87]
	v_fma_f64 v[94:95], v[86:87], v[82:83], -v[90:91]
	v_fmac_f64_e32 v[94:95], v[86:87], v[78:79]
	v_add_f64 v[96:97], v[90:91], v[94:95]
	v_add_f64 v[98:99], v[88:89], -v[96:97]
	v_add_f64 v[88:89], v[88:89], -v[98:99]
	;; [unrolled: 1-line block ×4, first 2 shown]
	v_add_f64 v[84:85], v[84:85], v[88:89]
	v_add_f64 v[88:89], v[90:91], -v[94:95]
	v_add_f64 v[84:85], v[88:89], v[84:85]
	v_add_f64 v[88:89], v[98:99], v[84:85]
	v_add_f64 v[90:91], v[98:99], -v[88:89]
	v_add_f64 v[84:85], v[84:85], v[90:91]
	v_mul_f64 v[90:91], v[92:93], v[88:89]
	v_mul_f64 v[94:95], v[82:83], v[90:91]
	v_fma_f64 v[82:83], v[90:91], v[82:83], -v[94:95]
	v_fmac_f64_e32 v[82:83], v[90:91], v[78:79]
	v_add_f64 v[78:79], v[94:95], v[82:83]
	v_add_f64 v[96:97], v[88:89], -v[78:79]
	v_add_f64 v[88:89], v[88:89], -v[96:97]
	;; [unrolled: 1-line block ×4, first 2 shown]
	v_add_f64 v[78:79], v[84:85], v[78:79]
	v_add_f64 v[82:83], v[94:95], -v[82:83]
	v_add_f64 v[78:79], v[82:83], v[78:79]
	v_add_f64 v[82:83], v[86:87], v[90:91]
	;; [unrolled: 1-line block ×3, first 2 shown]
	v_add_f64 v[84:85], v[82:83], -v[86:87]
	v_mul_f64 v[78:79], v[92:93], v[78:79]
	v_add_f64 v[84:85], v[90:91], -v[84:85]
	v_add_f64 v[78:79], v[84:85], v[78:79]
	v_add_f64 v[84:85], v[82:83], v[78:79]
	v_add_f64 v[82:83], v[84:85], -v[82:83]
	v_add_f64 v[78:79], v[78:79], -v[82:83]
	v_mul_f64 v[82:83], v[84:85], v[84:85]
	v_pk_mov_b32 v[86:87], v[18:19], v[18:19] op_sel:[0,1]
	v_fmac_f64_e32 v[86:87], s[28:29], v[82:83]
	v_pk_mov_b32 v[88:89], v[20:21], v[20:21] op_sel:[0,1]
	v_fmac_f64_e32 v[88:89], v[82:83], v[86:87]
	;; [unrolled: 2-line block ×6, first 2 shown]
	v_cvt_f64_i32_e32 v[86:87], v1
	v_mul_f64 v[90:91], v[86:87], s[30:31]
	v_fma_f64 v[92:93], v[86:87], s[30:31], -v[90:91]
	v_fmac_f64_e32 v[92:93], s[34:35], v[86:87]
	v_add_f64 v[86:87], v[90:91], v[92:93]
	v_add_f64 v[90:91], v[86:87], -v[90:91]
	v_mul_f64 v[82:83], v[84:85], v[82:83]
	v_add_f64 v[90:91], v[92:93], -v[90:91]
	v_ldexp_f64 v[92:93], v[84:85], 1
	v_mul_f64 v[82:83], v[82:83], v[88:89]
	v_add_f64 v[84:85], v[92:93], v[82:83]
	v_add_f64 v[88:89], v[84:85], -v[92:93]
	v_ldexp_f64 v[78:79], v[78:79], 1
	v_add_f64 v[82:83], v[82:83], -v[88:89]
	v_add_f64 v[78:79], v[78:79], v[82:83]
	v_add_f64 v[82:83], v[84:85], v[78:79]
	v_add_f64 v[84:85], v[82:83], -v[84:85]
	v_add_f64 v[78:79], v[78:79], -v[84:85]
	v_add_f64 v[84:85], v[86:87], v[82:83]
	v_add_f64 v[88:89], v[84:85], -v[86:87]
	v_add_f64 v[92:93], v[84:85], -v[88:89]
	;; [unrolled: 1-line block ×4, first 2 shown]
	v_add_f64 v[82:83], v[82:83], v[86:87]
	v_add_f64 v[86:87], v[90:91], v[78:79]
	v_add_f64 v[88:89], v[86:87], -v[90:91]
	v_add_f64 v[82:83], v[86:87], v[82:83]
	v_add_f64 v[92:93], v[86:87], -v[88:89]
	;; [unrolled: 2-line block ×3, first 2 shown]
	v_add_f64 v[78:79], v[78:79], -v[88:89]
	v_add_f64 v[84:85], v[86:87], -v[84:85]
	v_add_f64 v[78:79], v[78:79], v[90:91]
	v_add_f64 v[82:83], v[82:83], -v[84:85]
	v_add_f64 v[78:79], v[78:79], v[82:83]
	v_max_f64 v[82:83], |v[16:17]|, |v[16:17]|
	v_max_f64 v[84:85], |v[14:15]|, |v[14:15]|
	v_add_f64 v[78:79], v[86:87], v[78:79]
	v_max_f64 v[86:87], v[84:85], v[82:83]
	v_min_f64 v[82:83], v[84:85], v[82:83]
	v_div_scale_f64 v[84:85], s[10:11], v[86:87], v[86:87], v[82:83]
	v_cmp_eq_f64_e32 vcc, s[36:37], v[80:81]
	v_rcp_f64_e32 v[88:89], v[84:85]
	v_cndmask_b32_e32 v79, v79, v81, vcc
	v_cndmask_b32_e32 v78, v78, v80, vcc
	v_mul_f64 v[78:79], v[78:79], 0.5
	v_cmp_ngt_f64_e32 vcc, -1.0, v[80:81]
	v_cndmask_b32_e32 v1, v112, v79, vcc
	v_cmp_nge_f64_e32 vcc, -1.0, v[80:81]
	v_cndmask_b32_e32 v78, 0, v78, vcc
	v_cmp_neq_f64_e32 vcc, -1.0, v[80:81]
	v_fma_f64 v[80:81], -v[84:85], v[88:89], 1.0
	v_fmac_f64_e32 v[88:89], v[88:89], v[80:81]
	v_fma_f64 v[80:81], -v[84:85], v[88:89], 1.0
	v_cndmask_b32_e32 v79, v113, v1, vcc
	v_fmac_f64_e32 v[88:89], v[88:89], v[80:81]
	v_div_scale_f64 v[80:81], vcc, v[82:83], v[86:87], v[82:83]
	v_mul_f64 v[90:91], v[80:81], v[88:89]
	v_fma_f64 v[80:81], -v[84:85], v[90:91], v[80:81]
	v_pk_mov_b32 v[84:85], v[30:31], v[30:31] op_sel:[0,1]
	s_nop 0
	v_div_fmas_f64 v[80:81], v[80:81], v[88:89], v[90:91]
	v_div_fixup_f64 v[80:81], v[80:81], v[86:87], v[82:83]
	v_mul_f64 v[82:83], v[80:81], v[80:81]
	v_fmac_f64_e32 v[84:85], s[38:39], v[82:83]
	v_pk_mov_b32 v[86:87], v[32:33], v[32:33] op_sel:[0,1]
	v_fmac_f64_e32 v[86:87], v[82:83], v[84:85]
	v_pk_mov_b32 v[84:85], v[34:35], v[34:35] op_sel:[0,1]
	;; [unrolled: 2-line block ×18, first 2 shown]
	v_fmac_f64_e32 v[84:85], v[82:83], v[86:87]
	v_cmp_gt_i32_e32 vcc, 0, v15
	v_mul_f64 v[82:83], v[82:83], v[84:85]
	v_cmp_class_f64_e64 s[64:65], v[14:15], s77
	v_cndmask_b32_e32 v14, v116, v117, vcc
	v_fmac_f64_e32 v[80:81], v[80:81], v[82:83]
	v_bfi_b32 v69, s76, v14, v17
	v_ashrrev_i32_e32 v14, 31, v15
	v_and_b32_e32 v82, 0x400921fb, v14
	v_and_b32_e32 v83, 0x54442d18, v14
	v_add_f64 v[14:15], -v[80:81], s[40:41]
	v_cndmask_b32_e64 v15, v81, v15, s[8:9]
	v_cndmask_b32_e64 v14, v80, v14, s[8:9]
	s_mov_b32 s42, s40
	v_add_f64 v[80:81], -v[14:15], s[42:43]
	v_cmp_class_f64_e64 s[10:11], v[16:17], s77
	v_cndmask_b32_e32 v1, v114, v115, vcc
	v_cndmask_b32_e32 v15, v15, v81, vcc
	;; [unrolled: 1-line block ×3, first 2 shown]
	v_cmp_eq_f64_e32 vcc, 0, v[16:17]
	v_cndmask_b32_e32 v14, v14, v83, vcc
	v_cndmask_b32_e32 v15, v15, v82, vcc
	s_and_b64 vcc, s[10:11], s[64:65]
	v_cndmask_b32_e32 v81, v15, v69, vcc
	v_cndmask_b32_e32 v80, v14, v1, vcc
.LBB180_166:                            ;   in Loop: Header=BB180_145 Depth=1
	s_or_b64 exec, exec, s[62:63]
.LBB180_167:                            ;   in Loop: Header=BB180_145 Depth=1
	s_or_b64 exec, exec, s[60:61]
.LBB180_168:                            ;   in Loop: Header=BB180_145 Depth=1
	s_andn2_saveexec_b64 s[58:59], s[58:59]
	s_cbranch_execz .LBB180_170
; %bb.169:                              ;   in Loop: Header=BB180_145 Depth=1
	v_max_f64 v[78:79], |v[16:17]|, |v[16:17]|
	v_max_f64 v[80:81], |v[14:15]|, |v[14:15]|
	v_max_f64 v[82:83], v[80:81], v[78:79]
	v_frexp_exp_i32_f64_e32 v1, v[82:83]
	v_sub_u32_e32 v69, 0, v1
	v_ldexp_f64 v[86:87], |v[16:17]|, v69
	v_ldexp_f64 v[84:85], |v[14:15]|, v69
	v_mul_f64 v[86:87], v[86:87], v[86:87]
	v_fmac_f64_e32 v[86:87], v[84:85], v[84:85]
	v_rsq_f64_e32 v[84:85], v[86:87]
	v_cmp_eq_f64_e32 vcc, 0, v[86:87]
	v_cmp_class_f64_e64 s[60:61], v[14:15], s77
	v_cmp_class_f64_e64 s[62:63], v[16:17], s77
	v_mul_f64 v[88:89], v[86:87], v[84:85]
	v_mul_f64 v[84:85], v[84:85], 0.5
	v_fma_f64 v[90:91], -v[84:85], v[88:89], 0.5
	v_fmac_f64_e32 v[88:89], v[88:89], v[90:91]
	v_fmac_f64_e32 v[84:85], v[84:85], v[90:91]
	v_fma_f64 v[90:91], -v[88:89], v[88:89], v[86:87]
	v_fmac_f64_e32 v[88:89], v[90:91], v[84:85]
	v_cndmask_b32_e32 v85, v89, v87, vcc
	v_cndmask_b32_e32 v84, v88, v86, vcc
	v_ldexp_f64 v[84:85], v[84:85], v1
	s_or_b64 vcc, s[62:63], s[60:61]
	v_cndmask_b32_e32 v87, v85, v119, vcc
	v_cndmask_b32_e64 v86, v84, 0, vcc
	v_frexp_mant_f64_e32 v[88:89], v[86:87]
	v_cmp_gt_f64_e64 s[10:11], s[26:27], v[88:89]
	v_cndmask_b32_e64 v69, v118, 2.0, s[10:11]
	v_mul_f64 v[88:89], v[88:89], v[68:69]
	v_add_f64 v[90:91], v[88:89], 1.0
	v_rcp_f64_e32 v[92:93], v[90:91]
	v_add_f64 v[96:97], v[90:91], -1.0
	v_add_f64 v[94:95], v[88:89], -1.0
	v_add_f64 v[88:89], v[88:89], -v[96:97]
	v_fma_f64 v[96:97], -v[90:91], v[92:93], 1.0
	v_fmac_f64_e32 v[92:93], v[96:97], v[92:93]
	v_fma_f64 v[96:97], -v[90:91], v[92:93], 1.0
	v_fmac_f64_e32 v[92:93], v[96:97], v[92:93]
	v_mul_f64 v[96:97], v[94:95], v[92:93]
	v_mul_f64 v[98:99], v[90:91], v[96:97]
	v_fma_f64 v[90:91], v[96:97], v[90:91], -v[98:99]
	v_fmac_f64_e32 v[90:91], v[96:97], v[88:89]
	v_add_f64 v[88:89], v[98:99], v[90:91]
	v_add_f64 v[100:101], v[94:95], -v[88:89]
	v_add_f64 v[98:99], v[88:89], -v[98:99]
	;; [unrolled: 1-line block ×5, first 2 shown]
	v_add_f64 v[88:89], v[90:91], v[88:89]
	v_add_f64 v[88:89], v[100:101], v[88:89]
	v_mul_f64 v[88:89], v[92:93], v[88:89]
	v_add_f64 v[90:91], v[96:97], v[88:89]
	v_add_f64 v[92:93], v[90:91], -v[96:97]
	v_add_f64 v[88:89], v[88:89], -v[92:93]
	v_mul_f64 v[92:93], v[90:91], v[90:91]
	v_pk_mov_b32 v[94:95], v[18:19], v[18:19] op_sel:[0,1]
	v_fmac_f64_e32 v[94:95], s[28:29], v[92:93]
	v_pk_mov_b32 v[96:97], v[20:21], v[20:21] op_sel:[0,1]
	v_fmac_f64_e32 v[96:97], v[92:93], v[94:95]
	;; [unrolled: 2-line block ×6, first 2 shown]
	v_ldexp_f64 v[94:95], v[90:91], 1
	v_mul_f64 v[90:91], v[90:91], v[92:93]
	v_mul_f64 v[90:91], v[90:91], v[96:97]
	v_add_f64 v[92:93], v[94:95], v[90:91]
	v_add_f64 v[94:95], v[92:93], -v[94:95]
	v_ldexp_f64 v[88:89], v[88:89], 1
	v_add_f64 v[90:91], v[90:91], -v[94:95]
	v_add_f64 v[88:89], v[88:89], v[90:91]
	v_frexp_exp_i32_f64_e32 v1, v[86:87]
	v_add_f64 v[90:91], v[92:93], v[88:89]
	v_subbrev_co_u32_e64 v1, s[10:11], 0, v1, s[10:11]
	v_add_f64 v[92:93], v[90:91], -v[92:93]
	v_add_f64 v[88:89], v[88:89], -v[92:93]
	v_cvt_f64_i32_e32 v[92:93], v1
	v_mul_f64 v[94:95], v[92:93], s[30:31]
	v_fma_f64 v[96:97], v[92:93], s[30:31], -v[94:95]
	v_fmac_f64_e32 v[96:97], s[34:35], v[92:93]
	v_add_f64 v[92:93], v[94:95], v[96:97]
	v_add_f64 v[94:95], v[92:93], -v[94:95]
	v_add_f64 v[94:95], v[96:97], -v[94:95]
	v_add_f64 v[96:97], v[92:93], v[90:91]
	v_add_f64 v[98:99], v[96:97], -v[92:93]
	v_add_f64 v[100:101], v[96:97], -v[98:99]
	;; [unrolled: 1-line block ×4, first 2 shown]
	v_add_f64 v[90:91], v[90:91], v[92:93]
	v_add_f64 v[92:93], v[94:95], v[88:89]
	v_add_f64 v[98:99], v[92:93], -v[94:95]
	v_add_f64 v[100:101], v[92:93], -v[98:99]
	v_add_f64 v[90:91], v[92:93], v[90:91]
	v_add_f64 v[94:95], v[94:95], -v[100:101]
	v_add_f64 v[88:89], v[88:89], -v[98:99]
	v_add_f64 v[92:93], v[96:97], v[90:91]
	v_add_f64 v[88:89], v[88:89], v[94:95]
	v_add_f64 v[94:95], v[92:93], -v[96:97]
	v_add_f64 v[90:91], v[90:91], -v[94:95]
	v_add_f64 v[88:89], v[88:89], v[90:91]
	v_add_f64 v[88:89], v[92:93], v[88:89]
	v_cmp_class_f64_e64 s[10:11], v[84:85], s77
	v_min_f64 v[80:81], v[80:81], v[78:79]
	v_cndmask_b32_e64 v1, v89, v85, s[10:11]
	v_cndmask_b32_e64 v14, v88, v84, s[10:11]
	v_div_scale_f64 v[84:85], s[10:11], v[82:83], v[82:83], v[80:81]
	v_rcp_f64_e32 v[88:89], v[84:85]
	v_cndmask_b32_e64 v14, v14, 0, vcc
	v_cndmask_b32_e32 v1, v1, v119, vcc
	v_cmp_ngt_f64_e32 vcc, 0, v[86:87]
	v_cndmask_b32_e32 v1, v112, v1, vcc
	v_cmp_nge_f64_e32 vcc, 0, v[86:87]
	v_cndmask_b32_e32 v78, 0, v14, vcc
	v_cmp_neq_f64_e32 vcc, 0, v[86:87]
	v_fma_f64 v[86:87], -v[84:85], v[88:89], 1.0
	v_fmac_f64_e32 v[88:89], v[88:89], v[86:87]
	v_fma_f64 v[86:87], -v[84:85], v[88:89], 1.0
	v_cndmask_b32_e32 v79, v113, v1, vcc
	v_fmac_f64_e32 v[88:89], v[88:89], v[86:87]
	v_div_scale_f64 v[86:87], vcc, v[80:81], v[82:83], v[80:81]
	v_mul_f64 v[90:91], v[86:87], v[88:89]
	v_fma_f64 v[84:85], -v[84:85], v[90:91], v[86:87]
	v_pk_mov_b32 v[86:87], v[32:33], v[32:33] op_sel:[0,1]
	s_nop 0
	v_div_fmas_f64 v[84:85], v[84:85], v[88:89], v[90:91]
	v_div_fixup_f64 v[80:81], v[84:85], v[82:83], v[80:81]
	v_mul_f64 v[82:83], v[80:81], v[80:81]
	v_pk_mov_b32 v[84:85], v[30:31], v[30:31] op_sel:[0,1]
	v_fmac_f64_e32 v[84:85], s[38:39], v[82:83]
	v_fmac_f64_e32 v[86:87], v[82:83], v[84:85]
	v_pk_mov_b32 v[84:85], v[34:35], v[34:35] op_sel:[0,1]
	v_fmac_f64_e32 v[84:85], v[82:83], v[86:87]
	v_pk_mov_b32 v[86:87], v[36:37], v[36:37] op_sel:[0,1]
	v_fmac_f64_e32 v[86:87], v[82:83], v[84:85]
	v_pk_mov_b32 v[84:85], v[38:39], v[38:39] op_sel:[0,1]
	v_fmac_f64_e32 v[84:85], v[82:83], v[86:87]
	v_pk_mov_b32 v[86:87], v[40:41], v[40:41] op_sel:[0,1]
	v_fmac_f64_e32 v[86:87], v[82:83], v[84:85]
	v_pk_mov_b32 v[84:85], v[42:43], v[42:43] op_sel:[0,1]
	v_fmac_f64_e32 v[84:85], v[82:83], v[86:87]
	v_pk_mov_b32 v[86:87], v[44:45], v[44:45] op_sel:[0,1]
	v_fmac_f64_e32 v[86:87], v[82:83], v[84:85]
	v_pk_mov_b32 v[84:85], v[46:47], v[46:47] op_sel:[0,1]
	v_fmac_f64_e32 v[84:85], v[82:83], v[86:87]
	v_pk_mov_b32 v[86:87], v[48:49], v[48:49] op_sel:[0,1]
	v_fmac_f64_e32 v[86:87], v[82:83], v[84:85]
	v_pk_mov_b32 v[84:85], v[50:51], v[50:51] op_sel:[0,1]
	v_fmac_f64_e32 v[84:85], v[82:83], v[86:87]
	v_pk_mov_b32 v[86:87], v[52:53], v[52:53] op_sel:[0,1]
	v_fmac_f64_e32 v[86:87], v[82:83], v[84:85]
	v_pk_mov_b32 v[84:85], v[54:55], v[54:55] op_sel:[0,1]
	v_fmac_f64_e32 v[84:85], v[82:83], v[86:87]
	v_pk_mov_b32 v[86:87], v[56:57], v[56:57] op_sel:[0,1]
	v_fmac_f64_e32 v[86:87], v[82:83], v[84:85]
	v_pk_mov_b32 v[84:85], v[58:59], v[58:59] op_sel:[0,1]
	v_fmac_f64_e32 v[84:85], v[82:83], v[86:87]
	v_pk_mov_b32 v[86:87], v[60:61], v[60:61] op_sel:[0,1]
	v_fmac_f64_e32 v[86:87], v[82:83], v[84:85]
	v_pk_mov_b32 v[84:85], v[62:63], v[62:63] op_sel:[0,1]
	v_fmac_f64_e32 v[84:85], v[82:83], v[86:87]
	v_pk_mov_b32 v[86:87], v[64:65], v[64:65] op_sel:[0,1]
	v_fmac_f64_e32 v[86:87], v[82:83], v[84:85]
	v_pk_mov_b32 v[84:85], v[66:67], v[66:67] op_sel:[0,1]
	v_fmac_f64_e32 v[84:85], v[82:83], v[86:87]
	v_cmp_gt_i32_e32 vcc, 0, v15
	v_mul_f64 v[82:83], v[82:83], v[84:85]
	v_cndmask_b32_e32 v14, v116, v117, vcc
	v_fmac_f64_e32 v[80:81], v[80:81], v[82:83]
	v_bfi_b32 v69, s76, v14, v17
	v_ashrrev_i32_e32 v14, 31, v15
	v_and_b32_e32 v82, 0x400921fb, v14
	v_and_b32_e32 v83, 0x54442d18, v14
	v_add_f64 v[14:15], -v[80:81], s[40:41]
	v_cndmask_b32_e64 v15, v81, v15, s[8:9]
	v_cndmask_b32_e64 v14, v80, v14, s[8:9]
	s_mov_b32 s42, s40
	v_add_f64 v[80:81], -v[14:15], s[42:43]
	v_cndmask_b32_e32 v1, v114, v115, vcc
	v_cndmask_b32_e32 v15, v15, v81, vcc
	;; [unrolled: 1-line block ×3, first 2 shown]
	v_cmp_eq_f64_e32 vcc, 0, v[16:17]
	v_cndmask_b32_e32 v14, v14, v83, vcc
	v_cndmask_b32_e32 v15, v15, v82, vcc
	s_and_b64 vcc, s[62:63], s[60:61]
	v_cndmask_b32_e32 v81, v15, v69, vcc
	v_cndmask_b32_e32 v80, v14, v1, vcc
.LBB180_170:                            ;   in Loop: Header=BB180_145 Depth=1
	s_or_b64 exec, exec, s[58:59]
                                        ; implicit-def: $vgpr82_vgpr83
.LBB180_171:                            ;   in Loop: Header=BB180_145 Depth=1
	s_andn2_saveexec_b64 s[10:11], s[56:57]
	s_cbranch_execz .LBB180_177
; %bb.172:                              ;   in Loop: Header=BB180_145 Depth=1
	v_cmp_ngt_f64_e32 vcc, s[46:47], v[82:83]
                                        ; implicit-def: $vgpr78_vgpr79
                                        ; implicit-def: $vgpr80_vgpr81
	s_and_saveexec_b64 s[56:57], vcc
	s_xor_b64 s[56:57], exec, s[56:57]
	s_cbranch_execz .LBB180_174
; %bb.173:                              ;   in Loop: Header=BB180_145 Depth=1
	v_mul_f64 v[78:79], v[82:83], v[82:83]
	v_add_f64 v[80:81], v[78:79], 1.0
	v_add_f64 v[82:83], v[80:81], -1.0
	v_add_f64 v[84:85], v[82:83], -v[80:81]
	v_add_f64 v[84:85], v[84:85], 1.0
	v_add_f64 v[82:83], v[78:79], -v[82:83]
	v_add_f64 v[82:83], v[82:83], v[84:85]
	v_frexp_mant_f64_e32 v[84:85], v[80:81]
	v_frexp_exp_i32_f64_e32 v1, v[80:81]
	v_cmp_gt_f64_e32 vcc, s[26:27], v[84:85]
	v_subbrev_co_u32_e32 v1, vcc, 0, v1, vcc
	v_sub_u32_e32 v69, 0, v1
	v_ldexp_f64 v[80:81], v[80:81], v69
	v_add_f64 v[84:85], v[80:81], -1.0
	v_add_f64 v[90:91], v[80:81], 1.0
	v_add_f64 v[86:87], v[84:85], 1.0
	v_add_f64 v[92:93], v[90:91], -1.0
	v_ldexp_f64 v[82:83], v[82:83], v69
	v_add_f64 v[86:87], v[80:81], -v[86:87]
	v_add_f64 v[80:81], v[80:81], -v[92:93]
	v_add_f64 v[80:81], v[82:83], v[80:81]
	v_add_f64 v[86:87], v[82:83], v[86:87]
	;; [unrolled: 1-line block ×3, first 2 shown]
	v_rcp_f64_e32 v[92:93], v[82:83]
	v_add_f64 v[88:89], v[84:85], v[86:87]
	v_add_f64 v[84:85], v[84:85], -v[88:89]
	v_add_f64 v[84:85], v[86:87], v[84:85]
	v_add_f64 v[86:87], v[90:91], -v[82:83]
	v_add_f64 v[80:81], v[80:81], v[86:87]
	v_fma_f64 v[86:87], -v[82:83], v[92:93], 1.0
	v_fmac_f64_e32 v[92:93], v[86:87], v[92:93]
	v_fma_f64 v[86:87], -v[82:83], v[92:93], 1.0
	v_fmac_f64_e32 v[92:93], v[86:87], v[92:93]
	v_mul_f64 v[86:87], v[88:89], v[92:93]
	v_mul_f64 v[90:91], v[82:83], v[86:87]
	v_fma_f64 v[94:95], v[86:87], v[82:83], -v[90:91]
	v_fmac_f64_e32 v[94:95], v[86:87], v[80:81]
	v_add_f64 v[96:97], v[90:91], v[94:95]
	v_add_f64 v[98:99], v[88:89], -v[96:97]
	v_add_f64 v[88:89], v[88:89], -v[98:99]
	;; [unrolled: 1-line block ×4, first 2 shown]
	v_add_f64 v[84:85], v[84:85], v[88:89]
	v_add_f64 v[88:89], v[90:91], -v[94:95]
	v_add_f64 v[84:85], v[88:89], v[84:85]
	v_add_f64 v[88:89], v[98:99], v[84:85]
	v_add_f64 v[90:91], v[98:99], -v[88:89]
	v_add_f64 v[84:85], v[84:85], v[90:91]
	v_mul_f64 v[90:91], v[92:93], v[88:89]
	v_mul_f64 v[94:95], v[82:83], v[90:91]
	v_fma_f64 v[82:83], v[90:91], v[82:83], -v[94:95]
	v_fmac_f64_e32 v[82:83], v[90:91], v[80:81]
	v_add_f64 v[80:81], v[94:95], v[82:83]
	v_add_f64 v[96:97], v[88:89], -v[80:81]
	v_add_f64 v[88:89], v[88:89], -v[96:97]
	;; [unrolled: 1-line block ×4, first 2 shown]
	v_add_f64 v[80:81], v[84:85], v[80:81]
	v_add_f64 v[82:83], v[94:95], -v[82:83]
	v_add_f64 v[80:81], v[82:83], v[80:81]
	v_add_f64 v[82:83], v[86:87], v[90:91]
	;; [unrolled: 1-line block ×3, first 2 shown]
	v_add_f64 v[84:85], v[82:83], -v[86:87]
	v_mul_f64 v[80:81], v[92:93], v[80:81]
	v_add_f64 v[84:85], v[90:91], -v[84:85]
	v_add_f64 v[80:81], v[84:85], v[80:81]
	v_add_f64 v[84:85], v[82:83], v[80:81]
	v_add_f64 v[82:83], v[84:85], -v[82:83]
	v_add_f64 v[80:81], v[80:81], -v[82:83]
	v_mul_f64 v[82:83], v[84:85], v[84:85]
	v_pk_mov_b32 v[86:87], v[18:19], v[18:19] op_sel:[0,1]
	v_fmac_f64_e32 v[86:87], s[28:29], v[82:83]
	v_pk_mov_b32 v[88:89], v[20:21], v[20:21] op_sel:[0,1]
	v_fmac_f64_e32 v[88:89], v[82:83], v[86:87]
	;; [unrolled: 2-line block ×6, first 2 shown]
	v_cvt_f64_i32_e32 v[86:87], v1
	v_mul_f64 v[90:91], v[86:87], s[30:31]
	v_fma_f64 v[92:93], v[86:87], s[30:31], -v[90:91]
	v_fmac_f64_e32 v[92:93], s[34:35], v[86:87]
	v_add_f64 v[86:87], v[90:91], v[92:93]
	v_add_f64 v[90:91], v[86:87], -v[90:91]
	v_mul_f64 v[82:83], v[84:85], v[82:83]
	v_add_f64 v[90:91], v[92:93], -v[90:91]
	v_ldexp_f64 v[92:93], v[84:85], 1
	v_mul_f64 v[82:83], v[82:83], v[88:89]
	v_add_f64 v[84:85], v[92:93], v[82:83]
	v_add_f64 v[88:89], v[84:85], -v[92:93]
	v_ldexp_f64 v[80:81], v[80:81], 1
	v_add_f64 v[82:83], v[82:83], -v[88:89]
	v_add_f64 v[80:81], v[80:81], v[82:83]
	v_add_f64 v[82:83], v[84:85], v[80:81]
	v_add_f64 v[84:85], v[82:83], -v[84:85]
	v_add_f64 v[80:81], v[80:81], -v[84:85]
	v_add_f64 v[84:85], v[86:87], v[82:83]
	v_add_f64 v[88:89], v[84:85], -v[86:87]
	v_add_f64 v[92:93], v[84:85], -v[88:89]
	;; [unrolled: 1-line block ×4, first 2 shown]
	v_add_f64 v[82:83], v[82:83], v[86:87]
	v_add_f64 v[86:87], v[90:91], v[80:81]
	v_add_f64 v[88:89], v[86:87], -v[90:91]
	v_add_f64 v[82:83], v[86:87], v[82:83]
	v_add_f64 v[92:93], v[86:87], -v[88:89]
	;; [unrolled: 2-line block ×3, first 2 shown]
	v_add_f64 v[80:81], v[80:81], -v[88:89]
	v_add_f64 v[84:85], v[86:87], -v[84:85]
	v_add_f64 v[80:81], v[80:81], v[90:91]
	v_add_f64 v[82:83], v[82:83], -v[84:85]
	v_add_f64 v[80:81], v[80:81], v[82:83]
	v_max_f64 v[82:83], |v[16:17]|, |v[16:17]|
	v_max_f64 v[84:85], |v[14:15]|, |v[14:15]|
	v_add_f64 v[80:81], v[86:87], v[80:81]
	v_max_f64 v[86:87], v[84:85], v[82:83]
	v_min_f64 v[82:83], v[84:85], v[82:83]
	v_div_scale_f64 v[84:85], s[58:59], v[86:87], v[86:87], v[82:83]
	v_rcp_f64_e32 v[88:89], v[84:85]
	v_cmp_eq_f64_e32 vcc, s[36:37], v[78:79]
	v_cndmask_b32_e32 v79, v81, v79, vcc
	v_cndmask_b32_e32 v78, v80, v78, vcc
	v_fma_f64 v[80:81], -v[84:85], v[88:89], 1.0
	v_fmac_f64_e32 v[88:89], v[88:89], v[80:81]
	v_fma_f64 v[80:81], -v[84:85], v[88:89], 1.0
	v_fmac_f64_e32 v[88:89], v[88:89], v[80:81]
	v_div_scale_f64 v[80:81], vcc, v[82:83], v[86:87], v[82:83]
	v_mul_f64 v[90:91], v[80:81], v[88:89]
	v_fma_f64 v[80:81], -v[84:85], v[90:91], v[80:81]
	v_pk_mov_b32 v[84:85], v[30:31], v[30:31] op_sel:[0,1]
	s_nop 0
	v_div_fmas_f64 v[80:81], v[80:81], v[88:89], v[90:91]
	v_div_fixup_f64 v[80:81], v[80:81], v[86:87], v[82:83]
	v_mul_f64 v[82:83], v[80:81], v[80:81]
	v_fmac_f64_e32 v[84:85], s[38:39], v[82:83]
	v_pk_mov_b32 v[86:87], v[32:33], v[32:33] op_sel:[0,1]
	v_fmac_f64_e32 v[86:87], v[82:83], v[84:85]
	v_pk_mov_b32 v[84:85], v[34:35], v[34:35] op_sel:[0,1]
	;; [unrolled: 2-line block ×18, first 2 shown]
	v_fmac_f64_e32 v[84:85], v[82:83], v[86:87]
	v_cmp_gt_i32_e32 vcc, 0, v15
	v_mul_f64 v[82:83], v[82:83], v[84:85]
	v_cmp_class_f64_e64 s[60:61], v[14:15], s77
	v_cndmask_b32_e32 v14, v116, v117, vcc
	v_fmac_f64_e32 v[80:81], v[80:81], v[82:83]
	v_bfi_b32 v69, s76, v14, v17
	v_ashrrev_i32_e32 v14, 31, v15
	v_and_b32_e32 v82, 0x400921fb, v14
	v_and_b32_e32 v83, 0x54442d18, v14
	v_add_f64 v[14:15], -v[80:81], s[40:41]
	v_cndmask_b32_e64 v15, v81, v15, s[8:9]
	v_cndmask_b32_e64 v14, v80, v14, s[8:9]
	s_mov_b32 s42, s40
	v_add_f64 v[80:81], -v[14:15], s[42:43]
	v_cmp_class_f64_e64 s[58:59], v[16:17], s77
	v_cndmask_b32_e32 v1, v114, v115, vcc
	v_cndmask_b32_e32 v15, v15, v81, vcc
	;; [unrolled: 1-line block ×3, first 2 shown]
	v_cmp_eq_f64_e32 vcc, 0, v[16:17]
	v_cndmask_b32_e32 v14, v14, v83, vcc
	v_cndmask_b32_e32 v15, v15, v82, vcc
	s_and_b64 vcc, s[58:59], s[60:61]
	v_mul_f64 v[78:79], v[78:79], 0.5
	v_cndmask_b32_e32 v81, v15, v69, vcc
	v_cndmask_b32_e32 v80, v14, v1, vcc
                                        ; implicit-def: $vgpr82_vgpr83
.LBB180_174:                            ;   in Loop: Header=BB180_145 Depth=1
	s_andn2_saveexec_b64 s[56:57], s[56:57]
	s_cbranch_execz .LBB180_176
; %bb.175:                              ;   in Loop: Header=BB180_145 Depth=1
	v_max_f64 v[78:79], |v[16:17]|, |v[16:17]|
	v_max_f64 v[80:81], |v[14:15]|, |v[14:15]|
	v_max_f64 v[84:85], v[80:81], v[78:79]
	v_min_f64 v[80:81], v[80:81], v[78:79]
	v_div_scale_f64 v[86:87], s[58:59], v[84:85], v[84:85], v[80:81]
	v_rcp_f64_e32 v[88:89], v[86:87]
	v_mul_f64 v[78:79], v[82:83], 0.5
	v_mul_f64 v[78:79], v[82:83], v[78:79]
	v_cmp_class_f64_e64 s[60:61], v[14:15], s77
	v_fma_f64 v[82:83], -v[86:87], v[88:89], 1.0
	v_fmac_f64_e32 v[88:89], v[88:89], v[82:83]
	v_fma_f64 v[82:83], -v[86:87], v[88:89], 1.0
	v_fmac_f64_e32 v[88:89], v[88:89], v[82:83]
	v_div_scale_f64 v[82:83], vcc, v[80:81], v[84:85], v[80:81]
	v_mul_f64 v[90:91], v[82:83], v[88:89]
	v_fma_f64 v[82:83], -v[86:87], v[90:91], v[82:83]
	v_pk_mov_b32 v[86:87], v[32:33], v[32:33] op_sel:[0,1]
	s_nop 0
	v_div_fmas_f64 v[82:83], v[82:83], v[88:89], v[90:91]
	v_div_fixup_f64 v[80:81], v[82:83], v[84:85], v[80:81]
	v_mul_f64 v[82:83], v[80:81], v[80:81]
	v_pk_mov_b32 v[84:85], v[30:31], v[30:31] op_sel:[0,1]
	v_fmac_f64_e32 v[84:85], s[38:39], v[82:83]
	v_fmac_f64_e32 v[86:87], v[82:83], v[84:85]
	v_pk_mov_b32 v[84:85], v[34:35], v[34:35] op_sel:[0,1]
	v_fmac_f64_e32 v[84:85], v[82:83], v[86:87]
	v_pk_mov_b32 v[86:87], v[36:37], v[36:37] op_sel:[0,1]
	;; [unrolled: 2-line block ×17, first 2 shown]
	v_fmac_f64_e32 v[84:85], v[82:83], v[86:87]
	v_cmp_gt_i32_e32 vcc, 0, v15
	v_mul_f64 v[82:83], v[82:83], v[84:85]
	v_cndmask_b32_e32 v14, v116, v117, vcc
	v_fmac_f64_e32 v[80:81], v[80:81], v[82:83]
	v_bfi_b32 v69, s76, v14, v17
	v_ashrrev_i32_e32 v14, 31, v15
	v_and_b32_e32 v82, 0x400921fb, v14
	v_and_b32_e32 v83, 0x54442d18, v14
	v_add_f64 v[14:15], -v[80:81], s[40:41]
	v_cndmask_b32_e64 v15, v81, v15, s[8:9]
	v_cndmask_b32_e64 v14, v80, v14, s[8:9]
	s_mov_b32 s42, s40
	v_add_f64 v[80:81], -v[14:15], s[42:43]
	v_cmp_class_f64_e64 s[58:59], v[16:17], s77
	v_cndmask_b32_e32 v1, v114, v115, vcc
	v_cndmask_b32_e32 v15, v15, v81, vcc
	;; [unrolled: 1-line block ×3, first 2 shown]
	v_cmp_eq_f64_e32 vcc, 0, v[16:17]
	v_cndmask_b32_e32 v14, v14, v83, vcc
	v_cndmask_b32_e32 v15, v15, v82, vcc
	s_and_b64 vcc, s[58:59], s[60:61]
	v_cndmask_b32_e32 v81, v15, v69, vcc
	v_cndmask_b32_e32 v80, v14, v1, vcc
.LBB180_176:                            ;   in Loop: Header=BB180_145 Depth=1
	s_or_b64 exec, exec, s[56:57]
.LBB180_177:                            ;   in Loop: Header=BB180_145 Depth=1
	s_or_b64 exec, exec, s[10:11]
.LBB180_178:                            ;   in Loop: Header=BB180_145 Depth=1
	s_andn2_saveexec_b64 s[56:57], s[12:13]
	s_cbranch_execz .LBB180_180
; %bb.179:                              ;   in Loop: Header=BB180_145 Depth=1
	v_div_scale_f64 v[78:79], s[10:11], s[48:49], s[48:49], v[14:15]
	v_rcp_f64_e32 v[80:81], v[78:79]
	v_div_scale_f64 v[82:83], vcc, v[14:15], s[48:49], v[14:15]
	s_mov_b32 s42, s40
	v_fma_f64 v[84:85], -v[78:79], v[80:81], 1.0
	v_fmac_f64_e32 v[80:81], v[80:81], v[84:85]
	v_fma_f64 v[84:85], -v[78:79], v[80:81], 1.0
	v_fmac_f64_e32 v[80:81], v[80:81], v[84:85]
	v_mul_f64 v[84:85], v[82:83], v[80:81]
	v_fma_f64 v[78:79], -v[78:79], v[84:85], v[82:83]
	v_div_scale_f64 v[82:83], s[10:11], s[48:49], s[48:49], v[16:17]
	v_rcp_f64_e32 v[86:87], v[82:83]
	v_div_fmas_f64 v[78:79], v[78:79], v[80:81], v[84:85]
	v_div_fixup_f64 v[78:79], v[78:79], s[48:49], v[14:15]
	v_cmp_class_f64_e64 s[12:13], v[78:79], s77
	v_fma_f64 v[80:81], -v[82:83], v[86:87], 1.0
	v_fmac_f64_e32 v[86:87], v[86:87], v[80:81]
	v_fma_f64 v[80:81], -v[82:83], v[86:87], 1.0
	v_fmac_f64_e32 v[86:87], v[86:87], v[80:81]
	v_div_scale_f64 v[80:81], vcc, v[16:17], s[48:49], v[16:17]
	v_mul_f64 v[84:85], v[80:81], v[86:87]
	v_fma_f64 v[80:81], -v[82:83], v[84:85], v[80:81]
	s_nop 1
	v_div_fmas_f64 v[80:81], v[80:81], v[86:87], v[84:85]
	v_div_fixup_f64 v[80:81], v[80:81], s[48:49], v[16:17]
	v_max_f64 v[82:83], |v[78:79]|, |v[80:81]|
	v_frexp_exp_i32_f64_e32 v1, v[82:83]
	v_sub_u32_e32 v69, 0, v1
	v_ldexp_f64 v[84:85], |v[80:81]|, v69
	v_ldexp_f64 v[82:83], |v[78:79]|, v69
	v_mul_f64 v[84:85], v[84:85], v[84:85]
	v_fmac_f64_e32 v[84:85], v[82:83], v[82:83]
	v_rsq_f64_e32 v[82:83], v[84:85]
	v_cmp_eq_f64_e32 vcc, 0, v[84:85]
	v_cmp_o_f64_e64 s[10:11], v[78:79], v[80:81]
	v_cmp_class_f64_e64 s[58:59], v[80:81], s77
	v_mul_f64 v[86:87], v[84:85], v[82:83]
	v_mul_f64 v[82:83], v[82:83], 0.5
	v_fma_f64 v[88:89], -v[82:83], v[86:87], 0.5
	v_fmac_f64_e32 v[86:87], v[86:87], v[88:89]
	v_fmac_f64_e32 v[82:83], v[82:83], v[88:89]
	v_fma_f64 v[88:89], -v[86:87], v[86:87], v[84:85]
	v_fmac_f64_e32 v[86:87], v[88:89], v[82:83]
	v_cndmask_b32_e32 v83, v87, v85, vcc
	v_cndmask_b32_e32 v82, v86, v84, vcc
	v_ldexp_f64 v[82:83], v[82:83], v1
	v_cndmask_b32_e64 v1, 0, v82, s[10:11]
	v_cndmask_b32_e64 v96, v112, v83, s[10:11]
	s_or_b64 vcc, s[58:59], s[12:13]
	v_cndmask_b32_e32 v81, v96, v119, vcc
	v_cndmask_b32_e64 v80, v1, 0, vcc
	v_frexp_mant_f64_e32 v[78:79], v[80:81]
	v_cmp_gt_f64_e64 s[12:13], s[26:27], v[78:79]
	v_cndmask_b32_e64 v69, v118, 2.0, s[12:13]
	v_frexp_exp_i32_f64_e32 v84, v[80:81]
	v_mul_f64 v[78:79], v[78:79], v[68:69]
	v_subbrev_co_u32_e64 v69, s[12:13], 0, v84, s[12:13]
	v_add_f64 v[84:85], v[78:79], 1.0
	v_rcp_f64_e32 v[86:87], v[84:85]
	v_add_f64 v[90:91], v[84:85], -1.0
	v_add_f64 v[88:89], v[78:79], -1.0
	v_add_f64 v[78:79], v[78:79], -v[90:91]
	v_fma_f64 v[90:91], -v[84:85], v[86:87], 1.0
	v_fmac_f64_e32 v[86:87], v[90:91], v[86:87]
	v_fma_f64 v[90:91], -v[84:85], v[86:87], 1.0
	v_fmac_f64_e32 v[86:87], v[90:91], v[86:87]
	v_mul_f64 v[90:91], v[88:89], v[86:87]
	v_mul_f64 v[92:93], v[84:85], v[90:91]
	v_fma_f64 v[84:85], v[90:91], v[84:85], -v[92:93]
	v_fmac_f64_e32 v[84:85], v[90:91], v[78:79]
	v_add_f64 v[78:79], v[92:93], v[84:85]
	v_add_f64 v[94:95], v[88:89], -v[78:79]
	v_add_f64 v[92:93], v[78:79], -v[92:93]
	;; [unrolled: 1-line block ×5, first 2 shown]
	v_add_f64 v[78:79], v[84:85], v[78:79]
	v_add_f64 v[78:79], v[94:95], v[78:79]
	v_mul_f64 v[78:79], v[86:87], v[78:79]
	v_add_f64 v[84:85], v[90:91], v[78:79]
	v_add_f64 v[86:87], v[84:85], -v[90:91]
	v_add_f64 v[78:79], v[78:79], -v[86:87]
	v_mul_f64 v[86:87], v[84:85], v[84:85]
	v_pk_mov_b32 v[88:89], v[18:19], v[18:19] op_sel:[0,1]
	v_fmac_f64_e32 v[88:89], s[28:29], v[86:87]
	v_pk_mov_b32 v[90:91], v[20:21], v[20:21] op_sel:[0,1]
	v_fmac_f64_e32 v[90:91], v[86:87], v[88:89]
	;; [unrolled: 2-line block ×6, first 2 shown]
	v_ldexp_f64 v[88:89], v[84:85], 1
	v_mul_f64 v[84:85], v[84:85], v[86:87]
	v_mul_f64 v[84:85], v[84:85], v[90:91]
	v_add_f64 v[86:87], v[88:89], v[84:85]
	v_add_f64 v[88:89], v[86:87], -v[88:89]
	v_ldexp_f64 v[78:79], v[78:79], 1
	v_add_f64 v[84:85], v[84:85], -v[88:89]
	v_add_f64 v[78:79], v[78:79], v[84:85]
	v_add_f64 v[84:85], v[86:87], v[78:79]
	v_add_f64 v[86:87], v[84:85], -v[86:87]
	v_add_f64 v[78:79], v[78:79], -v[86:87]
	v_cvt_f64_i32_e32 v[86:87], v69
	v_mul_f64 v[88:89], v[86:87], s[30:31]
	v_fma_f64 v[90:91], v[86:87], s[30:31], -v[88:89]
	v_fmac_f64_e32 v[90:91], s[34:35], v[86:87]
	v_add_f64 v[86:87], v[88:89], v[90:91]
	v_add_f64 v[88:89], v[86:87], -v[88:89]
	v_add_f64 v[88:89], v[90:91], -v[88:89]
	v_add_f64 v[90:91], v[86:87], v[84:85]
	v_add_f64 v[92:93], v[90:91], -v[86:87]
	v_add_f64 v[94:95], v[90:91], -v[92:93]
	;; [unrolled: 1-line block ×4, first 2 shown]
	v_add_f64 v[84:85], v[84:85], v[86:87]
	v_add_f64 v[86:87], v[88:89], v[78:79]
	v_add_f64 v[92:93], v[86:87], -v[88:89]
	v_add_f64 v[94:95], v[86:87], -v[92:93]
	v_add_f64 v[84:85], v[86:87], v[84:85]
	v_add_f64 v[88:89], v[88:89], -v[94:95]
	v_add_f64 v[78:79], v[78:79], -v[92:93]
	v_add_f64 v[86:87], v[90:91], v[84:85]
	v_add_f64 v[78:79], v[78:79], v[88:89]
	v_add_f64 v[88:89], v[86:87], -v[90:91]
	v_add_f64 v[84:85], v[84:85], -v[88:89]
	v_and_b32_e32 v83, 0x7fffffff, v83
	v_add_f64 v[78:79], v[78:79], v[84:85]
	v_cmp_eq_f64_e64 s[12:13], s[36:37], v[82:83]
	v_add_f64 v[78:79], v[86:87], v[78:79]
	s_and_b64 s[10:11], s[10:11], s[12:13]
	v_cndmask_b32_e64 v79, v79, v96, s[10:11]
	v_cndmask_b32_e64 v78, v78, v1, s[10:11]
	v_add_f64 v[78:79], v[78:79], 1.0
	v_cndmask_b32_e64 v1, v78, 0, vcc
	v_cndmask_b32_e32 v69, v79, v119, vcc
	v_max_f64 v[78:79], |v[16:17]|, |v[16:17]|
	v_max_f64 v[82:83], |v[14:15]|, |v[14:15]|
	v_max_f64 v[84:85], v[82:83], v[78:79]
	v_min_f64 v[82:83], v[82:83], v[78:79]
	v_div_scale_f64 v[86:87], s[10:11], v[84:85], v[84:85], v[82:83]
	v_rcp_f64_e32 v[88:89], v[86:87]
	v_cmp_ngt_f64_e32 vcc, 0, v[80:81]
	v_cndmask_b32_e32 v69, v112, v69, vcc
	v_cmp_nge_f64_e32 vcc, 0, v[80:81]
	v_cndmask_b32_e32 v78, 0, v1, vcc
	v_cmp_neq_f64_e32 vcc, 0, v[80:81]
	v_fma_f64 v[80:81], -v[86:87], v[88:89], 1.0
	v_fmac_f64_e32 v[88:89], v[88:89], v[80:81]
	v_fma_f64 v[80:81], -v[86:87], v[88:89], 1.0
	v_cndmask_b32_e32 v79, v113, v69, vcc
	v_fmac_f64_e32 v[88:89], v[88:89], v[80:81]
	v_div_scale_f64 v[80:81], vcc, v[82:83], v[84:85], v[82:83]
	v_mul_f64 v[90:91], v[80:81], v[88:89]
	v_fma_f64 v[80:81], -v[86:87], v[90:91], v[80:81]
	v_pk_mov_b32 v[86:87], v[32:33], v[32:33] op_sel:[0,1]
	s_nop 0
	v_div_fmas_f64 v[80:81], v[80:81], v[88:89], v[90:91]
	v_div_fixup_f64 v[80:81], v[80:81], v[84:85], v[82:83]
	v_mul_f64 v[82:83], v[80:81], v[80:81]
	v_pk_mov_b32 v[84:85], v[30:31], v[30:31] op_sel:[0,1]
	v_fmac_f64_e32 v[84:85], s[38:39], v[82:83]
	v_fmac_f64_e32 v[86:87], v[82:83], v[84:85]
	v_pk_mov_b32 v[84:85], v[34:35], v[34:35] op_sel:[0,1]
	v_fmac_f64_e32 v[84:85], v[82:83], v[86:87]
	v_pk_mov_b32 v[86:87], v[36:37], v[36:37] op_sel:[0,1]
	;; [unrolled: 2-line block ×17, first 2 shown]
	v_fmac_f64_e32 v[84:85], v[82:83], v[86:87]
	v_cmp_gt_i32_e32 vcc, 0, v15
	v_mul_f64 v[82:83], v[82:83], v[84:85]
	v_cmp_class_f64_e64 s[12:13], v[14:15], s77
	v_cndmask_b32_e32 v14, v116, v117, vcc
	v_fmac_f64_e32 v[80:81], v[80:81], v[82:83]
	v_bfi_b32 v69, s76, v14, v17
	v_ashrrev_i32_e32 v14, 31, v15
	v_and_b32_e32 v82, 0x400921fb, v14
	v_and_b32_e32 v83, 0x54442d18, v14
	v_add_f64 v[14:15], -v[80:81], s[40:41]
	v_cndmask_b32_e64 v15, v81, v15, s[8:9]
	v_cndmask_b32_e64 v14, v80, v14, s[8:9]
	v_add_f64 v[80:81], -v[14:15], s[42:43]
	v_cmp_class_f64_e64 s[10:11], v[16:17], s77
	v_cndmask_b32_e32 v1, v114, v115, vcc
	v_cndmask_b32_e32 v15, v15, v81, vcc
	;; [unrolled: 1-line block ×3, first 2 shown]
	v_cmp_eq_f64_e32 vcc, 0, v[16:17]
	v_cndmask_b32_e32 v14, v14, v83, vcc
	v_cndmask_b32_e32 v15, v15, v82, vcc
	s_and_b64 vcc, s[10:11], s[12:13]
	v_cndmask_b32_e32 v81, v15, v69, vcc
	v_cndmask_b32_e32 v80, v14, v1, vcc
.LBB180_180:                            ;   in Loop: Header=BB180_145 Depth=1
	s_or_b64 exec, exec, s[56:57]
.LBB180_181:                            ;   in Loop: Header=BB180_145 Depth=1
	s_andn2_saveexec_b64 s[8:9], s[54:55]
	s_cbranch_execz .LBB180_187
; %bb.182:                              ;   in Loop: Header=BB180_145 Depth=1
	v_cmp_nlt_f64_e64 s[10:11], |v[14:15]|, s[50:51]
	v_cmp_nlt_f64_e64 s[12:13], |v[16:17]|, s[50:51]
	s_or_b64 s[10:11], s[12:13], s[10:11]
                                        ; implicit-def: $vgpr80_vgpr81
	s_and_saveexec_b64 s[12:13], s[10:11]
	s_xor_b64 s[10:11], exec, s[12:13]
; %bb.183:                              ;   in Loop: Header=BB180_145 Depth=1
	v_mul_f64 v[80:81], v[14:15], v[14:15]
	v_fmac_f64_e32 v[80:81], v[16:17], v[16:17]
; %bb.184:                              ;   in Loop: Header=BB180_145 Depth=1
	s_andn2_saveexec_b64 s[10:11], s[10:11]
; %bb.185:                              ;   in Loop: Header=BB180_145 Depth=1
	v_mul_f64 v[14:15], v[14:15], 4.0
	v_mul_f64 v[78:79], v[16:17], 4.0
	v_mul_f64 v[14:15], v[14:15], v[14:15]
	v_fmac_f64_e32 v[14:15], v[78:79], v[78:79]
	v_ldexp_f64 v[80:81], v[14:15], -4
; %bb.186:                              ;   in Loop: Header=BB180_145 Depth=1
	s_or_b64 exec, exec, s[10:11]
	v_frexp_mant_f64_e32 v[14:15], v[80:81]
	v_cmp_gt_f64_e32 vcc, s[26:27], v[14:15]
	v_cndmask_b32_e64 v69, v118, 2.0, vcc
	v_mul_f64 v[14:15], v[14:15], v[68:69]
	v_add_f64 v[78:79], v[14:15], 1.0
	v_rcp_f64_e32 v[82:83], v[78:79]
	v_add_f64 v[86:87], v[78:79], -1.0
	v_add_f64 v[84:85], v[14:15], -1.0
	v_add_f64 v[14:15], v[14:15], -v[86:87]
	v_fma_f64 v[86:87], -v[78:79], v[82:83], 1.0
	v_fmac_f64_e32 v[82:83], v[86:87], v[82:83]
	v_fma_f64 v[86:87], -v[78:79], v[82:83], 1.0
	v_fmac_f64_e32 v[82:83], v[86:87], v[82:83]
	v_mul_f64 v[86:87], v[84:85], v[82:83]
	v_mul_f64 v[88:89], v[78:79], v[86:87]
	v_fma_f64 v[78:79], v[86:87], v[78:79], -v[88:89]
	v_fmac_f64_e32 v[78:79], v[86:87], v[14:15]
	v_add_f64 v[14:15], v[88:89], v[78:79]
	v_add_f64 v[90:91], v[84:85], -v[14:15]
	v_add_f64 v[88:89], v[14:15], -v[88:89]
	;; [unrolled: 1-line block ×5, first 2 shown]
	v_add_f64 v[14:15], v[78:79], v[14:15]
	v_add_f64 v[14:15], v[90:91], v[14:15]
	v_mul_f64 v[14:15], v[82:83], v[14:15]
	v_add_f64 v[78:79], v[86:87], v[14:15]
	v_add_f64 v[82:83], v[78:79], -v[86:87]
	v_add_f64 v[14:15], v[14:15], -v[82:83]
	v_mul_f64 v[82:83], v[78:79], v[78:79]
	v_pk_mov_b32 v[84:85], v[18:19], v[18:19] op_sel:[0,1]
	v_fmac_f64_e32 v[84:85], s[28:29], v[82:83]
	v_pk_mov_b32 v[86:87], v[20:21], v[20:21] op_sel:[0,1]
	v_fmac_f64_e32 v[86:87], v[82:83], v[84:85]
	;; [unrolled: 2-line block ×6, first 2 shown]
	v_ldexp_f64 v[84:85], v[78:79], 1
	v_mul_f64 v[78:79], v[78:79], v[82:83]
	v_mul_f64 v[78:79], v[78:79], v[86:87]
	v_add_f64 v[82:83], v[84:85], v[78:79]
	v_add_f64 v[84:85], v[82:83], -v[84:85]
	v_ldexp_f64 v[14:15], v[14:15], 1
	v_add_f64 v[78:79], v[78:79], -v[84:85]
	v_add_f64 v[14:15], v[14:15], v[78:79]
	v_frexp_exp_i32_f64_e32 v1, v[80:81]
	v_add_f64 v[78:79], v[82:83], v[14:15]
	v_subbrev_co_u32_e32 v1, vcc, 0, v1, vcc
	v_add_f64 v[82:83], v[78:79], -v[82:83]
	v_add_f64 v[14:15], v[14:15], -v[82:83]
	v_cvt_f64_i32_e32 v[82:83], v1
	v_mul_f64 v[84:85], v[82:83], s[30:31]
	v_fma_f64 v[86:87], v[82:83], s[30:31], -v[84:85]
	v_fmac_f64_e32 v[86:87], s[34:35], v[82:83]
	v_add_f64 v[82:83], v[84:85], v[86:87]
	v_add_f64 v[84:85], v[82:83], -v[84:85]
	v_add_f64 v[84:85], v[86:87], -v[84:85]
	v_add_f64 v[86:87], v[82:83], v[78:79]
	v_add_f64 v[88:89], v[86:87], -v[82:83]
	v_add_f64 v[90:91], v[86:87], -v[88:89]
	;; [unrolled: 1-line block ×4, first 2 shown]
	v_add_f64 v[78:79], v[78:79], v[82:83]
	v_add_f64 v[82:83], v[84:85], v[14:15]
	v_add_f64 v[88:89], v[82:83], -v[84:85]
	v_add_f64 v[90:91], v[82:83], -v[88:89]
	v_add_f64 v[78:79], v[82:83], v[78:79]
	v_add_f64 v[84:85], v[84:85], -v[90:91]
	v_add_f64 v[14:15], v[14:15], -v[88:89]
	v_add_f64 v[82:83], v[86:87], v[78:79]
	v_add_f64 v[14:15], v[14:15], v[84:85]
	v_add_f64 v[84:85], v[82:83], -v[86:87]
	v_add_f64 v[78:79], v[78:79], -v[84:85]
	v_add_f64 v[14:15], v[14:15], v[78:79]
	v_add_f64 v[14:15], v[82:83], v[14:15]
	v_cmp_class_f64_e64 vcc, v[80:81], s77
	v_cndmask_b32_e32 v1, v14, v80, vcc
	v_cndmask_b32_e32 v14, v15, v81, vcc
	v_cmp_ngt_f64_e32 vcc, 0, v[80:81]
	v_cndmask_b32_e32 v14, v112, v14, vcc
	v_cmp_nge_f64_e32 vcc, 0, v[80:81]
	v_cndmask_b32_e32 v78, 0, v1, vcc
	v_cmp_neq_f64_e32 vcc, 0, v[80:81]
	v_mov_b32_e32 v80, 0
	v_cndmask_b32_e32 v79, v113, v14, vcc
	v_mov_b32_e32 v81, 0x7ff80000
.LBB180_187:                            ;   in Loop: Header=BB180_145 Depth=1
	s_or_b64 exec, exec, s[8:9]
	v_cmp_o_f64_e32 vcc, v[6:7], v[8:9]
                                        ; implicit-def: $vgpr14_vgpr15
                                        ; implicit-def: $vgpr82_vgpr83
	s_and_saveexec_b64 s[8:9], vcc
	s_xor_b64 s[54:55], exec, s[8:9]
	s_cbranch_execz .LBB180_215
; %bb.188:                              ;   in Loop: Header=BB180_145 Depth=1
	v_and_b32_e32 v69, 0x7fffffff, v7
	v_and_b32_e32 v1, 0x7fffffff, v9
	v_mov_b32_e32 v16, v8
	v_cmp_lt_f64_e64 s[8:9], |v[6:7]|, |v[8:9]|
	v_cndmask_b32_e64 v85, v1, v69, s[8:9]
	v_cndmask_b32_e64 v84, v16, v6, s[8:9]
	v_cmp_nlt_f64_e32 vcc, s[20:21], v[84:85]
                                        ; implicit-def: $vgpr14_vgpr15
                                        ; implicit-def: $vgpr82_vgpr83
	s_and_saveexec_b64 s[10:11], vcc
	s_xor_b64 s[12:13], exec, s[10:11]
	s_cbranch_execz .LBB180_212
; %bb.189:                              ;   in Loop: Header=BB180_145 Depth=1
	v_cndmask_b32_e64 v89, v69, v1, s[8:9]
	v_cndmask_b32_e64 v88, v6, v16, s[8:9]
	v_cmp_neq_f64_e32 vcc, 1.0, v[88:89]
                                        ; implicit-def: $vgpr14_vgpr15
                                        ; implicit-def: $vgpr82_vgpr83
	s_and_saveexec_b64 s[10:11], vcc
	s_xor_b64 s[56:57], exec, s[10:11]
	s_cbranch_execz .LBB180_205
; %bb.190:                              ;   in Loop: Header=BB180_145 Depth=1
	v_max_f64 v[14:15], v[84:85], v[84:85]
	v_max_f64 v[82:83], v[88:89], v[88:89]
	v_min_f64 v[86:87], v[82:83], v[14:15]
	v_max_f64 v[14:15], v[82:83], v[14:15]
	v_cmp_ngt_f64_e32 vcc, s[22:23], v[86:87]
	v_cmp_nlt_f64_e64 s[10:11], s[24:25], v[14:15]
	s_and_b64 s[10:11], s[10:11], vcc
                                        ; implicit-def: $vgpr14_vgpr15
                                        ; implicit-def: $vgpr82_vgpr83
	s_and_saveexec_b64 s[58:59], s[10:11]
	s_xor_b64 s[58:59], exec, s[58:59]
	s_cbranch_execz .LBB180_202
; %bb.191:                              ;   in Loop: Header=BB180_145 Depth=1
	v_cmp_le_f64_e32 vcc, 1.0, v[88:89]
                                        ; implicit-def: $vgpr14_vgpr15
                                        ; implicit-def: $vgpr82_vgpr83
	s_and_saveexec_b64 s[10:11], vcc
	s_xor_b64 s[10:11], exec, s[10:11]
	s_cbranch_execz .LBB180_193
; %bb.192:                              ;   in Loop: Header=BB180_145 Depth=1
	v_add_f64 v[14:15], v[88:89], -1.0
	v_add_f64 v[82:83], v[88:89], 1.0
	v_mul_f64 v[82:83], v[14:15], v[82:83]
	v_fmac_f64_e32 v[82:83], v[84:85], v[84:85]
	v_add_f64 v[14:15], v[82:83], 1.0
	v_add_f64 v[84:85], v[14:15], -1.0
	v_add_f64 v[86:87], v[84:85], -v[14:15]
	v_add_f64 v[86:87], v[86:87], 1.0
	v_add_f64 v[84:85], v[82:83], -v[84:85]
	v_add_f64 v[84:85], v[84:85], v[86:87]
	v_frexp_mant_f64_e32 v[86:87], v[14:15]
	v_frexp_exp_i32_f64_e32 v1, v[14:15]
	v_cmp_gt_f64_e32 vcc, s[26:27], v[86:87]
	v_subbrev_co_u32_e32 v1, vcc, 0, v1, vcc
	v_sub_u32_e32 v16, 0, v1
	v_ldexp_f64 v[14:15], v[14:15], v16
	v_add_f64 v[86:87], v[14:15], -1.0
	v_add_f64 v[92:93], v[14:15], 1.0
	v_add_f64 v[88:89], v[86:87], 1.0
	v_add_f64 v[94:95], v[92:93], -1.0
	v_ldexp_f64 v[84:85], v[84:85], v16
	v_add_f64 v[88:89], v[14:15], -v[88:89]
	v_add_f64 v[14:15], v[14:15], -v[94:95]
	v_add_f64 v[14:15], v[84:85], v[14:15]
	v_add_f64 v[88:89], v[84:85], v[88:89]
	;; [unrolled: 1-line block ×3, first 2 shown]
	v_rcp_f64_e32 v[94:95], v[84:85]
	v_add_f64 v[90:91], v[86:87], v[88:89]
	v_add_f64 v[86:87], v[90:91], -v[86:87]
	v_add_f64 v[86:87], v[88:89], -v[86:87]
	;; [unrolled: 1-line block ×4, first 2 shown]
	v_fma_f64 v[88:89], -v[84:85], v[94:95], 1.0
	v_fmac_f64_e32 v[94:95], v[88:89], v[94:95]
	v_fma_f64 v[88:89], -v[84:85], v[94:95], 1.0
	v_fmac_f64_e32 v[94:95], v[88:89], v[94:95]
	v_mul_f64 v[88:89], v[90:91], v[94:95]
	v_mul_f64 v[92:93], v[84:85], v[88:89]
	v_fma_f64 v[96:97], v[88:89], v[84:85], -v[92:93]
	v_fmac_f64_e32 v[96:97], v[88:89], v[14:15]
	v_add_f64 v[98:99], v[92:93], v[96:97]
	v_add_f64 v[100:101], v[90:91], -v[98:99]
	v_add_f64 v[90:91], v[90:91], -v[100:101]
	;; [unrolled: 1-line block ×4, first 2 shown]
	v_add_f64 v[86:87], v[86:87], v[90:91]
	v_add_f64 v[90:91], v[92:93], -v[96:97]
	v_add_f64 v[86:87], v[90:91], v[86:87]
	v_add_f64 v[90:91], v[100:101], v[86:87]
	v_add_f64 v[92:93], v[100:101], -v[90:91]
	v_add_f64 v[86:87], v[86:87], v[92:93]
	v_mul_f64 v[92:93], v[94:95], v[90:91]
	v_mul_f64 v[96:97], v[84:85], v[92:93]
	v_fma_f64 v[84:85], v[92:93], v[84:85], -v[96:97]
	v_fmac_f64_e32 v[84:85], v[92:93], v[14:15]
	v_add_f64 v[14:15], v[96:97], v[84:85]
	v_add_f64 v[98:99], v[90:91], -v[14:15]
	v_add_f64 v[90:91], v[90:91], -v[98:99]
	;; [unrolled: 1-line block ×4, first 2 shown]
	v_add_f64 v[14:15], v[86:87], v[14:15]
	v_add_f64 v[84:85], v[96:97], -v[84:85]
	v_add_f64 v[14:15], v[84:85], v[14:15]
	v_add_f64 v[84:85], v[88:89], v[92:93]
	;; [unrolled: 1-line block ×3, first 2 shown]
	v_add_f64 v[86:87], v[84:85], -v[88:89]
	v_mul_f64 v[14:15], v[94:95], v[14:15]
	v_add_f64 v[86:87], v[92:93], -v[86:87]
	v_add_f64 v[14:15], v[86:87], v[14:15]
	v_add_f64 v[86:87], v[84:85], v[14:15]
	v_add_f64 v[84:85], v[86:87], -v[84:85]
	v_add_f64 v[14:15], v[14:15], -v[84:85]
	v_mul_f64 v[84:85], v[86:87], v[86:87]
	v_pk_mov_b32 v[88:89], v[18:19], v[18:19] op_sel:[0,1]
	v_fmac_f64_e32 v[88:89], s[28:29], v[84:85]
	v_pk_mov_b32 v[90:91], v[20:21], v[20:21] op_sel:[0,1]
	v_fmac_f64_e32 v[90:91], v[84:85], v[88:89]
	;; [unrolled: 2-line block ×6, first 2 shown]
	v_cvt_f64_i32_e32 v[88:89], v1
	v_mul_f64 v[92:93], v[88:89], s[30:31]
	v_fma_f64 v[94:95], v[88:89], s[30:31], -v[92:93]
	v_fmac_f64_e32 v[94:95], s[34:35], v[88:89]
	v_add_f64 v[88:89], v[92:93], v[94:95]
	v_add_f64 v[92:93], v[88:89], -v[92:93]
	v_mul_f64 v[84:85], v[86:87], v[84:85]
	v_add_f64 v[92:93], v[94:95], -v[92:93]
	v_ldexp_f64 v[94:95], v[86:87], 1
	v_mul_f64 v[84:85], v[84:85], v[90:91]
	v_add_f64 v[86:87], v[94:95], v[84:85]
	v_add_f64 v[90:91], v[86:87], -v[94:95]
	v_ldexp_f64 v[14:15], v[14:15], 1
	v_add_f64 v[84:85], v[84:85], -v[90:91]
	v_add_f64 v[14:15], v[14:15], v[84:85]
	v_add_f64 v[84:85], v[86:87], v[14:15]
	v_add_f64 v[86:87], v[84:85], -v[86:87]
	v_add_f64 v[14:15], v[14:15], -v[86:87]
	v_add_f64 v[86:87], v[88:89], v[84:85]
	v_add_f64 v[90:91], v[86:87], -v[88:89]
	v_add_f64 v[94:95], v[86:87], -v[90:91]
	;; [unrolled: 1-line block ×4, first 2 shown]
	v_add_f64 v[84:85], v[84:85], v[88:89]
	v_add_f64 v[88:89], v[92:93], v[14:15]
	v_add_f64 v[90:91], v[88:89], -v[92:93]
	v_add_f64 v[84:85], v[88:89], v[84:85]
	v_add_f64 v[94:95], v[88:89], -v[90:91]
	v_add_f64 v[88:89], v[86:87], v[84:85]
	v_add_f64 v[92:93], v[92:93], -v[94:95]
	v_add_f64 v[14:15], v[14:15], -v[90:91]
	v_add_f64 v[86:87], v[88:89], -v[86:87]
	v_add_f64 v[14:15], v[14:15], v[92:93]
	v_add_f64 v[84:85], v[84:85], -v[86:87]
	v_add_f64 v[14:15], v[14:15], v[84:85]
	v_max_f64 v[84:85], |v[8:9]|, |v[8:9]|
	v_max_f64 v[86:87], |v[6:7]|, |v[6:7]|
	v_add_f64 v[14:15], v[88:89], v[14:15]
	v_max_f64 v[88:89], v[86:87], v[84:85]
	v_min_f64 v[84:85], v[86:87], v[84:85]
	v_div_scale_f64 v[86:87], s[60:61], v[88:89], v[88:89], v[84:85]
	v_cmp_eq_f64_e32 vcc, s[36:37], v[82:83]
	v_rcp_f64_e32 v[90:91], v[86:87]
	v_cndmask_b32_e32 v15, v15, v83, vcc
	v_cndmask_b32_e32 v14, v14, v82, vcc
	v_mul_f64 v[14:15], v[14:15], 0.5
	v_cmp_ngt_f64_e32 vcc, -1.0, v[82:83]
	v_cndmask_b32_e32 v1, v112, v15, vcc
	v_cmp_nge_f64_e32 vcc, -1.0, v[82:83]
	v_cndmask_b32_e32 v14, 0, v14, vcc
	v_cmp_neq_f64_e32 vcc, -1.0, v[82:83]
	v_fma_f64 v[82:83], -v[86:87], v[90:91], 1.0
	v_fmac_f64_e32 v[90:91], v[90:91], v[82:83]
	v_fma_f64 v[82:83], -v[86:87], v[90:91], 1.0
	v_cndmask_b32_e32 v15, v113, v1, vcc
	v_fmac_f64_e32 v[90:91], v[90:91], v[82:83]
	v_div_scale_f64 v[82:83], vcc, v[84:85], v[88:89], v[84:85]
	v_mul_f64 v[92:93], v[82:83], v[90:91]
	v_fma_f64 v[82:83], -v[86:87], v[92:93], v[82:83]
	v_pk_mov_b32 v[86:87], v[30:31], v[30:31] op_sel:[0,1]
	s_nop 0
	v_div_fmas_f64 v[82:83], v[82:83], v[90:91], v[92:93]
	v_div_fixup_f64 v[82:83], v[82:83], v[88:89], v[84:85]
	v_mul_f64 v[84:85], v[82:83], v[82:83]
	v_fmac_f64_e32 v[86:87], s[38:39], v[84:85]
	v_pk_mov_b32 v[88:89], v[32:33], v[32:33] op_sel:[0,1]
	v_fmac_f64_e32 v[88:89], v[84:85], v[86:87]
	v_pk_mov_b32 v[86:87], v[34:35], v[34:35] op_sel:[0,1]
	v_fmac_f64_e32 v[86:87], v[84:85], v[88:89]
	v_pk_mov_b32 v[88:89], v[36:37], v[36:37] op_sel:[0,1]
	v_fmac_f64_e32 v[88:89], v[84:85], v[86:87]
	v_pk_mov_b32 v[86:87], v[38:39], v[38:39] op_sel:[0,1]
	v_fmac_f64_e32 v[86:87], v[84:85], v[88:89]
	v_pk_mov_b32 v[88:89], v[40:41], v[40:41] op_sel:[0,1]
	v_fmac_f64_e32 v[88:89], v[84:85], v[86:87]
	v_pk_mov_b32 v[86:87], v[42:43], v[42:43] op_sel:[0,1]
	v_fmac_f64_e32 v[86:87], v[84:85], v[88:89]
	v_pk_mov_b32 v[88:89], v[44:45], v[44:45] op_sel:[0,1]
	v_fmac_f64_e32 v[88:89], v[84:85], v[86:87]
	v_pk_mov_b32 v[86:87], v[46:47], v[46:47] op_sel:[0,1]
	v_fmac_f64_e32 v[86:87], v[84:85], v[88:89]
	v_pk_mov_b32 v[88:89], v[48:49], v[48:49] op_sel:[0,1]
	v_fmac_f64_e32 v[88:89], v[84:85], v[86:87]
	v_pk_mov_b32 v[86:87], v[50:51], v[50:51] op_sel:[0,1]
	v_fmac_f64_e32 v[86:87], v[84:85], v[88:89]
	v_pk_mov_b32 v[88:89], v[52:53], v[52:53] op_sel:[0,1]
	v_fmac_f64_e32 v[88:89], v[84:85], v[86:87]
	v_pk_mov_b32 v[86:87], v[54:55], v[54:55] op_sel:[0,1]
	v_fmac_f64_e32 v[86:87], v[84:85], v[88:89]
	v_pk_mov_b32 v[88:89], v[56:57], v[56:57] op_sel:[0,1]
	v_fmac_f64_e32 v[88:89], v[84:85], v[86:87]
	v_pk_mov_b32 v[86:87], v[58:59], v[58:59] op_sel:[0,1]
	v_fmac_f64_e32 v[86:87], v[84:85], v[88:89]
	v_pk_mov_b32 v[88:89], v[60:61], v[60:61] op_sel:[0,1]
	v_fmac_f64_e32 v[88:89], v[84:85], v[86:87]
	v_pk_mov_b32 v[86:87], v[62:63], v[62:63] op_sel:[0,1]
	v_fmac_f64_e32 v[86:87], v[84:85], v[88:89]
	v_pk_mov_b32 v[88:89], v[64:65], v[64:65] op_sel:[0,1]
	v_fmac_f64_e32 v[88:89], v[84:85], v[86:87]
	v_pk_mov_b32 v[86:87], v[66:67], v[66:67] op_sel:[0,1]
	v_fmac_f64_e32 v[86:87], v[84:85], v[88:89]
	v_cmp_gt_i32_e32 vcc, 0, v7
	v_mul_f64 v[84:85], v[84:85], v[86:87]
	v_cmp_class_f64_e64 s[62:63], v[6:7], s77
	v_cndmask_b32_e32 v6, v116, v117, vcc
	v_fmac_f64_e32 v[82:83], v[82:83], v[84:85]
	v_bfi_b32 v16, s76, v6, v9
	v_ashrrev_i32_e32 v6, 31, v7
	v_and_b32_e32 v69, 0x400921fb, v6
	v_and_b32_e32 v84, 0x54442d18, v6
	v_add_f64 v[6:7], -v[82:83], s[40:41]
	v_cndmask_b32_e64 v7, v83, v7, s[8:9]
	v_cndmask_b32_e64 v6, v82, v6, s[8:9]
	s_mov_b32 s42, s40
	v_add_f64 v[82:83], -v[6:7], s[42:43]
	v_cmp_class_f64_e64 s[60:61], v[8:9], s77
	v_cndmask_b32_e32 v1, v114, v115, vcc
	v_cndmask_b32_e32 v7, v7, v83, vcc
	;; [unrolled: 1-line block ×3, first 2 shown]
	v_cmp_eq_f64_e32 vcc, 0, v[8:9]
	v_cndmask_b32_e32 v6, v6, v84, vcc
	v_cndmask_b32_e32 v7, v7, v69, vcc
	s_and_b64 vcc, s[60:61], s[62:63]
	v_cndmask_b32_e32 v83, v7, v16, vcc
	v_cndmask_b32_e32 v82, v6, v1, vcc
                                        ; implicit-def: $vgpr84_vgpr85
                                        ; implicit-def: $vgpr88_vgpr89
.LBB180_193:                            ;   in Loop: Header=BB180_145 Depth=1
	s_andn2_saveexec_b64 s[60:61], s[10:11]
	s_cbranch_execz .LBB180_201
; %bb.194:                              ;   in Loop: Header=BB180_145 Depth=1
	v_mul_f64 v[86:87], v[84:85], v[84:85]
	v_fmac_f64_e32 v[86:87], v[88:89], v[88:89]
	v_cmp_ge_f64_e32 vcc, s[44:45], v[86:87]
                                        ; implicit-def: $vgpr14_vgpr15
                                        ; implicit-def: $vgpr82_vgpr83
	s_and_saveexec_b64 s[10:11], vcc
	s_xor_b64 s[10:11], exec, s[10:11]
	s_cbranch_execz .LBB180_196
; %bb.195:                              ;   in Loop: Header=BB180_145 Depth=1
	v_frexp_mant_f64_e32 v[14:15], v[86:87]
	v_cmp_gt_f64_e32 vcc, s[26:27], v[14:15]
	v_cndmask_b32_e64 v69, v118, 2.0, vcc
	v_mul_f64 v[14:15], v[14:15], v[68:69]
	v_add_f64 v[82:83], v[14:15], 1.0
	v_rcp_f64_e32 v[84:85], v[82:83]
	v_add_f64 v[90:91], v[82:83], -1.0
	v_add_f64 v[88:89], v[14:15], -1.0
	v_add_f64 v[14:15], v[14:15], -v[90:91]
	v_fma_f64 v[90:91], -v[82:83], v[84:85], 1.0
	v_fmac_f64_e32 v[84:85], v[90:91], v[84:85]
	v_fma_f64 v[90:91], -v[82:83], v[84:85], 1.0
	v_fmac_f64_e32 v[84:85], v[90:91], v[84:85]
	v_mul_f64 v[90:91], v[88:89], v[84:85]
	v_mul_f64 v[92:93], v[82:83], v[90:91]
	v_fma_f64 v[82:83], v[90:91], v[82:83], -v[92:93]
	v_fmac_f64_e32 v[82:83], v[90:91], v[14:15]
	v_add_f64 v[14:15], v[92:93], v[82:83]
	v_add_f64 v[94:95], v[88:89], -v[14:15]
	v_add_f64 v[92:93], v[14:15], -v[92:93]
	;; [unrolled: 1-line block ×5, first 2 shown]
	v_add_f64 v[14:15], v[82:83], v[14:15]
	v_add_f64 v[14:15], v[94:95], v[14:15]
	v_mul_f64 v[14:15], v[84:85], v[14:15]
	v_add_f64 v[82:83], v[90:91], v[14:15]
	v_add_f64 v[84:85], v[82:83], -v[90:91]
	v_add_f64 v[14:15], v[14:15], -v[84:85]
	v_mul_f64 v[84:85], v[82:83], v[82:83]
	v_pk_mov_b32 v[88:89], v[18:19], v[18:19] op_sel:[0,1]
	v_fmac_f64_e32 v[88:89], s[28:29], v[84:85]
	v_pk_mov_b32 v[90:91], v[20:21], v[20:21] op_sel:[0,1]
	v_fmac_f64_e32 v[90:91], v[84:85], v[88:89]
	v_pk_mov_b32 v[88:89], v[22:23], v[22:23] op_sel:[0,1]
	v_fmac_f64_e32 v[88:89], v[84:85], v[90:91]
	v_pk_mov_b32 v[90:91], v[24:25], v[24:25] op_sel:[0,1]
	v_fmac_f64_e32 v[90:91], v[84:85], v[88:89]
	v_pk_mov_b32 v[88:89], v[26:27], v[26:27] op_sel:[0,1]
	v_fmac_f64_e32 v[88:89], v[84:85], v[90:91]
	v_pk_mov_b32 v[90:91], v[28:29], v[28:29] op_sel:[0,1]
	v_fmac_f64_e32 v[90:91], v[84:85], v[88:89]
	v_ldexp_f64 v[88:89], v[82:83], 1
	v_mul_f64 v[82:83], v[82:83], v[84:85]
	v_mul_f64 v[82:83], v[82:83], v[90:91]
	v_add_f64 v[84:85], v[88:89], v[82:83]
	v_add_f64 v[88:89], v[84:85], -v[88:89]
	v_ldexp_f64 v[14:15], v[14:15], 1
	v_add_f64 v[82:83], v[82:83], -v[88:89]
	v_add_f64 v[14:15], v[14:15], v[82:83]
	v_frexp_exp_i32_f64_e32 v1, v[86:87]
	v_add_f64 v[82:83], v[84:85], v[14:15]
	v_subbrev_co_u32_e32 v1, vcc, 0, v1, vcc
	v_add_f64 v[84:85], v[82:83], -v[84:85]
	v_add_f64 v[14:15], v[14:15], -v[84:85]
	v_cvt_f64_i32_e32 v[84:85], v1
	v_mul_f64 v[88:89], v[84:85], s[30:31]
	v_fma_f64 v[90:91], v[84:85], s[30:31], -v[88:89]
	v_fmac_f64_e32 v[90:91], s[34:35], v[84:85]
	v_add_f64 v[84:85], v[88:89], v[90:91]
	v_add_f64 v[88:89], v[84:85], -v[88:89]
	v_add_f64 v[88:89], v[90:91], -v[88:89]
	v_add_f64 v[90:91], v[84:85], v[82:83]
	v_add_f64 v[92:93], v[90:91], -v[84:85]
	v_add_f64 v[94:95], v[90:91], -v[92:93]
	;; [unrolled: 1-line block ×4, first 2 shown]
	v_add_f64 v[82:83], v[82:83], v[84:85]
	v_add_f64 v[84:85], v[88:89], v[14:15]
	v_add_f64 v[92:93], v[84:85], -v[88:89]
	v_add_f64 v[94:95], v[84:85], -v[92:93]
	v_add_f64 v[82:83], v[84:85], v[82:83]
	v_add_f64 v[88:89], v[88:89], -v[94:95]
	v_add_f64 v[14:15], v[14:15], -v[92:93]
	v_add_f64 v[84:85], v[90:91], v[82:83]
	v_add_f64 v[14:15], v[14:15], v[88:89]
	v_add_f64 v[88:89], v[84:85], -v[90:91]
	v_add_f64 v[82:83], v[82:83], -v[88:89]
	v_add_f64 v[14:15], v[14:15], v[82:83]
	v_add_f64 v[14:15], v[84:85], v[14:15]
	v_max_f64 v[82:83], |v[8:9]|, |v[8:9]|
	v_max_f64 v[84:85], |v[6:7]|, |v[6:7]|
	v_max_f64 v[88:89], v[84:85], v[82:83]
	v_min_f64 v[82:83], v[84:85], v[82:83]
	v_div_scale_f64 v[84:85], s[62:63], v[88:89], v[88:89], v[82:83]
	v_rcp_f64_e32 v[90:91], v[84:85]
	v_cmp_neq_f64_e32 vcc, 0, v[86:87]
	v_mul_f64 v[14:15], v[14:15], 0.5
	v_cndmask_b32_e32 v15, v113, v15, vcc
	v_fma_f64 v[86:87], -v[84:85], v[90:91], 1.0
	v_fmac_f64_e32 v[90:91], v[90:91], v[86:87]
	v_fma_f64 v[86:87], -v[84:85], v[90:91], 1.0
	v_cndmask_b32_e32 v14, 0, v14, vcc
	v_fmac_f64_e32 v[90:91], v[90:91], v[86:87]
	v_div_scale_f64 v[86:87], vcc, v[82:83], v[88:89], v[82:83]
	v_mul_f64 v[92:93], v[86:87], v[90:91]
	v_fma_f64 v[84:85], -v[84:85], v[92:93], v[86:87]
	v_pk_mov_b32 v[86:87], v[30:31], v[30:31] op_sel:[0,1]
	s_nop 0
	v_div_fmas_f64 v[84:85], v[84:85], v[90:91], v[92:93]
	v_div_fixup_f64 v[82:83], v[84:85], v[88:89], v[82:83]
	v_mul_f64 v[84:85], v[82:83], v[82:83]
	v_fmac_f64_e32 v[86:87], s[38:39], v[84:85]
	v_pk_mov_b32 v[88:89], v[32:33], v[32:33] op_sel:[0,1]
	v_fmac_f64_e32 v[88:89], v[84:85], v[86:87]
	v_pk_mov_b32 v[86:87], v[34:35], v[34:35] op_sel:[0,1]
	;; [unrolled: 2-line block ×18, first 2 shown]
	v_fmac_f64_e32 v[86:87], v[84:85], v[88:89]
	v_cmp_gt_i32_e32 vcc, 0, v7
	v_mul_f64 v[84:85], v[84:85], v[86:87]
	v_cmp_class_f64_e64 s[64:65], v[6:7], s77
	v_cndmask_b32_e32 v6, v116, v117, vcc
	v_fmac_f64_e32 v[82:83], v[82:83], v[84:85]
	v_bfi_b32 v16, s76, v6, v9
	v_ashrrev_i32_e32 v6, 31, v7
	v_and_b32_e32 v69, 0x400921fb, v6
	v_and_b32_e32 v84, 0x54442d18, v6
	v_add_f64 v[6:7], -v[82:83], s[40:41]
	v_cndmask_b32_e64 v7, v83, v7, s[8:9]
	v_cndmask_b32_e64 v6, v82, v6, s[8:9]
	s_mov_b32 s42, s40
	v_add_f64 v[82:83], -v[6:7], s[42:43]
	v_cmp_class_f64_e64 s[62:63], v[8:9], s77
	v_cndmask_b32_e32 v1, v114, v115, vcc
	v_cndmask_b32_e32 v7, v7, v83, vcc
	;; [unrolled: 1-line block ×3, first 2 shown]
	v_cmp_eq_f64_e32 vcc, 0, v[8:9]
	v_cndmask_b32_e32 v6, v6, v84, vcc
	v_cndmask_b32_e32 v7, v7, v69, vcc
	s_and_b64 vcc, s[62:63], s[64:65]
	v_cndmask_b32_e32 v83, v7, v16, vcc
	v_cndmask_b32_e32 v82, v6, v1, vcc
                                        ; implicit-def: $vgpr88_vgpr89
                                        ; implicit-def: $vgpr84_vgpr85
.LBB180_196:                            ;   in Loop: Header=BB180_145 Depth=1
	s_andn2_saveexec_b64 s[62:63], s[10:11]
	s_cbranch_execz .LBB180_200
; %bb.197:                              ;   in Loop: Header=BB180_145 Depth=1
	v_and_b32_e32 v69, 0x7ffffff8, v89
	v_add_f64 v[14:15], v[88:89], -v[68:69]
	v_and_b32_e32 v97, -8, v15
	v_mov_b32_e32 v96, v68
	v_and_b32_e32 v87, 0x7ffffff8, v85
	v_mov_b32_e32 v86, v68
	v_add_f64 v[100:101], v[14:15], -v[96:97]
	v_add_f64 v[14:15], v[84:85], -v[86:87]
	v_and_b32_e32 v99, -8, v15
	v_mov_b32_e32 v98, v68
	v_add_f64 v[90:91], v[68:69], v[68:69]
	v_add_f64 v[104:105], v[86:87], v[86:87]
	v_add_f64 v[102:103], v[14:15], -v[98:99]
	v_mul_f64 v[82:83], v[86:87], v[86:87]
	v_mul_f64 v[88:89], v[90:91], v[96:97]
	;; [unrolled: 1-line block ×5, first 2 shown]
	v_add_f64 v[96:97], v[96:97], v[96:97]
	v_add_f64 v[98:99], v[98:99], v[98:99]
	v_mul_f64 v[14:15], v[68:69], v[68:69]
	v_mul_f64 v[92:93], v[90:91], v[100:101]
	;; [unrolled: 1-line block ×7, first 2 shown]
	s_mov_b64 s[64:65], 0
.LBB180_198:                            ;   Parent Loop BB180_145 Depth=1
                                        ; =>  This Inner Loop Header: Depth=2
	v_cmp_nlt_f64_e32 vcc, v[14:15], v[82:83]
	v_cndmask_b32_e32 v105, v15, v83, vcc
	v_cndmask_b32_e32 v104, v14, v82, vcc
	v_cmp_nlt_f64_e64 s[10:11], v[104:105], v[88:89]
	v_cndmask_b32_e64 v107, v105, v89, s[10:11]
	v_cndmask_b32_e64 v106, v104, v88, s[10:11]
	v_cndmask_b32_e32 v15, v83, v15, vcc
	v_cndmask_b32_e32 v14, v82, v14, vcc
	s_and_b64 s[66:67], vcc, s[10:11]
	v_cmp_nlt_f64_e32 vcc, v[106:107], v[86:87]
	v_cndmask_b32_e64 v83, v89, v105, s[10:11]
	v_cndmask_b32_e64 v82, v88, v104, s[10:11]
	v_cndmask_b32_e32 v105, v107, v87, vcc
	v_cndmask_b32_e32 v104, v106, v86, vcc
	v_cmp_nlt_f64_e64 s[10:11], v[104:105], v[94:95]
	v_cndmask_b32_e32 v89, v87, v107, vcc
	v_cndmask_b32_e32 v88, v86, v106, vcc
	v_cndmask_b32_e64 v107, v105, v95, s[10:11]
	v_cndmask_b32_e64 v106, v104, v94, s[10:11]
	s_and_b64 s[78:79], vcc, s[10:11]
	v_cmp_nlt_f64_e32 vcc, v[106:107], v[84:85]
	v_cndmask_b32_e64 v87, v95, v105, s[10:11]
	v_cndmask_b32_e64 v86, v94, v104, s[10:11]
	v_cndmask_b32_e32 v105, v107, v85, vcc
	v_cndmask_b32_e32 v104, v106, v84, vcc
	v_cmp_nlt_f64_e64 s[10:11], v[104:105], v[92:93]
	v_cndmask_b32_e32 v95, v85, v107, vcc
	v_cndmask_b32_e32 v94, v84, v106, vcc
	v_cndmask_b32_e64 v107, v105, v93, s[10:11]
	v_cndmask_b32_e64 v106, v104, v92, s[10:11]
	;; [unrolled: 1-line block ×4, first 2 shown]
	s_and_b64 s[10:11], vcc, s[10:11]
	v_cmp_nlt_f64_e32 vcc, v[106:107], v[90:91]
	v_cndmask_b32_e32 v105, v107, v91, vcc
	v_cndmask_b32_e32 v104, v106, v90, vcc
	v_cndmask_b32_e32 v93, v91, v107, vcc
	v_cndmask_b32_e32 v92, v90, v106, vcc
	s_and_b64 s[10:11], s[10:11], vcc
	v_cmp_nlt_f64_e32 vcc, v[104:105], v[96:97]
	v_cndmask_b32_e32 v107, v105, v97, vcc
	v_cndmask_b32_e32 v106, v104, v96, vcc
	v_cndmask_b32_e32 v91, v97, v105, vcc
	v_cndmask_b32_e32 v90, v96, v104, vcc
	s_and_b64 s[10:11], s[10:11], vcc
	;; [unrolled: 6-line block ×4, first 2 shown]
	v_cmp_nlt_f64_e32 vcc, v[106:107], v[102:103]
	s_and_b64 s[10:11], s[10:11], vcc
	s_and_b64 s[10:11], s[10:11], s[78:79]
	s_and_b64 s[10:11], s[10:11], s[66:67]
	v_cndmask_b32_e32 v105, v107, v103, vcc
	v_cndmask_b32_e32 v104, v106, v102, vcc
	s_and_b64 s[10:11], exec, s[10:11]
	v_cndmask_b32_e32 v101, v103, v107, vcc
	v_cndmask_b32_e32 v100, v102, v106, vcc
	s_or_b64 s[64:65], s[10:11], s[64:65]
	v_pk_mov_b32 v[102:103], v[104:105], v[104:105] op_sel:[0,1]
	s_andn2_b64 exec, exec, s[64:65]
	s_cbranch_execnz .LBB180_198
; %bb.199:                              ;   in Loop: Header=BB180_145 Depth=1
	s_or_b64 exec, exec, s[64:65]
	v_add_f64 v[14:15], v[14:15], -1.0
	v_add_f64 v[14:15], v[14:15], v[82:83]
	v_add_f64 v[14:15], v[14:15], v[88:89]
	;; [unrolled: 1-line block ×11, first 2 shown]
	v_add_f64 v[14:15], v[82:83], 1.0
	v_add_f64 v[84:85], v[14:15], -1.0
	v_add_f64 v[86:87], v[84:85], -v[14:15]
	v_add_f64 v[86:87], v[86:87], 1.0
	v_add_f64 v[84:85], v[82:83], -v[84:85]
	v_add_f64 v[84:85], v[84:85], v[86:87]
	v_frexp_mant_f64_e32 v[86:87], v[14:15]
	v_frexp_exp_i32_f64_e32 v1, v[14:15]
	v_cmp_gt_f64_e32 vcc, s[26:27], v[86:87]
	v_subbrev_co_u32_e32 v1, vcc, 0, v1, vcc
	v_sub_u32_e32 v16, 0, v1
	v_ldexp_f64 v[14:15], v[14:15], v16
	v_add_f64 v[86:87], v[14:15], -1.0
	v_add_f64 v[92:93], v[14:15], 1.0
	v_add_f64 v[88:89], v[86:87], 1.0
	v_add_f64 v[94:95], v[92:93], -1.0
	v_ldexp_f64 v[84:85], v[84:85], v16
	v_add_f64 v[88:89], v[14:15], -v[88:89]
	v_add_f64 v[14:15], v[14:15], -v[94:95]
	v_add_f64 v[14:15], v[84:85], v[14:15]
	v_add_f64 v[88:89], v[84:85], v[88:89]
	;; [unrolled: 1-line block ×3, first 2 shown]
	v_rcp_f64_e32 v[94:95], v[84:85]
	v_add_f64 v[90:91], v[86:87], v[88:89]
	v_add_f64 v[86:87], v[90:91], -v[86:87]
	v_add_f64 v[86:87], v[88:89], -v[86:87]
	;; [unrolled: 1-line block ×4, first 2 shown]
	v_fma_f64 v[88:89], -v[84:85], v[94:95], 1.0
	v_fmac_f64_e32 v[94:95], v[88:89], v[94:95]
	v_fma_f64 v[88:89], -v[84:85], v[94:95], 1.0
	v_fmac_f64_e32 v[94:95], v[88:89], v[94:95]
	v_mul_f64 v[88:89], v[90:91], v[94:95]
	v_mul_f64 v[92:93], v[84:85], v[88:89]
	v_fma_f64 v[96:97], v[88:89], v[84:85], -v[92:93]
	v_fmac_f64_e32 v[96:97], v[88:89], v[14:15]
	v_add_f64 v[98:99], v[92:93], v[96:97]
	v_add_f64 v[100:101], v[90:91], -v[98:99]
	v_add_f64 v[90:91], v[90:91], -v[100:101]
	;; [unrolled: 1-line block ×4, first 2 shown]
	v_add_f64 v[86:87], v[86:87], v[90:91]
	v_add_f64 v[90:91], v[92:93], -v[96:97]
	v_add_f64 v[86:87], v[90:91], v[86:87]
	v_add_f64 v[90:91], v[100:101], v[86:87]
	v_add_f64 v[92:93], v[100:101], -v[90:91]
	v_add_f64 v[86:87], v[86:87], v[92:93]
	v_mul_f64 v[92:93], v[94:95], v[90:91]
	v_mul_f64 v[96:97], v[84:85], v[92:93]
	v_fma_f64 v[84:85], v[92:93], v[84:85], -v[96:97]
	v_fmac_f64_e32 v[84:85], v[92:93], v[14:15]
	v_add_f64 v[14:15], v[96:97], v[84:85]
	v_add_f64 v[98:99], v[90:91], -v[14:15]
	v_add_f64 v[90:91], v[90:91], -v[98:99]
	;; [unrolled: 1-line block ×4, first 2 shown]
	v_add_f64 v[14:15], v[86:87], v[14:15]
	v_add_f64 v[84:85], v[96:97], -v[84:85]
	v_add_f64 v[14:15], v[84:85], v[14:15]
	v_add_f64 v[84:85], v[88:89], v[92:93]
	;; [unrolled: 1-line block ×3, first 2 shown]
	v_add_f64 v[86:87], v[84:85], -v[88:89]
	v_mul_f64 v[14:15], v[94:95], v[14:15]
	v_add_f64 v[86:87], v[92:93], -v[86:87]
	v_add_f64 v[14:15], v[86:87], v[14:15]
	v_add_f64 v[86:87], v[84:85], v[14:15]
	v_add_f64 v[84:85], v[86:87], -v[84:85]
	v_add_f64 v[14:15], v[14:15], -v[84:85]
	v_mul_f64 v[84:85], v[86:87], v[86:87]
	v_pk_mov_b32 v[88:89], v[18:19], v[18:19] op_sel:[0,1]
	v_fmac_f64_e32 v[88:89], s[28:29], v[84:85]
	v_pk_mov_b32 v[90:91], v[20:21], v[20:21] op_sel:[0,1]
	v_fmac_f64_e32 v[90:91], v[84:85], v[88:89]
	;; [unrolled: 2-line block ×6, first 2 shown]
	v_cvt_f64_i32_e32 v[88:89], v1
	v_mul_f64 v[92:93], v[88:89], s[30:31]
	v_fma_f64 v[94:95], v[88:89], s[30:31], -v[92:93]
	v_fmac_f64_e32 v[94:95], s[34:35], v[88:89]
	v_add_f64 v[88:89], v[92:93], v[94:95]
	v_add_f64 v[92:93], v[88:89], -v[92:93]
	v_mul_f64 v[84:85], v[86:87], v[84:85]
	v_add_f64 v[92:93], v[94:95], -v[92:93]
	v_ldexp_f64 v[94:95], v[86:87], 1
	v_mul_f64 v[84:85], v[84:85], v[90:91]
	v_add_f64 v[86:87], v[94:95], v[84:85]
	v_add_f64 v[90:91], v[86:87], -v[94:95]
	v_ldexp_f64 v[14:15], v[14:15], 1
	v_add_f64 v[84:85], v[84:85], -v[90:91]
	v_add_f64 v[14:15], v[14:15], v[84:85]
	v_add_f64 v[84:85], v[86:87], v[14:15]
	v_add_f64 v[86:87], v[84:85], -v[86:87]
	v_add_f64 v[14:15], v[14:15], -v[86:87]
	v_add_f64 v[86:87], v[88:89], v[84:85]
	v_add_f64 v[90:91], v[86:87], -v[88:89]
	v_add_f64 v[94:95], v[86:87], -v[90:91]
	;; [unrolled: 1-line block ×4, first 2 shown]
	v_add_f64 v[84:85], v[84:85], v[88:89]
	v_add_f64 v[88:89], v[92:93], v[14:15]
	v_add_f64 v[90:91], v[88:89], -v[92:93]
	v_add_f64 v[84:85], v[88:89], v[84:85]
	v_add_f64 v[94:95], v[88:89], -v[90:91]
	;; [unrolled: 2-line block ×3, first 2 shown]
	v_add_f64 v[14:15], v[14:15], -v[90:91]
	v_add_f64 v[86:87], v[88:89], -v[86:87]
	v_add_f64 v[14:15], v[14:15], v[92:93]
	v_add_f64 v[84:85], v[84:85], -v[86:87]
	v_add_f64 v[14:15], v[14:15], v[84:85]
	v_max_f64 v[84:85], |v[8:9]|, |v[8:9]|
	v_max_f64 v[86:87], |v[6:7]|, |v[6:7]|
	v_add_f64 v[14:15], v[88:89], v[14:15]
	v_max_f64 v[88:89], v[86:87], v[84:85]
	v_min_f64 v[84:85], v[86:87], v[84:85]
	v_div_scale_f64 v[86:87], s[10:11], v[88:89], v[88:89], v[84:85]
	v_cmp_eq_f64_e32 vcc, s[36:37], v[82:83]
	v_rcp_f64_e32 v[90:91], v[86:87]
	v_cndmask_b32_e32 v15, v15, v83, vcc
	v_cndmask_b32_e32 v14, v14, v82, vcc
	v_mul_f64 v[14:15], v[14:15], 0.5
	v_cmp_ngt_f64_e32 vcc, -1.0, v[82:83]
	v_cndmask_b32_e32 v1, v112, v15, vcc
	v_cmp_nge_f64_e32 vcc, -1.0, v[82:83]
	v_cndmask_b32_e32 v14, 0, v14, vcc
	v_cmp_neq_f64_e32 vcc, -1.0, v[82:83]
	v_fma_f64 v[82:83], -v[86:87], v[90:91], 1.0
	v_fmac_f64_e32 v[90:91], v[90:91], v[82:83]
	v_fma_f64 v[82:83], -v[86:87], v[90:91], 1.0
	v_cndmask_b32_e32 v15, v113, v1, vcc
	v_fmac_f64_e32 v[90:91], v[90:91], v[82:83]
	v_div_scale_f64 v[82:83], vcc, v[84:85], v[88:89], v[84:85]
	v_mul_f64 v[92:93], v[82:83], v[90:91]
	v_fma_f64 v[82:83], -v[86:87], v[92:93], v[82:83]
	v_pk_mov_b32 v[86:87], v[30:31], v[30:31] op_sel:[0,1]
	s_nop 0
	v_div_fmas_f64 v[82:83], v[82:83], v[90:91], v[92:93]
	v_div_fixup_f64 v[82:83], v[82:83], v[88:89], v[84:85]
	v_mul_f64 v[84:85], v[82:83], v[82:83]
	v_fmac_f64_e32 v[86:87], s[38:39], v[84:85]
	v_pk_mov_b32 v[88:89], v[32:33], v[32:33] op_sel:[0,1]
	v_fmac_f64_e32 v[88:89], v[84:85], v[86:87]
	v_pk_mov_b32 v[86:87], v[34:35], v[34:35] op_sel:[0,1]
	;; [unrolled: 2-line block ×18, first 2 shown]
	v_fmac_f64_e32 v[86:87], v[84:85], v[88:89]
	v_cmp_gt_i32_e32 vcc, 0, v7
	v_mul_f64 v[84:85], v[84:85], v[86:87]
	v_cmp_class_f64_e64 s[64:65], v[6:7], s77
	v_cndmask_b32_e32 v6, v116, v117, vcc
	v_fmac_f64_e32 v[82:83], v[82:83], v[84:85]
	v_bfi_b32 v16, s76, v6, v9
	v_ashrrev_i32_e32 v6, 31, v7
	v_and_b32_e32 v69, 0x400921fb, v6
	v_and_b32_e32 v84, 0x54442d18, v6
	v_add_f64 v[6:7], -v[82:83], s[40:41]
	v_cndmask_b32_e64 v7, v83, v7, s[8:9]
	v_cndmask_b32_e64 v6, v82, v6, s[8:9]
	s_mov_b32 s42, s40
	v_add_f64 v[82:83], -v[6:7], s[42:43]
	v_cmp_class_f64_e64 s[10:11], v[8:9], s77
	v_cndmask_b32_e32 v1, v114, v115, vcc
	v_cndmask_b32_e32 v7, v7, v83, vcc
	;; [unrolled: 1-line block ×3, first 2 shown]
	v_cmp_eq_f64_e32 vcc, 0, v[8:9]
	v_cndmask_b32_e32 v6, v6, v84, vcc
	v_cndmask_b32_e32 v7, v7, v69, vcc
	s_and_b64 vcc, s[10:11], s[64:65]
	v_cndmask_b32_e32 v83, v7, v16, vcc
	v_cndmask_b32_e32 v82, v6, v1, vcc
.LBB180_200:                            ;   in Loop: Header=BB180_145 Depth=1
	s_or_b64 exec, exec, s[62:63]
.LBB180_201:                            ;   in Loop: Header=BB180_145 Depth=1
	s_or_b64 exec, exec, s[60:61]
.LBB180_202:                            ;   in Loop: Header=BB180_145 Depth=1
	s_andn2_saveexec_b64 s[58:59], s[58:59]
	s_cbranch_execz .LBB180_204
; %bb.203:                              ;   in Loop: Header=BB180_145 Depth=1
	v_max_f64 v[14:15], |v[8:9]|, |v[8:9]|
	v_max_f64 v[82:83], |v[6:7]|, |v[6:7]|
	v_max_f64 v[84:85], v[82:83], v[14:15]
	v_frexp_exp_i32_f64_e32 v1, v[84:85]
	v_sub_u32_e32 v16, 0, v1
	v_ldexp_f64 v[88:89], |v[8:9]|, v16
	v_ldexp_f64 v[86:87], |v[6:7]|, v16
	v_mul_f64 v[88:89], v[88:89], v[88:89]
	v_fmac_f64_e32 v[88:89], v[86:87], v[86:87]
	v_rsq_f64_e32 v[86:87], v[88:89]
	v_cmp_eq_f64_e32 vcc, 0, v[88:89]
	v_cmp_class_f64_e64 s[60:61], v[6:7], s77
	v_cmp_class_f64_e64 s[62:63], v[8:9], s77
	v_mul_f64 v[90:91], v[88:89], v[86:87]
	v_mul_f64 v[86:87], v[86:87], 0.5
	v_fma_f64 v[92:93], -v[86:87], v[90:91], 0.5
	v_fmac_f64_e32 v[90:91], v[90:91], v[92:93]
	v_fmac_f64_e32 v[86:87], v[86:87], v[92:93]
	v_fma_f64 v[92:93], -v[90:91], v[90:91], v[88:89]
	v_fmac_f64_e32 v[90:91], v[92:93], v[86:87]
	v_cndmask_b32_e32 v87, v91, v89, vcc
	v_cndmask_b32_e32 v86, v90, v88, vcc
	v_ldexp_f64 v[86:87], v[86:87], v1
	s_or_b64 vcc, s[62:63], s[60:61]
	v_cndmask_b32_e32 v89, v87, v119, vcc
	v_cndmask_b32_e64 v88, v86, 0, vcc
	v_frexp_mant_f64_e32 v[90:91], v[88:89]
	v_cmp_gt_f64_e64 s[10:11], s[26:27], v[90:91]
	v_cndmask_b32_e64 v69, v118, 2.0, s[10:11]
	v_mul_f64 v[90:91], v[90:91], v[68:69]
	v_add_f64 v[92:93], v[90:91], 1.0
	v_rcp_f64_e32 v[94:95], v[92:93]
	v_add_f64 v[98:99], v[92:93], -1.0
	v_add_f64 v[96:97], v[90:91], -1.0
	v_add_f64 v[90:91], v[90:91], -v[98:99]
	v_fma_f64 v[98:99], -v[92:93], v[94:95], 1.0
	v_fmac_f64_e32 v[94:95], v[98:99], v[94:95]
	v_fma_f64 v[98:99], -v[92:93], v[94:95], 1.0
	v_fmac_f64_e32 v[94:95], v[98:99], v[94:95]
	v_mul_f64 v[98:99], v[96:97], v[94:95]
	v_mul_f64 v[100:101], v[92:93], v[98:99]
	v_fma_f64 v[92:93], v[98:99], v[92:93], -v[100:101]
	v_fmac_f64_e32 v[92:93], v[98:99], v[90:91]
	v_add_f64 v[90:91], v[100:101], v[92:93]
	v_add_f64 v[102:103], v[96:97], -v[90:91]
	v_add_f64 v[100:101], v[90:91], -v[100:101]
	;; [unrolled: 1-line block ×5, first 2 shown]
	v_add_f64 v[90:91], v[92:93], v[90:91]
	v_add_f64 v[90:91], v[102:103], v[90:91]
	v_mul_f64 v[90:91], v[94:95], v[90:91]
	v_add_f64 v[92:93], v[98:99], v[90:91]
	v_add_f64 v[94:95], v[92:93], -v[98:99]
	v_add_f64 v[90:91], v[90:91], -v[94:95]
	v_mul_f64 v[94:95], v[92:93], v[92:93]
	v_pk_mov_b32 v[96:97], v[18:19], v[18:19] op_sel:[0,1]
	v_fmac_f64_e32 v[96:97], s[28:29], v[94:95]
	v_pk_mov_b32 v[98:99], v[20:21], v[20:21] op_sel:[0,1]
	v_fmac_f64_e32 v[98:99], v[94:95], v[96:97]
	;; [unrolled: 2-line block ×6, first 2 shown]
	v_ldexp_f64 v[96:97], v[92:93], 1
	v_mul_f64 v[92:93], v[92:93], v[94:95]
	v_mul_f64 v[92:93], v[92:93], v[98:99]
	v_add_f64 v[94:95], v[96:97], v[92:93]
	v_add_f64 v[96:97], v[94:95], -v[96:97]
	v_ldexp_f64 v[90:91], v[90:91], 1
	v_add_f64 v[92:93], v[92:93], -v[96:97]
	v_add_f64 v[90:91], v[90:91], v[92:93]
	v_frexp_exp_i32_f64_e32 v1, v[88:89]
	v_add_f64 v[92:93], v[94:95], v[90:91]
	v_subbrev_co_u32_e64 v1, s[10:11], 0, v1, s[10:11]
	v_add_f64 v[94:95], v[92:93], -v[94:95]
	v_add_f64 v[90:91], v[90:91], -v[94:95]
	v_cvt_f64_i32_e32 v[94:95], v1
	v_mul_f64 v[96:97], v[94:95], s[30:31]
	v_fma_f64 v[98:99], v[94:95], s[30:31], -v[96:97]
	v_fmac_f64_e32 v[98:99], s[34:35], v[94:95]
	v_add_f64 v[94:95], v[96:97], v[98:99]
	v_add_f64 v[96:97], v[94:95], -v[96:97]
	v_add_f64 v[96:97], v[98:99], -v[96:97]
	v_add_f64 v[98:99], v[94:95], v[92:93]
	v_add_f64 v[100:101], v[98:99], -v[94:95]
	v_add_f64 v[102:103], v[98:99], -v[100:101]
	v_add_f64 v[94:95], v[94:95], -v[102:103]
	v_add_f64 v[92:93], v[92:93], -v[100:101]
	v_add_f64 v[92:93], v[92:93], v[94:95]
	v_add_f64 v[94:95], v[96:97], v[90:91]
	v_add_f64 v[100:101], v[94:95], -v[96:97]
	v_add_f64 v[102:103], v[94:95], -v[100:101]
	v_add_f64 v[92:93], v[94:95], v[92:93]
	v_add_f64 v[96:97], v[96:97], -v[102:103]
	v_add_f64 v[90:91], v[90:91], -v[100:101]
	v_add_f64 v[94:95], v[98:99], v[92:93]
	v_add_f64 v[90:91], v[90:91], v[96:97]
	v_add_f64 v[96:97], v[94:95], -v[98:99]
	v_add_f64 v[92:93], v[92:93], -v[96:97]
	v_add_f64 v[90:91], v[90:91], v[92:93]
	v_add_f64 v[90:91], v[94:95], v[90:91]
	v_cmp_class_f64_e64 s[10:11], v[86:87], s77
	v_min_f64 v[82:83], v[82:83], v[14:15]
	v_cndmask_b32_e64 v1, v91, v87, s[10:11]
	v_cndmask_b32_e64 v6, v90, v86, s[10:11]
	v_div_scale_f64 v[86:87], s[10:11], v[84:85], v[84:85], v[82:83]
	v_rcp_f64_e32 v[90:91], v[86:87]
	v_cndmask_b32_e64 v6, v6, 0, vcc
	v_cndmask_b32_e32 v1, v1, v119, vcc
	v_cmp_ngt_f64_e32 vcc, 0, v[88:89]
	v_cndmask_b32_e32 v1, v112, v1, vcc
	v_cmp_nge_f64_e32 vcc, 0, v[88:89]
	v_cndmask_b32_e32 v14, 0, v6, vcc
	v_cmp_neq_f64_e32 vcc, 0, v[88:89]
	v_fma_f64 v[88:89], -v[86:87], v[90:91], 1.0
	v_fmac_f64_e32 v[90:91], v[90:91], v[88:89]
	v_fma_f64 v[88:89], -v[86:87], v[90:91], 1.0
	v_cndmask_b32_e32 v15, v113, v1, vcc
	v_fmac_f64_e32 v[90:91], v[90:91], v[88:89]
	v_div_scale_f64 v[88:89], vcc, v[82:83], v[84:85], v[82:83]
	v_mul_f64 v[92:93], v[88:89], v[90:91]
	v_fma_f64 v[86:87], -v[86:87], v[92:93], v[88:89]
	v_pk_mov_b32 v[88:89], v[32:33], v[32:33] op_sel:[0,1]
	s_nop 0
	v_div_fmas_f64 v[86:87], v[86:87], v[90:91], v[92:93]
	v_div_fixup_f64 v[82:83], v[86:87], v[84:85], v[82:83]
	v_mul_f64 v[84:85], v[82:83], v[82:83]
	v_pk_mov_b32 v[86:87], v[30:31], v[30:31] op_sel:[0,1]
	v_fmac_f64_e32 v[86:87], s[38:39], v[84:85]
	v_fmac_f64_e32 v[88:89], v[84:85], v[86:87]
	v_pk_mov_b32 v[86:87], v[34:35], v[34:35] op_sel:[0,1]
	v_fmac_f64_e32 v[86:87], v[84:85], v[88:89]
	v_pk_mov_b32 v[88:89], v[36:37], v[36:37] op_sel:[0,1]
	;; [unrolled: 2-line block ×17, first 2 shown]
	v_fmac_f64_e32 v[86:87], v[84:85], v[88:89]
	v_cmp_gt_i32_e32 vcc, 0, v7
	v_mul_f64 v[84:85], v[84:85], v[86:87]
	v_cndmask_b32_e32 v6, v116, v117, vcc
	v_fmac_f64_e32 v[82:83], v[82:83], v[84:85]
	v_bfi_b32 v16, s76, v6, v9
	v_ashrrev_i32_e32 v6, 31, v7
	v_and_b32_e32 v69, 0x400921fb, v6
	v_and_b32_e32 v84, 0x54442d18, v6
	v_add_f64 v[6:7], -v[82:83], s[40:41]
	v_cndmask_b32_e64 v7, v83, v7, s[8:9]
	v_cndmask_b32_e64 v6, v82, v6, s[8:9]
	s_mov_b32 s42, s40
	v_add_f64 v[82:83], -v[6:7], s[42:43]
	v_cndmask_b32_e32 v1, v114, v115, vcc
	v_cndmask_b32_e32 v7, v7, v83, vcc
	;; [unrolled: 1-line block ×3, first 2 shown]
	v_cmp_eq_f64_e32 vcc, 0, v[8:9]
	v_cndmask_b32_e32 v6, v6, v84, vcc
	v_cndmask_b32_e32 v7, v7, v69, vcc
	s_and_b64 vcc, s[62:63], s[60:61]
	v_cndmask_b32_e32 v83, v7, v16, vcc
	v_cndmask_b32_e32 v82, v6, v1, vcc
.LBB180_204:                            ;   in Loop: Header=BB180_145 Depth=1
	s_or_b64 exec, exec, s[58:59]
                                        ; implicit-def: $vgpr84_vgpr85
.LBB180_205:                            ;   in Loop: Header=BB180_145 Depth=1
	s_andn2_saveexec_b64 s[10:11], s[56:57]
	s_cbranch_execz .LBB180_211
; %bb.206:                              ;   in Loop: Header=BB180_145 Depth=1
	v_cmp_ngt_f64_e32 vcc, s[46:47], v[84:85]
                                        ; implicit-def: $vgpr14_vgpr15
                                        ; implicit-def: $vgpr82_vgpr83
	s_and_saveexec_b64 s[56:57], vcc
	s_xor_b64 s[56:57], exec, s[56:57]
	s_cbranch_execz .LBB180_208
; %bb.207:                              ;   in Loop: Header=BB180_145 Depth=1
	v_mul_f64 v[14:15], v[84:85], v[84:85]
	v_add_f64 v[82:83], v[14:15], 1.0
	v_add_f64 v[84:85], v[82:83], -1.0
	v_add_f64 v[86:87], v[84:85], -v[82:83]
	v_add_f64 v[86:87], v[86:87], 1.0
	v_add_f64 v[84:85], v[14:15], -v[84:85]
	v_add_f64 v[84:85], v[84:85], v[86:87]
	v_frexp_mant_f64_e32 v[86:87], v[82:83]
	v_frexp_exp_i32_f64_e32 v1, v[82:83]
	v_cmp_gt_f64_e32 vcc, s[26:27], v[86:87]
	v_subbrev_co_u32_e32 v1, vcc, 0, v1, vcc
	v_sub_u32_e32 v16, 0, v1
	v_ldexp_f64 v[82:83], v[82:83], v16
	v_add_f64 v[86:87], v[82:83], -1.0
	v_add_f64 v[92:93], v[82:83], 1.0
	v_add_f64 v[88:89], v[86:87], 1.0
	v_add_f64 v[94:95], v[92:93], -1.0
	v_ldexp_f64 v[84:85], v[84:85], v16
	v_add_f64 v[88:89], v[82:83], -v[88:89]
	v_add_f64 v[82:83], v[82:83], -v[94:95]
	v_add_f64 v[82:83], v[84:85], v[82:83]
	v_add_f64 v[88:89], v[84:85], v[88:89]
	;; [unrolled: 1-line block ×3, first 2 shown]
	v_rcp_f64_e32 v[94:95], v[84:85]
	v_add_f64 v[90:91], v[86:87], v[88:89]
	v_add_f64 v[86:87], v[86:87], -v[90:91]
	v_add_f64 v[86:87], v[88:89], v[86:87]
	v_add_f64 v[88:89], v[92:93], -v[84:85]
	v_add_f64 v[82:83], v[82:83], v[88:89]
	v_fma_f64 v[88:89], -v[84:85], v[94:95], 1.0
	v_fmac_f64_e32 v[94:95], v[88:89], v[94:95]
	v_fma_f64 v[88:89], -v[84:85], v[94:95], 1.0
	v_fmac_f64_e32 v[94:95], v[88:89], v[94:95]
	v_mul_f64 v[88:89], v[90:91], v[94:95]
	v_mul_f64 v[92:93], v[84:85], v[88:89]
	v_fma_f64 v[96:97], v[88:89], v[84:85], -v[92:93]
	v_fmac_f64_e32 v[96:97], v[88:89], v[82:83]
	v_add_f64 v[98:99], v[92:93], v[96:97]
	v_add_f64 v[100:101], v[90:91], -v[98:99]
	v_add_f64 v[90:91], v[90:91], -v[100:101]
	;; [unrolled: 1-line block ×4, first 2 shown]
	v_add_f64 v[86:87], v[86:87], v[90:91]
	v_add_f64 v[90:91], v[92:93], -v[96:97]
	v_add_f64 v[86:87], v[90:91], v[86:87]
	v_add_f64 v[90:91], v[100:101], v[86:87]
	v_add_f64 v[92:93], v[100:101], -v[90:91]
	v_add_f64 v[86:87], v[86:87], v[92:93]
	v_mul_f64 v[92:93], v[94:95], v[90:91]
	v_mul_f64 v[96:97], v[84:85], v[92:93]
	v_fma_f64 v[84:85], v[92:93], v[84:85], -v[96:97]
	v_fmac_f64_e32 v[84:85], v[92:93], v[82:83]
	v_add_f64 v[82:83], v[96:97], v[84:85]
	v_add_f64 v[98:99], v[90:91], -v[82:83]
	v_add_f64 v[90:91], v[90:91], -v[98:99]
	;; [unrolled: 1-line block ×4, first 2 shown]
	v_add_f64 v[82:83], v[86:87], v[82:83]
	v_add_f64 v[84:85], v[96:97], -v[84:85]
	v_add_f64 v[82:83], v[84:85], v[82:83]
	v_add_f64 v[84:85], v[88:89], v[92:93]
	;; [unrolled: 1-line block ×3, first 2 shown]
	v_add_f64 v[86:87], v[84:85], -v[88:89]
	v_mul_f64 v[82:83], v[94:95], v[82:83]
	v_add_f64 v[86:87], v[92:93], -v[86:87]
	v_add_f64 v[82:83], v[86:87], v[82:83]
	v_add_f64 v[86:87], v[84:85], v[82:83]
	v_add_f64 v[84:85], v[86:87], -v[84:85]
	v_add_f64 v[82:83], v[82:83], -v[84:85]
	v_mul_f64 v[84:85], v[86:87], v[86:87]
	v_pk_mov_b32 v[88:89], v[18:19], v[18:19] op_sel:[0,1]
	v_fmac_f64_e32 v[88:89], s[28:29], v[84:85]
	v_pk_mov_b32 v[90:91], v[20:21], v[20:21] op_sel:[0,1]
	v_fmac_f64_e32 v[90:91], v[84:85], v[88:89]
	;; [unrolled: 2-line block ×6, first 2 shown]
	v_cvt_f64_i32_e32 v[88:89], v1
	v_mul_f64 v[92:93], v[88:89], s[30:31]
	v_fma_f64 v[94:95], v[88:89], s[30:31], -v[92:93]
	v_fmac_f64_e32 v[94:95], s[34:35], v[88:89]
	v_add_f64 v[88:89], v[92:93], v[94:95]
	v_add_f64 v[92:93], v[88:89], -v[92:93]
	v_mul_f64 v[84:85], v[86:87], v[84:85]
	v_add_f64 v[92:93], v[94:95], -v[92:93]
	v_ldexp_f64 v[94:95], v[86:87], 1
	v_mul_f64 v[84:85], v[84:85], v[90:91]
	v_add_f64 v[86:87], v[94:95], v[84:85]
	v_add_f64 v[90:91], v[86:87], -v[94:95]
	v_ldexp_f64 v[82:83], v[82:83], 1
	v_add_f64 v[84:85], v[84:85], -v[90:91]
	v_add_f64 v[82:83], v[82:83], v[84:85]
	v_add_f64 v[84:85], v[86:87], v[82:83]
	v_add_f64 v[86:87], v[84:85], -v[86:87]
	v_add_f64 v[82:83], v[82:83], -v[86:87]
	v_add_f64 v[86:87], v[88:89], v[84:85]
	v_add_f64 v[90:91], v[86:87], -v[88:89]
	v_add_f64 v[94:95], v[86:87], -v[90:91]
	;; [unrolled: 1-line block ×4, first 2 shown]
	v_add_f64 v[84:85], v[84:85], v[88:89]
	v_add_f64 v[88:89], v[92:93], v[82:83]
	v_add_f64 v[90:91], v[88:89], -v[92:93]
	v_add_f64 v[84:85], v[88:89], v[84:85]
	v_add_f64 v[94:95], v[88:89], -v[90:91]
	;; [unrolled: 2-line block ×3, first 2 shown]
	v_add_f64 v[82:83], v[82:83], -v[90:91]
	v_add_f64 v[86:87], v[88:89], -v[86:87]
	v_add_f64 v[82:83], v[82:83], v[92:93]
	v_add_f64 v[84:85], v[84:85], -v[86:87]
	v_add_f64 v[82:83], v[82:83], v[84:85]
	v_max_f64 v[84:85], |v[8:9]|, |v[8:9]|
	v_max_f64 v[86:87], |v[6:7]|, |v[6:7]|
	v_add_f64 v[82:83], v[88:89], v[82:83]
	v_max_f64 v[88:89], v[86:87], v[84:85]
	v_min_f64 v[84:85], v[86:87], v[84:85]
	v_div_scale_f64 v[86:87], s[58:59], v[88:89], v[88:89], v[84:85]
	v_rcp_f64_e32 v[90:91], v[86:87]
	v_cmp_eq_f64_e32 vcc, s[36:37], v[14:15]
	v_cndmask_b32_e32 v15, v83, v15, vcc
	v_cndmask_b32_e32 v14, v82, v14, vcc
	v_fma_f64 v[82:83], -v[86:87], v[90:91], 1.0
	v_fmac_f64_e32 v[90:91], v[90:91], v[82:83]
	v_fma_f64 v[82:83], -v[86:87], v[90:91], 1.0
	v_fmac_f64_e32 v[90:91], v[90:91], v[82:83]
	v_div_scale_f64 v[82:83], vcc, v[84:85], v[88:89], v[84:85]
	v_mul_f64 v[92:93], v[82:83], v[90:91]
	v_fma_f64 v[82:83], -v[86:87], v[92:93], v[82:83]
	v_pk_mov_b32 v[86:87], v[30:31], v[30:31] op_sel:[0,1]
	s_nop 0
	v_div_fmas_f64 v[82:83], v[82:83], v[90:91], v[92:93]
	v_div_fixup_f64 v[82:83], v[82:83], v[88:89], v[84:85]
	v_mul_f64 v[84:85], v[82:83], v[82:83]
	v_fmac_f64_e32 v[86:87], s[38:39], v[84:85]
	v_pk_mov_b32 v[88:89], v[32:33], v[32:33] op_sel:[0,1]
	v_fmac_f64_e32 v[88:89], v[84:85], v[86:87]
	v_pk_mov_b32 v[86:87], v[34:35], v[34:35] op_sel:[0,1]
	;; [unrolled: 2-line block ×18, first 2 shown]
	v_fmac_f64_e32 v[86:87], v[84:85], v[88:89]
	v_cmp_gt_i32_e32 vcc, 0, v7
	v_mul_f64 v[84:85], v[84:85], v[86:87]
	v_cmp_class_f64_e64 s[60:61], v[6:7], s77
	v_cndmask_b32_e32 v6, v116, v117, vcc
	v_fmac_f64_e32 v[82:83], v[82:83], v[84:85]
	v_bfi_b32 v16, s76, v6, v9
	v_ashrrev_i32_e32 v6, 31, v7
	v_and_b32_e32 v69, 0x400921fb, v6
	v_and_b32_e32 v84, 0x54442d18, v6
	v_add_f64 v[6:7], -v[82:83], s[40:41]
	v_cndmask_b32_e64 v7, v83, v7, s[8:9]
	v_cndmask_b32_e64 v6, v82, v6, s[8:9]
	s_mov_b32 s42, s40
	v_add_f64 v[82:83], -v[6:7], s[42:43]
	v_cmp_class_f64_e64 s[58:59], v[8:9], s77
	v_cndmask_b32_e32 v1, v114, v115, vcc
	v_cndmask_b32_e32 v7, v7, v83, vcc
	;; [unrolled: 1-line block ×3, first 2 shown]
	v_cmp_eq_f64_e32 vcc, 0, v[8:9]
	v_cndmask_b32_e32 v6, v6, v84, vcc
	v_cndmask_b32_e32 v7, v7, v69, vcc
	s_and_b64 vcc, s[58:59], s[60:61]
	v_mul_f64 v[14:15], v[14:15], 0.5
	v_cndmask_b32_e32 v83, v7, v16, vcc
	v_cndmask_b32_e32 v82, v6, v1, vcc
                                        ; implicit-def: $vgpr84_vgpr85
.LBB180_208:                            ;   in Loop: Header=BB180_145 Depth=1
	s_andn2_saveexec_b64 s[56:57], s[56:57]
	s_cbranch_execz .LBB180_210
; %bb.209:                              ;   in Loop: Header=BB180_145 Depth=1
	v_max_f64 v[14:15], |v[8:9]|, |v[8:9]|
	v_max_f64 v[82:83], |v[6:7]|, |v[6:7]|
	v_max_f64 v[86:87], v[82:83], v[14:15]
	v_min_f64 v[82:83], v[82:83], v[14:15]
	v_div_scale_f64 v[88:89], s[58:59], v[86:87], v[86:87], v[82:83]
	v_rcp_f64_e32 v[90:91], v[88:89]
	v_mul_f64 v[14:15], v[84:85], 0.5
	v_mul_f64 v[14:15], v[84:85], v[14:15]
	v_cmp_class_f64_e64 s[60:61], v[6:7], s77
	v_fma_f64 v[84:85], -v[88:89], v[90:91], 1.0
	v_fmac_f64_e32 v[90:91], v[90:91], v[84:85]
	v_fma_f64 v[84:85], -v[88:89], v[90:91], 1.0
	v_fmac_f64_e32 v[90:91], v[90:91], v[84:85]
	v_div_scale_f64 v[84:85], vcc, v[82:83], v[86:87], v[82:83]
	v_mul_f64 v[92:93], v[84:85], v[90:91]
	v_fma_f64 v[84:85], -v[88:89], v[92:93], v[84:85]
	v_pk_mov_b32 v[88:89], v[32:33], v[32:33] op_sel:[0,1]
	s_nop 0
	v_div_fmas_f64 v[84:85], v[84:85], v[90:91], v[92:93]
	v_div_fixup_f64 v[82:83], v[84:85], v[86:87], v[82:83]
	v_mul_f64 v[84:85], v[82:83], v[82:83]
	v_pk_mov_b32 v[86:87], v[30:31], v[30:31] op_sel:[0,1]
	v_fmac_f64_e32 v[86:87], s[38:39], v[84:85]
	v_fmac_f64_e32 v[88:89], v[84:85], v[86:87]
	v_pk_mov_b32 v[86:87], v[34:35], v[34:35] op_sel:[0,1]
	v_fmac_f64_e32 v[86:87], v[84:85], v[88:89]
	v_pk_mov_b32 v[88:89], v[36:37], v[36:37] op_sel:[0,1]
	;; [unrolled: 2-line block ×17, first 2 shown]
	v_fmac_f64_e32 v[86:87], v[84:85], v[88:89]
	v_cmp_gt_i32_e32 vcc, 0, v7
	v_mul_f64 v[84:85], v[84:85], v[86:87]
	v_cndmask_b32_e32 v6, v116, v117, vcc
	v_fmac_f64_e32 v[82:83], v[82:83], v[84:85]
	v_bfi_b32 v16, s76, v6, v9
	v_ashrrev_i32_e32 v6, 31, v7
	v_and_b32_e32 v69, 0x400921fb, v6
	v_and_b32_e32 v84, 0x54442d18, v6
	v_add_f64 v[6:7], -v[82:83], s[40:41]
	v_cndmask_b32_e64 v7, v83, v7, s[8:9]
	v_cndmask_b32_e64 v6, v82, v6, s[8:9]
	s_mov_b32 s42, s40
	v_add_f64 v[82:83], -v[6:7], s[42:43]
	v_cmp_class_f64_e64 s[58:59], v[8:9], s77
	v_cndmask_b32_e32 v1, v114, v115, vcc
	v_cndmask_b32_e32 v7, v7, v83, vcc
	;; [unrolled: 1-line block ×3, first 2 shown]
	v_cmp_eq_f64_e32 vcc, 0, v[8:9]
	v_cndmask_b32_e32 v6, v6, v84, vcc
	v_cndmask_b32_e32 v7, v7, v69, vcc
	s_and_b64 vcc, s[58:59], s[60:61]
	v_cndmask_b32_e32 v83, v7, v16, vcc
	v_cndmask_b32_e32 v82, v6, v1, vcc
.LBB180_210:                            ;   in Loop: Header=BB180_145 Depth=1
	s_or_b64 exec, exec, s[56:57]
.LBB180_211:                            ;   in Loop: Header=BB180_145 Depth=1
	s_or_b64 exec, exec, s[10:11]
.LBB180_212:                            ;   in Loop: Header=BB180_145 Depth=1
	s_andn2_saveexec_b64 s[56:57], s[12:13]
	s_cbranch_execz .LBB180_214
; %bb.213:                              ;   in Loop: Header=BB180_145 Depth=1
	v_div_scale_f64 v[14:15], s[10:11], s[48:49], s[48:49], v[6:7]
	v_rcp_f64_e32 v[82:83], v[14:15]
	v_div_scale_f64 v[84:85], vcc, v[6:7], s[48:49], v[6:7]
	s_mov_b32 s42, s40
	v_fma_f64 v[86:87], -v[14:15], v[82:83], 1.0
	v_fmac_f64_e32 v[82:83], v[82:83], v[86:87]
	v_fma_f64 v[86:87], -v[14:15], v[82:83], 1.0
	v_fmac_f64_e32 v[82:83], v[82:83], v[86:87]
	v_mul_f64 v[86:87], v[84:85], v[82:83]
	v_fma_f64 v[14:15], -v[14:15], v[86:87], v[84:85]
	v_div_scale_f64 v[84:85], s[10:11], s[48:49], s[48:49], v[8:9]
	v_rcp_f64_e32 v[88:89], v[84:85]
	v_div_fmas_f64 v[14:15], v[14:15], v[82:83], v[86:87]
	v_div_fixup_f64 v[14:15], v[14:15], s[48:49], v[6:7]
	v_cmp_class_f64_e64 s[12:13], v[14:15], s77
	v_fma_f64 v[82:83], -v[84:85], v[88:89], 1.0
	v_fmac_f64_e32 v[88:89], v[88:89], v[82:83]
	v_fma_f64 v[82:83], -v[84:85], v[88:89], 1.0
	v_fmac_f64_e32 v[88:89], v[88:89], v[82:83]
	v_div_scale_f64 v[82:83], vcc, v[8:9], s[48:49], v[8:9]
	v_mul_f64 v[86:87], v[82:83], v[88:89]
	v_fma_f64 v[82:83], -v[84:85], v[86:87], v[82:83]
	s_nop 1
	v_div_fmas_f64 v[82:83], v[82:83], v[88:89], v[86:87]
	v_div_fixup_f64 v[82:83], v[82:83], s[48:49], v[8:9]
	v_max_f64 v[84:85], |v[14:15]|, |v[82:83]|
	v_frexp_exp_i32_f64_e32 v1, v[84:85]
	v_sub_u32_e32 v16, 0, v1
	v_ldexp_f64 v[86:87], |v[82:83]|, v16
	v_ldexp_f64 v[84:85], |v[14:15]|, v16
	v_mul_f64 v[86:87], v[86:87], v[86:87]
	v_fmac_f64_e32 v[86:87], v[84:85], v[84:85]
	v_rsq_f64_e32 v[84:85], v[86:87]
	v_cmp_eq_f64_e32 vcc, 0, v[86:87]
	v_cmp_o_f64_e64 s[10:11], v[14:15], v[82:83]
	v_cmp_class_f64_e64 s[58:59], v[82:83], s77
	v_mul_f64 v[88:89], v[86:87], v[84:85]
	v_mul_f64 v[84:85], v[84:85], 0.5
	v_fma_f64 v[90:91], -v[84:85], v[88:89], 0.5
	v_fmac_f64_e32 v[88:89], v[88:89], v[90:91]
	v_fmac_f64_e32 v[84:85], v[84:85], v[90:91]
	v_fma_f64 v[90:91], -v[88:89], v[88:89], v[86:87]
	v_fmac_f64_e32 v[88:89], v[90:91], v[84:85]
	v_cndmask_b32_e32 v85, v89, v87, vcc
	v_cndmask_b32_e32 v84, v88, v86, vcc
	v_ldexp_f64 v[84:85], v[84:85], v1
	v_cndmask_b32_e64 v1, 0, v84, s[10:11]
	v_cndmask_b32_e64 v16, v112, v85, s[10:11]
	s_or_b64 vcc, s[58:59], s[12:13]
	v_cndmask_b32_e32 v83, v16, v119, vcc
	v_cndmask_b32_e64 v82, v1, 0, vcc
	v_frexp_mant_f64_e32 v[14:15], v[82:83]
	v_cmp_gt_f64_e64 s[12:13], s[26:27], v[14:15]
	v_cndmask_b32_e64 v69, v118, 2.0, s[12:13]
	v_frexp_exp_i32_f64_e32 v86, v[82:83]
	v_mul_f64 v[14:15], v[14:15], v[68:69]
	v_subbrev_co_u32_e64 v69, s[12:13], 0, v86, s[12:13]
	v_add_f64 v[86:87], v[14:15], 1.0
	v_rcp_f64_e32 v[88:89], v[86:87]
	v_add_f64 v[92:93], v[86:87], -1.0
	v_add_f64 v[90:91], v[14:15], -1.0
	v_add_f64 v[14:15], v[14:15], -v[92:93]
	v_fma_f64 v[92:93], -v[86:87], v[88:89], 1.0
	v_fmac_f64_e32 v[88:89], v[92:93], v[88:89]
	v_fma_f64 v[92:93], -v[86:87], v[88:89], 1.0
	v_fmac_f64_e32 v[88:89], v[92:93], v[88:89]
	v_mul_f64 v[92:93], v[90:91], v[88:89]
	v_mul_f64 v[94:95], v[86:87], v[92:93]
	v_fma_f64 v[86:87], v[92:93], v[86:87], -v[94:95]
	v_fmac_f64_e32 v[86:87], v[92:93], v[14:15]
	v_add_f64 v[14:15], v[94:95], v[86:87]
	v_add_f64 v[96:97], v[90:91], -v[14:15]
	v_add_f64 v[94:95], v[14:15], -v[94:95]
	;; [unrolled: 1-line block ×5, first 2 shown]
	v_add_f64 v[14:15], v[86:87], v[14:15]
	v_add_f64 v[14:15], v[96:97], v[14:15]
	v_mul_f64 v[14:15], v[88:89], v[14:15]
	v_add_f64 v[86:87], v[92:93], v[14:15]
	v_add_f64 v[88:89], v[86:87], -v[92:93]
	v_add_f64 v[14:15], v[14:15], -v[88:89]
	v_mul_f64 v[88:89], v[86:87], v[86:87]
	v_pk_mov_b32 v[90:91], v[18:19], v[18:19] op_sel:[0,1]
	v_fmac_f64_e32 v[90:91], s[28:29], v[88:89]
	v_pk_mov_b32 v[92:93], v[20:21], v[20:21] op_sel:[0,1]
	v_fmac_f64_e32 v[92:93], v[88:89], v[90:91]
	;; [unrolled: 2-line block ×6, first 2 shown]
	v_ldexp_f64 v[90:91], v[86:87], 1
	v_mul_f64 v[86:87], v[86:87], v[88:89]
	v_mul_f64 v[86:87], v[86:87], v[92:93]
	v_add_f64 v[88:89], v[90:91], v[86:87]
	v_add_f64 v[90:91], v[88:89], -v[90:91]
	v_ldexp_f64 v[14:15], v[14:15], 1
	v_add_f64 v[86:87], v[86:87], -v[90:91]
	v_add_f64 v[14:15], v[14:15], v[86:87]
	v_add_f64 v[86:87], v[88:89], v[14:15]
	v_add_f64 v[88:89], v[86:87], -v[88:89]
	v_add_f64 v[14:15], v[14:15], -v[88:89]
	v_cvt_f64_i32_e32 v[88:89], v69
	v_mul_f64 v[90:91], v[88:89], s[30:31]
	v_fma_f64 v[92:93], v[88:89], s[30:31], -v[90:91]
	v_fmac_f64_e32 v[92:93], s[34:35], v[88:89]
	v_add_f64 v[88:89], v[90:91], v[92:93]
	v_add_f64 v[90:91], v[88:89], -v[90:91]
	v_add_f64 v[90:91], v[92:93], -v[90:91]
	v_add_f64 v[92:93], v[88:89], v[86:87]
	v_add_f64 v[94:95], v[92:93], -v[88:89]
	v_add_f64 v[96:97], v[92:93], -v[94:95]
	;; [unrolled: 1-line block ×4, first 2 shown]
	v_add_f64 v[86:87], v[86:87], v[88:89]
	v_add_f64 v[88:89], v[90:91], v[14:15]
	v_add_f64 v[94:95], v[88:89], -v[90:91]
	v_add_f64 v[96:97], v[88:89], -v[94:95]
	v_add_f64 v[86:87], v[88:89], v[86:87]
	v_add_f64 v[90:91], v[90:91], -v[96:97]
	v_add_f64 v[14:15], v[14:15], -v[94:95]
	v_add_f64 v[88:89], v[92:93], v[86:87]
	v_add_f64 v[14:15], v[14:15], v[90:91]
	v_add_f64 v[90:91], v[88:89], -v[92:93]
	v_add_f64 v[86:87], v[86:87], -v[90:91]
	v_and_b32_e32 v85, 0x7fffffff, v85
	v_add_f64 v[14:15], v[14:15], v[86:87]
	v_cmp_eq_f64_e64 s[12:13], s[36:37], v[84:85]
	v_add_f64 v[14:15], v[88:89], v[14:15]
	s_and_b64 s[10:11], s[10:11], s[12:13]
	v_cndmask_b32_e64 v15, v15, v16, s[10:11]
	v_cndmask_b32_e64 v14, v14, v1, s[10:11]
	v_add_f64 v[14:15], v[14:15], 1.0
	v_cndmask_b32_e64 v1, v14, 0, vcc
	v_cndmask_b32_e32 v14, v15, v119, vcc
	v_cmp_ngt_f64_e32 vcc, 0, v[82:83]
	v_cndmask_b32_e32 v16, v112, v14, vcc
	v_max_f64 v[14:15], |v[8:9]|, |v[8:9]|
	v_max_f64 v[84:85], |v[6:7]|, |v[6:7]|
	v_max_f64 v[86:87], v[84:85], v[14:15]
	v_min_f64 v[84:85], v[84:85], v[14:15]
	v_div_scale_f64 v[88:89], s[10:11], v[86:87], v[86:87], v[84:85]
	v_rcp_f64_e32 v[90:91], v[88:89]
	v_cmp_nge_f64_e32 vcc, 0, v[82:83]
	v_cndmask_b32_e32 v14, 0, v1, vcc
	v_cmp_neq_f64_e32 vcc, 0, v[82:83]
	v_fma_f64 v[82:83], -v[88:89], v[90:91], 1.0
	v_fmac_f64_e32 v[90:91], v[90:91], v[82:83]
	v_fma_f64 v[82:83], -v[88:89], v[90:91], 1.0
	v_cndmask_b32_e32 v15, v113, v16, vcc
	v_fmac_f64_e32 v[90:91], v[90:91], v[82:83]
	v_div_scale_f64 v[82:83], vcc, v[84:85], v[86:87], v[84:85]
	v_mul_f64 v[92:93], v[82:83], v[90:91]
	v_fma_f64 v[82:83], -v[88:89], v[92:93], v[82:83]
	v_pk_mov_b32 v[88:89], v[32:33], v[32:33] op_sel:[0,1]
	s_nop 0
	v_div_fmas_f64 v[82:83], v[82:83], v[90:91], v[92:93]
	v_div_fixup_f64 v[82:83], v[82:83], v[86:87], v[84:85]
	v_mul_f64 v[84:85], v[82:83], v[82:83]
	v_pk_mov_b32 v[86:87], v[30:31], v[30:31] op_sel:[0,1]
	v_fmac_f64_e32 v[86:87], s[38:39], v[84:85]
	v_fmac_f64_e32 v[88:89], v[84:85], v[86:87]
	v_pk_mov_b32 v[86:87], v[34:35], v[34:35] op_sel:[0,1]
	v_fmac_f64_e32 v[86:87], v[84:85], v[88:89]
	v_pk_mov_b32 v[88:89], v[36:37], v[36:37] op_sel:[0,1]
	;; [unrolled: 2-line block ×17, first 2 shown]
	v_fmac_f64_e32 v[86:87], v[84:85], v[88:89]
	v_cmp_gt_i32_e32 vcc, 0, v7
	v_mul_f64 v[84:85], v[84:85], v[86:87]
	v_cmp_class_f64_e64 s[12:13], v[6:7], s77
	v_cndmask_b32_e32 v6, v116, v117, vcc
	v_fmac_f64_e32 v[82:83], v[82:83], v[84:85]
	v_bfi_b32 v16, s76, v6, v9
	v_ashrrev_i32_e32 v6, 31, v7
	v_and_b32_e32 v69, 0x400921fb, v6
	v_and_b32_e32 v84, 0x54442d18, v6
	v_add_f64 v[6:7], -v[82:83], s[40:41]
	v_cndmask_b32_e64 v7, v83, v7, s[8:9]
	v_cndmask_b32_e64 v6, v82, v6, s[8:9]
	v_add_f64 v[82:83], -v[6:7], s[42:43]
	v_cmp_class_f64_e64 s[10:11], v[8:9], s77
	v_cndmask_b32_e32 v1, v114, v115, vcc
	v_cndmask_b32_e32 v7, v7, v83, vcc
	;; [unrolled: 1-line block ×3, first 2 shown]
	v_cmp_eq_f64_e32 vcc, 0, v[8:9]
	v_cndmask_b32_e32 v6, v6, v84, vcc
	v_cndmask_b32_e32 v7, v7, v69, vcc
	s_and_b64 vcc, s[10:11], s[12:13]
	v_cndmask_b32_e32 v83, v7, v16, vcc
	v_cndmask_b32_e32 v82, v6, v1, vcc
.LBB180_214:                            ;   in Loop: Header=BB180_145 Depth=1
	s_or_b64 exec, exec, s[56:57]
.LBB180_215:                            ;   in Loop: Header=BB180_145 Depth=1
	s_andn2_saveexec_b64 s[8:9], s[54:55]
	s_cbranch_execz .LBB180_221
; %bb.216:                              ;   in Loop: Header=BB180_145 Depth=1
	v_cmp_nlt_f64_e64 s[10:11], |v[6:7]|, s[50:51]
	v_cmp_nlt_f64_e64 s[12:13], |v[8:9]|, s[50:51]
	s_or_b64 s[10:11], s[12:13], s[10:11]
                                        ; implicit-def: $vgpr82_vgpr83
	s_and_saveexec_b64 s[12:13], s[10:11]
	s_xor_b64 s[10:11], exec, s[12:13]
; %bb.217:                              ;   in Loop: Header=BB180_145 Depth=1
	v_mul_f64 v[82:83], v[6:7], v[6:7]
	v_fmac_f64_e32 v[82:83], v[8:9], v[8:9]
; %bb.218:                              ;   in Loop: Header=BB180_145 Depth=1
	s_andn2_saveexec_b64 s[10:11], s[10:11]
; %bb.219:                              ;   in Loop: Header=BB180_145 Depth=1
	v_mul_f64 v[6:7], v[6:7], 4.0
	v_mul_f64 v[14:15], v[8:9], 4.0
	v_mul_f64 v[6:7], v[6:7], v[6:7]
	v_fmac_f64_e32 v[6:7], v[14:15], v[14:15]
	v_ldexp_f64 v[82:83], v[6:7], -4
; %bb.220:                              ;   in Loop: Header=BB180_145 Depth=1
	s_or_b64 exec, exec, s[10:11]
	v_frexp_mant_f64_e32 v[6:7], v[82:83]
	v_cmp_gt_f64_e32 vcc, s[26:27], v[6:7]
	v_cndmask_b32_e64 v69, v118, 2.0, vcc
	v_mul_f64 v[6:7], v[6:7], v[68:69]
	v_add_f64 v[14:15], v[6:7], 1.0
	v_rcp_f64_e32 v[84:85], v[14:15]
	v_add_f64 v[88:89], v[14:15], -1.0
	v_add_f64 v[86:87], v[6:7], -1.0
	v_add_f64 v[6:7], v[6:7], -v[88:89]
	v_fma_f64 v[88:89], -v[14:15], v[84:85], 1.0
	v_fmac_f64_e32 v[84:85], v[88:89], v[84:85]
	v_fma_f64 v[88:89], -v[14:15], v[84:85], 1.0
	v_fmac_f64_e32 v[84:85], v[88:89], v[84:85]
	v_mul_f64 v[88:89], v[86:87], v[84:85]
	v_mul_f64 v[90:91], v[14:15], v[88:89]
	v_fma_f64 v[14:15], v[88:89], v[14:15], -v[90:91]
	v_fmac_f64_e32 v[14:15], v[88:89], v[6:7]
	v_add_f64 v[6:7], v[90:91], v[14:15]
	v_add_f64 v[92:93], v[86:87], -v[6:7]
	v_add_f64 v[90:91], v[6:7], -v[90:91]
	;; [unrolled: 1-line block ×5, first 2 shown]
	v_add_f64 v[6:7], v[14:15], v[6:7]
	v_add_f64 v[6:7], v[92:93], v[6:7]
	v_mul_f64 v[6:7], v[84:85], v[6:7]
	v_add_f64 v[14:15], v[88:89], v[6:7]
	v_add_f64 v[84:85], v[14:15], -v[88:89]
	v_add_f64 v[6:7], v[6:7], -v[84:85]
	v_mul_f64 v[84:85], v[14:15], v[14:15]
	v_pk_mov_b32 v[86:87], v[18:19], v[18:19] op_sel:[0,1]
	v_fmac_f64_e32 v[86:87], s[28:29], v[84:85]
	v_pk_mov_b32 v[88:89], v[20:21], v[20:21] op_sel:[0,1]
	v_fmac_f64_e32 v[88:89], v[84:85], v[86:87]
	;; [unrolled: 2-line block ×6, first 2 shown]
	v_ldexp_f64 v[86:87], v[14:15], 1
	v_mul_f64 v[14:15], v[14:15], v[84:85]
	v_mul_f64 v[14:15], v[14:15], v[88:89]
	v_add_f64 v[84:85], v[86:87], v[14:15]
	v_add_f64 v[86:87], v[84:85], -v[86:87]
	v_ldexp_f64 v[6:7], v[6:7], 1
	v_add_f64 v[14:15], v[14:15], -v[86:87]
	v_add_f64 v[6:7], v[6:7], v[14:15]
	v_frexp_exp_i32_f64_e32 v1, v[82:83]
	v_add_f64 v[14:15], v[84:85], v[6:7]
	v_subbrev_co_u32_e32 v1, vcc, 0, v1, vcc
	v_add_f64 v[84:85], v[14:15], -v[84:85]
	v_add_f64 v[6:7], v[6:7], -v[84:85]
	v_cvt_f64_i32_e32 v[84:85], v1
	v_mul_f64 v[86:87], v[84:85], s[30:31]
	v_fma_f64 v[88:89], v[84:85], s[30:31], -v[86:87]
	v_fmac_f64_e32 v[88:89], s[34:35], v[84:85]
	v_add_f64 v[84:85], v[86:87], v[88:89]
	v_add_f64 v[86:87], v[84:85], -v[86:87]
	v_add_f64 v[86:87], v[88:89], -v[86:87]
	v_add_f64 v[88:89], v[84:85], v[14:15]
	v_add_f64 v[90:91], v[88:89], -v[84:85]
	v_add_f64 v[92:93], v[88:89], -v[90:91]
	;; [unrolled: 1-line block ×4, first 2 shown]
	v_add_f64 v[14:15], v[14:15], v[84:85]
	v_add_f64 v[84:85], v[86:87], v[6:7]
	v_add_f64 v[90:91], v[84:85], -v[86:87]
	v_add_f64 v[92:93], v[84:85], -v[90:91]
	v_add_f64 v[14:15], v[84:85], v[14:15]
	v_add_f64 v[86:87], v[86:87], -v[92:93]
	v_add_f64 v[6:7], v[6:7], -v[90:91]
	v_add_f64 v[84:85], v[88:89], v[14:15]
	v_add_f64 v[6:7], v[6:7], v[86:87]
	v_add_f64 v[86:87], v[84:85], -v[88:89]
	v_add_f64 v[14:15], v[14:15], -v[86:87]
	v_add_f64 v[6:7], v[6:7], v[14:15]
	v_add_f64 v[6:7], v[84:85], v[6:7]
	v_cmp_class_f64_e64 vcc, v[82:83], s77
	v_cndmask_b32_e32 v1, v6, v82, vcc
	v_cndmask_b32_e32 v6, v7, v83, vcc
	v_cmp_ngt_f64_e32 vcc, 0, v[82:83]
	v_cndmask_b32_e32 v6, v112, v6, vcc
	v_cmp_nge_f64_e32 vcc, 0, v[82:83]
	v_cndmask_b32_e32 v14, 0, v1, vcc
	v_cmp_neq_f64_e32 vcc, 0, v[82:83]
	v_mov_b32_e32 v82, 0
	v_cndmask_b32_e32 v15, v113, v6, vcc
	v_mov_b32_e32 v83, 0x7ff80000
.LBB180_221:                            ;   in Loop: Header=BB180_145 Depth=1
	s_or_b64 exec, exec, s[8:9]
	v_cmp_o_f64_e32 vcc, v[10:11], v[12:13]
                                        ; implicit-def: $vgpr6_vgpr7
                                        ; implicit-def: $vgpr84_vgpr85
	s_and_saveexec_b64 s[8:9], vcc
	s_xor_b64 s[54:55], exec, s[8:9]
	s_cbranch_execz .LBB180_249
; %bb.222:                              ;   in Loop: Header=BB180_145 Depth=1
	v_and_b32_e32 v16, 0x7fffffff, v11
	v_and_b32_e32 v1, 0x7fffffff, v13
	v_mov_b32_e32 v8, v12
	v_cmp_lt_f64_e64 s[8:9], |v[10:11]|, |v[12:13]|
	v_cndmask_b32_e64 v87, v1, v16, s[8:9]
	v_cndmask_b32_e64 v86, v8, v10, s[8:9]
	v_cmp_nlt_f64_e32 vcc, s[20:21], v[86:87]
                                        ; implicit-def: $vgpr6_vgpr7
                                        ; implicit-def: $vgpr84_vgpr85
	s_and_saveexec_b64 s[10:11], vcc
	s_xor_b64 s[12:13], exec, s[10:11]
	s_cbranch_execz .LBB180_246
; %bb.223:                              ;   in Loop: Header=BB180_145 Depth=1
	v_cndmask_b32_e64 v91, v16, v1, s[8:9]
	v_cndmask_b32_e64 v90, v10, v8, s[8:9]
	v_cmp_neq_f64_e32 vcc, 1.0, v[90:91]
                                        ; implicit-def: $vgpr6_vgpr7
                                        ; implicit-def: $vgpr84_vgpr85
	s_and_saveexec_b64 s[10:11], vcc
	s_xor_b64 s[56:57], exec, s[10:11]
	s_cbranch_execz .LBB180_239
; %bb.224:                              ;   in Loop: Header=BB180_145 Depth=1
	v_max_f64 v[6:7], v[86:87], v[86:87]
	v_max_f64 v[84:85], v[90:91], v[90:91]
	v_min_f64 v[88:89], v[84:85], v[6:7]
	v_max_f64 v[6:7], v[84:85], v[6:7]
	v_cmp_ngt_f64_e32 vcc, s[22:23], v[88:89]
	v_cmp_nlt_f64_e64 s[10:11], s[24:25], v[6:7]
	s_and_b64 s[10:11], s[10:11], vcc
                                        ; implicit-def: $vgpr6_vgpr7
                                        ; implicit-def: $vgpr84_vgpr85
	s_and_saveexec_b64 s[58:59], s[10:11]
	s_xor_b64 s[58:59], exec, s[58:59]
	s_cbranch_execz .LBB180_236
; %bb.225:                              ;   in Loop: Header=BB180_145 Depth=1
	v_cmp_le_f64_e32 vcc, 1.0, v[90:91]
                                        ; implicit-def: $vgpr6_vgpr7
                                        ; implicit-def: $vgpr84_vgpr85
	s_and_saveexec_b64 s[10:11], vcc
	s_xor_b64 s[10:11], exec, s[10:11]
	s_cbranch_execz .LBB180_227
; %bb.226:                              ;   in Loop: Header=BB180_145 Depth=1
	v_add_f64 v[6:7], v[90:91], -1.0
	v_add_f64 v[84:85], v[90:91], 1.0
	v_mul_f64 v[84:85], v[6:7], v[84:85]
	v_fmac_f64_e32 v[84:85], v[86:87], v[86:87]
	v_add_f64 v[6:7], v[84:85], 1.0
	v_add_f64 v[86:87], v[6:7], -1.0
	v_add_f64 v[88:89], v[86:87], -v[6:7]
	v_add_f64 v[88:89], v[88:89], 1.0
	v_add_f64 v[86:87], v[84:85], -v[86:87]
	v_add_f64 v[86:87], v[86:87], v[88:89]
	v_frexp_mant_f64_e32 v[88:89], v[6:7]
	v_frexp_exp_i32_f64_e32 v1, v[6:7]
	v_cmp_gt_f64_e32 vcc, s[26:27], v[88:89]
	v_subbrev_co_u32_e32 v1, vcc, 0, v1, vcc
	v_sub_u32_e32 v8, 0, v1
	v_ldexp_f64 v[6:7], v[6:7], v8
	v_add_f64 v[88:89], v[6:7], -1.0
	v_add_f64 v[94:95], v[6:7], 1.0
	v_add_f64 v[90:91], v[88:89], 1.0
	v_add_f64 v[96:97], v[94:95], -1.0
	v_ldexp_f64 v[86:87], v[86:87], v8
	v_add_f64 v[90:91], v[6:7], -v[90:91]
	v_add_f64 v[6:7], v[6:7], -v[96:97]
	v_add_f64 v[6:7], v[86:87], v[6:7]
	v_add_f64 v[90:91], v[86:87], v[90:91]
	;; [unrolled: 1-line block ×3, first 2 shown]
	v_rcp_f64_e32 v[96:97], v[86:87]
	v_add_f64 v[92:93], v[88:89], v[90:91]
	v_add_f64 v[88:89], v[92:93], -v[88:89]
	v_add_f64 v[88:89], v[90:91], -v[88:89]
	;; [unrolled: 1-line block ×4, first 2 shown]
	v_fma_f64 v[90:91], -v[86:87], v[96:97], 1.0
	v_fmac_f64_e32 v[96:97], v[90:91], v[96:97]
	v_fma_f64 v[90:91], -v[86:87], v[96:97], 1.0
	v_fmac_f64_e32 v[96:97], v[90:91], v[96:97]
	v_mul_f64 v[90:91], v[92:93], v[96:97]
	v_mul_f64 v[94:95], v[86:87], v[90:91]
	v_fma_f64 v[98:99], v[90:91], v[86:87], -v[94:95]
	v_fmac_f64_e32 v[98:99], v[90:91], v[6:7]
	v_add_f64 v[100:101], v[94:95], v[98:99]
	v_add_f64 v[102:103], v[92:93], -v[100:101]
	v_add_f64 v[92:93], v[92:93], -v[102:103]
	;; [unrolled: 1-line block ×4, first 2 shown]
	v_add_f64 v[88:89], v[88:89], v[92:93]
	v_add_f64 v[92:93], v[94:95], -v[98:99]
	v_add_f64 v[88:89], v[92:93], v[88:89]
	v_add_f64 v[92:93], v[102:103], v[88:89]
	v_add_f64 v[94:95], v[102:103], -v[92:93]
	v_add_f64 v[88:89], v[88:89], v[94:95]
	v_mul_f64 v[94:95], v[96:97], v[92:93]
	v_mul_f64 v[98:99], v[86:87], v[94:95]
	v_fma_f64 v[86:87], v[94:95], v[86:87], -v[98:99]
	v_fmac_f64_e32 v[86:87], v[94:95], v[6:7]
	v_add_f64 v[6:7], v[98:99], v[86:87]
	v_add_f64 v[100:101], v[92:93], -v[6:7]
	v_add_f64 v[92:93], v[92:93], -v[100:101]
	;; [unrolled: 1-line block ×4, first 2 shown]
	v_add_f64 v[6:7], v[88:89], v[6:7]
	v_add_f64 v[86:87], v[98:99], -v[86:87]
	v_add_f64 v[6:7], v[86:87], v[6:7]
	v_add_f64 v[86:87], v[90:91], v[94:95]
	;; [unrolled: 1-line block ×3, first 2 shown]
	v_add_f64 v[88:89], v[86:87], -v[90:91]
	v_mul_f64 v[6:7], v[96:97], v[6:7]
	v_add_f64 v[88:89], v[94:95], -v[88:89]
	v_add_f64 v[6:7], v[88:89], v[6:7]
	v_add_f64 v[88:89], v[86:87], v[6:7]
	v_add_f64 v[86:87], v[88:89], -v[86:87]
	v_add_f64 v[6:7], v[6:7], -v[86:87]
	v_mul_f64 v[86:87], v[88:89], v[88:89]
	v_pk_mov_b32 v[90:91], v[18:19], v[18:19] op_sel:[0,1]
	v_fmac_f64_e32 v[90:91], s[28:29], v[86:87]
	v_pk_mov_b32 v[92:93], v[20:21], v[20:21] op_sel:[0,1]
	v_fmac_f64_e32 v[92:93], v[86:87], v[90:91]
	;; [unrolled: 2-line block ×6, first 2 shown]
	v_cvt_f64_i32_e32 v[90:91], v1
	v_mul_f64 v[94:95], v[90:91], s[30:31]
	v_fma_f64 v[96:97], v[90:91], s[30:31], -v[94:95]
	v_fmac_f64_e32 v[96:97], s[34:35], v[90:91]
	v_add_f64 v[90:91], v[94:95], v[96:97]
	v_add_f64 v[94:95], v[90:91], -v[94:95]
	v_mul_f64 v[86:87], v[88:89], v[86:87]
	v_add_f64 v[94:95], v[96:97], -v[94:95]
	v_ldexp_f64 v[96:97], v[88:89], 1
	v_mul_f64 v[86:87], v[86:87], v[92:93]
	v_add_f64 v[88:89], v[96:97], v[86:87]
	v_add_f64 v[92:93], v[88:89], -v[96:97]
	v_ldexp_f64 v[6:7], v[6:7], 1
	v_add_f64 v[86:87], v[86:87], -v[92:93]
	v_add_f64 v[6:7], v[6:7], v[86:87]
	v_add_f64 v[86:87], v[88:89], v[6:7]
	v_add_f64 v[88:89], v[86:87], -v[88:89]
	v_add_f64 v[6:7], v[6:7], -v[88:89]
	v_add_f64 v[88:89], v[90:91], v[86:87]
	v_add_f64 v[92:93], v[88:89], -v[90:91]
	v_add_f64 v[96:97], v[88:89], -v[92:93]
	;; [unrolled: 1-line block ×4, first 2 shown]
	v_add_f64 v[86:87], v[86:87], v[90:91]
	v_add_f64 v[90:91], v[94:95], v[6:7]
	v_add_f64 v[92:93], v[90:91], -v[94:95]
	v_add_f64 v[86:87], v[90:91], v[86:87]
	v_add_f64 v[96:97], v[90:91], -v[92:93]
	;; [unrolled: 2-line block ×3, first 2 shown]
	v_add_f64 v[6:7], v[6:7], -v[92:93]
	v_add_f64 v[88:89], v[90:91], -v[88:89]
	v_add_f64 v[6:7], v[6:7], v[94:95]
	v_add_f64 v[86:87], v[86:87], -v[88:89]
	v_add_f64 v[6:7], v[6:7], v[86:87]
	v_max_f64 v[86:87], |v[12:13]|, |v[12:13]|
	v_max_f64 v[88:89], |v[10:11]|, |v[10:11]|
	v_add_f64 v[6:7], v[90:91], v[6:7]
	v_max_f64 v[90:91], v[88:89], v[86:87]
	v_min_f64 v[86:87], v[88:89], v[86:87]
	v_div_scale_f64 v[88:89], s[60:61], v[90:91], v[90:91], v[86:87]
	v_cmp_eq_f64_e32 vcc, s[36:37], v[84:85]
	v_rcp_f64_e32 v[92:93], v[88:89]
	v_cndmask_b32_e32 v7, v7, v85, vcc
	v_cndmask_b32_e32 v6, v6, v84, vcc
	v_mul_f64 v[6:7], v[6:7], 0.5
	v_cmp_ngt_f64_e32 vcc, -1.0, v[84:85]
	v_cndmask_b32_e32 v1, v112, v7, vcc
	v_cmp_nge_f64_e32 vcc, -1.0, v[84:85]
	v_cndmask_b32_e32 v6, 0, v6, vcc
	v_cmp_neq_f64_e32 vcc, -1.0, v[84:85]
	v_fma_f64 v[84:85], -v[88:89], v[92:93], 1.0
	v_fmac_f64_e32 v[92:93], v[92:93], v[84:85]
	v_fma_f64 v[84:85], -v[88:89], v[92:93], 1.0
	v_cndmask_b32_e32 v7, v113, v1, vcc
	v_fmac_f64_e32 v[92:93], v[92:93], v[84:85]
	v_div_scale_f64 v[84:85], vcc, v[86:87], v[90:91], v[86:87]
	v_mul_f64 v[94:95], v[84:85], v[92:93]
	v_fma_f64 v[84:85], -v[88:89], v[94:95], v[84:85]
	v_pk_mov_b32 v[88:89], v[30:31], v[30:31] op_sel:[0,1]
	s_nop 0
	v_div_fmas_f64 v[84:85], v[84:85], v[92:93], v[94:95]
	v_div_fixup_f64 v[84:85], v[84:85], v[90:91], v[86:87]
	v_mul_f64 v[86:87], v[84:85], v[84:85]
	v_fmac_f64_e32 v[88:89], s[38:39], v[86:87]
	v_pk_mov_b32 v[90:91], v[32:33], v[32:33] op_sel:[0,1]
	v_fmac_f64_e32 v[90:91], v[86:87], v[88:89]
	v_pk_mov_b32 v[88:89], v[34:35], v[34:35] op_sel:[0,1]
	;; [unrolled: 2-line block ×18, first 2 shown]
	v_fmac_f64_e32 v[88:89], v[86:87], v[90:91]
	v_mul_f64 v[86:87], v[86:87], v[88:89]
	v_fmac_f64_e32 v[84:85], v[84:85], v[86:87]
	v_cmp_class_f64_e64 s[62:63], v[10:11], s77
	v_ashrrev_i32_e32 v10, 31, v11
	v_cmp_gt_i32_e32 vcc, 0, v11
	v_and_b32_e32 v16, 0x400921fb, v10
	v_and_b32_e32 v69, 0x54442d18, v10
	v_add_f64 v[10:11], -v[84:85], s[40:41]
	v_cndmask_b32_e64 v11, v85, v11, s[8:9]
	v_cndmask_b32_e64 v10, v84, v10, s[8:9]
	s_mov_b32 s42, s40
	v_add_f64 v[84:85], -v[10:11], s[42:43]
	v_cmp_class_f64_e64 s[60:61], v[12:13], s77
	v_cndmask_b32_e32 v1, v114, v115, vcc
	v_cndmask_b32_e32 v8, v116, v117, vcc
	;; [unrolled: 1-line block ×4, first 2 shown]
	v_cmp_eq_f64_e32 vcc, 0, v[12:13]
	v_bfi_b32 v8, s76, v8, v13
	v_cndmask_b32_e32 v10, v10, v69, vcc
	v_cndmask_b32_e32 v11, v11, v16, vcc
	s_and_b64 vcc, s[60:61], s[62:63]
	v_cndmask_b32_e32 v85, v11, v8, vcc
	v_cndmask_b32_e32 v84, v10, v1, vcc
                                        ; implicit-def: $vgpr86_vgpr87
                                        ; implicit-def: $vgpr90_vgpr91
.LBB180_227:                            ;   in Loop: Header=BB180_145 Depth=1
	s_andn2_saveexec_b64 s[60:61], s[10:11]
	s_cbranch_execz .LBB180_235
; %bb.228:                              ;   in Loop: Header=BB180_145 Depth=1
	v_mul_f64 v[88:89], v[86:87], v[86:87]
	v_fmac_f64_e32 v[88:89], v[90:91], v[90:91]
	v_cmp_ge_f64_e32 vcc, s[44:45], v[88:89]
                                        ; implicit-def: $vgpr6_vgpr7
                                        ; implicit-def: $vgpr84_vgpr85
	s_and_saveexec_b64 s[10:11], vcc
	s_xor_b64 s[10:11], exec, s[10:11]
	s_cbranch_execz .LBB180_230
; %bb.229:                              ;   in Loop: Header=BB180_145 Depth=1
	v_frexp_mant_f64_e32 v[6:7], v[88:89]
	v_cmp_gt_f64_e32 vcc, s[26:27], v[6:7]
	v_cndmask_b32_e64 v69, v118, 2.0, vcc
	v_mul_f64 v[6:7], v[6:7], v[68:69]
	v_add_f64 v[84:85], v[6:7], 1.0
	v_rcp_f64_e32 v[86:87], v[84:85]
	v_add_f64 v[92:93], v[84:85], -1.0
	v_add_f64 v[90:91], v[6:7], -1.0
	v_add_f64 v[6:7], v[6:7], -v[92:93]
	v_fma_f64 v[92:93], -v[84:85], v[86:87], 1.0
	v_fmac_f64_e32 v[86:87], v[92:93], v[86:87]
	v_fma_f64 v[92:93], -v[84:85], v[86:87], 1.0
	v_fmac_f64_e32 v[86:87], v[92:93], v[86:87]
	v_mul_f64 v[92:93], v[90:91], v[86:87]
	v_mul_f64 v[94:95], v[84:85], v[92:93]
	v_fma_f64 v[84:85], v[92:93], v[84:85], -v[94:95]
	v_fmac_f64_e32 v[84:85], v[92:93], v[6:7]
	v_add_f64 v[6:7], v[94:95], v[84:85]
	v_add_f64 v[96:97], v[90:91], -v[6:7]
	v_add_f64 v[94:95], v[6:7], -v[94:95]
	;; [unrolled: 1-line block ×5, first 2 shown]
	v_add_f64 v[6:7], v[84:85], v[6:7]
	v_add_f64 v[6:7], v[96:97], v[6:7]
	v_mul_f64 v[6:7], v[86:87], v[6:7]
	v_add_f64 v[84:85], v[92:93], v[6:7]
	v_add_f64 v[86:87], v[84:85], -v[92:93]
	v_add_f64 v[6:7], v[6:7], -v[86:87]
	v_mul_f64 v[86:87], v[84:85], v[84:85]
	v_pk_mov_b32 v[90:91], v[18:19], v[18:19] op_sel:[0,1]
	v_fmac_f64_e32 v[90:91], s[28:29], v[86:87]
	v_pk_mov_b32 v[92:93], v[20:21], v[20:21] op_sel:[0,1]
	v_fmac_f64_e32 v[92:93], v[86:87], v[90:91]
	;; [unrolled: 2-line block ×6, first 2 shown]
	v_ldexp_f64 v[90:91], v[84:85], 1
	v_mul_f64 v[84:85], v[84:85], v[86:87]
	v_mul_f64 v[84:85], v[84:85], v[92:93]
	v_add_f64 v[86:87], v[90:91], v[84:85]
	v_add_f64 v[90:91], v[86:87], -v[90:91]
	v_ldexp_f64 v[6:7], v[6:7], 1
	v_add_f64 v[84:85], v[84:85], -v[90:91]
	v_add_f64 v[6:7], v[6:7], v[84:85]
	v_frexp_exp_i32_f64_e32 v1, v[88:89]
	v_add_f64 v[84:85], v[86:87], v[6:7]
	v_subbrev_co_u32_e32 v1, vcc, 0, v1, vcc
	v_add_f64 v[86:87], v[84:85], -v[86:87]
	v_add_f64 v[6:7], v[6:7], -v[86:87]
	v_cvt_f64_i32_e32 v[86:87], v1
	v_mul_f64 v[90:91], v[86:87], s[30:31]
	v_fma_f64 v[92:93], v[86:87], s[30:31], -v[90:91]
	v_fmac_f64_e32 v[92:93], s[34:35], v[86:87]
	v_add_f64 v[86:87], v[90:91], v[92:93]
	v_add_f64 v[90:91], v[86:87], -v[90:91]
	v_add_f64 v[90:91], v[92:93], -v[90:91]
	v_add_f64 v[92:93], v[86:87], v[84:85]
	v_add_f64 v[94:95], v[92:93], -v[86:87]
	v_add_f64 v[96:97], v[92:93], -v[94:95]
	;; [unrolled: 1-line block ×4, first 2 shown]
	v_add_f64 v[84:85], v[84:85], v[86:87]
	v_add_f64 v[86:87], v[90:91], v[6:7]
	v_add_f64 v[94:95], v[86:87], -v[90:91]
	v_add_f64 v[96:97], v[86:87], -v[94:95]
	v_add_f64 v[84:85], v[86:87], v[84:85]
	v_add_f64 v[90:91], v[90:91], -v[96:97]
	v_add_f64 v[6:7], v[6:7], -v[94:95]
	v_add_f64 v[86:87], v[92:93], v[84:85]
	v_add_f64 v[6:7], v[6:7], v[90:91]
	v_add_f64 v[90:91], v[86:87], -v[92:93]
	v_add_f64 v[84:85], v[84:85], -v[90:91]
	v_add_f64 v[6:7], v[6:7], v[84:85]
	v_add_f64 v[6:7], v[86:87], v[6:7]
	v_max_f64 v[84:85], |v[12:13]|, |v[12:13]|
	v_max_f64 v[86:87], |v[10:11]|, |v[10:11]|
	v_max_f64 v[90:91], v[86:87], v[84:85]
	v_min_f64 v[84:85], v[86:87], v[84:85]
	v_div_scale_f64 v[86:87], s[62:63], v[90:91], v[90:91], v[84:85]
	v_rcp_f64_e32 v[92:93], v[86:87]
	v_cmp_neq_f64_e32 vcc, 0, v[88:89]
	v_mul_f64 v[6:7], v[6:7], 0.5
	v_cndmask_b32_e32 v7, v113, v7, vcc
	v_fma_f64 v[88:89], -v[86:87], v[92:93], 1.0
	v_fmac_f64_e32 v[92:93], v[92:93], v[88:89]
	v_fma_f64 v[88:89], -v[86:87], v[92:93], 1.0
	v_cndmask_b32_e32 v6, 0, v6, vcc
	v_fmac_f64_e32 v[92:93], v[92:93], v[88:89]
	v_div_scale_f64 v[88:89], vcc, v[84:85], v[90:91], v[84:85]
	v_mul_f64 v[94:95], v[88:89], v[92:93]
	v_fma_f64 v[86:87], -v[86:87], v[94:95], v[88:89]
	v_pk_mov_b32 v[88:89], v[30:31], v[30:31] op_sel:[0,1]
	s_nop 0
	v_div_fmas_f64 v[86:87], v[86:87], v[92:93], v[94:95]
	v_div_fixup_f64 v[84:85], v[86:87], v[90:91], v[84:85]
	v_mul_f64 v[86:87], v[84:85], v[84:85]
	v_fmac_f64_e32 v[88:89], s[38:39], v[86:87]
	v_pk_mov_b32 v[90:91], v[32:33], v[32:33] op_sel:[0,1]
	v_fmac_f64_e32 v[90:91], v[86:87], v[88:89]
	v_pk_mov_b32 v[88:89], v[34:35], v[34:35] op_sel:[0,1]
	;; [unrolled: 2-line block ×18, first 2 shown]
	v_fmac_f64_e32 v[88:89], v[86:87], v[90:91]
	v_mul_f64 v[86:87], v[86:87], v[88:89]
	v_fmac_f64_e32 v[84:85], v[84:85], v[86:87]
	v_cmp_class_f64_e64 s[64:65], v[10:11], s77
	v_ashrrev_i32_e32 v10, 31, v11
	v_cmp_gt_i32_e32 vcc, 0, v11
	v_and_b32_e32 v16, 0x400921fb, v10
	v_and_b32_e32 v69, 0x54442d18, v10
	v_add_f64 v[10:11], -v[84:85], s[40:41]
	v_cndmask_b32_e64 v11, v85, v11, s[8:9]
	v_cndmask_b32_e64 v10, v84, v10, s[8:9]
	s_mov_b32 s42, s40
	v_add_f64 v[84:85], -v[10:11], s[42:43]
	v_cmp_class_f64_e64 s[62:63], v[12:13], s77
	v_cndmask_b32_e32 v1, v114, v115, vcc
	v_cndmask_b32_e32 v8, v116, v117, vcc
	;; [unrolled: 1-line block ×4, first 2 shown]
	v_cmp_eq_f64_e32 vcc, 0, v[12:13]
	v_bfi_b32 v8, s76, v8, v13
	v_cndmask_b32_e32 v10, v10, v69, vcc
	v_cndmask_b32_e32 v11, v11, v16, vcc
	s_and_b64 vcc, s[62:63], s[64:65]
	v_cndmask_b32_e32 v85, v11, v8, vcc
	v_cndmask_b32_e32 v84, v10, v1, vcc
                                        ; implicit-def: $vgpr90_vgpr91
                                        ; implicit-def: $vgpr86_vgpr87
.LBB180_230:                            ;   in Loop: Header=BB180_145 Depth=1
	s_andn2_saveexec_b64 s[62:63], s[10:11]
	s_cbranch_execz .LBB180_234
; %bb.231:                              ;   in Loop: Header=BB180_145 Depth=1
	v_and_b32_e32 v69, 0x7ffffff8, v91
	v_add_f64 v[6:7], v[90:91], -v[68:69]
	v_and_b32_e32 v99, -8, v7
	v_mov_b32_e32 v98, v68
	v_and_b32_e32 v89, 0x7ffffff8, v87
	v_mov_b32_e32 v88, v68
	v_add_f64 v[102:103], v[6:7], -v[98:99]
	v_add_f64 v[6:7], v[86:87], -v[88:89]
	v_and_b32_e32 v101, -8, v7
	v_mov_b32_e32 v100, v68
	v_add_f64 v[92:93], v[68:69], v[68:69]
	v_add_f64 v[106:107], v[88:89], v[88:89]
	v_add_f64 v[104:105], v[6:7], -v[100:101]
	v_mul_f64 v[84:85], v[88:89], v[88:89]
	v_mul_f64 v[90:91], v[92:93], v[98:99]
	;; [unrolled: 1-line block ×5, first 2 shown]
	v_add_f64 v[98:99], v[98:99], v[98:99]
	v_add_f64 v[100:101], v[100:101], v[100:101]
	v_mul_f64 v[6:7], v[68:69], v[68:69]
	v_mul_f64 v[94:95], v[92:93], v[102:103]
	;; [unrolled: 1-line block ×7, first 2 shown]
	s_mov_b64 s[64:65], 0
.LBB180_232:                            ;   Parent Loop BB180_145 Depth=1
                                        ; =>  This Inner Loop Header: Depth=2
	v_cmp_nlt_f64_e32 vcc, v[6:7], v[84:85]
	v_cndmask_b32_e32 v107, v7, v85, vcc
	v_cndmask_b32_e32 v106, v6, v84, vcc
	v_cmp_nlt_f64_e64 s[10:11], v[106:107], v[90:91]
	v_cndmask_b32_e64 v109, v107, v91, s[10:11]
	v_cndmask_b32_e64 v108, v106, v90, s[10:11]
	v_cndmask_b32_e32 v7, v85, v7, vcc
	v_cndmask_b32_e32 v6, v84, v6, vcc
	s_and_b64 s[66:67], vcc, s[10:11]
	v_cmp_nlt_f64_e32 vcc, v[108:109], v[88:89]
	v_cndmask_b32_e64 v85, v91, v107, s[10:11]
	v_cndmask_b32_e64 v84, v90, v106, s[10:11]
	v_cndmask_b32_e32 v107, v109, v89, vcc
	v_cndmask_b32_e32 v106, v108, v88, vcc
	v_cmp_nlt_f64_e64 s[10:11], v[106:107], v[96:97]
	v_cndmask_b32_e32 v91, v89, v109, vcc
	v_cndmask_b32_e32 v90, v88, v108, vcc
	v_cndmask_b32_e64 v109, v107, v97, s[10:11]
	v_cndmask_b32_e64 v108, v106, v96, s[10:11]
	s_and_b64 s[78:79], vcc, s[10:11]
	v_cmp_nlt_f64_e32 vcc, v[108:109], v[86:87]
	v_cndmask_b32_e64 v89, v97, v107, s[10:11]
	v_cndmask_b32_e64 v88, v96, v106, s[10:11]
	v_cndmask_b32_e32 v107, v109, v87, vcc
	v_cndmask_b32_e32 v106, v108, v86, vcc
	v_cmp_nlt_f64_e64 s[10:11], v[106:107], v[94:95]
	v_cndmask_b32_e32 v97, v87, v109, vcc
	v_cndmask_b32_e32 v96, v86, v108, vcc
	v_cndmask_b32_e64 v109, v107, v95, s[10:11]
	v_cndmask_b32_e64 v108, v106, v94, s[10:11]
	;; [unrolled: 1-line block ×4, first 2 shown]
	s_and_b64 s[10:11], vcc, s[10:11]
	v_cmp_nlt_f64_e32 vcc, v[108:109], v[92:93]
	v_cndmask_b32_e32 v107, v109, v93, vcc
	v_cndmask_b32_e32 v106, v108, v92, vcc
	v_cndmask_b32_e32 v95, v93, v109, vcc
	v_cndmask_b32_e32 v94, v92, v108, vcc
	s_and_b64 s[10:11], s[10:11], vcc
	v_cmp_nlt_f64_e32 vcc, v[106:107], v[98:99]
	v_cndmask_b32_e32 v109, v107, v99, vcc
	v_cndmask_b32_e32 v108, v106, v98, vcc
	v_cndmask_b32_e32 v93, v99, v107, vcc
	v_cndmask_b32_e32 v92, v98, v106, vcc
	s_and_b64 s[10:11], s[10:11], vcc
	;; [unrolled: 6-line block ×4, first 2 shown]
	v_cmp_nlt_f64_e32 vcc, v[108:109], v[104:105]
	s_and_b64 s[10:11], s[10:11], vcc
	s_and_b64 s[10:11], s[10:11], s[78:79]
	s_and_b64 s[10:11], s[10:11], s[66:67]
	v_cndmask_b32_e32 v107, v109, v105, vcc
	v_cndmask_b32_e32 v106, v108, v104, vcc
	s_and_b64 s[10:11], exec, s[10:11]
	v_cndmask_b32_e32 v103, v105, v109, vcc
	v_cndmask_b32_e32 v102, v104, v108, vcc
	s_or_b64 s[64:65], s[10:11], s[64:65]
	v_pk_mov_b32 v[104:105], v[106:107], v[106:107] op_sel:[0,1]
	s_andn2_b64 exec, exec, s[64:65]
	s_cbranch_execnz .LBB180_232
; %bb.233:                              ;   in Loop: Header=BB180_145 Depth=1
	s_or_b64 exec, exec, s[64:65]
	v_add_f64 v[6:7], v[6:7], -1.0
	v_add_f64 v[6:7], v[6:7], v[84:85]
	v_add_f64 v[6:7], v[6:7], v[90:91]
	;; [unrolled: 1-line block ×11, first 2 shown]
	v_add_f64 v[6:7], v[84:85], 1.0
	v_add_f64 v[86:87], v[6:7], -1.0
	v_add_f64 v[88:89], v[86:87], -v[6:7]
	v_add_f64 v[88:89], v[88:89], 1.0
	v_add_f64 v[86:87], v[84:85], -v[86:87]
	v_add_f64 v[86:87], v[86:87], v[88:89]
	v_frexp_mant_f64_e32 v[88:89], v[6:7]
	v_frexp_exp_i32_f64_e32 v1, v[6:7]
	v_cmp_gt_f64_e32 vcc, s[26:27], v[88:89]
	v_subbrev_co_u32_e32 v1, vcc, 0, v1, vcc
	v_sub_u32_e32 v8, 0, v1
	v_ldexp_f64 v[6:7], v[6:7], v8
	v_add_f64 v[88:89], v[6:7], -1.0
	v_add_f64 v[94:95], v[6:7], 1.0
	v_add_f64 v[90:91], v[88:89], 1.0
	v_add_f64 v[96:97], v[94:95], -1.0
	v_ldexp_f64 v[86:87], v[86:87], v8
	v_add_f64 v[90:91], v[6:7], -v[90:91]
	v_add_f64 v[6:7], v[6:7], -v[96:97]
	v_add_f64 v[6:7], v[86:87], v[6:7]
	v_add_f64 v[90:91], v[86:87], v[90:91]
	;; [unrolled: 1-line block ×3, first 2 shown]
	v_rcp_f64_e32 v[96:97], v[86:87]
	v_add_f64 v[92:93], v[88:89], v[90:91]
	v_add_f64 v[88:89], v[92:93], -v[88:89]
	v_add_f64 v[88:89], v[90:91], -v[88:89]
	;; [unrolled: 1-line block ×4, first 2 shown]
	v_fma_f64 v[90:91], -v[86:87], v[96:97], 1.0
	v_fmac_f64_e32 v[96:97], v[90:91], v[96:97]
	v_fma_f64 v[90:91], -v[86:87], v[96:97], 1.0
	v_fmac_f64_e32 v[96:97], v[90:91], v[96:97]
	v_mul_f64 v[90:91], v[92:93], v[96:97]
	v_mul_f64 v[94:95], v[86:87], v[90:91]
	v_fma_f64 v[98:99], v[90:91], v[86:87], -v[94:95]
	v_fmac_f64_e32 v[98:99], v[90:91], v[6:7]
	v_add_f64 v[100:101], v[94:95], v[98:99]
	v_add_f64 v[102:103], v[92:93], -v[100:101]
	v_add_f64 v[92:93], v[92:93], -v[102:103]
	;; [unrolled: 1-line block ×4, first 2 shown]
	v_add_f64 v[88:89], v[88:89], v[92:93]
	v_add_f64 v[92:93], v[94:95], -v[98:99]
	v_add_f64 v[88:89], v[92:93], v[88:89]
	v_add_f64 v[92:93], v[102:103], v[88:89]
	v_add_f64 v[94:95], v[102:103], -v[92:93]
	v_add_f64 v[88:89], v[88:89], v[94:95]
	v_mul_f64 v[94:95], v[96:97], v[92:93]
	v_mul_f64 v[98:99], v[86:87], v[94:95]
	v_fma_f64 v[86:87], v[94:95], v[86:87], -v[98:99]
	v_fmac_f64_e32 v[86:87], v[94:95], v[6:7]
	v_add_f64 v[6:7], v[98:99], v[86:87]
	v_add_f64 v[100:101], v[92:93], -v[6:7]
	v_add_f64 v[92:93], v[92:93], -v[100:101]
	;; [unrolled: 1-line block ×4, first 2 shown]
	v_add_f64 v[6:7], v[88:89], v[6:7]
	v_add_f64 v[86:87], v[98:99], -v[86:87]
	v_add_f64 v[6:7], v[86:87], v[6:7]
	v_add_f64 v[86:87], v[90:91], v[94:95]
	;; [unrolled: 1-line block ×3, first 2 shown]
	v_add_f64 v[88:89], v[86:87], -v[90:91]
	v_mul_f64 v[6:7], v[96:97], v[6:7]
	v_add_f64 v[88:89], v[94:95], -v[88:89]
	v_add_f64 v[6:7], v[88:89], v[6:7]
	v_add_f64 v[88:89], v[86:87], v[6:7]
	v_add_f64 v[86:87], v[88:89], -v[86:87]
	v_add_f64 v[6:7], v[6:7], -v[86:87]
	v_mul_f64 v[86:87], v[88:89], v[88:89]
	v_pk_mov_b32 v[90:91], v[18:19], v[18:19] op_sel:[0,1]
	v_fmac_f64_e32 v[90:91], s[28:29], v[86:87]
	v_pk_mov_b32 v[92:93], v[20:21], v[20:21] op_sel:[0,1]
	v_fmac_f64_e32 v[92:93], v[86:87], v[90:91]
	;; [unrolled: 2-line block ×6, first 2 shown]
	v_cvt_f64_i32_e32 v[90:91], v1
	v_mul_f64 v[94:95], v[90:91], s[30:31]
	v_fma_f64 v[96:97], v[90:91], s[30:31], -v[94:95]
	v_fmac_f64_e32 v[96:97], s[34:35], v[90:91]
	v_add_f64 v[90:91], v[94:95], v[96:97]
	v_add_f64 v[94:95], v[90:91], -v[94:95]
	v_mul_f64 v[86:87], v[88:89], v[86:87]
	v_add_f64 v[94:95], v[96:97], -v[94:95]
	v_ldexp_f64 v[96:97], v[88:89], 1
	v_mul_f64 v[86:87], v[86:87], v[92:93]
	v_add_f64 v[88:89], v[96:97], v[86:87]
	v_add_f64 v[92:93], v[88:89], -v[96:97]
	v_ldexp_f64 v[6:7], v[6:7], 1
	v_add_f64 v[86:87], v[86:87], -v[92:93]
	v_add_f64 v[6:7], v[6:7], v[86:87]
	v_add_f64 v[86:87], v[88:89], v[6:7]
	v_add_f64 v[88:89], v[86:87], -v[88:89]
	v_add_f64 v[6:7], v[6:7], -v[88:89]
	v_add_f64 v[88:89], v[90:91], v[86:87]
	v_add_f64 v[92:93], v[88:89], -v[90:91]
	v_add_f64 v[96:97], v[88:89], -v[92:93]
	;; [unrolled: 1-line block ×4, first 2 shown]
	v_add_f64 v[86:87], v[86:87], v[90:91]
	v_add_f64 v[90:91], v[94:95], v[6:7]
	v_add_f64 v[92:93], v[90:91], -v[94:95]
	v_add_f64 v[86:87], v[90:91], v[86:87]
	v_add_f64 v[96:97], v[90:91], -v[92:93]
	;; [unrolled: 2-line block ×3, first 2 shown]
	v_add_f64 v[6:7], v[6:7], -v[92:93]
	v_add_f64 v[88:89], v[90:91], -v[88:89]
	v_add_f64 v[6:7], v[6:7], v[94:95]
	v_add_f64 v[86:87], v[86:87], -v[88:89]
	v_add_f64 v[6:7], v[6:7], v[86:87]
	v_max_f64 v[86:87], |v[12:13]|, |v[12:13]|
	v_max_f64 v[88:89], |v[10:11]|, |v[10:11]|
	v_add_f64 v[6:7], v[90:91], v[6:7]
	v_max_f64 v[90:91], v[88:89], v[86:87]
	v_min_f64 v[86:87], v[88:89], v[86:87]
	v_div_scale_f64 v[88:89], s[10:11], v[90:91], v[90:91], v[86:87]
	v_cmp_eq_f64_e32 vcc, s[36:37], v[84:85]
	v_rcp_f64_e32 v[92:93], v[88:89]
	v_cndmask_b32_e32 v7, v7, v85, vcc
	v_cndmask_b32_e32 v6, v6, v84, vcc
	v_mul_f64 v[6:7], v[6:7], 0.5
	v_cmp_ngt_f64_e32 vcc, -1.0, v[84:85]
	v_cndmask_b32_e32 v1, v112, v7, vcc
	v_cmp_nge_f64_e32 vcc, -1.0, v[84:85]
	v_cndmask_b32_e32 v6, 0, v6, vcc
	v_cmp_neq_f64_e32 vcc, -1.0, v[84:85]
	v_fma_f64 v[84:85], -v[88:89], v[92:93], 1.0
	v_fmac_f64_e32 v[92:93], v[92:93], v[84:85]
	v_fma_f64 v[84:85], -v[88:89], v[92:93], 1.0
	v_cndmask_b32_e32 v7, v113, v1, vcc
	v_fmac_f64_e32 v[92:93], v[92:93], v[84:85]
	v_div_scale_f64 v[84:85], vcc, v[86:87], v[90:91], v[86:87]
	v_mul_f64 v[94:95], v[84:85], v[92:93]
	v_fma_f64 v[84:85], -v[88:89], v[94:95], v[84:85]
	v_pk_mov_b32 v[88:89], v[30:31], v[30:31] op_sel:[0,1]
	s_nop 0
	v_div_fmas_f64 v[84:85], v[84:85], v[92:93], v[94:95]
	v_div_fixup_f64 v[84:85], v[84:85], v[90:91], v[86:87]
	v_mul_f64 v[86:87], v[84:85], v[84:85]
	v_fmac_f64_e32 v[88:89], s[38:39], v[86:87]
	v_pk_mov_b32 v[90:91], v[32:33], v[32:33] op_sel:[0,1]
	v_fmac_f64_e32 v[90:91], v[86:87], v[88:89]
	v_pk_mov_b32 v[88:89], v[34:35], v[34:35] op_sel:[0,1]
	;; [unrolled: 2-line block ×18, first 2 shown]
	v_fmac_f64_e32 v[88:89], v[86:87], v[90:91]
	v_mul_f64 v[86:87], v[86:87], v[88:89]
	v_fmac_f64_e32 v[84:85], v[84:85], v[86:87]
	v_cmp_class_f64_e64 s[64:65], v[10:11], s77
	v_ashrrev_i32_e32 v10, 31, v11
	v_cmp_gt_i32_e32 vcc, 0, v11
	v_and_b32_e32 v16, 0x400921fb, v10
	v_and_b32_e32 v69, 0x54442d18, v10
	v_add_f64 v[10:11], -v[84:85], s[40:41]
	v_cndmask_b32_e64 v11, v85, v11, s[8:9]
	v_cndmask_b32_e64 v10, v84, v10, s[8:9]
	s_mov_b32 s42, s40
	v_add_f64 v[84:85], -v[10:11], s[42:43]
	v_cmp_class_f64_e64 s[10:11], v[12:13], s77
	v_cndmask_b32_e32 v1, v114, v115, vcc
	v_cndmask_b32_e32 v8, v116, v117, vcc
	;; [unrolled: 1-line block ×4, first 2 shown]
	v_cmp_eq_f64_e32 vcc, 0, v[12:13]
	v_bfi_b32 v8, s76, v8, v13
	v_cndmask_b32_e32 v10, v10, v69, vcc
	v_cndmask_b32_e32 v11, v11, v16, vcc
	s_and_b64 vcc, s[10:11], s[64:65]
	v_cndmask_b32_e32 v85, v11, v8, vcc
	v_cndmask_b32_e32 v84, v10, v1, vcc
.LBB180_234:                            ;   in Loop: Header=BB180_145 Depth=1
	s_or_b64 exec, exec, s[62:63]
.LBB180_235:                            ;   in Loop: Header=BB180_145 Depth=1
	s_or_b64 exec, exec, s[60:61]
.LBB180_236:                            ;   in Loop: Header=BB180_145 Depth=1
	s_andn2_saveexec_b64 s[58:59], s[58:59]
	s_cbranch_execz .LBB180_238
; %bb.237:                              ;   in Loop: Header=BB180_145 Depth=1
	v_max_f64 v[6:7], |v[12:13]|, |v[12:13]|
	v_max_f64 v[84:85], |v[10:11]|, |v[10:11]|
	v_max_f64 v[86:87], v[84:85], v[6:7]
	v_frexp_exp_i32_f64_e32 v1, v[86:87]
	v_sub_u32_e32 v8, 0, v1
	v_ldexp_f64 v[90:91], |v[12:13]|, v8
	v_ldexp_f64 v[88:89], |v[10:11]|, v8
	v_mul_f64 v[90:91], v[90:91], v[90:91]
	v_fmac_f64_e32 v[90:91], v[88:89], v[88:89]
	v_rsq_f64_e32 v[88:89], v[90:91]
	v_cmp_eq_f64_e32 vcc, 0, v[90:91]
	v_cmp_class_f64_e64 s[60:61], v[10:11], s77
	v_cmp_class_f64_e64 s[62:63], v[12:13], s77
	v_mul_f64 v[92:93], v[90:91], v[88:89]
	v_mul_f64 v[88:89], v[88:89], 0.5
	v_fma_f64 v[94:95], -v[88:89], v[92:93], 0.5
	v_fmac_f64_e32 v[92:93], v[92:93], v[94:95]
	v_fmac_f64_e32 v[88:89], v[88:89], v[94:95]
	v_fma_f64 v[94:95], -v[92:93], v[92:93], v[90:91]
	v_fmac_f64_e32 v[92:93], v[94:95], v[88:89]
	v_cndmask_b32_e32 v89, v93, v91, vcc
	v_cndmask_b32_e32 v88, v92, v90, vcc
	v_ldexp_f64 v[88:89], v[88:89], v1
	s_or_b64 vcc, s[62:63], s[60:61]
	v_cndmask_b32_e32 v91, v89, v119, vcc
	v_cndmask_b32_e64 v90, v88, 0, vcc
	v_frexp_mant_f64_e32 v[92:93], v[90:91]
	v_cmp_gt_f64_e64 s[10:11], s[26:27], v[92:93]
	v_cndmask_b32_e64 v69, v118, 2.0, s[10:11]
	v_mul_f64 v[92:93], v[92:93], v[68:69]
	v_add_f64 v[94:95], v[92:93], 1.0
	v_rcp_f64_e32 v[96:97], v[94:95]
	v_add_f64 v[100:101], v[94:95], -1.0
	v_add_f64 v[98:99], v[92:93], -1.0
	v_add_f64 v[92:93], v[92:93], -v[100:101]
	v_fma_f64 v[100:101], -v[94:95], v[96:97], 1.0
	v_fmac_f64_e32 v[96:97], v[100:101], v[96:97]
	v_fma_f64 v[100:101], -v[94:95], v[96:97], 1.0
	v_fmac_f64_e32 v[96:97], v[100:101], v[96:97]
	v_mul_f64 v[100:101], v[98:99], v[96:97]
	v_mul_f64 v[102:103], v[94:95], v[100:101]
	v_fma_f64 v[94:95], v[100:101], v[94:95], -v[102:103]
	v_fmac_f64_e32 v[94:95], v[100:101], v[92:93]
	v_add_f64 v[92:93], v[102:103], v[94:95]
	v_add_f64 v[104:105], v[98:99], -v[92:93]
	v_add_f64 v[102:103], v[92:93], -v[102:103]
	;; [unrolled: 1-line block ×5, first 2 shown]
	v_add_f64 v[92:93], v[94:95], v[92:93]
	v_add_f64 v[92:93], v[104:105], v[92:93]
	v_mul_f64 v[92:93], v[96:97], v[92:93]
	v_add_f64 v[94:95], v[100:101], v[92:93]
	v_add_f64 v[96:97], v[94:95], -v[100:101]
	v_add_f64 v[92:93], v[92:93], -v[96:97]
	v_mul_f64 v[96:97], v[94:95], v[94:95]
	v_pk_mov_b32 v[98:99], v[18:19], v[18:19] op_sel:[0,1]
	v_fmac_f64_e32 v[98:99], s[28:29], v[96:97]
	v_pk_mov_b32 v[100:101], v[20:21], v[20:21] op_sel:[0,1]
	v_fmac_f64_e32 v[100:101], v[96:97], v[98:99]
	;; [unrolled: 2-line block ×6, first 2 shown]
	v_ldexp_f64 v[98:99], v[94:95], 1
	v_mul_f64 v[94:95], v[94:95], v[96:97]
	v_mul_f64 v[94:95], v[94:95], v[100:101]
	v_add_f64 v[96:97], v[98:99], v[94:95]
	v_add_f64 v[98:99], v[96:97], -v[98:99]
	v_ldexp_f64 v[92:93], v[92:93], 1
	v_add_f64 v[94:95], v[94:95], -v[98:99]
	v_add_f64 v[92:93], v[92:93], v[94:95]
	v_frexp_exp_i32_f64_e32 v1, v[90:91]
	v_add_f64 v[94:95], v[96:97], v[92:93]
	v_subbrev_co_u32_e64 v1, s[10:11], 0, v1, s[10:11]
	v_add_f64 v[96:97], v[94:95], -v[96:97]
	v_add_f64 v[92:93], v[92:93], -v[96:97]
	v_cvt_f64_i32_e32 v[96:97], v1
	v_mul_f64 v[98:99], v[96:97], s[30:31]
	v_fma_f64 v[100:101], v[96:97], s[30:31], -v[98:99]
	v_fmac_f64_e32 v[100:101], s[34:35], v[96:97]
	v_add_f64 v[96:97], v[98:99], v[100:101]
	v_add_f64 v[98:99], v[96:97], -v[98:99]
	v_add_f64 v[98:99], v[100:101], -v[98:99]
	v_add_f64 v[100:101], v[96:97], v[94:95]
	v_add_f64 v[102:103], v[100:101], -v[96:97]
	v_add_f64 v[104:105], v[100:101], -v[102:103]
	;; [unrolled: 1-line block ×4, first 2 shown]
	v_add_f64 v[94:95], v[94:95], v[96:97]
	v_add_f64 v[96:97], v[98:99], v[92:93]
	v_add_f64 v[102:103], v[96:97], -v[98:99]
	v_add_f64 v[104:105], v[96:97], -v[102:103]
	v_add_f64 v[94:95], v[96:97], v[94:95]
	v_add_f64 v[98:99], v[98:99], -v[104:105]
	v_add_f64 v[92:93], v[92:93], -v[102:103]
	v_add_f64 v[96:97], v[100:101], v[94:95]
	v_add_f64 v[92:93], v[92:93], v[98:99]
	v_add_f64 v[98:99], v[96:97], -v[100:101]
	v_add_f64 v[94:95], v[94:95], -v[98:99]
	v_add_f64 v[92:93], v[92:93], v[94:95]
	v_add_f64 v[92:93], v[96:97], v[92:93]
	v_cmp_class_f64_e64 s[10:11], v[88:89], s77
	v_min_f64 v[84:85], v[84:85], v[6:7]
	v_cndmask_b32_e64 v1, v93, v89, s[10:11]
	v_cndmask_b32_e64 v8, v92, v88, s[10:11]
	v_div_scale_f64 v[88:89], s[10:11], v[86:87], v[86:87], v[84:85]
	v_rcp_f64_e32 v[92:93], v[88:89]
	v_cndmask_b32_e64 v8, v8, 0, vcc
	v_cndmask_b32_e32 v1, v1, v119, vcc
	v_cmp_ngt_f64_e32 vcc, 0, v[90:91]
	v_cndmask_b32_e32 v1, v112, v1, vcc
	v_cmp_nge_f64_e32 vcc, 0, v[90:91]
	v_cndmask_b32_e32 v6, 0, v8, vcc
	v_cmp_neq_f64_e32 vcc, 0, v[90:91]
	v_fma_f64 v[90:91], -v[88:89], v[92:93], 1.0
	v_fmac_f64_e32 v[92:93], v[92:93], v[90:91]
	v_fma_f64 v[90:91], -v[88:89], v[92:93], 1.0
	v_cndmask_b32_e32 v7, v113, v1, vcc
	v_fmac_f64_e32 v[92:93], v[92:93], v[90:91]
	v_div_scale_f64 v[90:91], vcc, v[84:85], v[86:87], v[84:85]
	v_mul_f64 v[94:95], v[90:91], v[92:93]
	v_fma_f64 v[88:89], -v[88:89], v[94:95], v[90:91]
	v_pk_mov_b32 v[90:91], v[32:33], v[32:33] op_sel:[0,1]
	s_nop 0
	v_div_fmas_f64 v[88:89], v[88:89], v[92:93], v[94:95]
	v_div_fixup_f64 v[84:85], v[88:89], v[86:87], v[84:85]
	v_mul_f64 v[86:87], v[84:85], v[84:85]
	v_pk_mov_b32 v[88:89], v[30:31], v[30:31] op_sel:[0,1]
	v_fmac_f64_e32 v[88:89], s[38:39], v[86:87]
	v_fmac_f64_e32 v[90:91], v[86:87], v[88:89]
	v_pk_mov_b32 v[88:89], v[34:35], v[34:35] op_sel:[0,1]
	v_fmac_f64_e32 v[88:89], v[86:87], v[90:91]
	v_pk_mov_b32 v[90:91], v[36:37], v[36:37] op_sel:[0,1]
	;; [unrolled: 2-line block ×17, first 2 shown]
	v_fmac_f64_e32 v[88:89], v[86:87], v[90:91]
	v_mul_f64 v[86:87], v[86:87], v[88:89]
	v_fmac_f64_e32 v[84:85], v[84:85], v[86:87]
	v_ashrrev_i32_e32 v10, 31, v11
	v_cmp_gt_i32_e32 vcc, 0, v11
	v_and_b32_e32 v16, 0x400921fb, v10
	v_and_b32_e32 v69, 0x54442d18, v10
	v_add_f64 v[10:11], -v[84:85], s[40:41]
	v_cndmask_b32_e64 v11, v85, v11, s[8:9]
	v_cndmask_b32_e64 v10, v84, v10, s[8:9]
	s_mov_b32 s42, s40
	v_add_f64 v[84:85], -v[10:11], s[42:43]
	v_cndmask_b32_e32 v1, v114, v115, vcc
	v_cndmask_b32_e32 v8, v116, v117, vcc
	;; [unrolled: 1-line block ×4, first 2 shown]
	v_cmp_eq_f64_e32 vcc, 0, v[12:13]
	v_bfi_b32 v8, s76, v8, v13
	v_cndmask_b32_e32 v10, v10, v69, vcc
	v_cndmask_b32_e32 v11, v11, v16, vcc
	s_and_b64 vcc, s[62:63], s[60:61]
	v_cndmask_b32_e32 v85, v11, v8, vcc
	v_cndmask_b32_e32 v84, v10, v1, vcc
.LBB180_238:                            ;   in Loop: Header=BB180_145 Depth=1
	s_or_b64 exec, exec, s[58:59]
                                        ; implicit-def: $vgpr86_vgpr87
.LBB180_239:                            ;   in Loop: Header=BB180_145 Depth=1
	s_andn2_saveexec_b64 s[10:11], s[56:57]
	s_cbranch_execz .LBB180_245
; %bb.240:                              ;   in Loop: Header=BB180_145 Depth=1
	v_cmp_ngt_f64_e32 vcc, s[46:47], v[86:87]
                                        ; implicit-def: $vgpr6_vgpr7
                                        ; implicit-def: $vgpr84_vgpr85
	s_and_saveexec_b64 s[56:57], vcc
	s_xor_b64 s[56:57], exec, s[56:57]
	s_cbranch_execz .LBB180_242
; %bb.241:                              ;   in Loop: Header=BB180_145 Depth=1
	v_mul_f64 v[6:7], v[86:87], v[86:87]
	v_add_f64 v[84:85], v[6:7], 1.0
	v_add_f64 v[86:87], v[84:85], -1.0
	v_add_f64 v[88:89], v[86:87], -v[84:85]
	v_add_f64 v[88:89], v[88:89], 1.0
	v_add_f64 v[86:87], v[6:7], -v[86:87]
	v_add_f64 v[86:87], v[86:87], v[88:89]
	v_frexp_mant_f64_e32 v[88:89], v[84:85]
	v_frexp_exp_i32_f64_e32 v1, v[84:85]
	v_cmp_gt_f64_e32 vcc, s[26:27], v[88:89]
	v_subbrev_co_u32_e32 v1, vcc, 0, v1, vcc
	v_sub_u32_e32 v8, 0, v1
	v_ldexp_f64 v[84:85], v[84:85], v8
	v_add_f64 v[88:89], v[84:85], -1.0
	v_add_f64 v[94:95], v[84:85], 1.0
	v_add_f64 v[90:91], v[88:89], 1.0
	v_add_f64 v[96:97], v[94:95], -1.0
	v_ldexp_f64 v[86:87], v[86:87], v8
	v_add_f64 v[90:91], v[84:85], -v[90:91]
	v_add_f64 v[84:85], v[84:85], -v[96:97]
	v_add_f64 v[84:85], v[86:87], v[84:85]
	v_add_f64 v[90:91], v[86:87], v[90:91]
	;; [unrolled: 1-line block ×3, first 2 shown]
	v_rcp_f64_e32 v[96:97], v[86:87]
	v_add_f64 v[92:93], v[88:89], v[90:91]
	v_add_f64 v[88:89], v[88:89], -v[92:93]
	v_add_f64 v[88:89], v[90:91], v[88:89]
	v_add_f64 v[90:91], v[94:95], -v[86:87]
	v_add_f64 v[84:85], v[84:85], v[90:91]
	v_fma_f64 v[90:91], -v[86:87], v[96:97], 1.0
	v_fmac_f64_e32 v[96:97], v[90:91], v[96:97]
	v_fma_f64 v[90:91], -v[86:87], v[96:97], 1.0
	v_fmac_f64_e32 v[96:97], v[90:91], v[96:97]
	v_mul_f64 v[90:91], v[92:93], v[96:97]
	v_mul_f64 v[94:95], v[86:87], v[90:91]
	v_fma_f64 v[98:99], v[90:91], v[86:87], -v[94:95]
	v_fmac_f64_e32 v[98:99], v[90:91], v[84:85]
	v_add_f64 v[100:101], v[94:95], v[98:99]
	v_add_f64 v[102:103], v[92:93], -v[100:101]
	v_add_f64 v[92:93], v[92:93], -v[102:103]
	;; [unrolled: 1-line block ×4, first 2 shown]
	v_add_f64 v[88:89], v[88:89], v[92:93]
	v_add_f64 v[92:93], v[94:95], -v[98:99]
	v_add_f64 v[88:89], v[92:93], v[88:89]
	v_add_f64 v[92:93], v[102:103], v[88:89]
	v_add_f64 v[94:95], v[102:103], -v[92:93]
	v_add_f64 v[88:89], v[88:89], v[94:95]
	v_mul_f64 v[94:95], v[96:97], v[92:93]
	v_mul_f64 v[98:99], v[86:87], v[94:95]
	v_fma_f64 v[86:87], v[94:95], v[86:87], -v[98:99]
	v_fmac_f64_e32 v[86:87], v[94:95], v[84:85]
	v_add_f64 v[84:85], v[98:99], v[86:87]
	v_add_f64 v[100:101], v[92:93], -v[84:85]
	v_add_f64 v[92:93], v[92:93], -v[100:101]
	;; [unrolled: 1-line block ×4, first 2 shown]
	v_add_f64 v[84:85], v[88:89], v[84:85]
	v_add_f64 v[86:87], v[98:99], -v[86:87]
	v_add_f64 v[84:85], v[86:87], v[84:85]
	v_add_f64 v[86:87], v[90:91], v[94:95]
	;; [unrolled: 1-line block ×3, first 2 shown]
	v_add_f64 v[88:89], v[86:87], -v[90:91]
	v_mul_f64 v[84:85], v[96:97], v[84:85]
	v_add_f64 v[88:89], v[94:95], -v[88:89]
	v_add_f64 v[84:85], v[88:89], v[84:85]
	v_add_f64 v[88:89], v[86:87], v[84:85]
	v_add_f64 v[86:87], v[88:89], -v[86:87]
	v_add_f64 v[84:85], v[84:85], -v[86:87]
	v_mul_f64 v[86:87], v[88:89], v[88:89]
	v_pk_mov_b32 v[90:91], v[18:19], v[18:19] op_sel:[0,1]
	v_fmac_f64_e32 v[90:91], s[28:29], v[86:87]
	v_pk_mov_b32 v[92:93], v[20:21], v[20:21] op_sel:[0,1]
	v_fmac_f64_e32 v[92:93], v[86:87], v[90:91]
	;; [unrolled: 2-line block ×6, first 2 shown]
	v_cvt_f64_i32_e32 v[90:91], v1
	v_mul_f64 v[94:95], v[90:91], s[30:31]
	v_fma_f64 v[96:97], v[90:91], s[30:31], -v[94:95]
	v_fmac_f64_e32 v[96:97], s[34:35], v[90:91]
	v_add_f64 v[90:91], v[94:95], v[96:97]
	v_add_f64 v[94:95], v[90:91], -v[94:95]
	v_mul_f64 v[86:87], v[88:89], v[86:87]
	v_add_f64 v[94:95], v[96:97], -v[94:95]
	v_ldexp_f64 v[96:97], v[88:89], 1
	v_mul_f64 v[86:87], v[86:87], v[92:93]
	v_add_f64 v[88:89], v[96:97], v[86:87]
	v_add_f64 v[92:93], v[88:89], -v[96:97]
	v_ldexp_f64 v[84:85], v[84:85], 1
	v_add_f64 v[86:87], v[86:87], -v[92:93]
	v_add_f64 v[84:85], v[84:85], v[86:87]
	v_add_f64 v[86:87], v[88:89], v[84:85]
	v_add_f64 v[88:89], v[86:87], -v[88:89]
	v_add_f64 v[84:85], v[84:85], -v[88:89]
	v_add_f64 v[88:89], v[90:91], v[86:87]
	v_add_f64 v[92:93], v[88:89], -v[90:91]
	v_add_f64 v[96:97], v[88:89], -v[92:93]
	;; [unrolled: 1-line block ×4, first 2 shown]
	v_add_f64 v[86:87], v[86:87], v[90:91]
	v_add_f64 v[90:91], v[94:95], v[84:85]
	v_add_f64 v[92:93], v[90:91], -v[94:95]
	v_add_f64 v[86:87], v[90:91], v[86:87]
	v_add_f64 v[96:97], v[90:91], -v[92:93]
	v_add_f64 v[90:91], v[88:89], v[86:87]
	v_add_f64 v[94:95], v[94:95], -v[96:97]
	v_add_f64 v[84:85], v[84:85], -v[92:93]
	v_add_f64 v[88:89], v[90:91], -v[88:89]
	v_add_f64 v[84:85], v[84:85], v[94:95]
	v_add_f64 v[86:87], v[86:87], -v[88:89]
	v_add_f64 v[84:85], v[84:85], v[86:87]
	v_max_f64 v[86:87], |v[12:13]|, |v[12:13]|
	v_max_f64 v[88:89], |v[10:11]|, |v[10:11]|
	v_add_f64 v[84:85], v[90:91], v[84:85]
	v_max_f64 v[90:91], v[88:89], v[86:87]
	v_min_f64 v[86:87], v[88:89], v[86:87]
	v_div_scale_f64 v[88:89], s[58:59], v[90:91], v[90:91], v[86:87]
	v_rcp_f64_e32 v[92:93], v[88:89]
	v_cmp_eq_f64_e32 vcc, s[36:37], v[6:7]
	v_cndmask_b32_e32 v7, v85, v7, vcc
	v_cndmask_b32_e32 v6, v84, v6, vcc
	v_fma_f64 v[84:85], -v[88:89], v[92:93], 1.0
	v_fmac_f64_e32 v[92:93], v[92:93], v[84:85]
	v_fma_f64 v[84:85], -v[88:89], v[92:93], 1.0
	v_fmac_f64_e32 v[92:93], v[92:93], v[84:85]
	v_div_scale_f64 v[84:85], vcc, v[86:87], v[90:91], v[86:87]
	v_mul_f64 v[94:95], v[84:85], v[92:93]
	v_fma_f64 v[84:85], -v[88:89], v[94:95], v[84:85]
	v_pk_mov_b32 v[88:89], v[30:31], v[30:31] op_sel:[0,1]
	s_nop 0
	v_div_fmas_f64 v[84:85], v[84:85], v[92:93], v[94:95]
	v_div_fixup_f64 v[84:85], v[84:85], v[90:91], v[86:87]
	v_mul_f64 v[86:87], v[84:85], v[84:85]
	v_fmac_f64_e32 v[88:89], s[38:39], v[86:87]
	v_pk_mov_b32 v[90:91], v[32:33], v[32:33] op_sel:[0,1]
	v_fmac_f64_e32 v[90:91], v[86:87], v[88:89]
	v_pk_mov_b32 v[88:89], v[34:35], v[34:35] op_sel:[0,1]
	;; [unrolled: 2-line block ×18, first 2 shown]
	v_fmac_f64_e32 v[88:89], v[86:87], v[90:91]
	v_mul_f64 v[86:87], v[86:87], v[88:89]
	v_fmac_f64_e32 v[84:85], v[84:85], v[86:87]
	v_cmp_class_f64_e64 s[60:61], v[10:11], s77
	v_ashrrev_i32_e32 v10, 31, v11
	v_cmp_gt_i32_e32 vcc, 0, v11
	v_and_b32_e32 v16, 0x400921fb, v10
	v_and_b32_e32 v69, 0x54442d18, v10
	v_add_f64 v[10:11], -v[84:85], s[40:41]
	v_cndmask_b32_e64 v11, v85, v11, s[8:9]
	v_cndmask_b32_e64 v10, v84, v10, s[8:9]
	s_mov_b32 s42, s40
	v_add_f64 v[84:85], -v[10:11], s[42:43]
	v_cmp_class_f64_e64 s[58:59], v[12:13], s77
	v_cndmask_b32_e32 v1, v114, v115, vcc
	v_cndmask_b32_e32 v8, v116, v117, vcc
	;; [unrolled: 1-line block ×4, first 2 shown]
	v_cmp_eq_f64_e32 vcc, 0, v[12:13]
	v_bfi_b32 v8, s76, v8, v13
	v_cndmask_b32_e32 v10, v10, v69, vcc
	v_cndmask_b32_e32 v11, v11, v16, vcc
	s_and_b64 vcc, s[58:59], s[60:61]
	v_mul_f64 v[6:7], v[6:7], 0.5
	v_cndmask_b32_e32 v85, v11, v8, vcc
	v_cndmask_b32_e32 v84, v10, v1, vcc
                                        ; implicit-def: $vgpr86_vgpr87
.LBB180_242:                            ;   in Loop: Header=BB180_145 Depth=1
	s_andn2_saveexec_b64 s[56:57], s[56:57]
	s_cbranch_execz .LBB180_244
; %bb.243:                              ;   in Loop: Header=BB180_145 Depth=1
	v_max_f64 v[6:7], |v[12:13]|, |v[12:13]|
	v_max_f64 v[84:85], |v[10:11]|, |v[10:11]|
	v_max_f64 v[88:89], v[84:85], v[6:7]
	v_min_f64 v[84:85], v[84:85], v[6:7]
	v_div_scale_f64 v[90:91], s[58:59], v[88:89], v[88:89], v[84:85]
	v_rcp_f64_e32 v[92:93], v[90:91]
	v_mul_f64 v[6:7], v[86:87], 0.5
	v_mul_f64 v[6:7], v[86:87], v[6:7]
	v_cmp_class_f64_e64 s[60:61], v[10:11], s77
	v_fma_f64 v[86:87], -v[90:91], v[92:93], 1.0
	v_fmac_f64_e32 v[92:93], v[92:93], v[86:87]
	v_fma_f64 v[86:87], -v[90:91], v[92:93], 1.0
	v_fmac_f64_e32 v[92:93], v[92:93], v[86:87]
	v_div_scale_f64 v[86:87], vcc, v[84:85], v[88:89], v[84:85]
	v_mul_f64 v[94:95], v[86:87], v[92:93]
	v_fma_f64 v[86:87], -v[90:91], v[94:95], v[86:87]
	v_pk_mov_b32 v[90:91], v[32:33], v[32:33] op_sel:[0,1]
	s_nop 0
	v_div_fmas_f64 v[86:87], v[86:87], v[92:93], v[94:95]
	v_div_fixup_f64 v[84:85], v[86:87], v[88:89], v[84:85]
	v_mul_f64 v[86:87], v[84:85], v[84:85]
	v_pk_mov_b32 v[88:89], v[30:31], v[30:31] op_sel:[0,1]
	v_fmac_f64_e32 v[88:89], s[38:39], v[86:87]
	v_fmac_f64_e32 v[90:91], v[86:87], v[88:89]
	v_pk_mov_b32 v[88:89], v[34:35], v[34:35] op_sel:[0,1]
	v_fmac_f64_e32 v[88:89], v[86:87], v[90:91]
	v_pk_mov_b32 v[90:91], v[36:37], v[36:37] op_sel:[0,1]
	v_fmac_f64_e32 v[90:91], v[86:87], v[88:89]
	v_pk_mov_b32 v[88:89], v[38:39], v[38:39] op_sel:[0,1]
	v_fmac_f64_e32 v[88:89], v[86:87], v[90:91]
	v_pk_mov_b32 v[90:91], v[40:41], v[40:41] op_sel:[0,1]
	v_fmac_f64_e32 v[90:91], v[86:87], v[88:89]
	v_pk_mov_b32 v[88:89], v[42:43], v[42:43] op_sel:[0,1]
	v_fmac_f64_e32 v[88:89], v[86:87], v[90:91]
	v_pk_mov_b32 v[90:91], v[44:45], v[44:45] op_sel:[0,1]
	v_fmac_f64_e32 v[90:91], v[86:87], v[88:89]
	v_pk_mov_b32 v[88:89], v[46:47], v[46:47] op_sel:[0,1]
	v_fmac_f64_e32 v[88:89], v[86:87], v[90:91]
	v_pk_mov_b32 v[90:91], v[48:49], v[48:49] op_sel:[0,1]
	v_fmac_f64_e32 v[90:91], v[86:87], v[88:89]
	v_pk_mov_b32 v[88:89], v[50:51], v[50:51] op_sel:[0,1]
	v_fmac_f64_e32 v[88:89], v[86:87], v[90:91]
	v_pk_mov_b32 v[90:91], v[52:53], v[52:53] op_sel:[0,1]
	v_fmac_f64_e32 v[90:91], v[86:87], v[88:89]
	v_pk_mov_b32 v[88:89], v[54:55], v[54:55] op_sel:[0,1]
	v_fmac_f64_e32 v[88:89], v[86:87], v[90:91]
	v_pk_mov_b32 v[90:91], v[56:57], v[56:57] op_sel:[0,1]
	v_fmac_f64_e32 v[90:91], v[86:87], v[88:89]
	v_pk_mov_b32 v[88:89], v[58:59], v[58:59] op_sel:[0,1]
	v_fmac_f64_e32 v[88:89], v[86:87], v[90:91]
	v_pk_mov_b32 v[90:91], v[60:61], v[60:61] op_sel:[0,1]
	v_fmac_f64_e32 v[90:91], v[86:87], v[88:89]
	v_pk_mov_b32 v[88:89], v[62:63], v[62:63] op_sel:[0,1]
	v_fmac_f64_e32 v[88:89], v[86:87], v[90:91]
	v_pk_mov_b32 v[90:91], v[64:65], v[64:65] op_sel:[0,1]
	v_fmac_f64_e32 v[90:91], v[86:87], v[88:89]
	v_pk_mov_b32 v[88:89], v[66:67], v[66:67] op_sel:[0,1]
	v_fmac_f64_e32 v[88:89], v[86:87], v[90:91]
	v_mul_f64 v[86:87], v[86:87], v[88:89]
	v_fmac_f64_e32 v[84:85], v[84:85], v[86:87]
	v_ashrrev_i32_e32 v10, 31, v11
	v_cmp_gt_i32_e32 vcc, 0, v11
	v_and_b32_e32 v16, 0x400921fb, v10
	v_and_b32_e32 v69, 0x54442d18, v10
	v_add_f64 v[10:11], -v[84:85], s[40:41]
	v_cndmask_b32_e64 v11, v85, v11, s[8:9]
	v_cndmask_b32_e64 v10, v84, v10, s[8:9]
	s_mov_b32 s42, s40
	v_add_f64 v[84:85], -v[10:11], s[42:43]
	v_cmp_class_f64_e64 s[58:59], v[12:13], s77
	v_cndmask_b32_e32 v1, v114, v115, vcc
	v_cndmask_b32_e32 v8, v116, v117, vcc
	;; [unrolled: 1-line block ×4, first 2 shown]
	v_cmp_eq_f64_e32 vcc, 0, v[12:13]
	v_bfi_b32 v8, s76, v8, v13
	v_cndmask_b32_e32 v10, v10, v69, vcc
	v_cndmask_b32_e32 v11, v11, v16, vcc
	s_and_b64 vcc, s[58:59], s[60:61]
	v_cndmask_b32_e32 v85, v11, v8, vcc
	v_cndmask_b32_e32 v84, v10, v1, vcc
.LBB180_244:                            ;   in Loop: Header=BB180_145 Depth=1
	s_or_b64 exec, exec, s[56:57]
.LBB180_245:                            ;   in Loop: Header=BB180_145 Depth=1
	s_or_b64 exec, exec, s[10:11]
.LBB180_246:                            ;   in Loop: Header=BB180_145 Depth=1
	s_andn2_saveexec_b64 s[56:57], s[12:13]
	s_cbranch_execz .LBB180_248
; %bb.247:                              ;   in Loop: Header=BB180_145 Depth=1
	v_div_scale_f64 v[6:7], s[10:11], s[48:49], s[48:49], v[10:11]
	v_rcp_f64_e32 v[84:85], v[6:7]
	v_div_scale_f64 v[86:87], vcc, v[10:11], s[48:49], v[10:11]
	s_mov_b32 s42, s40
	v_fma_f64 v[88:89], -v[6:7], v[84:85], 1.0
	v_fmac_f64_e32 v[84:85], v[84:85], v[88:89]
	v_fma_f64 v[88:89], -v[6:7], v[84:85], 1.0
	v_fmac_f64_e32 v[84:85], v[84:85], v[88:89]
	v_mul_f64 v[88:89], v[86:87], v[84:85]
	v_fma_f64 v[6:7], -v[6:7], v[88:89], v[86:87]
	v_div_scale_f64 v[86:87], s[10:11], s[48:49], s[48:49], v[12:13]
	v_rcp_f64_e32 v[90:91], v[86:87]
	v_div_fmas_f64 v[6:7], v[6:7], v[84:85], v[88:89]
	v_div_fixup_f64 v[6:7], v[6:7], s[48:49], v[10:11]
	v_cmp_class_f64_e64 s[12:13], v[6:7], s77
	v_fma_f64 v[84:85], -v[86:87], v[90:91], 1.0
	v_fmac_f64_e32 v[90:91], v[90:91], v[84:85]
	v_fma_f64 v[84:85], -v[86:87], v[90:91], 1.0
	v_fmac_f64_e32 v[90:91], v[90:91], v[84:85]
	v_div_scale_f64 v[84:85], vcc, v[12:13], s[48:49], v[12:13]
	v_mul_f64 v[88:89], v[84:85], v[90:91]
	v_fma_f64 v[84:85], -v[86:87], v[88:89], v[84:85]
	s_nop 1
	v_div_fmas_f64 v[84:85], v[84:85], v[90:91], v[88:89]
	v_div_fixup_f64 v[84:85], v[84:85], s[48:49], v[12:13]
	v_max_f64 v[86:87], |v[6:7]|, |v[84:85]|
	v_frexp_exp_i32_f64_e32 v1, v[86:87]
	v_sub_u32_e32 v8, 0, v1
	v_ldexp_f64 v[88:89], |v[84:85]|, v8
	v_ldexp_f64 v[86:87], |v[6:7]|, v8
	v_mul_f64 v[88:89], v[88:89], v[88:89]
	v_fmac_f64_e32 v[88:89], v[86:87], v[86:87]
	v_rsq_f64_e32 v[86:87], v[88:89]
	v_cmp_eq_f64_e32 vcc, 0, v[88:89]
	v_cmp_o_f64_e64 s[10:11], v[6:7], v[84:85]
	v_cmp_class_f64_e64 s[58:59], v[84:85], s77
	v_mul_f64 v[90:91], v[88:89], v[86:87]
	v_mul_f64 v[86:87], v[86:87], 0.5
	v_fma_f64 v[92:93], -v[86:87], v[90:91], 0.5
	v_fmac_f64_e32 v[90:91], v[90:91], v[92:93]
	v_fmac_f64_e32 v[86:87], v[86:87], v[92:93]
	v_fma_f64 v[92:93], -v[90:91], v[90:91], v[88:89]
	v_fmac_f64_e32 v[90:91], v[92:93], v[86:87]
	v_cndmask_b32_e32 v87, v91, v89, vcc
	v_cndmask_b32_e32 v86, v90, v88, vcc
	v_ldexp_f64 v[86:87], v[86:87], v1
	v_cndmask_b32_e64 v1, 0, v86, s[10:11]
	v_cndmask_b32_e64 v8, v112, v87, s[10:11]
	s_or_b64 vcc, s[58:59], s[12:13]
	v_cndmask_b32_e32 v85, v8, v119, vcc
	v_cndmask_b32_e64 v84, v1, 0, vcc
	v_frexp_mant_f64_e32 v[6:7], v[84:85]
	v_cmp_gt_f64_e64 s[12:13], s[26:27], v[6:7]
	v_cndmask_b32_e64 v69, v118, 2.0, s[12:13]
	v_mul_f64 v[6:7], v[6:7], v[68:69]
	v_add_f64 v[88:89], v[6:7], 1.0
	v_rcp_f64_e32 v[90:91], v[88:89]
	v_add_f64 v[94:95], v[88:89], -1.0
	v_add_f64 v[92:93], v[6:7], -1.0
	v_add_f64 v[6:7], v[6:7], -v[94:95]
	v_fma_f64 v[94:95], -v[88:89], v[90:91], 1.0
	v_fmac_f64_e32 v[90:91], v[94:95], v[90:91]
	v_fma_f64 v[94:95], -v[88:89], v[90:91], 1.0
	v_fmac_f64_e32 v[90:91], v[94:95], v[90:91]
	v_mul_f64 v[94:95], v[92:93], v[90:91]
	v_mul_f64 v[96:97], v[88:89], v[94:95]
	v_fma_f64 v[88:89], v[94:95], v[88:89], -v[96:97]
	v_fmac_f64_e32 v[88:89], v[94:95], v[6:7]
	v_add_f64 v[6:7], v[96:97], v[88:89]
	v_add_f64 v[98:99], v[92:93], -v[6:7]
	v_add_f64 v[96:97], v[6:7], -v[96:97]
	;; [unrolled: 1-line block ×5, first 2 shown]
	v_add_f64 v[6:7], v[88:89], v[6:7]
	v_add_f64 v[6:7], v[98:99], v[6:7]
	v_mul_f64 v[6:7], v[90:91], v[6:7]
	v_add_f64 v[88:89], v[94:95], v[6:7]
	v_add_f64 v[90:91], v[88:89], -v[94:95]
	v_add_f64 v[6:7], v[6:7], -v[90:91]
	v_mul_f64 v[90:91], v[88:89], v[88:89]
	v_pk_mov_b32 v[92:93], v[18:19], v[18:19] op_sel:[0,1]
	v_fmac_f64_e32 v[92:93], s[28:29], v[90:91]
	v_pk_mov_b32 v[94:95], v[20:21], v[20:21] op_sel:[0,1]
	v_fmac_f64_e32 v[94:95], v[90:91], v[92:93]
	;; [unrolled: 2-line block ×6, first 2 shown]
	v_ldexp_f64 v[92:93], v[88:89], 1
	v_mul_f64 v[88:89], v[88:89], v[90:91]
	v_mul_f64 v[88:89], v[88:89], v[94:95]
	v_add_f64 v[90:91], v[92:93], v[88:89]
	v_add_f64 v[92:93], v[90:91], -v[92:93]
	v_ldexp_f64 v[6:7], v[6:7], 1
	v_add_f64 v[88:89], v[88:89], -v[92:93]
	v_add_f64 v[6:7], v[6:7], v[88:89]
	v_frexp_exp_i32_f64_e32 v16, v[84:85]
	v_add_f64 v[88:89], v[90:91], v[6:7]
	v_subbrev_co_u32_e64 v16, s[12:13], 0, v16, s[12:13]
	v_add_f64 v[90:91], v[88:89], -v[90:91]
	v_add_f64 v[6:7], v[6:7], -v[90:91]
	v_cvt_f64_i32_e32 v[90:91], v16
	v_mul_f64 v[92:93], v[90:91], s[30:31]
	v_fma_f64 v[94:95], v[90:91], s[30:31], -v[92:93]
	v_fmac_f64_e32 v[94:95], s[34:35], v[90:91]
	v_add_f64 v[90:91], v[92:93], v[94:95]
	v_add_f64 v[92:93], v[90:91], -v[92:93]
	v_add_f64 v[92:93], v[94:95], -v[92:93]
	v_add_f64 v[94:95], v[90:91], v[88:89]
	v_add_f64 v[96:97], v[94:95], -v[90:91]
	v_add_f64 v[98:99], v[94:95], -v[96:97]
	;; [unrolled: 1-line block ×4, first 2 shown]
	v_add_f64 v[88:89], v[88:89], v[90:91]
	v_add_f64 v[90:91], v[92:93], v[6:7]
	v_add_f64 v[96:97], v[90:91], -v[92:93]
	v_add_f64 v[98:99], v[90:91], -v[96:97]
	v_add_f64 v[88:89], v[90:91], v[88:89]
	v_add_f64 v[92:93], v[92:93], -v[98:99]
	v_add_f64 v[6:7], v[6:7], -v[96:97]
	v_add_f64 v[90:91], v[94:95], v[88:89]
	v_add_f64 v[6:7], v[6:7], v[92:93]
	v_add_f64 v[92:93], v[90:91], -v[94:95]
	v_add_f64 v[88:89], v[88:89], -v[92:93]
	v_and_b32_e32 v87, 0x7fffffff, v87
	v_add_f64 v[6:7], v[6:7], v[88:89]
	v_cmp_eq_f64_e64 s[12:13], s[36:37], v[86:87]
	v_add_f64 v[6:7], v[90:91], v[6:7]
	s_and_b64 s[10:11], s[10:11], s[12:13]
	v_cndmask_b32_e64 v7, v7, v8, s[10:11]
	v_cndmask_b32_e64 v6, v6, v1, s[10:11]
	v_add_f64 v[6:7], v[6:7], 1.0
	v_cndmask_b32_e64 v1, v6, 0, vcc
	v_cndmask_b32_e32 v6, v7, v119, vcc
	v_cmp_ngt_f64_e32 vcc, 0, v[84:85]
	v_cndmask_b32_e32 v8, v112, v6, vcc
	v_max_f64 v[6:7], |v[12:13]|, |v[12:13]|
	v_max_f64 v[86:87], |v[10:11]|, |v[10:11]|
	v_max_f64 v[88:89], v[86:87], v[6:7]
	v_min_f64 v[86:87], v[86:87], v[6:7]
	v_div_scale_f64 v[90:91], s[10:11], v[88:89], v[88:89], v[86:87]
	v_rcp_f64_e32 v[92:93], v[90:91]
	v_cmp_nge_f64_e32 vcc, 0, v[84:85]
	v_cndmask_b32_e32 v6, 0, v1, vcc
	v_cmp_neq_f64_e32 vcc, 0, v[84:85]
	v_fma_f64 v[84:85], -v[90:91], v[92:93], 1.0
	v_fmac_f64_e32 v[92:93], v[92:93], v[84:85]
	v_fma_f64 v[84:85], -v[90:91], v[92:93], 1.0
	v_cndmask_b32_e32 v7, v113, v8, vcc
	v_fmac_f64_e32 v[92:93], v[92:93], v[84:85]
	v_div_scale_f64 v[84:85], vcc, v[86:87], v[88:89], v[86:87]
	v_mul_f64 v[94:95], v[84:85], v[92:93]
	v_fma_f64 v[84:85], -v[90:91], v[94:95], v[84:85]
	v_pk_mov_b32 v[90:91], v[32:33], v[32:33] op_sel:[0,1]
	s_nop 0
	v_div_fmas_f64 v[84:85], v[84:85], v[92:93], v[94:95]
	v_div_fixup_f64 v[84:85], v[84:85], v[88:89], v[86:87]
	v_mul_f64 v[86:87], v[84:85], v[84:85]
	v_pk_mov_b32 v[88:89], v[30:31], v[30:31] op_sel:[0,1]
	v_fmac_f64_e32 v[88:89], s[38:39], v[86:87]
	v_fmac_f64_e32 v[90:91], v[86:87], v[88:89]
	v_pk_mov_b32 v[88:89], v[34:35], v[34:35] op_sel:[0,1]
	v_fmac_f64_e32 v[88:89], v[86:87], v[90:91]
	v_pk_mov_b32 v[90:91], v[36:37], v[36:37] op_sel:[0,1]
	;; [unrolled: 2-line block ×17, first 2 shown]
	v_fmac_f64_e32 v[88:89], v[86:87], v[90:91]
	v_mul_f64 v[86:87], v[86:87], v[88:89]
	v_fmac_f64_e32 v[84:85], v[84:85], v[86:87]
	v_cmp_class_f64_e64 s[12:13], v[10:11], s77
	v_ashrrev_i32_e32 v10, 31, v11
	v_cmp_gt_i32_e32 vcc, 0, v11
	v_and_b32_e32 v16, 0x400921fb, v10
	v_and_b32_e32 v69, 0x54442d18, v10
	v_add_f64 v[10:11], -v[84:85], s[40:41]
	v_cndmask_b32_e64 v11, v85, v11, s[8:9]
	v_cndmask_b32_e64 v10, v84, v10, s[8:9]
	v_add_f64 v[84:85], -v[10:11], s[42:43]
	v_cmp_class_f64_e64 s[10:11], v[12:13], s77
	v_cndmask_b32_e32 v1, v114, v115, vcc
	v_cndmask_b32_e32 v8, v116, v117, vcc
	;; [unrolled: 1-line block ×4, first 2 shown]
	v_cmp_eq_f64_e32 vcc, 0, v[12:13]
	v_bfi_b32 v8, s76, v8, v13
	v_cndmask_b32_e32 v10, v10, v69, vcc
	v_cndmask_b32_e32 v11, v11, v16, vcc
	s_and_b64 vcc, s[10:11], s[12:13]
	v_cndmask_b32_e32 v85, v11, v8, vcc
	v_cndmask_b32_e32 v84, v10, v1, vcc
.LBB180_248:                            ;   in Loop: Header=BB180_145 Depth=1
	s_or_b64 exec, exec, s[56:57]
.LBB180_249:                            ;   in Loop: Header=BB180_145 Depth=1
	s_andn2_saveexec_b64 s[8:9], s[54:55]
	s_cbranch_execz .LBB180_255
; %bb.250:                              ;   in Loop: Header=BB180_145 Depth=1
	v_cmp_nlt_f64_e64 s[10:11], |v[10:11]|, s[50:51]
	v_cmp_nlt_f64_e64 s[12:13], |v[12:13]|, s[50:51]
	s_or_b64 s[10:11], s[12:13], s[10:11]
                                        ; implicit-def: $vgpr84_vgpr85
	s_and_saveexec_b64 s[12:13], s[10:11]
	s_xor_b64 s[10:11], exec, s[12:13]
; %bb.251:                              ;   in Loop: Header=BB180_145 Depth=1
	v_mul_f64 v[84:85], v[10:11], v[10:11]
	v_fmac_f64_e32 v[84:85], v[12:13], v[12:13]
; %bb.252:                              ;   in Loop: Header=BB180_145 Depth=1
	s_andn2_saveexec_b64 s[10:11], s[10:11]
; %bb.253:                              ;   in Loop: Header=BB180_145 Depth=1
	v_mul_f64 v[6:7], v[10:11], 4.0
	v_mul_f64 v[10:11], v[12:13], 4.0
	v_mul_f64 v[6:7], v[6:7], v[6:7]
	v_fmac_f64_e32 v[6:7], v[10:11], v[10:11]
	v_ldexp_f64 v[84:85], v[6:7], -4
; %bb.254:                              ;   in Loop: Header=BB180_145 Depth=1
	s_or_b64 exec, exec, s[10:11]
	v_frexp_mant_f64_e32 v[6:7], v[84:85]
	v_cmp_gt_f64_e32 vcc, s[26:27], v[6:7]
	v_cndmask_b32_e64 v69, v118, 2.0, vcc
	v_mul_f64 v[6:7], v[6:7], v[68:69]
	v_add_f64 v[10:11], v[6:7], 1.0
	v_rcp_f64_e32 v[86:87], v[10:11]
	v_add_f64 v[90:91], v[10:11], -1.0
	v_add_f64 v[88:89], v[6:7], -1.0
	v_add_f64 v[6:7], v[6:7], -v[90:91]
	v_fma_f64 v[90:91], -v[10:11], v[86:87], 1.0
	v_fmac_f64_e32 v[86:87], v[90:91], v[86:87]
	v_fma_f64 v[90:91], -v[10:11], v[86:87], 1.0
	v_fmac_f64_e32 v[86:87], v[90:91], v[86:87]
	v_mul_f64 v[90:91], v[88:89], v[86:87]
	v_mul_f64 v[92:93], v[10:11], v[90:91]
	v_fma_f64 v[10:11], v[90:91], v[10:11], -v[92:93]
	v_fmac_f64_e32 v[10:11], v[90:91], v[6:7]
	v_add_f64 v[6:7], v[92:93], v[10:11]
	v_add_f64 v[94:95], v[88:89], -v[6:7]
	v_add_f64 v[92:93], v[6:7], -v[92:93]
	;; [unrolled: 1-line block ×5, first 2 shown]
	v_add_f64 v[6:7], v[10:11], v[6:7]
	v_add_f64 v[6:7], v[94:95], v[6:7]
	v_mul_f64 v[6:7], v[86:87], v[6:7]
	v_add_f64 v[10:11], v[90:91], v[6:7]
	v_add_f64 v[86:87], v[10:11], -v[90:91]
	v_add_f64 v[6:7], v[6:7], -v[86:87]
	v_mul_f64 v[86:87], v[10:11], v[10:11]
	v_pk_mov_b32 v[88:89], v[18:19], v[18:19] op_sel:[0,1]
	v_fmac_f64_e32 v[88:89], s[28:29], v[86:87]
	v_pk_mov_b32 v[90:91], v[20:21], v[20:21] op_sel:[0,1]
	v_fmac_f64_e32 v[90:91], v[86:87], v[88:89]
	;; [unrolled: 2-line block ×6, first 2 shown]
	v_ldexp_f64 v[88:89], v[10:11], 1
	v_mul_f64 v[10:11], v[10:11], v[86:87]
	v_mul_f64 v[10:11], v[10:11], v[90:91]
	v_add_f64 v[86:87], v[88:89], v[10:11]
	v_add_f64 v[88:89], v[86:87], -v[88:89]
	v_ldexp_f64 v[6:7], v[6:7], 1
	v_add_f64 v[10:11], v[10:11], -v[88:89]
	v_add_f64 v[6:7], v[6:7], v[10:11]
	v_frexp_exp_i32_f64_e32 v1, v[84:85]
	v_add_f64 v[10:11], v[86:87], v[6:7]
	v_subbrev_co_u32_e32 v1, vcc, 0, v1, vcc
	v_add_f64 v[86:87], v[10:11], -v[86:87]
	v_add_f64 v[6:7], v[6:7], -v[86:87]
	v_cvt_f64_i32_e32 v[86:87], v1
	v_mul_f64 v[88:89], v[86:87], s[30:31]
	v_fma_f64 v[90:91], v[86:87], s[30:31], -v[88:89]
	v_fmac_f64_e32 v[90:91], s[34:35], v[86:87]
	v_add_f64 v[86:87], v[88:89], v[90:91]
	v_add_f64 v[88:89], v[86:87], -v[88:89]
	v_add_f64 v[88:89], v[90:91], -v[88:89]
	v_add_f64 v[90:91], v[86:87], v[10:11]
	v_add_f64 v[92:93], v[90:91], -v[86:87]
	v_add_f64 v[94:95], v[90:91], -v[92:93]
	;; [unrolled: 1-line block ×4, first 2 shown]
	v_add_f64 v[10:11], v[10:11], v[86:87]
	v_add_f64 v[86:87], v[88:89], v[6:7]
	v_add_f64 v[92:93], v[86:87], -v[88:89]
	v_add_f64 v[94:95], v[86:87], -v[92:93]
	v_add_f64 v[10:11], v[86:87], v[10:11]
	v_add_f64 v[88:89], v[88:89], -v[94:95]
	v_add_f64 v[6:7], v[6:7], -v[92:93]
	v_add_f64 v[86:87], v[90:91], v[10:11]
	v_add_f64 v[6:7], v[6:7], v[88:89]
	v_add_f64 v[88:89], v[86:87], -v[90:91]
	v_add_f64 v[10:11], v[10:11], -v[88:89]
	v_add_f64 v[6:7], v[6:7], v[10:11]
	v_add_f64 v[6:7], v[86:87], v[6:7]
	v_cmp_class_f64_e64 vcc, v[84:85], s77
	v_cndmask_b32_e32 v1, v6, v84, vcc
	v_cndmask_b32_e32 v6, v7, v85, vcc
	v_cmp_ngt_f64_e32 vcc, 0, v[84:85]
	v_cndmask_b32_e32 v7, v112, v6, vcc
	v_cmp_nge_f64_e32 vcc, 0, v[84:85]
	v_cndmask_b32_e32 v6, 0, v1, vcc
	v_cmp_neq_f64_e32 vcc, 0, v[84:85]
	v_mov_b32_e32 v84, 0
	v_cndmask_b32_e32 v7, v113, v7, vcc
	v_mov_b32_e32 v85, 0x7ff80000
.LBB180_255:                            ;   in Loop: Header=BB180_145 Depth=1
	s_or_b64 exec, exec, s[8:9]
	v_cmp_o_f64_e32 vcc, v[2:3], v[4:5]
                                        ; implicit-def: $vgpr10_vgpr11
                                        ; implicit-def: $vgpr86_vgpr87
	s_and_saveexec_b64 s[8:9], vcc
	s_xor_b64 s[54:55], exec, s[8:9]
	s_cbranch_execnz .LBB180_261
; %bb.256:                              ;   in Loop: Header=BB180_145 Depth=1
	s_andn2_saveexec_b64 s[8:9], s[54:55]
	s_cbranch_execnz .LBB180_288
.LBB180_257:                            ;   in Loop: Header=BB180_145 Depth=1
	s_or_b64 exec, exec, s[8:9]
	s_and_saveexec_b64 s[8:9], s[6:7]
	s_xor_b64 s[6:7], exec, s[8:9]
	s_cbranch_execnz .LBB180_293
.LBB180_258:                            ;   in Loop: Header=BB180_145 Depth=1
	s_or_b64 exec, exec, s[6:7]
	s_and_saveexec_b64 s[6:7], s[4:5]
	s_cbranch_execnz .LBB180_294
.LBB180_259:                            ;   in Loop: Header=BB180_145 Depth=1
	s_or_b64 exec, exec, s[6:7]
	s_and_saveexec_b64 s[4:5], s[2:3]
	s_cbranch_execnz .LBB180_295
.LBB180_260:                            ;   in Loop: Header=BB180_145 Depth=1
	s_or_b64 exec, exec, s[4:5]
	s_and_saveexec_b64 s[2:3], s[0:1]
	s_cbranch_execz .LBB180_144
	s_branch .LBB180_296
.LBB180_261:                            ;   in Loop: Header=BB180_145 Depth=1
	v_and_b32_e32 v12, 0x7fffffff, v3
	v_and_b32_e32 v1, 0x7fffffff, v5
	v_mov_b32_e32 v8, v4
	v_cmp_lt_f64_e64 s[8:9], |v[2:3]|, |v[4:5]|
	v_cndmask_b32_e64 v89, v1, v12, s[8:9]
	v_cndmask_b32_e64 v88, v8, v2, s[8:9]
	v_cmp_nlt_f64_e32 vcc, s[20:21], v[88:89]
                                        ; implicit-def: $vgpr10_vgpr11
                                        ; implicit-def: $vgpr86_vgpr87
	s_and_saveexec_b64 s[10:11], vcc
	s_xor_b64 s[12:13], exec, s[10:11]
	s_cbranch_execz .LBB180_285
; %bb.262:                              ;   in Loop: Header=BB180_145 Depth=1
	v_cndmask_b32_e64 v93, v12, v1, s[8:9]
	v_cndmask_b32_e64 v92, v2, v8, s[8:9]
	v_cmp_neq_f64_e32 vcc, 1.0, v[92:93]
                                        ; implicit-def: $vgpr10_vgpr11
                                        ; implicit-def: $vgpr86_vgpr87
	s_and_saveexec_b64 s[10:11], vcc
	s_xor_b64 s[56:57], exec, s[10:11]
	s_cbranch_execz .LBB180_278
; %bb.263:                              ;   in Loop: Header=BB180_145 Depth=1
	v_max_f64 v[10:11], v[88:89], v[88:89]
	v_max_f64 v[86:87], v[92:93], v[92:93]
	v_min_f64 v[90:91], v[86:87], v[10:11]
	v_max_f64 v[10:11], v[86:87], v[10:11]
	v_cmp_ngt_f64_e32 vcc, s[22:23], v[90:91]
	v_cmp_nlt_f64_e64 s[10:11], s[24:25], v[10:11]
	s_and_b64 s[10:11], s[10:11], vcc
                                        ; implicit-def: $vgpr10_vgpr11
                                        ; implicit-def: $vgpr86_vgpr87
	s_and_saveexec_b64 s[58:59], s[10:11]
	s_xor_b64 s[58:59], exec, s[58:59]
	s_cbranch_execz .LBB180_275
; %bb.264:                              ;   in Loop: Header=BB180_145 Depth=1
	v_cmp_le_f64_e32 vcc, 1.0, v[92:93]
                                        ; implicit-def: $vgpr10_vgpr11
                                        ; implicit-def: $vgpr86_vgpr87
	s_and_saveexec_b64 s[10:11], vcc
	s_xor_b64 s[10:11], exec, s[10:11]
	s_cbranch_execz .LBB180_266
; %bb.265:                              ;   in Loop: Header=BB180_145 Depth=1
	v_add_f64 v[10:11], v[92:93], -1.0
	v_add_f64 v[86:87], v[92:93], 1.0
	v_mul_f64 v[86:87], v[10:11], v[86:87]
	v_fmac_f64_e32 v[86:87], v[88:89], v[88:89]
	v_add_f64 v[10:11], v[86:87], 1.0
	v_add_f64 v[88:89], v[10:11], -1.0
	v_add_f64 v[90:91], v[88:89], -v[10:11]
	v_add_f64 v[90:91], v[90:91], 1.0
	v_add_f64 v[88:89], v[86:87], -v[88:89]
	v_add_f64 v[88:89], v[88:89], v[90:91]
	v_frexp_mant_f64_e32 v[90:91], v[10:11]
	v_frexp_exp_i32_f64_e32 v1, v[10:11]
	v_cmp_gt_f64_e32 vcc, s[26:27], v[90:91]
	v_subbrev_co_u32_e32 v1, vcc, 0, v1, vcc
	v_sub_u32_e32 v8, 0, v1
	v_ldexp_f64 v[10:11], v[10:11], v8
	v_add_f64 v[90:91], v[10:11], -1.0
	v_add_f64 v[96:97], v[10:11], 1.0
	v_add_f64 v[92:93], v[90:91], 1.0
	v_add_f64 v[98:99], v[96:97], -1.0
	v_ldexp_f64 v[88:89], v[88:89], v8
	v_add_f64 v[92:93], v[10:11], -v[92:93]
	v_add_f64 v[10:11], v[10:11], -v[98:99]
	v_add_f64 v[10:11], v[88:89], v[10:11]
	v_add_f64 v[92:93], v[88:89], v[92:93]
	;; [unrolled: 1-line block ×3, first 2 shown]
	v_rcp_f64_e32 v[98:99], v[88:89]
	v_add_f64 v[94:95], v[90:91], v[92:93]
	v_add_f64 v[90:91], v[94:95], -v[90:91]
	v_add_f64 v[90:91], v[92:93], -v[90:91]
	;; [unrolled: 1-line block ×4, first 2 shown]
	v_fma_f64 v[92:93], -v[88:89], v[98:99], 1.0
	v_fmac_f64_e32 v[98:99], v[92:93], v[98:99]
	v_fma_f64 v[92:93], -v[88:89], v[98:99], 1.0
	v_fmac_f64_e32 v[98:99], v[92:93], v[98:99]
	v_mul_f64 v[92:93], v[94:95], v[98:99]
	v_mul_f64 v[96:97], v[88:89], v[92:93]
	v_fma_f64 v[100:101], v[92:93], v[88:89], -v[96:97]
	v_fmac_f64_e32 v[100:101], v[92:93], v[10:11]
	v_add_f64 v[102:103], v[96:97], v[100:101]
	v_add_f64 v[104:105], v[94:95], -v[102:103]
	v_add_f64 v[94:95], v[94:95], -v[104:105]
	;; [unrolled: 1-line block ×4, first 2 shown]
	v_add_f64 v[90:91], v[90:91], v[94:95]
	v_add_f64 v[94:95], v[96:97], -v[100:101]
	v_add_f64 v[90:91], v[94:95], v[90:91]
	v_add_f64 v[94:95], v[104:105], v[90:91]
	v_add_f64 v[96:97], v[104:105], -v[94:95]
	v_add_f64 v[90:91], v[90:91], v[96:97]
	v_mul_f64 v[96:97], v[98:99], v[94:95]
	v_mul_f64 v[100:101], v[88:89], v[96:97]
	v_fma_f64 v[88:89], v[96:97], v[88:89], -v[100:101]
	v_fmac_f64_e32 v[88:89], v[96:97], v[10:11]
	v_add_f64 v[10:11], v[100:101], v[88:89]
	v_add_f64 v[102:103], v[94:95], -v[10:11]
	v_add_f64 v[94:95], v[94:95], -v[102:103]
	;; [unrolled: 1-line block ×4, first 2 shown]
	v_add_f64 v[10:11], v[90:91], v[10:11]
	v_add_f64 v[88:89], v[100:101], -v[88:89]
	v_add_f64 v[10:11], v[88:89], v[10:11]
	v_add_f64 v[88:89], v[92:93], v[96:97]
	;; [unrolled: 1-line block ×3, first 2 shown]
	v_add_f64 v[90:91], v[88:89], -v[92:93]
	v_mul_f64 v[10:11], v[98:99], v[10:11]
	v_add_f64 v[90:91], v[96:97], -v[90:91]
	v_add_f64 v[10:11], v[90:91], v[10:11]
	v_add_f64 v[90:91], v[88:89], v[10:11]
	v_add_f64 v[88:89], v[90:91], -v[88:89]
	v_add_f64 v[10:11], v[10:11], -v[88:89]
	v_mul_f64 v[88:89], v[90:91], v[90:91]
	v_pk_mov_b32 v[92:93], v[18:19], v[18:19] op_sel:[0,1]
	v_fmac_f64_e32 v[92:93], s[28:29], v[88:89]
	v_pk_mov_b32 v[94:95], v[20:21], v[20:21] op_sel:[0,1]
	v_fmac_f64_e32 v[94:95], v[88:89], v[92:93]
	;; [unrolled: 2-line block ×6, first 2 shown]
	v_cvt_f64_i32_e32 v[92:93], v1
	v_mul_f64 v[96:97], v[92:93], s[30:31]
	v_fma_f64 v[98:99], v[92:93], s[30:31], -v[96:97]
	v_fmac_f64_e32 v[98:99], s[34:35], v[92:93]
	v_add_f64 v[92:93], v[96:97], v[98:99]
	v_add_f64 v[96:97], v[92:93], -v[96:97]
	v_mul_f64 v[88:89], v[90:91], v[88:89]
	v_add_f64 v[96:97], v[98:99], -v[96:97]
	v_ldexp_f64 v[98:99], v[90:91], 1
	v_mul_f64 v[88:89], v[88:89], v[94:95]
	v_add_f64 v[90:91], v[98:99], v[88:89]
	v_add_f64 v[94:95], v[90:91], -v[98:99]
	v_ldexp_f64 v[10:11], v[10:11], 1
	v_add_f64 v[88:89], v[88:89], -v[94:95]
	v_add_f64 v[10:11], v[10:11], v[88:89]
	v_add_f64 v[88:89], v[90:91], v[10:11]
	v_add_f64 v[90:91], v[88:89], -v[90:91]
	v_add_f64 v[10:11], v[10:11], -v[90:91]
	v_add_f64 v[90:91], v[92:93], v[88:89]
	v_add_f64 v[94:95], v[90:91], -v[92:93]
	v_add_f64 v[98:99], v[90:91], -v[94:95]
	;; [unrolled: 1-line block ×4, first 2 shown]
	v_add_f64 v[88:89], v[88:89], v[92:93]
	v_add_f64 v[92:93], v[96:97], v[10:11]
	v_add_f64 v[94:95], v[92:93], -v[96:97]
	v_add_f64 v[88:89], v[92:93], v[88:89]
	v_add_f64 v[98:99], v[92:93], -v[94:95]
	;; [unrolled: 2-line block ×3, first 2 shown]
	v_add_f64 v[10:11], v[10:11], -v[94:95]
	v_add_f64 v[90:91], v[92:93], -v[90:91]
	v_add_f64 v[10:11], v[10:11], v[96:97]
	v_add_f64 v[88:89], v[88:89], -v[90:91]
	v_add_f64 v[10:11], v[10:11], v[88:89]
	v_max_f64 v[88:89], |v[4:5]|, |v[4:5]|
	v_max_f64 v[90:91], |v[2:3]|, |v[2:3]|
	v_add_f64 v[10:11], v[92:93], v[10:11]
	v_max_f64 v[92:93], v[90:91], v[88:89]
	v_min_f64 v[88:89], v[90:91], v[88:89]
	v_div_scale_f64 v[90:91], s[60:61], v[92:93], v[92:93], v[88:89]
	v_cmp_eq_f64_e32 vcc, s[36:37], v[86:87]
	v_rcp_f64_e32 v[94:95], v[90:91]
	v_cndmask_b32_e32 v11, v11, v87, vcc
	v_cndmask_b32_e32 v10, v10, v86, vcc
	v_mul_f64 v[10:11], v[10:11], 0.5
	v_cmp_ngt_f64_e32 vcc, -1.0, v[86:87]
	v_cndmask_b32_e32 v1, v112, v11, vcc
	v_cmp_nge_f64_e32 vcc, -1.0, v[86:87]
	v_cndmask_b32_e32 v10, 0, v10, vcc
	v_cmp_neq_f64_e32 vcc, -1.0, v[86:87]
	v_fma_f64 v[86:87], -v[90:91], v[94:95], 1.0
	v_fmac_f64_e32 v[94:95], v[94:95], v[86:87]
	v_fma_f64 v[86:87], -v[90:91], v[94:95], 1.0
	v_cndmask_b32_e32 v11, v113, v1, vcc
	v_fmac_f64_e32 v[94:95], v[94:95], v[86:87]
	v_div_scale_f64 v[86:87], vcc, v[88:89], v[92:93], v[88:89]
	v_mul_f64 v[96:97], v[86:87], v[94:95]
	v_fma_f64 v[86:87], -v[90:91], v[96:97], v[86:87]
	v_pk_mov_b32 v[90:91], v[30:31], v[30:31] op_sel:[0,1]
	s_nop 0
	v_div_fmas_f64 v[86:87], v[86:87], v[94:95], v[96:97]
	v_div_fixup_f64 v[86:87], v[86:87], v[92:93], v[88:89]
	v_mul_f64 v[88:89], v[86:87], v[86:87]
	v_fmac_f64_e32 v[90:91], s[38:39], v[88:89]
	v_pk_mov_b32 v[92:93], v[32:33], v[32:33] op_sel:[0,1]
	v_fmac_f64_e32 v[92:93], v[88:89], v[90:91]
	v_pk_mov_b32 v[90:91], v[34:35], v[34:35] op_sel:[0,1]
	;; [unrolled: 2-line block ×18, first 2 shown]
	v_fmac_f64_e32 v[90:91], v[88:89], v[92:93]
	v_cmp_gt_i32_e32 vcc, 0, v3
	v_mul_f64 v[88:89], v[88:89], v[90:91]
	v_cmp_class_f64_e64 s[62:63], v[2:3], s77
	v_cndmask_b32_e32 v2, v116, v117, vcc
	v_fmac_f64_e32 v[86:87], v[86:87], v[88:89]
	v_bfi_b32 v8, s76, v2, v5
	v_ashrrev_i32_e32 v2, 31, v3
	v_and_b32_e32 v12, 0x400921fb, v2
	v_and_b32_e32 v16, 0x54442d18, v2
	v_add_f64 v[2:3], -v[86:87], s[40:41]
	v_cndmask_b32_e64 v3, v87, v3, s[8:9]
	v_cndmask_b32_e64 v2, v86, v2, s[8:9]
	s_mov_b32 s42, s40
	v_add_f64 v[86:87], -v[2:3], s[42:43]
	v_cmp_class_f64_e64 s[60:61], v[4:5], s77
	v_cndmask_b32_e32 v1, v114, v115, vcc
	v_cndmask_b32_e32 v3, v3, v87, vcc
	;; [unrolled: 1-line block ×3, first 2 shown]
	v_cmp_eq_f64_e32 vcc, 0, v[4:5]
	v_cndmask_b32_e32 v2, v2, v16, vcc
	v_cndmask_b32_e32 v3, v3, v12, vcc
	s_and_b64 vcc, s[60:61], s[62:63]
	v_cndmask_b32_e32 v87, v3, v8, vcc
	v_cndmask_b32_e32 v86, v2, v1, vcc
                                        ; implicit-def: $vgpr88_vgpr89
                                        ; implicit-def: $vgpr92_vgpr93
.LBB180_266:                            ;   in Loop: Header=BB180_145 Depth=1
	s_andn2_saveexec_b64 s[60:61], s[10:11]
	s_cbranch_execz .LBB180_274
; %bb.267:                              ;   in Loop: Header=BB180_145 Depth=1
	v_mul_f64 v[90:91], v[88:89], v[88:89]
	v_fmac_f64_e32 v[90:91], v[92:93], v[92:93]
	v_cmp_ge_f64_e32 vcc, s[44:45], v[90:91]
                                        ; implicit-def: $vgpr10_vgpr11
                                        ; implicit-def: $vgpr86_vgpr87
	s_and_saveexec_b64 s[10:11], vcc
	s_xor_b64 s[10:11], exec, s[10:11]
	s_cbranch_execz .LBB180_269
; %bb.268:                              ;   in Loop: Header=BB180_145 Depth=1
	v_frexp_mant_f64_e32 v[10:11], v[90:91]
	v_cmp_gt_f64_e32 vcc, s[26:27], v[10:11]
	v_cndmask_b32_e64 v69, v118, 2.0, vcc
	v_mul_f64 v[10:11], v[10:11], v[68:69]
	v_add_f64 v[86:87], v[10:11], 1.0
	v_rcp_f64_e32 v[88:89], v[86:87]
	v_add_f64 v[94:95], v[86:87], -1.0
	v_add_f64 v[92:93], v[10:11], -1.0
	v_add_f64 v[10:11], v[10:11], -v[94:95]
	v_fma_f64 v[94:95], -v[86:87], v[88:89], 1.0
	v_fmac_f64_e32 v[88:89], v[94:95], v[88:89]
	v_fma_f64 v[94:95], -v[86:87], v[88:89], 1.0
	v_fmac_f64_e32 v[88:89], v[94:95], v[88:89]
	v_mul_f64 v[94:95], v[92:93], v[88:89]
	v_mul_f64 v[96:97], v[86:87], v[94:95]
	v_fma_f64 v[86:87], v[94:95], v[86:87], -v[96:97]
	v_fmac_f64_e32 v[86:87], v[94:95], v[10:11]
	v_add_f64 v[10:11], v[96:97], v[86:87]
	v_add_f64 v[98:99], v[92:93], -v[10:11]
	v_add_f64 v[96:97], v[10:11], -v[96:97]
	;; [unrolled: 1-line block ×5, first 2 shown]
	v_add_f64 v[10:11], v[86:87], v[10:11]
	v_add_f64 v[10:11], v[98:99], v[10:11]
	v_mul_f64 v[10:11], v[88:89], v[10:11]
	v_add_f64 v[86:87], v[94:95], v[10:11]
	v_add_f64 v[88:89], v[86:87], -v[94:95]
	v_add_f64 v[10:11], v[10:11], -v[88:89]
	v_mul_f64 v[88:89], v[86:87], v[86:87]
	v_pk_mov_b32 v[92:93], v[18:19], v[18:19] op_sel:[0,1]
	v_fmac_f64_e32 v[92:93], s[28:29], v[88:89]
	v_pk_mov_b32 v[94:95], v[20:21], v[20:21] op_sel:[0,1]
	v_fmac_f64_e32 v[94:95], v[88:89], v[92:93]
	;; [unrolled: 2-line block ×6, first 2 shown]
	v_ldexp_f64 v[92:93], v[86:87], 1
	v_mul_f64 v[86:87], v[86:87], v[88:89]
	v_mul_f64 v[86:87], v[86:87], v[94:95]
	v_add_f64 v[88:89], v[92:93], v[86:87]
	v_add_f64 v[92:93], v[88:89], -v[92:93]
	v_ldexp_f64 v[10:11], v[10:11], 1
	v_add_f64 v[86:87], v[86:87], -v[92:93]
	v_add_f64 v[10:11], v[10:11], v[86:87]
	v_frexp_exp_i32_f64_e32 v1, v[90:91]
	v_add_f64 v[86:87], v[88:89], v[10:11]
	v_subbrev_co_u32_e32 v1, vcc, 0, v1, vcc
	v_add_f64 v[88:89], v[86:87], -v[88:89]
	v_add_f64 v[10:11], v[10:11], -v[88:89]
	v_cvt_f64_i32_e32 v[88:89], v1
	v_mul_f64 v[92:93], v[88:89], s[30:31]
	v_fma_f64 v[94:95], v[88:89], s[30:31], -v[92:93]
	v_fmac_f64_e32 v[94:95], s[34:35], v[88:89]
	v_add_f64 v[88:89], v[92:93], v[94:95]
	v_add_f64 v[92:93], v[88:89], -v[92:93]
	v_add_f64 v[92:93], v[94:95], -v[92:93]
	v_add_f64 v[94:95], v[88:89], v[86:87]
	v_add_f64 v[96:97], v[94:95], -v[88:89]
	v_add_f64 v[98:99], v[94:95], -v[96:97]
	;; [unrolled: 1-line block ×4, first 2 shown]
	v_add_f64 v[86:87], v[86:87], v[88:89]
	v_add_f64 v[88:89], v[92:93], v[10:11]
	v_add_f64 v[96:97], v[88:89], -v[92:93]
	v_add_f64 v[98:99], v[88:89], -v[96:97]
	v_add_f64 v[86:87], v[88:89], v[86:87]
	v_add_f64 v[92:93], v[92:93], -v[98:99]
	v_add_f64 v[10:11], v[10:11], -v[96:97]
	v_add_f64 v[88:89], v[94:95], v[86:87]
	v_add_f64 v[10:11], v[10:11], v[92:93]
	v_add_f64 v[92:93], v[88:89], -v[94:95]
	v_add_f64 v[86:87], v[86:87], -v[92:93]
	v_add_f64 v[10:11], v[10:11], v[86:87]
	v_add_f64 v[10:11], v[88:89], v[10:11]
	v_max_f64 v[86:87], |v[4:5]|, |v[4:5]|
	v_max_f64 v[88:89], |v[2:3]|, |v[2:3]|
	v_max_f64 v[92:93], v[88:89], v[86:87]
	v_min_f64 v[86:87], v[88:89], v[86:87]
	v_div_scale_f64 v[88:89], s[62:63], v[92:93], v[92:93], v[86:87]
	v_rcp_f64_e32 v[94:95], v[88:89]
	v_cmp_neq_f64_e32 vcc, 0, v[90:91]
	v_mul_f64 v[10:11], v[10:11], 0.5
	v_cndmask_b32_e32 v11, v113, v11, vcc
	v_fma_f64 v[90:91], -v[88:89], v[94:95], 1.0
	v_fmac_f64_e32 v[94:95], v[94:95], v[90:91]
	v_fma_f64 v[90:91], -v[88:89], v[94:95], 1.0
	v_cndmask_b32_e32 v10, 0, v10, vcc
	v_fmac_f64_e32 v[94:95], v[94:95], v[90:91]
	v_div_scale_f64 v[90:91], vcc, v[86:87], v[92:93], v[86:87]
	v_mul_f64 v[96:97], v[90:91], v[94:95]
	v_fma_f64 v[88:89], -v[88:89], v[96:97], v[90:91]
	v_pk_mov_b32 v[90:91], v[30:31], v[30:31] op_sel:[0,1]
	s_nop 0
	v_div_fmas_f64 v[88:89], v[88:89], v[94:95], v[96:97]
	v_div_fixup_f64 v[86:87], v[88:89], v[92:93], v[86:87]
	v_mul_f64 v[88:89], v[86:87], v[86:87]
	v_fmac_f64_e32 v[90:91], s[38:39], v[88:89]
	v_pk_mov_b32 v[92:93], v[32:33], v[32:33] op_sel:[0,1]
	v_fmac_f64_e32 v[92:93], v[88:89], v[90:91]
	v_pk_mov_b32 v[90:91], v[34:35], v[34:35] op_sel:[0,1]
	;; [unrolled: 2-line block ×18, first 2 shown]
	v_fmac_f64_e32 v[90:91], v[88:89], v[92:93]
	v_cmp_gt_i32_e32 vcc, 0, v3
	v_mul_f64 v[88:89], v[88:89], v[90:91]
	v_cmp_class_f64_e64 s[64:65], v[2:3], s77
	v_cndmask_b32_e32 v2, v116, v117, vcc
	v_fmac_f64_e32 v[86:87], v[86:87], v[88:89]
	v_bfi_b32 v8, s76, v2, v5
	v_ashrrev_i32_e32 v2, 31, v3
	v_and_b32_e32 v12, 0x400921fb, v2
	v_and_b32_e32 v16, 0x54442d18, v2
	v_add_f64 v[2:3], -v[86:87], s[40:41]
	v_cndmask_b32_e64 v3, v87, v3, s[8:9]
	v_cndmask_b32_e64 v2, v86, v2, s[8:9]
	s_mov_b32 s42, s40
	v_add_f64 v[86:87], -v[2:3], s[42:43]
	v_cmp_class_f64_e64 s[62:63], v[4:5], s77
	v_cndmask_b32_e32 v1, v114, v115, vcc
	v_cndmask_b32_e32 v3, v3, v87, vcc
	v_cndmask_b32_e32 v2, v2, v86, vcc
	v_cmp_eq_f64_e32 vcc, 0, v[4:5]
	v_cndmask_b32_e32 v2, v2, v16, vcc
	v_cndmask_b32_e32 v3, v3, v12, vcc
	s_and_b64 vcc, s[62:63], s[64:65]
	v_cndmask_b32_e32 v87, v3, v8, vcc
	v_cndmask_b32_e32 v86, v2, v1, vcc
                                        ; implicit-def: $vgpr92_vgpr93
                                        ; implicit-def: $vgpr88_vgpr89
.LBB180_269:                            ;   in Loop: Header=BB180_145 Depth=1
	s_andn2_saveexec_b64 s[62:63], s[10:11]
	s_cbranch_execz .LBB180_273
; %bb.270:                              ;   in Loop: Header=BB180_145 Depth=1
	v_and_b32_e32 v69, 0x7ffffff8, v93
	v_add_f64 v[10:11], v[92:93], -v[68:69]
	v_and_b32_e32 v101, -8, v11
	v_mov_b32_e32 v100, v68
	v_and_b32_e32 v91, 0x7ffffff8, v89
	v_mov_b32_e32 v90, v68
	v_add_f64 v[104:105], v[10:11], -v[100:101]
	v_add_f64 v[10:11], v[88:89], -v[90:91]
	v_and_b32_e32 v103, -8, v11
	v_mov_b32_e32 v102, v68
	v_add_f64 v[94:95], v[68:69], v[68:69]
	v_add_f64 v[108:109], v[90:91], v[90:91]
	v_add_f64 v[106:107], v[10:11], -v[102:103]
	v_mul_f64 v[86:87], v[90:91], v[90:91]
	v_mul_f64 v[92:93], v[94:95], v[100:101]
	;; [unrolled: 1-line block ×5, first 2 shown]
	v_add_f64 v[100:101], v[100:101], v[100:101]
	v_add_f64 v[102:103], v[102:103], v[102:103]
	v_mul_f64 v[10:11], v[68:69], v[68:69]
	v_mul_f64 v[96:97], v[94:95], v[104:105]
	v_mul_f64 v[94:95], v[108:109], v[106:107]
	v_mul_f64 v[100:101], v[100:101], v[104:105]
	v_mul_f64 v[102:103], v[102:103], v[106:107]
	v_mul_f64 v[104:105], v[104:105], v[104:105]
	v_mul_f64 v[106:107], v[106:107], v[106:107]
	s_mov_b64 s[64:65], 0
.LBB180_271:                            ;   Parent Loop BB180_145 Depth=1
                                        ; =>  This Inner Loop Header: Depth=2
	v_cmp_nlt_f64_e32 vcc, v[10:11], v[86:87]
	v_cndmask_b32_e32 v109, v11, v87, vcc
	v_cndmask_b32_e32 v108, v10, v86, vcc
	v_cmp_nlt_f64_e64 s[10:11], v[108:109], v[92:93]
	v_cndmask_b32_e64 v121, v109, v93, s[10:11]
	v_cndmask_b32_e64 v120, v108, v92, s[10:11]
	v_cndmask_b32_e32 v11, v87, v11, vcc
	v_cndmask_b32_e32 v10, v86, v10, vcc
	s_and_b64 s[66:67], vcc, s[10:11]
	v_cmp_nlt_f64_e32 vcc, v[120:121], v[90:91]
	v_cndmask_b32_e64 v87, v93, v109, s[10:11]
	v_cndmask_b32_e64 v86, v92, v108, s[10:11]
	v_cndmask_b32_e32 v109, v121, v91, vcc
	v_cndmask_b32_e32 v108, v120, v90, vcc
	v_cmp_nlt_f64_e64 s[10:11], v[108:109], v[98:99]
	v_cndmask_b32_e32 v93, v91, v121, vcc
	v_cndmask_b32_e32 v92, v90, v120, vcc
	v_cndmask_b32_e64 v121, v109, v99, s[10:11]
	v_cndmask_b32_e64 v120, v108, v98, s[10:11]
	s_and_b64 s[78:79], vcc, s[10:11]
	v_cmp_nlt_f64_e32 vcc, v[120:121], v[88:89]
	v_cndmask_b32_e64 v91, v99, v109, s[10:11]
	v_cndmask_b32_e64 v90, v98, v108, s[10:11]
	v_cndmask_b32_e32 v109, v121, v89, vcc
	v_cndmask_b32_e32 v108, v120, v88, vcc
	v_cmp_nlt_f64_e64 s[10:11], v[108:109], v[96:97]
	v_cndmask_b32_e32 v99, v89, v121, vcc
	v_cndmask_b32_e32 v98, v88, v120, vcc
	v_cndmask_b32_e64 v121, v109, v97, s[10:11]
	v_cndmask_b32_e64 v120, v108, v96, s[10:11]
	;; [unrolled: 1-line block ×4, first 2 shown]
	s_and_b64 s[10:11], vcc, s[10:11]
	v_cmp_nlt_f64_e32 vcc, v[120:121], v[94:95]
	v_cndmask_b32_e32 v109, v121, v95, vcc
	v_cndmask_b32_e32 v108, v120, v94, vcc
	v_cndmask_b32_e32 v97, v95, v121, vcc
	v_cndmask_b32_e32 v96, v94, v120, vcc
	s_and_b64 s[10:11], s[10:11], vcc
	v_cmp_nlt_f64_e32 vcc, v[108:109], v[100:101]
	v_cndmask_b32_e32 v121, v109, v101, vcc
	v_cndmask_b32_e32 v120, v108, v100, vcc
	v_cndmask_b32_e32 v95, v101, v109, vcc
	v_cndmask_b32_e32 v94, v100, v108, vcc
	s_and_b64 s[10:11], s[10:11], vcc
	;; [unrolled: 6-line block ×4, first 2 shown]
	v_cmp_nlt_f64_e32 vcc, v[120:121], v[106:107]
	s_and_b64 s[10:11], s[10:11], vcc
	s_and_b64 s[10:11], s[10:11], s[78:79]
	s_and_b64 s[10:11], s[10:11], s[66:67]
	v_cndmask_b32_e32 v109, v121, v107, vcc
	v_cndmask_b32_e32 v108, v120, v106, vcc
	s_and_b64 s[10:11], exec, s[10:11]
	v_cndmask_b32_e32 v105, v107, v121, vcc
	v_cndmask_b32_e32 v104, v106, v120, vcc
	s_or_b64 s[64:65], s[10:11], s[64:65]
	v_pk_mov_b32 v[106:107], v[108:109], v[108:109] op_sel:[0,1]
	s_andn2_b64 exec, exec, s[64:65]
	s_cbranch_execnz .LBB180_271
; %bb.272:                              ;   in Loop: Header=BB180_145 Depth=1
	s_or_b64 exec, exec, s[64:65]
	v_add_f64 v[10:11], v[10:11], -1.0
	v_add_f64 v[10:11], v[10:11], v[86:87]
	v_add_f64 v[10:11], v[10:11], v[92:93]
	;; [unrolled: 1-line block ×11, first 2 shown]
	v_add_f64 v[10:11], v[86:87], 1.0
	v_add_f64 v[88:89], v[10:11], -1.0
	v_add_f64 v[90:91], v[88:89], -v[10:11]
	v_add_f64 v[90:91], v[90:91], 1.0
	v_add_f64 v[88:89], v[86:87], -v[88:89]
	v_add_f64 v[88:89], v[88:89], v[90:91]
	v_frexp_mant_f64_e32 v[90:91], v[10:11]
	v_frexp_exp_i32_f64_e32 v1, v[10:11]
	v_cmp_gt_f64_e32 vcc, s[26:27], v[90:91]
	v_subbrev_co_u32_e32 v1, vcc, 0, v1, vcc
	v_sub_u32_e32 v8, 0, v1
	v_ldexp_f64 v[10:11], v[10:11], v8
	v_add_f64 v[90:91], v[10:11], -1.0
	v_add_f64 v[96:97], v[10:11], 1.0
	v_add_f64 v[92:93], v[90:91], 1.0
	v_add_f64 v[98:99], v[96:97], -1.0
	v_ldexp_f64 v[88:89], v[88:89], v8
	v_add_f64 v[92:93], v[10:11], -v[92:93]
	v_add_f64 v[10:11], v[10:11], -v[98:99]
	v_add_f64 v[10:11], v[88:89], v[10:11]
	v_add_f64 v[92:93], v[88:89], v[92:93]
	;; [unrolled: 1-line block ×3, first 2 shown]
	v_rcp_f64_e32 v[98:99], v[88:89]
	v_add_f64 v[94:95], v[90:91], v[92:93]
	v_add_f64 v[90:91], v[94:95], -v[90:91]
	v_add_f64 v[90:91], v[92:93], -v[90:91]
	;; [unrolled: 1-line block ×4, first 2 shown]
	v_fma_f64 v[92:93], -v[88:89], v[98:99], 1.0
	v_fmac_f64_e32 v[98:99], v[92:93], v[98:99]
	v_fma_f64 v[92:93], -v[88:89], v[98:99], 1.0
	v_fmac_f64_e32 v[98:99], v[92:93], v[98:99]
	v_mul_f64 v[92:93], v[94:95], v[98:99]
	v_mul_f64 v[96:97], v[88:89], v[92:93]
	v_fma_f64 v[100:101], v[92:93], v[88:89], -v[96:97]
	v_fmac_f64_e32 v[100:101], v[92:93], v[10:11]
	v_add_f64 v[102:103], v[96:97], v[100:101]
	v_add_f64 v[104:105], v[94:95], -v[102:103]
	v_add_f64 v[94:95], v[94:95], -v[104:105]
	;; [unrolled: 1-line block ×4, first 2 shown]
	v_add_f64 v[90:91], v[90:91], v[94:95]
	v_add_f64 v[94:95], v[96:97], -v[100:101]
	v_add_f64 v[90:91], v[94:95], v[90:91]
	v_add_f64 v[94:95], v[104:105], v[90:91]
	v_add_f64 v[96:97], v[104:105], -v[94:95]
	v_add_f64 v[90:91], v[90:91], v[96:97]
	v_mul_f64 v[96:97], v[98:99], v[94:95]
	v_mul_f64 v[100:101], v[88:89], v[96:97]
	v_fma_f64 v[88:89], v[96:97], v[88:89], -v[100:101]
	v_fmac_f64_e32 v[88:89], v[96:97], v[10:11]
	v_add_f64 v[10:11], v[100:101], v[88:89]
	v_add_f64 v[102:103], v[94:95], -v[10:11]
	v_add_f64 v[94:95], v[94:95], -v[102:103]
	;; [unrolled: 1-line block ×4, first 2 shown]
	v_add_f64 v[10:11], v[90:91], v[10:11]
	v_add_f64 v[88:89], v[100:101], -v[88:89]
	v_add_f64 v[10:11], v[88:89], v[10:11]
	v_add_f64 v[88:89], v[92:93], v[96:97]
	;; [unrolled: 1-line block ×3, first 2 shown]
	v_add_f64 v[90:91], v[88:89], -v[92:93]
	v_mul_f64 v[10:11], v[98:99], v[10:11]
	v_add_f64 v[90:91], v[96:97], -v[90:91]
	v_add_f64 v[10:11], v[90:91], v[10:11]
	v_add_f64 v[90:91], v[88:89], v[10:11]
	v_add_f64 v[88:89], v[90:91], -v[88:89]
	v_add_f64 v[10:11], v[10:11], -v[88:89]
	v_mul_f64 v[88:89], v[90:91], v[90:91]
	v_pk_mov_b32 v[92:93], v[18:19], v[18:19] op_sel:[0,1]
	v_fmac_f64_e32 v[92:93], s[28:29], v[88:89]
	v_pk_mov_b32 v[94:95], v[20:21], v[20:21] op_sel:[0,1]
	v_fmac_f64_e32 v[94:95], v[88:89], v[92:93]
	;; [unrolled: 2-line block ×6, first 2 shown]
	v_cvt_f64_i32_e32 v[92:93], v1
	v_mul_f64 v[96:97], v[92:93], s[30:31]
	v_fma_f64 v[98:99], v[92:93], s[30:31], -v[96:97]
	v_fmac_f64_e32 v[98:99], s[34:35], v[92:93]
	v_add_f64 v[92:93], v[96:97], v[98:99]
	v_add_f64 v[96:97], v[92:93], -v[96:97]
	v_mul_f64 v[88:89], v[90:91], v[88:89]
	v_add_f64 v[96:97], v[98:99], -v[96:97]
	v_ldexp_f64 v[98:99], v[90:91], 1
	v_mul_f64 v[88:89], v[88:89], v[94:95]
	v_add_f64 v[90:91], v[98:99], v[88:89]
	v_add_f64 v[94:95], v[90:91], -v[98:99]
	v_ldexp_f64 v[10:11], v[10:11], 1
	v_add_f64 v[88:89], v[88:89], -v[94:95]
	v_add_f64 v[10:11], v[10:11], v[88:89]
	v_add_f64 v[88:89], v[90:91], v[10:11]
	v_add_f64 v[90:91], v[88:89], -v[90:91]
	v_add_f64 v[10:11], v[10:11], -v[90:91]
	v_add_f64 v[90:91], v[92:93], v[88:89]
	v_add_f64 v[94:95], v[90:91], -v[92:93]
	v_add_f64 v[98:99], v[90:91], -v[94:95]
	;; [unrolled: 1-line block ×4, first 2 shown]
	v_add_f64 v[88:89], v[88:89], v[92:93]
	v_add_f64 v[92:93], v[96:97], v[10:11]
	v_add_f64 v[94:95], v[92:93], -v[96:97]
	v_add_f64 v[88:89], v[92:93], v[88:89]
	v_add_f64 v[98:99], v[92:93], -v[94:95]
	;; [unrolled: 2-line block ×3, first 2 shown]
	v_add_f64 v[10:11], v[10:11], -v[94:95]
	v_add_f64 v[90:91], v[92:93], -v[90:91]
	v_add_f64 v[10:11], v[10:11], v[96:97]
	v_add_f64 v[88:89], v[88:89], -v[90:91]
	v_add_f64 v[10:11], v[10:11], v[88:89]
	v_max_f64 v[88:89], |v[4:5]|, |v[4:5]|
	v_max_f64 v[90:91], |v[2:3]|, |v[2:3]|
	v_add_f64 v[10:11], v[92:93], v[10:11]
	v_max_f64 v[92:93], v[90:91], v[88:89]
	v_min_f64 v[88:89], v[90:91], v[88:89]
	v_div_scale_f64 v[90:91], s[10:11], v[92:93], v[92:93], v[88:89]
	v_cmp_eq_f64_e32 vcc, s[36:37], v[86:87]
	v_rcp_f64_e32 v[94:95], v[90:91]
	v_cndmask_b32_e32 v11, v11, v87, vcc
	v_cndmask_b32_e32 v10, v10, v86, vcc
	v_mul_f64 v[10:11], v[10:11], 0.5
	v_cmp_ngt_f64_e32 vcc, -1.0, v[86:87]
	v_cndmask_b32_e32 v1, v112, v11, vcc
	v_cmp_nge_f64_e32 vcc, -1.0, v[86:87]
	v_cndmask_b32_e32 v10, 0, v10, vcc
	v_cmp_neq_f64_e32 vcc, -1.0, v[86:87]
	v_fma_f64 v[86:87], -v[90:91], v[94:95], 1.0
	v_fmac_f64_e32 v[94:95], v[94:95], v[86:87]
	v_fma_f64 v[86:87], -v[90:91], v[94:95], 1.0
	v_cndmask_b32_e32 v11, v113, v1, vcc
	v_fmac_f64_e32 v[94:95], v[94:95], v[86:87]
	v_div_scale_f64 v[86:87], vcc, v[88:89], v[92:93], v[88:89]
	v_mul_f64 v[96:97], v[86:87], v[94:95]
	v_fma_f64 v[86:87], -v[90:91], v[96:97], v[86:87]
	v_pk_mov_b32 v[90:91], v[30:31], v[30:31] op_sel:[0,1]
	s_nop 0
	v_div_fmas_f64 v[86:87], v[86:87], v[94:95], v[96:97]
	v_div_fixup_f64 v[86:87], v[86:87], v[92:93], v[88:89]
	v_mul_f64 v[88:89], v[86:87], v[86:87]
	v_fmac_f64_e32 v[90:91], s[38:39], v[88:89]
	v_pk_mov_b32 v[92:93], v[32:33], v[32:33] op_sel:[0,1]
	v_fmac_f64_e32 v[92:93], v[88:89], v[90:91]
	v_pk_mov_b32 v[90:91], v[34:35], v[34:35] op_sel:[0,1]
	;; [unrolled: 2-line block ×18, first 2 shown]
	v_fmac_f64_e32 v[90:91], v[88:89], v[92:93]
	v_cmp_gt_i32_e32 vcc, 0, v3
	v_mul_f64 v[88:89], v[88:89], v[90:91]
	v_cmp_class_f64_e64 s[64:65], v[2:3], s77
	v_cndmask_b32_e32 v2, v116, v117, vcc
	v_fmac_f64_e32 v[86:87], v[86:87], v[88:89]
	v_bfi_b32 v8, s76, v2, v5
	v_ashrrev_i32_e32 v2, 31, v3
	v_and_b32_e32 v12, 0x400921fb, v2
	v_and_b32_e32 v16, 0x54442d18, v2
	v_add_f64 v[2:3], -v[86:87], s[40:41]
	v_cndmask_b32_e64 v3, v87, v3, s[8:9]
	v_cndmask_b32_e64 v2, v86, v2, s[8:9]
	s_mov_b32 s42, s40
	v_add_f64 v[86:87], -v[2:3], s[42:43]
	v_cmp_class_f64_e64 s[10:11], v[4:5], s77
	v_cndmask_b32_e32 v1, v114, v115, vcc
	v_cndmask_b32_e32 v3, v3, v87, vcc
	;; [unrolled: 1-line block ×3, first 2 shown]
	v_cmp_eq_f64_e32 vcc, 0, v[4:5]
	v_cndmask_b32_e32 v2, v2, v16, vcc
	v_cndmask_b32_e32 v3, v3, v12, vcc
	s_and_b64 vcc, s[10:11], s[64:65]
	v_cndmask_b32_e32 v87, v3, v8, vcc
	v_cndmask_b32_e32 v86, v2, v1, vcc
.LBB180_273:                            ;   in Loop: Header=BB180_145 Depth=1
	s_or_b64 exec, exec, s[62:63]
.LBB180_274:                            ;   in Loop: Header=BB180_145 Depth=1
	s_or_b64 exec, exec, s[60:61]
.LBB180_275:                            ;   in Loop: Header=BB180_145 Depth=1
	s_andn2_saveexec_b64 s[58:59], s[58:59]
	s_cbranch_execz .LBB180_277
; %bb.276:                              ;   in Loop: Header=BB180_145 Depth=1
	v_max_f64 v[10:11], |v[4:5]|, |v[4:5]|
	v_max_f64 v[86:87], |v[2:3]|, |v[2:3]|
	v_max_f64 v[88:89], v[86:87], v[10:11]
	v_frexp_exp_i32_f64_e32 v1, v[88:89]
	v_sub_u32_e32 v8, 0, v1
	v_ldexp_f64 v[92:93], |v[4:5]|, v8
	v_ldexp_f64 v[90:91], |v[2:3]|, v8
	v_mul_f64 v[92:93], v[92:93], v[92:93]
	v_fmac_f64_e32 v[92:93], v[90:91], v[90:91]
	v_rsq_f64_e32 v[90:91], v[92:93]
	v_cmp_eq_f64_e32 vcc, 0, v[92:93]
	v_cmp_class_f64_e64 s[60:61], v[2:3], s77
	v_cmp_class_f64_e64 s[62:63], v[4:5], s77
	v_mul_f64 v[94:95], v[92:93], v[90:91]
	v_mul_f64 v[90:91], v[90:91], 0.5
	v_fma_f64 v[96:97], -v[90:91], v[94:95], 0.5
	v_fmac_f64_e32 v[94:95], v[94:95], v[96:97]
	v_fmac_f64_e32 v[90:91], v[90:91], v[96:97]
	v_fma_f64 v[96:97], -v[94:95], v[94:95], v[92:93]
	v_fmac_f64_e32 v[94:95], v[96:97], v[90:91]
	v_cndmask_b32_e32 v91, v95, v93, vcc
	v_cndmask_b32_e32 v90, v94, v92, vcc
	v_ldexp_f64 v[90:91], v[90:91], v1
	s_or_b64 vcc, s[62:63], s[60:61]
	v_cndmask_b32_e32 v93, v91, v119, vcc
	v_cndmask_b32_e64 v92, v90, 0, vcc
	v_frexp_mant_f64_e32 v[94:95], v[92:93]
	v_cmp_gt_f64_e64 s[10:11], s[26:27], v[94:95]
	v_cndmask_b32_e64 v69, v118, 2.0, s[10:11]
	v_mul_f64 v[94:95], v[94:95], v[68:69]
	v_add_f64 v[96:97], v[94:95], 1.0
	v_rcp_f64_e32 v[98:99], v[96:97]
	v_add_f64 v[102:103], v[96:97], -1.0
	v_add_f64 v[100:101], v[94:95], -1.0
	v_add_f64 v[94:95], v[94:95], -v[102:103]
	v_fma_f64 v[102:103], -v[96:97], v[98:99], 1.0
	v_fmac_f64_e32 v[98:99], v[102:103], v[98:99]
	v_fma_f64 v[102:103], -v[96:97], v[98:99], 1.0
	v_fmac_f64_e32 v[98:99], v[102:103], v[98:99]
	v_mul_f64 v[102:103], v[100:101], v[98:99]
	v_mul_f64 v[104:105], v[96:97], v[102:103]
	v_fma_f64 v[96:97], v[102:103], v[96:97], -v[104:105]
	v_fmac_f64_e32 v[96:97], v[102:103], v[94:95]
	v_add_f64 v[94:95], v[104:105], v[96:97]
	v_add_f64 v[106:107], v[100:101], -v[94:95]
	v_add_f64 v[104:105], v[94:95], -v[104:105]
	;; [unrolled: 1-line block ×5, first 2 shown]
	v_add_f64 v[94:95], v[96:97], v[94:95]
	v_add_f64 v[94:95], v[106:107], v[94:95]
	v_mul_f64 v[94:95], v[98:99], v[94:95]
	v_add_f64 v[96:97], v[102:103], v[94:95]
	v_add_f64 v[98:99], v[96:97], -v[102:103]
	v_add_f64 v[94:95], v[94:95], -v[98:99]
	v_mul_f64 v[98:99], v[96:97], v[96:97]
	v_pk_mov_b32 v[100:101], v[18:19], v[18:19] op_sel:[0,1]
	v_fmac_f64_e32 v[100:101], s[28:29], v[98:99]
	v_pk_mov_b32 v[102:103], v[20:21], v[20:21] op_sel:[0,1]
	v_fmac_f64_e32 v[102:103], v[98:99], v[100:101]
	;; [unrolled: 2-line block ×6, first 2 shown]
	v_ldexp_f64 v[100:101], v[96:97], 1
	v_mul_f64 v[96:97], v[96:97], v[98:99]
	v_mul_f64 v[96:97], v[96:97], v[102:103]
	v_add_f64 v[98:99], v[100:101], v[96:97]
	v_add_f64 v[100:101], v[98:99], -v[100:101]
	v_ldexp_f64 v[94:95], v[94:95], 1
	v_add_f64 v[96:97], v[96:97], -v[100:101]
	v_add_f64 v[94:95], v[94:95], v[96:97]
	v_frexp_exp_i32_f64_e32 v1, v[92:93]
	v_add_f64 v[96:97], v[98:99], v[94:95]
	v_subbrev_co_u32_e64 v1, s[10:11], 0, v1, s[10:11]
	v_add_f64 v[98:99], v[96:97], -v[98:99]
	v_add_f64 v[94:95], v[94:95], -v[98:99]
	v_cvt_f64_i32_e32 v[98:99], v1
	v_mul_f64 v[100:101], v[98:99], s[30:31]
	v_fma_f64 v[102:103], v[98:99], s[30:31], -v[100:101]
	v_fmac_f64_e32 v[102:103], s[34:35], v[98:99]
	v_add_f64 v[98:99], v[100:101], v[102:103]
	v_add_f64 v[100:101], v[98:99], -v[100:101]
	v_add_f64 v[100:101], v[102:103], -v[100:101]
	v_add_f64 v[102:103], v[98:99], v[96:97]
	v_add_f64 v[104:105], v[102:103], -v[98:99]
	v_add_f64 v[106:107], v[102:103], -v[104:105]
	;; [unrolled: 1-line block ×4, first 2 shown]
	v_add_f64 v[96:97], v[96:97], v[98:99]
	v_add_f64 v[98:99], v[100:101], v[94:95]
	v_add_f64 v[104:105], v[98:99], -v[100:101]
	v_add_f64 v[106:107], v[98:99], -v[104:105]
	v_add_f64 v[96:97], v[98:99], v[96:97]
	v_add_f64 v[100:101], v[100:101], -v[106:107]
	v_add_f64 v[94:95], v[94:95], -v[104:105]
	v_add_f64 v[98:99], v[102:103], v[96:97]
	v_add_f64 v[94:95], v[94:95], v[100:101]
	v_add_f64 v[100:101], v[98:99], -v[102:103]
	v_add_f64 v[96:97], v[96:97], -v[100:101]
	v_add_f64 v[94:95], v[94:95], v[96:97]
	v_add_f64 v[94:95], v[98:99], v[94:95]
	v_cmp_class_f64_e64 s[10:11], v[90:91], s77
	v_min_f64 v[86:87], v[86:87], v[10:11]
	v_cndmask_b32_e64 v1, v95, v91, s[10:11]
	v_cndmask_b32_e64 v2, v94, v90, s[10:11]
	v_div_scale_f64 v[90:91], s[10:11], v[88:89], v[88:89], v[86:87]
	v_rcp_f64_e32 v[94:95], v[90:91]
	v_cndmask_b32_e64 v2, v2, 0, vcc
	v_cndmask_b32_e32 v1, v1, v119, vcc
	v_cmp_ngt_f64_e32 vcc, 0, v[92:93]
	v_cndmask_b32_e32 v1, v112, v1, vcc
	v_cmp_nge_f64_e32 vcc, 0, v[92:93]
	v_cndmask_b32_e32 v10, 0, v2, vcc
	v_cmp_neq_f64_e32 vcc, 0, v[92:93]
	v_fma_f64 v[92:93], -v[90:91], v[94:95], 1.0
	v_fmac_f64_e32 v[94:95], v[94:95], v[92:93]
	v_fma_f64 v[92:93], -v[90:91], v[94:95], 1.0
	v_cndmask_b32_e32 v11, v113, v1, vcc
	v_fmac_f64_e32 v[94:95], v[94:95], v[92:93]
	v_div_scale_f64 v[92:93], vcc, v[86:87], v[88:89], v[86:87]
	v_mul_f64 v[96:97], v[92:93], v[94:95]
	v_fma_f64 v[90:91], -v[90:91], v[96:97], v[92:93]
	v_pk_mov_b32 v[92:93], v[32:33], v[32:33] op_sel:[0,1]
	s_nop 0
	v_div_fmas_f64 v[90:91], v[90:91], v[94:95], v[96:97]
	v_div_fixup_f64 v[86:87], v[90:91], v[88:89], v[86:87]
	v_mul_f64 v[88:89], v[86:87], v[86:87]
	v_pk_mov_b32 v[90:91], v[30:31], v[30:31] op_sel:[0,1]
	v_fmac_f64_e32 v[90:91], s[38:39], v[88:89]
	v_fmac_f64_e32 v[92:93], v[88:89], v[90:91]
	v_pk_mov_b32 v[90:91], v[34:35], v[34:35] op_sel:[0,1]
	v_fmac_f64_e32 v[90:91], v[88:89], v[92:93]
	v_pk_mov_b32 v[92:93], v[36:37], v[36:37] op_sel:[0,1]
	;; [unrolled: 2-line block ×17, first 2 shown]
	v_fmac_f64_e32 v[90:91], v[88:89], v[92:93]
	v_cmp_gt_i32_e32 vcc, 0, v3
	v_mul_f64 v[88:89], v[88:89], v[90:91]
	v_cndmask_b32_e32 v2, v116, v117, vcc
	v_fmac_f64_e32 v[86:87], v[86:87], v[88:89]
	v_bfi_b32 v8, s76, v2, v5
	v_ashrrev_i32_e32 v2, 31, v3
	v_and_b32_e32 v12, 0x400921fb, v2
	v_and_b32_e32 v16, 0x54442d18, v2
	v_add_f64 v[2:3], -v[86:87], s[40:41]
	v_cndmask_b32_e64 v3, v87, v3, s[8:9]
	v_cndmask_b32_e64 v2, v86, v2, s[8:9]
	s_mov_b32 s42, s40
	v_add_f64 v[86:87], -v[2:3], s[42:43]
	v_cndmask_b32_e32 v1, v114, v115, vcc
	v_cndmask_b32_e32 v3, v3, v87, vcc
	;; [unrolled: 1-line block ×3, first 2 shown]
	v_cmp_eq_f64_e32 vcc, 0, v[4:5]
	v_cndmask_b32_e32 v2, v2, v16, vcc
	v_cndmask_b32_e32 v3, v3, v12, vcc
	s_and_b64 vcc, s[62:63], s[60:61]
	v_cndmask_b32_e32 v87, v3, v8, vcc
	v_cndmask_b32_e32 v86, v2, v1, vcc
.LBB180_277:                            ;   in Loop: Header=BB180_145 Depth=1
	s_or_b64 exec, exec, s[58:59]
                                        ; implicit-def: $vgpr88_vgpr89
.LBB180_278:                            ;   in Loop: Header=BB180_145 Depth=1
	s_andn2_saveexec_b64 s[10:11], s[56:57]
	s_cbranch_execz .LBB180_284
; %bb.279:                              ;   in Loop: Header=BB180_145 Depth=1
	v_cmp_ngt_f64_e32 vcc, s[46:47], v[88:89]
                                        ; implicit-def: $vgpr10_vgpr11
                                        ; implicit-def: $vgpr86_vgpr87
	s_and_saveexec_b64 s[56:57], vcc
	s_xor_b64 s[56:57], exec, s[56:57]
	s_cbranch_execz .LBB180_281
; %bb.280:                              ;   in Loop: Header=BB180_145 Depth=1
	v_mul_f64 v[10:11], v[88:89], v[88:89]
	v_add_f64 v[86:87], v[10:11], 1.0
	v_add_f64 v[88:89], v[86:87], -1.0
	v_add_f64 v[90:91], v[88:89], -v[86:87]
	v_add_f64 v[90:91], v[90:91], 1.0
	v_add_f64 v[88:89], v[10:11], -v[88:89]
	v_add_f64 v[88:89], v[88:89], v[90:91]
	v_frexp_mant_f64_e32 v[90:91], v[86:87]
	v_frexp_exp_i32_f64_e32 v1, v[86:87]
	v_cmp_gt_f64_e32 vcc, s[26:27], v[90:91]
	v_subbrev_co_u32_e32 v1, vcc, 0, v1, vcc
	v_sub_u32_e32 v8, 0, v1
	v_ldexp_f64 v[86:87], v[86:87], v8
	v_add_f64 v[90:91], v[86:87], -1.0
	v_add_f64 v[96:97], v[86:87], 1.0
	v_add_f64 v[92:93], v[90:91], 1.0
	v_add_f64 v[98:99], v[96:97], -1.0
	v_ldexp_f64 v[88:89], v[88:89], v8
	v_add_f64 v[92:93], v[86:87], -v[92:93]
	v_add_f64 v[86:87], v[86:87], -v[98:99]
	v_add_f64 v[86:87], v[88:89], v[86:87]
	v_add_f64 v[92:93], v[88:89], v[92:93]
	;; [unrolled: 1-line block ×3, first 2 shown]
	v_rcp_f64_e32 v[98:99], v[88:89]
	v_add_f64 v[94:95], v[90:91], v[92:93]
	v_add_f64 v[90:91], v[90:91], -v[94:95]
	v_add_f64 v[90:91], v[92:93], v[90:91]
	v_add_f64 v[92:93], v[96:97], -v[88:89]
	v_add_f64 v[86:87], v[86:87], v[92:93]
	v_fma_f64 v[92:93], -v[88:89], v[98:99], 1.0
	v_fmac_f64_e32 v[98:99], v[92:93], v[98:99]
	v_fma_f64 v[92:93], -v[88:89], v[98:99], 1.0
	v_fmac_f64_e32 v[98:99], v[92:93], v[98:99]
	v_mul_f64 v[92:93], v[94:95], v[98:99]
	v_mul_f64 v[96:97], v[88:89], v[92:93]
	v_fma_f64 v[100:101], v[92:93], v[88:89], -v[96:97]
	v_fmac_f64_e32 v[100:101], v[92:93], v[86:87]
	v_add_f64 v[102:103], v[96:97], v[100:101]
	v_add_f64 v[104:105], v[94:95], -v[102:103]
	v_add_f64 v[94:95], v[94:95], -v[104:105]
	;; [unrolled: 1-line block ×4, first 2 shown]
	v_add_f64 v[90:91], v[90:91], v[94:95]
	v_add_f64 v[94:95], v[96:97], -v[100:101]
	v_add_f64 v[90:91], v[94:95], v[90:91]
	v_add_f64 v[94:95], v[104:105], v[90:91]
	v_add_f64 v[96:97], v[104:105], -v[94:95]
	v_add_f64 v[90:91], v[90:91], v[96:97]
	v_mul_f64 v[96:97], v[98:99], v[94:95]
	v_mul_f64 v[100:101], v[88:89], v[96:97]
	v_fma_f64 v[88:89], v[96:97], v[88:89], -v[100:101]
	v_fmac_f64_e32 v[88:89], v[96:97], v[86:87]
	v_add_f64 v[86:87], v[100:101], v[88:89]
	v_add_f64 v[102:103], v[94:95], -v[86:87]
	v_add_f64 v[94:95], v[94:95], -v[102:103]
	;; [unrolled: 1-line block ×4, first 2 shown]
	v_add_f64 v[86:87], v[90:91], v[86:87]
	v_add_f64 v[88:89], v[100:101], -v[88:89]
	v_add_f64 v[86:87], v[88:89], v[86:87]
	v_add_f64 v[88:89], v[92:93], v[96:97]
	;; [unrolled: 1-line block ×3, first 2 shown]
	v_add_f64 v[90:91], v[88:89], -v[92:93]
	v_mul_f64 v[86:87], v[98:99], v[86:87]
	v_add_f64 v[90:91], v[96:97], -v[90:91]
	v_add_f64 v[86:87], v[90:91], v[86:87]
	v_add_f64 v[90:91], v[88:89], v[86:87]
	v_add_f64 v[88:89], v[90:91], -v[88:89]
	v_add_f64 v[86:87], v[86:87], -v[88:89]
	v_mul_f64 v[88:89], v[90:91], v[90:91]
	v_pk_mov_b32 v[92:93], v[18:19], v[18:19] op_sel:[0,1]
	v_fmac_f64_e32 v[92:93], s[28:29], v[88:89]
	v_pk_mov_b32 v[94:95], v[20:21], v[20:21] op_sel:[0,1]
	v_fmac_f64_e32 v[94:95], v[88:89], v[92:93]
	;; [unrolled: 2-line block ×6, first 2 shown]
	v_cvt_f64_i32_e32 v[92:93], v1
	v_mul_f64 v[96:97], v[92:93], s[30:31]
	v_fma_f64 v[98:99], v[92:93], s[30:31], -v[96:97]
	v_fmac_f64_e32 v[98:99], s[34:35], v[92:93]
	v_add_f64 v[92:93], v[96:97], v[98:99]
	v_add_f64 v[96:97], v[92:93], -v[96:97]
	v_mul_f64 v[88:89], v[90:91], v[88:89]
	v_add_f64 v[96:97], v[98:99], -v[96:97]
	v_ldexp_f64 v[98:99], v[90:91], 1
	v_mul_f64 v[88:89], v[88:89], v[94:95]
	v_add_f64 v[90:91], v[98:99], v[88:89]
	v_add_f64 v[94:95], v[90:91], -v[98:99]
	v_ldexp_f64 v[86:87], v[86:87], 1
	v_add_f64 v[88:89], v[88:89], -v[94:95]
	v_add_f64 v[86:87], v[86:87], v[88:89]
	v_add_f64 v[88:89], v[90:91], v[86:87]
	v_add_f64 v[90:91], v[88:89], -v[90:91]
	v_add_f64 v[86:87], v[86:87], -v[90:91]
	v_add_f64 v[90:91], v[92:93], v[88:89]
	v_add_f64 v[94:95], v[90:91], -v[92:93]
	v_add_f64 v[98:99], v[90:91], -v[94:95]
	;; [unrolled: 1-line block ×4, first 2 shown]
	v_add_f64 v[88:89], v[88:89], v[92:93]
	v_add_f64 v[92:93], v[96:97], v[86:87]
	v_add_f64 v[94:95], v[92:93], -v[96:97]
	v_add_f64 v[88:89], v[92:93], v[88:89]
	v_add_f64 v[98:99], v[92:93], -v[94:95]
	v_add_f64 v[92:93], v[90:91], v[88:89]
	v_add_f64 v[96:97], v[96:97], -v[98:99]
	v_add_f64 v[86:87], v[86:87], -v[94:95]
	v_add_f64 v[90:91], v[92:93], -v[90:91]
	v_add_f64 v[86:87], v[86:87], v[96:97]
	v_add_f64 v[88:89], v[88:89], -v[90:91]
	v_add_f64 v[86:87], v[86:87], v[88:89]
	v_max_f64 v[88:89], |v[4:5]|, |v[4:5]|
	v_max_f64 v[90:91], |v[2:3]|, |v[2:3]|
	v_add_f64 v[86:87], v[92:93], v[86:87]
	v_max_f64 v[92:93], v[90:91], v[88:89]
	v_min_f64 v[88:89], v[90:91], v[88:89]
	v_div_scale_f64 v[90:91], s[58:59], v[92:93], v[92:93], v[88:89]
	v_rcp_f64_e32 v[94:95], v[90:91]
	v_cmp_eq_f64_e32 vcc, s[36:37], v[10:11]
	v_cndmask_b32_e32 v11, v87, v11, vcc
	v_cndmask_b32_e32 v10, v86, v10, vcc
	v_fma_f64 v[86:87], -v[90:91], v[94:95], 1.0
	v_fmac_f64_e32 v[94:95], v[94:95], v[86:87]
	v_fma_f64 v[86:87], -v[90:91], v[94:95], 1.0
	v_fmac_f64_e32 v[94:95], v[94:95], v[86:87]
	v_div_scale_f64 v[86:87], vcc, v[88:89], v[92:93], v[88:89]
	v_mul_f64 v[96:97], v[86:87], v[94:95]
	v_fma_f64 v[86:87], -v[90:91], v[96:97], v[86:87]
	v_pk_mov_b32 v[90:91], v[30:31], v[30:31] op_sel:[0,1]
	s_nop 0
	v_div_fmas_f64 v[86:87], v[86:87], v[94:95], v[96:97]
	v_div_fixup_f64 v[86:87], v[86:87], v[92:93], v[88:89]
	v_mul_f64 v[88:89], v[86:87], v[86:87]
	v_fmac_f64_e32 v[90:91], s[38:39], v[88:89]
	v_pk_mov_b32 v[92:93], v[32:33], v[32:33] op_sel:[0,1]
	v_fmac_f64_e32 v[92:93], v[88:89], v[90:91]
	v_pk_mov_b32 v[90:91], v[34:35], v[34:35] op_sel:[0,1]
	v_fmac_f64_e32 v[90:91], v[88:89], v[92:93]
	v_pk_mov_b32 v[92:93], v[36:37], v[36:37] op_sel:[0,1]
	v_fmac_f64_e32 v[92:93], v[88:89], v[90:91]
	v_pk_mov_b32 v[90:91], v[38:39], v[38:39] op_sel:[0,1]
	v_fmac_f64_e32 v[90:91], v[88:89], v[92:93]
	v_pk_mov_b32 v[92:93], v[40:41], v[40:41] op_sel:[0,1]
	v_fmac_f64_e32 v[92:93], v[88:89], v[90:91]
	v_pk_mov_b32 v[90:91], v[42:43], v[42:43] op_sel:[0,1]
	v_fmac_f64_e32 v[90:91], v[88:89], v[92:93]
	v_pk_mov_b32 v[92:93], v[44:45], v[44:45] op_sel:[0,1]
	v_fmac_f64_e32 v[92:93], v[88:89], v[90:91]
	v_pk_mov_b32 v[90:91], v[46:47], v[46:47] op_sel:[0,1]
	v_fmac_f64_e32 v[90:91], v[88:89], v[92:93]
	v_pk_mov_b32 v[92:93], v[48:49], v[48:49] op_sel:[0,1]
	v_fmac_f64_e32 v[92:93], v[88:89], v[90:91]
	v_pk_mov_b32 v[90:91], v[50:51], v[50:51] op_sel:[0,1]
	v_fmac_f64_e32 v[90:91], v[88:89], v[92:93]
	v_pk_mov_b32 v[92:93], v[52:53], v[52:53] op_sel:[0,1]
	v_fmac_f64_e32 v[92:93], v[88:89], v[90:91]
	v_pk_mov_b32 v[90:91], v[54:55], v[54:55] op_sel:[0,1]
	v_fmac_f64_e32 v[90:91], v[88:89], v[92:93]
	v_pk_mov_b32 v[92:93], v[56:57], v[56:57] op_sel:[0,1]
	v_fmac_f64_e32 v[92:93], v[88:89], v[90:91]
	v_pk_mov_b32 v[90:91], v[58:59], v[58:59] op_sel:[0,1]
	v_fmac_f64_e32 v[90:91], v[88:89], v[92:93]
	v_pk_mov_b32 v[92:93], v[60:61], v[60:61] op_sel:[0,1]
	v_fmac_f64_e32 v[92:93], v[88:89], v[90:91]
	v_pk_mov_b32 v[90:91], v[62:63], v[62:63] op_sel:[0,1]
	v_fmac_f64_e32 v[90:91], v[88:89], v[92:93]
	v_pk_mov_b32 v[92:93], v[64:65], v[64:65] op_sel:[0,1]
	v_fmac_f64_e32 v[92:93], v[88:89], v[90:91]
	v_pk_mov_b32 v[90:91], v[66:67], v[66:67] op_sel:[0,1]
	v_fmac_f64_e32 v[90:91], v[88:89], v[92:93]
	v_cmp_gt_i32_e32 vcc, 0, v3
	v_mul_f64 v[88:89], v[88:89], v[90:91]
	v_cmp_class_f64_e64 s[60:61], v[2:3], s77
	v_cndmask_b32_e32 v2, v116, v117, vcc
	v_fmac_f64_e32 v[86:87], v[86:87], v[88:89]
	v_bfi_b32 v8, s76, v2, v5
	v_ashrrev_i32_e32 v2, 31, v3
	v_and_b32_e32 v12, 0x400921fb, v2
	v_and_b32_e32 v16, 0x54442d18, v2
	v_add_f64 v[2:3], -v[86:87], s[40:41]
	v_cndmask_b32_e64 v3, v87, v3, s[8:9]
	v_cndmask_b32_e64 v2, v86, v2, s[8:9]
	s_mov_b32 s42, s40
	v_add_f64 v[86:87], -v[2:3], s[42:43]
	v_cmp_class_f64_e64 s[58:59], v[4:5], s77
	v_cndmask_b32_e32 v1, v114, v115, vcc
	v_cndmask_b32_e32 v3, v3, v87, vcc
	;; [unrolled: 1-line block ×3, first 2 shown]
	v_cmp_eq_f64_e32 vcc, 0, v[4:5]
	v_cndmask_b32_e32 v2, v2, v16, vcc
	v_cndmask_b32_e32 v3, v3, v12, vcc
	s_and_b64 vcc, s[58:59], s[60:61]
	v_mul_f64 v[10:11], v[10:11], 0.5
	v_cndmask_b32_e32 v87, v3, v8, vcc
	v_cndmask_b32_e32 v86, v2, v1, vcc
                                        ; implicit-def: $vgpr88_vgpr89
.LBB180_281:                            ;   in Loop: Header=BB180_145 Depth=1
	s_andn2_saveexec_b64 s[56:57], s[56:57]
	s_cbranch_execz .LBB180_283
; %bb.282:                              ;   in Loop: Header=BB180_145 Depth=1
	v_max_f64 v[10:11], |v[4:5]|, |v[4:5]|
	v_max_f64 v[86:87], |v[2:3]|, |v[2:3]|
	v_max_f64 v[90:91], v[86:87], v[10:11]
	v_min_f64 v[86:87], v[86:87], v[10:11]
	v_div_scale_f64 v[92:93], s[58:59], v[90:91], v[90:91], v[86:87]
	v_rcp_f64_e32 v[94:95], v[92:93]
	v_mul_f64 v[10:11], v[88:89], 0.5
	v_mul_f64 v[10:11], v[88:89], v[10:11]
	v_cmp_class_f64_e64 s[60:61], v[2:3], s77
	v_fma_f64 v[88:89], -v[92:93], v[94:95], 1.0
	v_fmac_f64_e32 v[94:95], v[94:95], v[88:89]
	v_fma_f64 v[88:89], -v[92:93], v[94:95], 1.0
	v_fmac_f64_e32 v[94:95], v[94:95], v[88:89]
	v_div_scale_f64 v[88:89], vcc, v[86:87], v[90:91], v[86:87]
	v_mul_f64 v[96:97], v[88:89], v[94:95]
	v_fma_f64 v[88:89], -v[92:93], v[96:97], v[88:89]
	v_pk_mov_b32 v[92:93], v[32:33], v[32:33] op_sel:[0,1]
	s_nop 0
	v_div_fmas_f64 v[88:89], v[88:89], v[94:95], v[96:97]
	v_div_fixup_f64 v[86:87], v[88:89], v[90:91], v[86:87]
	v_mul_f64 v[88:89], v[86:87], v[86:87]
	v_pk_mov_b32 v[90:91], v[30:31], v[30:31] op_sel:[0,1]
	v_fmac_f64_e32 v[90:91], s[38:39], v[88:89]
	v_fmac_f64_e32 v[92:93], v[88:89], v[90:91]
	v_pk_mov_b32 v[90:91], v[34:35], v[34:35] op_sel:[0,1]
	v_fmac_f64_e32 v[90:91], v[88:89], v[92:93]
	v_pk_mov_b32 v[92:93], v[36:37], v[36:37] op_sel:[0,1]
	;; [unrolled: 2-line block ×17, first 2 shown]
	v_fmac_f64_e32 v[90:91], v[88:89], v[92:93]
	v_cmp_gt_i32_e32 vcc, 0, v3
	v_mul_f64 v[88:89], v[88:89], v[90:91]
	v_cndmask_b32_e32 v2, v116, v117, vcc
	v_fmac_f64_e32 v[86:87], v[86:87], v[88:89]
	v_bfi_b32 v8, s76, v2, v5
	v_ashrrev_i32_e32 v2, 31, v3
	v_and_b32_e32 v12, 0x400921fb, v2
	v_and_b32_e32 v16, 0x54442d18, v2
	v_add_f64 v[2:3], -v[86:87], s[40:41]
	v_cndmask_b32_e64 v3, v87, v3, s[8:9]
	v_cndmask_b32_e64 v2, v86, v2, s[8:9]
	s_mov_b32 s42, s40
	v_add_f64 v[86:87], -v[2:3], s[42:43]
	v_cmp_class_f64_e64 s[58:59], v[4:5], s77
	v_cndmask_b32_e32 v1, v114, v115, vcc
	v_cndmask_b32_e32 v3, v3, v87, vcc
	v_cndmask_b32_e32 v2, v2, v86, vcc
	v_cmp_eq_f64_e32 vcc, 0, v[4:5]
	v_cndmask_b32_e32 v2, v2, v16, vcc
	v_cndmask_b32_e32 v3, v3, v12, vcc
	s_and_b64 vcc, s[58:59], s[60:61]
	v_cndmask_b32_e32 v87, v3, v8, vcc
	v_cndmask_b32_e32 v86, v2, v1, vcc
.LBB180_283:                            ;   in Loop: Header=BB180_145 Depth=1
	s_or_b64 exec, exec, s[56:57]
.LBB180_284:                            ;   in Loop: Header=BB180_145 Depth=1
	s_or_b64 exec, exec, s[10:11]
.LBB180_285:                            ;   in Loop: Header=BB180_145 Depth=1
	s_andn2_saveexec_b64 s[56:57], s[12:13]
	s_cbranch_execz .LBB180_287
; %bb.286:                              ;   in Loop: Header=BB180_145 Depth=1
	v_div_scale_f64 v[10:11], s[10:11], s[48:49], s[48:49], v[2:3]
	v_rcp_f64_e32 v[86:87], v[10:11]
	v_div_scale_f64 v[88:89], vcc, v[2:3], s[48:49], v[2:3]
	s_mov_b32 s42, s40
	v_fma_f64 v[90:91], -v[10:11], v[86:87], 1.0
	v_fmac_f64_e32 v[86:87], v[86:87], v[90:91]
	v_fma_f64 v[90:91], -v[10:11], v[86:87], 1.0
	v_fmac_f64_e32 v[86:87], v[86:87], v[90:91]
	v_mul_f64 v[90:91], v[88:89], v[86:87]
	v_fma_f64 v[10:11], -v[10:11], v[90:91], v[88:89]
	v_div_scale_f64 v[88:89], s[10:11], s[48:49], s[48:49], v[4:5]
	v_rcp_f64_e32 v[92:93], v[88:89]
	v_div_fmas_f64 v[10:11], v[10:11], v[86:87], v[90:91]
	v_div_fixup_f64 v[10:11], v[10:11], s[48:49], v[2:3]
	v_cmp_class_f64_e64 s[12:13], v[10:11], s77
	v_fma_f64 v[86:87], -v[88:89], v[92:93], 1.0
	v_fmac_f64_e32 v[92:93], v[92:93], v[86:87]
	v_fma_f64 v[86:87], -v[88:89], v[92:93], 1.0
	v_fmac_f64_e32 v[92:93], v[92:93], v[86:87]
	v_div_scale_f64 v[86:87], vcc, v[4:5], s[48:49], v[4:5]
	v_mul_f64 v[90:91], v[86:87], v[92:93]
	v_fma_f64 v[86:87], -v[88:89], v[90:91], v[86:87]
	s_nop 1
	v_div_fmas_f64 v[86:87], v[86:87], v[92:93], v[90:91]
	v_div_fixup_f64 v[86:87], v[86:87], s[48:49], v[4:5]
	v_max_f64 v[88:89], |v[10:11]|, |v[86:87]|
	v_frexp_exp_i32_f64_e32 v1, v[88:89]
	v_sub_u32_e32 v8, 0, v1
	v_ldexp_f64 v[90:91], |v[86:87]|, v8
	v_ldexp_f64 v[88:89], |v[10:11]|, v8
	v_mul_f64 v[90:91], v[90:91], v[90:91]
	v_fmac_f64_e32 v[90:91], v[88:89], v[88:89]
	v_rsq_f64_e32 v[88:89], v[90:91]
	v_cmp_eq_f64_e32 vcc, 0, v[90:91]
	v_cmp_o_f64_e64 s[10:11], v[10:11], v[86:87]
	v_cmp_class_f64_e64 s[58:59], v[86:87], s77
	v_mul_f64 v[92:93], v[90:91], v[88:89]
	v_mul_f64 v[88:89], v[88:89], 0.5
	v_fma_f64 v[94:95], -v[88:89], v[92:93], 0.5
	v_fmac_f64_e32 v[92:93], v[92:93], v[94:95]
	v_fmac_f64_e32 v[88:89], v[88:89], v[94:95]
	v_fma_f64 v[94:95], -v[92:93], v[92:93], v[90:91]
	v_fmac_f64_e32 v[92:93], v[94:95], v[88:89]
	v_cndmask_b32_e32 v89, v93, v91, vcc
	v_cndmask_b32_e32 v88, v92, v90, vcc
	v_ldexp_f64 v[88:89], v[88:89], v1
	v_cndmask_b32_e64 v1, 0, v88, s[10:11]
	v_cndmask_b32_e64 v8, v112, v89, s[10:11]
	s_or_b64 vcc, s[58:59], s[12:13]
	v_cndmask_b32_e32 v87, v8, v119, vcc
	v_cndmask_b32_e64 v86, v1, 0, vcc
	v_frexp_mant_f64_e32 v[10:11], v[86:87]
	v_cmp_gt_f64_e64 s[12:13], s[26:27], v[10:11]
	v_cndmask_b32_e64 v69, v118, 2.0, s[12:13]
	v_mul_f64 v[10:11], v[10:11], v[68:69]
	v_add_f64 v[90:91], v[10:11], 1.0
	v_rcp_f64_e32 v[92:93], v[90:91]
	v_add_f64 v[96:97], v[90:91], -1.0
	v_add_f64 v[94:95], v[10:11], -1.0
	v_add_f64 v[10:11], v[10:11], -v[96:97]
	v_fma_f64 v[96:97], -v[90:91], v[92:93], 1.0
	v_fmac_f64_e32 v[92:93], v[96:97], v[92:93]
	v_fma_f64 v[96:97], -v[90:91], v[92:93], 1.0
	v_fmac_f64_e32 v[92:93], v[96:97], v[92:93]
	v_mul_f64 v[96:97], v[94:95], v[92:93]
	v_mul_f64 v[98:99], v[90:91], v[96:97]
	v_fma_f64 v[90:91], v[96:97], v[90:91], -v[98:99]
	v_fmac_f64_e32 v[90:91], v[96:97], v[10:11]
	v_add_f64 v[10:11], v[98:99], v[90:91]
	v_add_f64 v[100:101], v[94:95], -v[10:11]
	v_add_f64 v[98:99], v[10:11], -v[98:99]
	;; [unrolled: 1-line block ×5, first 2 shown]
	v_add_f64 v[10:11], v[90:91], v[10:11]
	v_add_f64 v[10:11], v[100:101], v[10:11]
	v_mul_f64 v[10:11], v[92:93], v[10:11]
	v_add_f64 v[90:91], v[96:97], v[10:11]
	v_add_f64 v[92:93], v[90:91], -v[96:97]
	v_add_f64 v[10:11], v[10:11], -v[92:93]
	v_mul_f64 v[92:93], v[90:91], v[90:91]
	v_pk_mov_b32 v[94:95], v[18:19], v[18:19] op_sel:[0,1]
	v_fmac_f64_e32 v[94:95], s[28:29], v[92:93]
	v_pk_mov_b32 v[96:97], v[20:21], v[20:21] op_sel:[0,1]
	v_fmac_f64_e32 v[96:97], v[92:93], v[94:95]
	;; [unrolled: 2-line block ×6, first 2 shown]
	v_ldexp_f64 v[94:95], v[90:91], 1
	v_mul_f64 v[90:91], v[90:91], v[92:93]
	v_mul_f64 v[90:91], v[90:91], v[96:97]
	v_add_f64 v[92:93], v[94:95], v[90:91]
	v_add_f64 v[94:95], v[92:93], -v[94:95]
	v_ldexp_f64 v[10:11], v[10:11], 1
	v_add_f64 v[90:91], v[90:91], -v[94:95]
	v_add_f64 v[10:11], v[10:11], v[90:91]
	v_frexp_exp_i32_f64_e32 v12, v[86:87]
	v_add_f64 v[90:91], v[92:93], v[10:11]
	v_subbrev_co_u32_e64 v12, s[12:13], 0, v12, s[12:13]
	v_add_f64 v[92:93], v[90:91], -v[92:93]
	v_add_f64 v[10:11], v[10:11], -v[92:93]
	v_cvt_f64_i32_e32 v[92:93], v12
	v_mul_f64 v[94:95], v[92:93], s[30:31]
	v_fma_f64 v[96:97], v[92:93], s[30:31], -v[94:95]
	v_fmac_f64_e32 v[96:97], s[34:35], v[92:93]
	v_add_f64 v[92:93], v[94:95], v[96:97]
	v_add_f64 v[94:95], v[92:93], -v[94:95]
	v_add_f64 v[94:95], v[96:97], -v[94:95]
	v_add_f64 v[96:97], v[92:93], v[90:91]
	v_add_f64 v[98:99], v[96:97], -v[92:93]
	v_add_f64 v[100:101], v[96:97], -v[98:99]
	;; [unrolled: 1-line block ×4, first 2 shown]
	v_add_f64 v[90:91], v[90:91], v[92:93]
	v_add_f64 v[92:93], v[94:95], v[10:11]
	v_add_f64 v[98:99], v[92:93], -v[94:95]
	v_add_f64 v[100:101], v[92:93], -v[98:99]
	v_add_f64 v[90:91], v[92:93], v[90:91]
	v_add_f64 v[94:95], v[94:95], -v[100:101]
	v_add_f64 v[10:11], v[10:11], -v[98:99]
	v_add_f64 v[92:93], v[96:97], v[90:91]
	v_add_f64 v[10:11], v[10:11], v[94:95]
	v_add_f64 v[94:95], v[92:93], -v[96:97]
	v_add_f64 v[90:91], v[90:91], -v[94:95]
	v_and_b32_e32 v89, 0x7fffffff, v89
	v_add_f64 v[10:11], v[10:11], v[90:91]
	v_cmp_eq_f64_e64 s[12:13], s[36:37], v[88:89]
	v_add_f64 v[10:11], v[92:93], v[10:11]
	s_and_b64 s[10:11], s[10:11], s[12:13]
	v_cndmask_b32_e64 v11, v11, v8, s[10:11]
	v_cndmask_b32_e64 v10, v10, v1, s[10:11]
	v_add_f64 v[10:11], v[10:11], 1.0
	v_cndmask_b32_e64 v1, v10, 0, vcc
	v_cndmask_b32_e32 v8, v11, v119, vcc
	v_max_f64 v[10:11], |v[4:5]|, |v[4:5]|
	v_max_f64 v[88:89], |v[2:3]|, |v[2:3]|
	v_max_f64 v[90:91], v[88:89], v[10:11]
	v_min_f64 v[88:89], v[88:89], v[10:11]
	v_div_scale_f64 v[92:93], s[10:11], v[90:91], v[90:91], v[88:89]
	v_rcp_f64_e32 v[94:95], v[92:93]
	v_cmp_ngt_f64_e32 vcc, 0, v[86:87]
	v_cndmask_b32_e32 v8, v112, v8, vcc
	v_cmp_nge_f64_e32 vcc, 0, v[86:87]
	v_cndmask_b32_e32 v10, 0, v1, vcc
	v_cmp_neq_f64_e32 vcc, 0, v[86:87]
	v_fma_f64 v[86:87], -v[92:93], v[94:95], 1.0
	v_fmac_f64_e32 v[94:95], v[94:95], v[86:87]
	v_fma_f64 v[86:87], -v[92:93], v[94:95], 1.0
	v_cndmask_b32_e32 v11, v113, v8, vcc
	v_fmac_f64_e32 v[94:95], v[94:95], v[86:87]
	v_div_scale_f64 v[86:87], vcc, v[88:89], v[90:91], v[88:89]
	v_mul_f64 v[96:97], v[86:87], v[94:95]
	v_fma_f64 v[86:87], -v[92:93], v[96:97], v[86:87]
	v_pk_mov_b32 v[92:93], v[32:33], v[32:33] op_sel:[0,1]
	s_nop 0
	v_div_fmas_f64 v[86:87], v[86:87], v[94:95], v[96:97]
	v_div_fixup_f64 v[86:87], v[86:87], v[90:91], v[88:89]
	v_mul_f64 v[88:89], v[86:87], v[86:87]
	v_pk_mov_b32 v[90:91], v[30:31], v[30:31] op_sel:[0,1]
	v_fmac_f64_e32 v[90:91], s[38:39], v[88:89]
	v_fmac_f64_e32 v[92:93], v[88:89], v[90:91]
	v_pk_mov_b32 v[90:91], v[34:35], v[34:35] op_sel:[0,1]
	v_fmac_f64_e32 v[90:91], v[88:89], v[92:93]
	v_pk_mov_b32 v[92:93], v[36:37], v[36:37] op_sel:[0,1]
	;; [unrolled: 2-line block ×17, first 2 shown]
	v_fmac_f64_e32 v[90:91], v[88:89], v[92:93]
	v_cmp_gt_i32_e32 vcc, 0, v3
	v_mul_f64 v[88:89], v[88:89], v[90:91]
	v_cmp_class_f64_e64 s[12:13], v[2:3], s77
	v_cndmask_b32_e32 v2, v116, v117, vcc
	v_fmac_f64_e32 v[86:87], v[86:87], v[88:89]
	v_bfi_b32 v8, s76, v2, v5
	v_ashrrev_i32_e32 v2, 31, v3
	v_and_b32_e32 v12, 0x400921fb, v2
	v_and_b32_e32 v16, 0x54442d18, v2
	v_add_f64 v[2:3], -v[86:87], s[40:41]
	v_cndmask_b32_e64 v3, v87, v3, s[8:9]
	v_cndmask_b32_e64 v2, v86, v2, s[8:9]
	v_add_f64 v[86:87], -v[2:3], s[42:43]
	v_cmp_class_f64_e64 s[10:11], v[4:5], s77
	v_cndmask_b32_e32 v1, v114, v115, vcc
	v_cndmask_b32_e32 v3, v3, v87, vcc
	;; [unrolled: 1-line block ×3, first 2 shown]
	v_cmp_eq_f64_e32 vcc, 0, v[4:5]
	v_cndmask_b32_e32 v2, v2, v16, vcc
	v_cndmask_b32_e32 v3, v3, v12, vcc
	s_and_b64 vcc, s[10:11], s[12:13]
	v_cndmask_b32_e32 v87, v3, v8, vcc
	v_cndmask_b32_e32 v86, v2, v1, vcc
.LBB180_287:                            ;   in Loop: Header=BB180_145 Depth=1
	s_or_b64 exec, exec, s[56:57]
	s_andn2_saveexec_b64 s[8:9], s[54:55]
	s_cbranch_execz .LBB180_257
.LBB180_288:                            ;   in Loop: Header=BB180_145 Depth=1
	v_cmp_nlt_f64_e64 s[10:11], |v[2:3]|, s[50:51]
	v_cmp_nlt_f64_e64 s[12:13], |v[4:5]|, s[50:51]
	s_or_b64 s[10:11], s[12:13], s[10:11]
                                        ; implicit-def: $vgpr86_vgpr87
	s_and_saveexec_b64 s[12:13], s[10:11]
	s_xor_b64 s[10:11], exec, s[12:13]
; %bb.289:                              ;   in Loop: Header=BB180_145 Depth=1
	v_mul_f64 v[86:87], v[2:3], v[2:3]
	v_fmac_f64_e32 v[86:87], v[4:5], v[4:5]
; %bb.290:                              ;   in Loop: Header=BB180_145 Depth=1
	s_andn2_saveexec_b64 s[10:11], s[10:11]
; %bb.291:                              ;   in Loop: Header=BB180_145 Depth=1
	v_mul_f64 v[2:3], v[2:3], 4.0
	v_mul_f64 v[10:11], v[4:5], 4.0
	v_mul_f64 v[2:3], v[2:3], v[2:3]
	v_fmac_f64_e32 v[2:3], v[10:11], v[10:11]
	v_ldexp_f64 v[86:87], v[2:3], -4
; %bb.292:                              ;   in Loop: Header=BB180_145 Depth=1
	s_or_b64 exec, exec, s[10:11]
	v_frexp_mant_f64_e32 v[2:3], v[86:87]
	v_cmp_gt_f64_e32 vcc, s[26:27], v[2:3]
	v_cndmask_b32_e64 v69, v118, 2.0, vcc
	v_mul_f64 v[2:3], v[2:3], v[68:69]
	v_add_f64 v[10:11], v[2:3], 1.0
	v_rcp_f64_e32 v[88:89], v[10:11]
	v_add_f64 v[92:93], v[10:11], -1.0
	v_add_f64 v[90:91], v[2:3], -1.0
	v_add_f64 v[2:3], v[2:3], -v[92:93]
	v_fma_f64 v[92:93], -v[10:11], v[88:89], 1.0
	v_fmac_f64_e32 v[88:89], v[92:93], v[88:89]
	v_fma_f64 v[92:93], -v[10:11], v[88:89], 1.0
	v_fmac_f64_e32 v[88:89], v[92:93], v[88:89]
	v_mul_f64 v[92:93], v[90:91], v[88:89]
	v_mul_f64 v[94:95], v[10:11], v[92:93]
	v_fma_f64 v[10:11], v[92:93], v[10:11], -v[94:95]
	v_fmac_f64_e32 v[10:11], v[92:93], v[2:3]
	v_add_f64 v[2:3], v[94:95], v[10:11]
	v_add_f64 v[96:97], v[90:91], -v[2:3]
	v_add_f64 v[94:95], v[2:3], -v[94:95]
	;; [unrolled: 1-line block ×5, first 2 shown]
	v_add_f64 v[2:3], v[10:11], v[2:3]
	v_add_f64 v[2:3], v[96:97], v[2:3]
	v_mul_f64 v[2:3], v[88:89], v[2:3]
	v_add_f64 v[10:11], v[92:93], v[2:3]
	v_add_f64 v[88:89], v[10:11], -v[92:93]
	v_add_f64 v[2:3], v[2:3], -v[88:89]
	v_mul_f64 v[88:89], v[10:11], v[10:11]
	v_pk_mov_b32 v[90:91], v[18:19], v[18:19] op_sel:[0,1]
	v_fmac_f64_e32 v[90:91], s[28:29], v[88:89]
	v_pk_mov_b32 v[92:93], v[20:21], v[20:21] op_sel:[0,1]
	v_fmac_f64_e32 v[92:93], v[88:89], v[90:91]
	;; [unrolled: 2-line block ×6, first 2 shown]
	v_ldexp_f64 v[90:91], v[10:11], 1
	v_mul_f64 v[10:11], v[10:11], v[88:89]
	v_mul_f64 v[10:11], v[10:11], v[92:93]
	v_add_f64 v[88:89], v[90:91], v[10:11]
	v_add_f64 v[90:91], v[88:89], -v[90:91]
	v_ldexp_f64 v[2:3], v[2:3], 1
	v_add_f64 v[10:11], v[10:11], -v[90:91]
	v_add_f64 v[2:3], v[2:3], v[10:11]
	v_frexp_exp_i32_f64_e32 v1, v[86:87]
	v_add_f64 v[10:11], v[88:89], v[2:3]
	v_subbrev_co_u32_e32 v1, vcc, 0, v1, vcc
	v_add_f64 v[88:89], v[10:11], -v[88:89]
	v_add_f64 v[2:3], v[2:3], -v[88:89]
	v_cvt_f64_i32_e32 v[88:89], v1
	v_mul_f64 v[90:91], v[88:89], s[30:31]
	v_fma_f64 v[92:93], v[88:89], s[30:31], -v[90:91]
	v_fmac_f64_e32 v[92:93], s[34:35], v[88:89]
	v_add_f64 v[88:89], v[90:91], v[92:93]
	v_add_f64 v[90:91], v[88:89], -v[90:91]
	v_add_f64 v[90:91], v[92:93], -v[90:91]
	v_add_f64 v[92:93], v[88:89], v[10:11]
	v_add_f64 v[94:95], v[92:93], -v[88:89]
	v_add_f64 v[96:97], v[92:93], -v[94:95]
	;; [unrolled: 1-line block ×4, first 2 shown]
	v_add_f64 v[10:11], v[10:11], v[88:89]
	v_add_f64 v[88:89], v[90:91], v[2:3]
	v_add_f64 v[94:95], v[88:89], -v[90:91]
	v_add_f64 v[96:97], v[88:89], -v[94:95]
	v_add_f64 v[10:11], v[88:89], v[10:11]
	v_add_f64 v[90:91], v[90:91], -v[96:97]
	v_add_f64 v[2:3], v[2:3], -v[94:95]
	v_add_f64 v[88:89], v[92:93], v[10:11]
	v_add_f64 v[2:3], v[2:3], v[90:91]
	v_add_f64 v[90:91], v[88:89], -v[92:93]
	v_add_f64 v[10:11], v[10:11], -v[90:91]
	v_add_f64 v[2:3], v[2:3], v[10:11]
	v_add_f64 v[2:3], v[88:89], v[2:3]
	v_cmp_class_f64_e64 vcc, v[86:87], s77
	v_cndmask_b32_e32 v1, v2, v86, vcc
	v_cndmask_b32_e32 v2, v3, v87, vcc
	v_cmp_ngt_f64_e32 vcc, 0, v[86:87]
	v_cndmask_b32_e32 v2, v112, v2, vcc
	v_cmp_nge_f64_e32 vcc, 0, v[86:87]
	v_cndmask_b32_e32 v10, 0, v1, vcc
	v_cmp_neq_f64_e32 vcc, 0, v[86:87]
	v_mov_b32_e32 v86, 0
	v_cndmask_b32_e32 v11, v113, v2, vcc
	v_mov_b32_e32 v87, 0x7ff80000
	s_or_b64 exec, exec, s[8:9]
	s_and_saveexec_b64 s[8:9], s[6:7]
	s_xor_b64 s[6:7], exec, s[8:9]
	s_cbranch_execz .LBB180_258
.LBB180_293:                            ;   in Loop: Header=BB180_145 Depth=1
	v_div_scale_f64 v[2:3], s[8:9], s[52:53], s[52:53], v[78:79]
	v_rcp_f64_e32 v[88:89], v[2:3]
	v_bfi_b32 v81, s76, v81, v17
	v_mov_b32_e32 v1, s70
	v_fma_f64 v[16:17], -v[2:3], v[88:89], 1.0
	v_fmac_f64_e32 v[88:89], v[88:89], v[16:17]
	v_fma_f64 v[16:17], -v[2:3], v[88:89], 1.0
	v_fmac_f64_e32 v[88:89], v[88:89], v[16:17]
	v_div_scale_f64 v[16:17], vcc, v[78:79], s[52:53], v[78:79]
	v_mul_f64 v[90:91], v[16:17], v[88:89]
	v_fma_f64 v[2:3], -v[2:3], v[90:91], v[16:17]
	v_div_scale_f64 v[16:17], s[8:9], s[52:53], s[52:53], v[80:81]
	v_rcp_f64_e32 v[92:93], v[16:17]
	v_div_fmas_f64 v[2:3], v[2:3], v[88:89], v[90:91]
	v_div_fixup_f64 v[78:79], v[2:3], s[52:53], v[78:79]
	v_fma_f64 v[2:3], -v[16:17], v[92:93], 1.0
	v_fmac_f64_e32 v[92:93], v[92:93], v[2:3]
	v_fma_f64 v[2:3], -v[16:17], v[92:93], 1.0
	v_fmac_f64_e32 v[92:93], v[92:93], v[2:3]
	v_div_scale_f64 v[2:3], vcc, v[80:81], s[52:53], v[80:81]
	v_mul_f64 v[88:89], v[2:3], v[92:93]
	v_fma_f64 v[2:3], -v[16:17], v[88:89], v[2:3]
	s_nop 1
	v_div_fmas_f64 v[2:3], v[2:3], v[92:93], v[88:89]
	v_div_fixup_f64 v[80:81], v[2:3], s[52:53], v[80:81]
	v_lshlrev_b64 v[2:3], 4, v[76:77]
	v_add_co_u32_e32 v2, vcc, s69, v2
	v_addc_co_u32_e32 v3, vcc, v1, v3, vcc
	global_store_dwordx4 v[2:3], v[78:81], off
	s_or_b64 exec, exec, s[6:7]
	s_and_saveexec_b64 s[6:7], s[4:5]
	s_cbranch_execz .LBB180_259
.LBB180_294:                            ;   in Loop: Header=BB180_145 Depth=1
	v_div_scale_f64 v[2:3], s[4:5], s[52:53], s[52:53], v[14:15]
	v_rcp_f64_e32 v[16:17], v[2:3]
	v_bfi_b32 v83, s76, v83, v9
	v_mov_b32_e32 v1, s70
	v_fma_f64 v[8:9], -v[2:3], v[16:17], 1.0
	v_fmac_f64_e32 v[16:17], v[16:17], v[8:9]
	v_fma_f64 v[8:9], -v[2:3], v[16:17], 1.0
	v_fmac_f64_e32 v[16:17], v[16:17], v[8:9]
	v_div_scale_f64 v[8:9], vcc, v[14:15], s[52:53], v[14:15]
	v_mul_f64 v[76:77], v[8:9], v[16:17]
	v_fma_f64 v[2:3], -v[2:3], v[76:77], v[8:9]
	v_div_scale_f64 v[8:9], s[4:5], s[52:53], s[52:53], v[82:83]
	v_rcp_f64_e32 v[78:79], v[8:9]
	v_div_fmas_f64 v[2:3], v[2:3], v[16:17], v[76:77]
	v_div_fixup_f64 v[14:15], v[2:3], s[52:53], v[14:15]
	v_fma_f64 v[2:3], -v[8:9], v[78:79], 1.0
	v_fmac_f64_e32 v[78:79], v[78:79], v[2:3]
	v_fma_f64 v[2:3], -v[8:9], v[78:79], 1.0
	v_fmac_f64_e32 v[78:79], v[78:79], v[2:3]
	v_div_scale_f64 v[2:3], vcc, v[82:83], s[52:53], v[82:83]
	v_mul_f64 v[16:17], v[2:3], v[78:79]
	v_fma_f64 v[2:3], -v[8:9], v[16:17], v[2:3]
	s_nop 1
	v_div_fmas_f64 v[2:3], v[2:3], v[78:79], v[16:17]
	v_div_fixup_f64 v[16:17], v[2:3], s[52:53], v[82:83]
	v_lshlrev_b64 v[2:3], 4, v[74:75]
	v_add_co_u32_e32 v2, vcc, s69, v2
	v_addc_co_u32_e32 v3, vcc, v1, v3, vcc
	global_store_dwordx4 v[2:3], v[14:17], off
	s_or_b64 exec, exec, s[6:7]
	s_and_saveexec_b64 s[4:5], s[2:3]
	s_cbranch_execz .LBB180_260
.LBB180_295:                            ;   in Loop: Header=BB180_145 Depth=1
	v_div_scale_f64 v[2:3], s[2:3], s[52:53], s[52:53], v[6:7]
	v_rcp_f64_e32 v[8:9], v[2:3]
	v_bfi_b32 v85, s76, v85, v13
	v_mov_b32_e32 v1, s70
	v_fma_f64 v[12:13], -v[2:3], v[8:9], 1.0
	v_fmac_f64_e32 v[8:9], v[8:9], v[12:13]
	v_fma_f64 v[12:13], -v[2:3], v[8:9], 1.0
	v_fmac_f64_e32 v[8:9], v[8:9], v[12:13]
	v_div_scale_f64 v[12:13], vcc, v[6:7], s[52:53], v[6:7]
	v_mul_f64 v[14:15], v[12:13], v[8:9]
	v_fma_f64 v[2:3], -v[2:3], v[14:15], v[12:13]
	v_div_scale_f64 v[12:13], s[2:3], s[52:53], s[52:53], v[84:85]
	v_rcp_f64_e32 v[16:17], v[12:13]
	v_div_fmas_f64 v[2:3], v[2:3], v[8:9], v[14:15]
	v_div_fixup_f64 v[6:7], v[2:3], s[52:53], v[6:7]
	v_fma_f64 v[2:3], -v[12:13], v[16:17], 1.0
	v_fmac_f64_e32 v[16:17], v[16:17], v[2:3]
	v_fma_f64 v[2:3], -v[12:13], v[16:17], 1.0
	v_fmac_f64_e32 v[16:17], v[16:17], v[2:3]
	v_div_scale_f64 v[2:3], vcc, v[84:85], s[52:53], v[84:85]
	v_mul_f64 v[8:9], v[2:3], v[16:17]
	v_fma_f64 v[2:3], -v[12:13], v[8:9], v[2:3]
	s_nop 1
	v_div_fmas_f64 v[2:3], v[2:3], v[16:17], v[8:9]
	v_div_fixup_f64 v[8:9], v[2:3], s[52:53], v[84:85]
	v_lshlrev_b64 v[2:3], 4, v[72:73]
	v_add_co_u32_e32 v2, vcc, s69, v2
	v_addc_co_u32_e32 v3, vcc, v1, v3, vcc
	global_store_dwordx4 v[2:3], v[6:9], off
	s_or_b64 exec, exec, s[4:5]
	s_and_saveexec_b64 s[2:3], s[0:1]
	s_cbranch_execz .LBB180_144
.LBB180_296:                            ;   in Loop: Header=BB180_145 Depth=1
	v_div_scale_f64 v[2:3], s[0:1], s[52:53], s[52:53], v[10:11]
	v_rcp_f64_e32 v[6:7], v[2:3]
	v_bfi_b32 v87, s76, v87, v5
	v_mov_b32_e32 v1, s70
	v_fma_f64 v[4:5], -v[2:3], v[6:7], 1.0
	v_fmac_f64_e32 v[6:7], v[6:7], v[4:5]
	v_fma_f64 v[4:5], -v[2:3], v[6:7], 1.0
	v_fmac_f64_e32 v[6:7], v[6:7], v[4:5]
	v_div_scale_f64 v[4:5], vcc, v[10:11], s[52:53], v[10:11]
	v_mul_f64 v[8:9], v[4:5], v[6:7]
	v_fma_f64 v[2:3], -v[2:3], v[8:9], v[4:5]
	v_div_scale_f64 v[4:5], s[0:1], s[52:53], s[52:53], v[86:87]
	v_rcp_f64_e32 v[12:13], v[4:5]
	v_div_fmas_f64 v[2:3], v[2:3], v[6:7], v[8:9]
	v_div_fixup_f64 v[2:3], v[2:3], s[52:53], v[10:11]
	v_fma_f64 v[6:7], -v[4:5], v[12:13], 1.0
	v_fmac_f64_e32 v[12:13], v[12:13], v[6:7]
	v_fma_f64 v[6:7], -v[4:5], v[12:13], 1.0
	v_fmac_f64_e32 v[12:13], v[12:13], v[6:7]
	v_div_scale_f64 v[6:7], vcc, v[86:87], s[52:53], v[86:87]
	v_mul_f64 v[8:9], v[6:7], v[12:13]
	v_fma_f64 v[4:5], -v[4:5], v[8:9], v[6:7]
	v_lshlrev_b64 v[6:7], 4, v[70:71]
	s_nop 0
	v_div_fmas_f64 v[4:5], v[4:5], v[12:13], v[8:9]
	v_add_co_u32_e32 v6, vcc, s69, v6
	v_div_fixup_f64 v[4:5], v[4:5], s[52:53], v[86:87]
	v_addc_co_u32_e32 v7, vcc, v1, v7, vcc
	global_store_dwordx4 v[6:7], v[2:5], off
	s_branch .LBB180_144
.LBB180_297:
	s_endpgm
	.section	.rodata,"a",@progbits
	.p2align	6, 0x0
	.amdhsa_kernel _ZN2at6native12_GLOBAL__N_125multi_tensor_apply_kernelINS1_18TensorListMetadataILi2EEENS1_14UnaryOpFunctorIN3c107complexIdEELi2ELi1ELi1EEEJNS0_5Log10IS8_EEEEEvT_T0_DpT1_
		.amdhsa_group_segment_fixed_size 0
		.amdhsa_private_segment_fixed_size 0
		.amdhsa_kernarg_size 3408
		.amdhsa_user_sgpr_count 6
		.amdhsa_user_sgpr_private_segment_buffer 1
		.amdhsa_user_sgpr_dispatch_ptr 0
		.amdhsa_user_sgpr_queue_ptr 0
		.amdhsa_user_sgpr_kernarg_segment_ptr 1
		.amdhsa_user_sgpr_dispatch_id 0
		.amdhsa_user_sgpr_flat_scratch_init 0
		.amdhsa_user_sgpr_kernarg_preload_length 0
		.amdhsa_user_sgpr_kernarg_preload_offset 0
		.amdhsa_user_sgpr_private_segment_size 0
		.amdhsa_uses_dynamic_stack 0
		.amdhsa_system_sgpr_private_segment_wavefront_offset 0
		.amdhsa_system_sgpr_workgroup_id_x 1
		.amdhsa_system_sgpr_workgroup_id_y 0
		.amdhsa_system_sgpr_workgroup_id_z 0
		.amdhsa_system_sgpr_workgroup_info 0
		.amdhsa_system_vgpr_workitem_id 0
		.amdhsa_next_free_vgpr 122
		.amdhsa_next_free_sgpr 80
		.amdhsa_accum_offset 124
		.amdhsa_reserve_vcc 1
		.amdhsa_reserve_flat_scratch 0
		.amdhsa_float_round_mode_32 0
		.amdhsa_float_round_mode_16_64 0
		.amdhsa_float_denorm_mode_32 3
		.amdhsa_float_denorm_mode_16_64 3
		.amdhsa_dx10_clamp 1
		.amdhsa_ieee_mode 1
		.amdhsa_fp16_overflow 0
		.amdhsa_tg_split 0
		.amdhsa_exception_fp_ieee_invalid_op 0
		.amdhsa_exception_fp_denorm_src 0
		.amdhsa_exception_fp_ieee_div_zero 0
		.amdhsa_exception_fp_ieee_overflow 0
		.amdhsa_exception_fp_ieee_underflow 0
		.amdhsa_exception_fp_ieee_inexact 0
		.amdhsa_exception_int_div_zero 0
	.end_amdhsa_kernel
	.section	.text._ZN2at6native12_GLOBAL__N_125multi_tensor_apply_kernelINS1_18TensorListMetadataILi2EEENS1_14UnaryOpFunctorIN3c107complexIdEELi2ELi1ELi1EEEJNS0_5Log10IS8_EEEEEvT_T0_DpT1_,"axG",@progbits,_ZN2at6native12_GLOBAL__N_125multi_tensor_apply_kernelINS1_18TensorListMetadataILi2EEENS1_14UnaryOpFunctorIN3c107complexIdEELi2ELi1ELi1EEEJNS0_5Log10IS8_EEEEEvT_T0_DpT1_,comdat
.Lfunc_end180:
	.size	_ZN2at6native12_GLOBAL__N_125multi_tensor_apply_kernelINS1_18TensorListMetadataILi2EEENS1_14UnaryOpFunctorIN3c107complexIdEELi2ELi1ELi1EEEJNS0_5Log10IS8_EEEEEvT_T0_DpT1_, .Lfunc_end180-_ZN2at6native12_GLOBAL__N_125multi_tensor_apply_kernelINS1_18TensorListMetadataILi2EEENS1_14UnaryOpFunctorIN3c107complexIdEELi2ELi1ELi1EEEJNS0_5Log10IS8_EEEEEvT_T0_DpT1_
                                        ; -- End function
	.section	.AMDGPU.csdata,"",@progbits
; Kernel info:
; codeLenInByte = 85104
; NumSgprs: 84
; NumVgprs: 122
; NumAgprs: 0
; TotalNumVgprs: 122
; ScratchSize: 0
; MemoryBound: 1
; FloatMode: 240
; IeeeMode: 1
; LDSByteSize: 0 bytes/workgroup (compile time only)
; SGPRBlocks: 10
; VGPRBlocks: 15
; NumSGPRsForWavesPerEU: 84
; NumVGPRsForWavesPerEU: 122
; AccumOffset: 124
; Occupancy: 4
; WaveLimiterHint : 0
; COMPUTE_PGM_RSRC2:SCRATCH_EN: 0
; COMPUTE_PGM_RSRC2:USER_SGPR: 6
; COMPUTE_PGM_RSRC2:TRAP_HANDLER: 0
; COMPUTE_PGM_RSRC2:TGID_X_EN: 1
; COMPUTE_PGM_RSRC2:TGID_Y_EN: 0
; COMPUTE_PGM_RSRC2:TGID_Z_EN: 0
; COMPUTE_PGM_RSRC2:TIDIG_COMP_CNT: 0
; COMPUTE_PGM_RSRC3_GFX90A:ACCUM_OFFSET: 30
; COMPUTE_PGM_RSRC3_GFX90A:TG_SPLIT: 0
	.section	.text._ZN2at6native12_GLOBAL__N_125multi_tensor_apply_kernelINS1_18TensorListMetadataILi2EEENS1_14UnaryOpFunctorIN3c107complexIfEELi2ELi1ELi1EEEJNS0_5Log10IS8_EEEEEvT_T0_DpT1_,"axG",@progbits,_ZN2at6native12_GLOBAL__N_125multi_tensor_apply_kernelINS1_18TensorListMetadataILi2EEENS1_14UnaryOpFunctorIN3c107complexIfEELi2ELi1ELi1EEEJNS0_5Log10IS8_EEEEEvT_T0_DpT1_,comdat
	.globl	_ZN2at6native12_GLOBAL__N_125multi_tensor_apply_kernelINS1_18TensorListMetadataILi2EEENS1_14UnaryOpFunctorIN3c107complexIfEELi2ELi1ELi1EEEJNS0_5Log10IS8_EEEEEvT_T0_DpT1_ ; -- Begin function _ZN2at6native12_GLOBAL__N_125multi_tensor_apply_kernelINS1_18TensorListMetadataILi2EEENS1_14UnaryOpFunctorIN3c107complexIfEELi2ELi1ELi1EEEJNS0_5Log10IS8_EEEEEvT_T0_DpT1_
	.p2align	8
	.type	_ZN2at6native12_GLOBAL__N_125multi_tensor_apply_kernelINS1_18TensorListMetadataILi2EEENS1_14UnaryOpFunctorIN3c107complexIfEELi2ELi1ELi1EEEJNS0_5Log10IS8_EEEEEvT_T0_DpT1_,@function
_ZN2at6native12_GLOBAL__N_125multi_tensor_apply_kernelINS1_18TensorListMetadataILi2EEENS1_14UnaryOpFunctorIN3c107complexIfEELi2ELi1ELi1EEEJNS0_5Log10IS8_EEEEEvT_T0_DpT1_: ; @_ZN2at6native12_GLOBAL__N_125multi_tensor_apply_kernelINS1_18TensorListMetadataILi2EEENS1_14UnaryOpFunctorIN3c107complexIfEELi2ELi1ELi1EEEJNS0_5Log10IS8_EEEEEvT_T0_DpT1_
; %bb.0:
	v_mov_b32_e32 v1, s6
	global_load_ubyte v1, v1, s[4:5] offset:1536
	s_add_u32 s0, s4, s6
	s_mul_hi_u32 s3, s6, 3
	s_mul_i32 s6, s6, 3
	s_addc_u32 s8, s5, 0
	s_add_u32 s2, s0, s6
	s_addc_u32 s3, s8, s3
	s_load_dword s2, s[2:3], 0x740
	s_mov_b32 s7, 0
	s_mov_b32 s1, s7
	s_waitcnt lgkmcnt(0)
	s_ashr_i32 s3, s2, 31
	s_lshl_b64 s[14:15], s[2:3], 19
	s_waitcnt vmcnt(0)
	v_readfirstlane_b32 s0, v1
	s_lshl_b32 s0, s0, 3
	s_load_dwordx2 s[8:9], s[4:5], s0 offset:0x0
	s_load_dwordx2 s[10:11], s[4:5], s0 offset:0x400
	;; [unrolled: 1-line block ×3, first 2 shown]
	s_waitcnt lgkmcnt(0)
	s_add_u32 s33, s8, s14
	s_addc_u32 s36, s9, s15
	s_add_u32 s37, s12, s14
	s_addc_u32 s38, s13, s15
	s_and_b32 s0, s33, 31
	s_and_b32 s8, s10, 3
	s_mov_b32 s9, s7
	s_and_b32 s6, s37, 31
	s_or_b64 s[0:1], s[0:1], s[8:9]
	s_lshl_b64 s[2:3], s[2:3], 16
	s_or_b64 s[0:1], s[6:7], s[0:1]
	s_sub_u32 s12, s10, s2
	s_subb_u32 s13, s11, s3
	s_cmp_eq_u64 s[0:1], 0
	s_mov_b64 s[0:1], -1
	s_cbranch_scc0 .LBB181_141
; %bb.1:
	v_mov_b32_e32 v3, 0
	v_lshlrev_b32_e32 v2, 2, v0
	v_cmp_gt_i64_e32 vcc, s[12:13], v[2:3]
	s_and_saveexec_b64 s[8:9], vcc
	s_cbranch_execz .LBB181_140
; %bb.2:
	s_load_dword s0, s[4:5], 0xc5c
	v_mov_b32_e32 v1, v3
	s_mov_b32 s14, -1.0
	s_mov_b64 s[10:11], 0
	v_mov_b32_e32 v22, s36
	s_brev_b32 s6, -2
	s_waitcnt lgkmcnt(0)
	s_and_b32 s34, s0, 0xffff
	s_mov_b32 s35, 0x77f684df
	s_mov_b32 s15, 1.0
	s_mov_b32 s39, 0x358637bd
	s_mov_b32 s40, 0x49742400
	;; [unrolled: 1-line block ×3, first 2 shown]
	v_mov_b32_e32 v23, 0x3f2aaada
	s_mov_b32 s42, 0x3f317218
	s_mov_b32 s43, 0x7f800000
	;; [unrolled: 1-line block ×3, first 2 shown]
	v_mov_b32_e32 v24, 0x3d29fb3f
	v_mov_b32_e32 v25, 0xbd97d4d7
	v_mov_b32_e32 v26, 0x3dd931b2
	v_mov_b32_e32 v27, 0xbe1160e6
	v_mov_b32_e32 v28, 0x3e4cb8bf
	v_mov_b32_e32 v29, 0xbeaaaa62
	s_movk_i32 s45, 0x204
	s_mov_b32 s46, 0x3f333333
	s_mov_b32 s47, 0x800000
	s_mov_b32 s48, 0x3f317217
	s_mov_b32 s49, 0x1fec1e4a
	s_mov_b32 s50, 0x402df854
	s_brev_b32 s51, 4
	s_mov_b32 s52, 0x40135d8e
	s_mov_b64 s[16:17], 0xffff
	v_mov_b32_e32 v10, 0x3f317218
	v_mov_b32_e32 v30, 0x7fc00000
	v_mov_b32_e32 v31, 0xff800000
	v_mov_b32_e32 v32, 0x40490fdb
	v_mov_b32_e32 v33, 0x3f490fdb
	v_mov_b32_e32 v34, 0x4016cbe4
	v_mov_b32_e32 v35, 0x4f800000
	v_mov_b32_e32 v36, 0x41b17218
	v_mov_b32_e32 v37, 0x7f800000
	v_pk_mov_b32 v[12:13], v[0:1], v[0:1] op_sel:[0,1]
	s_branch .LBB181_5
.LBB181_3:                              ;   in Loop: Header=BB181_5 Depth=1
	s_or_b64 exec, exec, s[2:3]
	v_cmp_gt_f32_e32 vcc, s47, v2
	v_cndmask_b32_e32 v4, 1.0, v35, vcc
	v_mul_f32_e32 v2, v2, v4
	v_log_f32_e32 v2, v2
	v_cndmask_b32_e32 v4, 0, v36, vcc
	v_mul_f32_e32 v11, 0x3f317217, v2
	v_fma_f32 v16, v2, s48, -v11
	v_fmac_f32_e32 v16, 0x3377d1cf, v2
	v_add_f32_e32 v11, v11, v16
	v_cmp_lt_f32_e64 vcc, |v2|, s43
	v_cndmask_b32_e32 v2, v2, v11, vcc
	v_sub_f32_e32 v2, v2, v4
	v_mov_b32_e32 v11, 0x7fc00000
.LBB181_4:                              ;   in Loop: Header=BB181_5 Depth=1
	s_or_b64 exec, exec, s[0:1]
	v_bfi_b32 v3, s6, v40, v3
	v_div_scale_f32 v4, s[0:1], s52, s52, v3
	v_rcp_f32_e32 v16, v4
	v_div_scale_f32 v17, vcc, v3, s52, v3
	v_bfi_b32 v9, s6, v39, v9
	v_fma_f32 v18, -v4, v16, 1.0
	v_fmac_f32_e32 v16, v18, v16
	v_mul_f32_e32 v18, v17, v16
	v_fma_f32 v19, -v4, v18, v17
	v_fmac_f32_e32 v18, v19, v16
	v_div_scale_f32 v19, s[0:1], s52, s52, v8
	v_rcp_f32_e32 v20, v19
	v_fma_f32 v4, -v4, v18, v17
	v_div_fmas_f32 v4, v4, v16, v18
	v_div_fixup_f32 v17, v4, s52, v3
	v_fma_f32 v3, -v19, v20, 1.0
	v_fmac_f32_e32 v20, v3, v20
	v_div_scale_f32 v3, vcc, v8, s52, v8
	v_mul_f32_e32 v4, v3, v20
	v_fma_f32 v16, -v19, v4, v3
	v_fmac_f32_e32 v4, v16, v20
	v_div_scale_f32 v18, s[0:1], s52, s52, v9
	v_fma_f32 v3, -v19, v4, v3
	v_rcp_f32_e32 v19, v18
	v_div_fmas_f32 v3, v3, v20, v4
	v_div_fixup_f32 v16, v3, s52, v8
	v_bfi_b32 v7, s6, v38, v7
	v_fma_f32 v3, -v18, v19, 1.0
	v_fmac_f32_e32 v19, v3, v19
	v_div_scale_f32 v3, vcc, v9, s52, v9
	v_mul_f32_e32 v4, v3, v19
	v_fma_f32 v8, -v18, v4, v3
	v_fmac_f32_e32 v4, v8, v19
	v_div_scale_f32 v8, s[0:1], s52, s52, v6
	v_fma_f32 v3, -v18, v4, v3
	v_rcp_f32_e32 v18, v8
	v_div_fmas_f32 v3, v3, v19, v4
	v_div_fixup_f32 v9, v3, s52, v9
	v_fma_f32 v3, -v8, v18, 1.0
	v_fmac_f32_e32 v18, v3, v18
	v_div_scale_f32 v3, vcc, v6, s52, v6
	v_mul_f32_e32 v4, v3, v18
	v_fma_f32 v19, -v8, v4, v3
	v_fmac_f32_e32 v4, v19, v18
	v_div_scale_f32 v19, s[0:1], s52, s52, v7
	v_rcp_f32_e32 v20, v19
	v_fma_f32 v3, -v8, v4, v3
	v_div_fmas_f32 v3, v3, v18, v4
	v_div_fixup_f32 v8, v3, s52, v6
	v_fma_f32 v3, -v19, v20, 1.0
	v_fmac_f32_e32 v20, v3, v20
	v_div_scale_f32 v3, vcc, v7, s52, v7
	v_mul_f32_e32 v4, v3, v20
	v_fma_f32 v6, -v19, v4, v3
	v_fmac_f32_e32 v4, v6, v20
	v_div_scale_f32 v6, s[0:1], s52, s52, v1
	v_rcp_f32_e32 v18, v6
	v_fma_f32 v3, -v19, v4, v3
	v_div_fmas_f32 v3, v3, v20, v4
	v_div_fixup_f32 v7, v3, s52, v7
	v_fma_f32 v3, -v6, v18, 1.0
	v_fmac_f32_e32 v18, v3, v18
	v_div_scale_f32 v3, vcc, v1, s52, v1
	v_mul_f32_e32 v4, v3, v18
	v_fma_f32 v19, -v6, v4, v3
	v_fmac_f32_e32 v4, v19, v18
	v_fma_f32 v3, -v6, v4, v3
	v_div_fmas_f32 v3, v3, v18, v4
	v_div_fixup_f32 v6, v3, s52, v1
	v_bfi_b32 v1, s6, v11, v5
	v_div_scale_f32 v11, s[0:1], s52, s52, v1
	v_rcp_f32_e32 v18, v11
	v_mov_b32_e32 v3, s38
	v_add_co_u32_e32 v4, vcc, s37, v14
	v_addc_co_u32_e32 v5, vcc, v3, v15, vcc
	v_fma_f32 v3, -v11, v18, 1.0
	v_fmac_f32_e32 v18, v3, v18
	v_div_scale_f32 v3, vcc, v1, s52, v1
	global_store_dwordx4 v[4:5], v[6:9], off
	s_nop 0
	v_mul_f32_e32 v6, v3, v18
	v_fma_f32 v7, -v11, v6, v3
	v_fmac_f32_e32 v6, v7, v18
	v_div_scale_f32 v7, s[0:1], s52, s52, v2
	v_rcp_f32_e32 v8, v7
	v_fma_f32 v3, -v11, v6, v3
	v_div_fmas_f32 v3, v3, v18, v6
	v_div_fixup_f32 v19, v3, s52, v1
	v_fma_f32 v1, -v7, v8, 1.0
	v_fmac_f32_e32 v8, v1, v8
	v_div_scale_f32 v1, vcc, v2, s52, v2
	v_mul_f32_e32 v3, v1, v8
	v_fma_f32 v6, -v7, v3, v1
	v_fmac_f32_e32 v3, v6, v8
	v_fma_f32 v1, -v7, v3, v1
	v_div_fmas_f32 v1, v1, v8, v3
	v_div_fixup_f32 v18, v1, s52, v2
	v_mov_b32_e32 v1, s7
	v_add_co_u32_e32 v12, vcc, s34, v12
	v_addc_co_u32_e32 v13, vcc, v13, v1, vcc
	v_lshlrev_b64 v[2:3], 2, v[12:13]
	v_cmp_le_i64_e32 vcc, s[12:13], v[2:3]
	v_cmp_lt_u64_e64 s[0:1], s[16:17], v[2:3]
	s_or_b64 s[0:1], vcc, s[0:1]
	s_and_b64 s[0:1], exec, s[0:1]
	s_or_b64 s[10:11], s[0:1], s[10:11]
	global_store_dwordx4 v[4:5], v[16:19], off offset:16
	s_andn2_b64 exec, exec, s[10:11]
	s_cbranch_execz .LBB181_140
.LBB181_5:                              ; =>This Loop Header: Depth=1
                                        ;     Child Loop BB181_16 Depth 2
                                        ;     Child Loop BB181_50 Depth 2
	;; [unrolled: 1-line block ×4, first 2 shown]
	v_lshlrev_b64 v[14:15], 5, v[12:13]
	v_add_co_u32_e32 v16, vcc, s33, v14
	v_addc_co_u32_e32 v17, vcc, v22, v15, vcc
	global_load_dwordx4 v[6:9], v[16:17], off
	global_load_dwordx4 v[2:5], v[16:17], off offset:16
                                        ; implicit-def: $vgpr1
                                        ; implicit-def: $vgpr38
	s_waitcnt vmcnt(1)
	v_cmp_o_f32_e32 vcc, v7, v6
	s_and_saveexec_b64 s[0:1], vcc
	s_xor_b64 s[18:19], exec, s[0:1]
	s_cbranch_execz .LBB181_33
; %bb.6:                                ;   in Loop: Header=BB181_5 Depth=1
	v_cmp_lt_f32_e64 s[0:1], |v6|, |v7|
	v_cndmask_b32_e64 v11, v7, v6, s[0:1]
	v_cmp_ngt_f32_e64 s[2:3], |v11|, s35
                                        ; implicit-def: $vgpr1
                                        ; implicit-def: $vgpr38
	s_and_saveexec_b64 s[20:21], s[2:3]
	s_xor_b64 s[20:21], exec, s[20:21]
	s_cbranch_execz .LBB181_30
; %bb.7:                                ;   in Loop: Header=BB181_5 Depth=1
	v_cndmask_b32_e64 v1, v6, v7, s[0:1]
	v_and_b32_e32 v17, 0x7fffffff, v1
	v_and_b32_e32 v16, 0x7fffffff, v11
	v_cmp_neq_f32_e32 vcc, 1.0, v17
                                        ; implicit-def: $vgpr1
                                        ; implicit-def: $vgpr38
	s_and_saveexec_b64 s[2:3], vcc
	s_xor_b64 s[22:23], exec, s[2:3]
	s_cbranch_execz .LBB181_23
; %bb.8:                                ;   in Loop: Header=BB181_5 Depth=1
	v_max_f32_e32 v1, v16, v16
	v_max_f32_e32 v11, v17, v17
	v_min_f32_e32 v18, v11, v1
	v_max_f32_e32 v1, v11, v1
	v_cmp_ngt_f32_e32 vcc, s39, v18
	v_cmp_nlt_f32_e64 s[2:3], s40, v1
	s_and_b64 s[2:3], s[2:3], vcc
                                        ; implicit-def: $vgpr1
                                        ; implicit-def: $vgpr38
	s_and_saveexec_b64 s[24:25], s[2:3]
	s_xor_b64 s[24:25], exec, s[24:25]
	s_cbranch_execz .LBB181_20
; %bb.9:                                ;   in Loop: Header=BB181_5 Depth=1
	v_cmp_le_f32_e32 vcc, 1.0, v17
                                        ; implicit-def: $vgpr1
                                        ; implicit-def: $vgpr38
	s_and_saveexec_b64 s[2:3], vcc
	s_xor_b64 s[26:27], exec, s[2:3]
	s_cbranch_execz .LBB181_11
; %bb.10:                               ;   in Loop: Header=BB181_5 Depth=1
	v_pk_add_f32 v[18:19], v[16:17], s[14:15] op_sel:[1,0]
	v_mov_b32_e32 v20, v19
	v_pk_mul_f32 v[18:19], v[18:19], v[20:21]
	v_pk_fma_f32 v[16:17], v[16:17], v[16:17], v[18:19]
	v_add_f32_e32 v19, 1.0, v16
	v_add_f32_e32 v17, -1.0, v19
	v_mov_b32_e32 v18, v17
	v_pk_add_f32 v[20:21], v[16:17], v[18:19] neg_lo:[0,1] neg_hi:[0,1]
	v_add_f32_e32 v1, 1.0, v21
	v_add_f32_e32 v1, v20, v1
	v_frexp_mant_f32_e32 v11, v19
	v_cvt_f64_f32_e32 v[20:21], v19
	v_frexp_exp_i32_f64_e32 v17, v[20:21]
	v_cmp_gt_f32_e32 vcc, s41, v11
	v_subbrev_co_u32_e32 v17, vcc, 0, v17, vcc
	v_sub_u32_e32 v11, 0, v17
	v_ldexp_f32 v18, v19, v11
	v_ldexp_f32 v1, v1, v11
	v_add_f32_e32 v11, -1.0, v18
	v_add_f32_e32 v19, 1.0, v11
	v_sub_f32_e32 v19, v18, v19
	v_add_f32_e32 v20, v1, v19
	v_add_f32_e32 v19, 1.0, v18
	v_add_f32_e32 v21, -1.0, v19
	v_sub_f32_e32 v18, v18, v21
	v_add_f32_e32 v1, v1, v18
	v_add_f32_e32 v42, v19, v1
	v_rcp_f32_e32 v43, v42
	v_sub_f32_e32 v18, v42, v19
	v_add_f32_e32 v19, v11, v20
	v_sub_f32_e32 v11, v19, v11
	v_mul_f32_e32 v44, v19, v43
	v_sub_f32_e32 v11, v20, v11
	v_mul_f32_e32 v20, v42, v44
	v_sub_f32_e32 v1, v1, v18
	v_fma_f32 v38, v44, v42, -v20
	v_fmac_f32_e32 v38, v44, v1
	v_add_f32_e32 v18, v20, v38
	v_sub_f32_e32 v21, v19, v18
	v_pk_add_f32 v[40:41], v[18:19], v[20:21] neg_lo:[0,1] neg_hi:[0,1]
	v_mov_b32_e32 v39, v18
	v_pk_add_f32 v[18:19], v[40:41], v[38:39] neg_lo:[0,1] neg_hi:[0,1]
	v_add_f32_e32 v11, v11, v19
	v_add_f32_e32 v11, v18, v11
	;; [unrolled: 1-line block ×3, first 2 shown]
	v_mul_f32_e32 v45, v43, v19
	v_mul_f32_e32 v20, v42, v45
	v_fma_f32 v38, v45, v42, -v20
	v_fmac_f32_e32 v38, v45, v1
	v_add_f32_e32 v18, v20, v38
	v_sub_f32_e32 v1, v21, v19
	v_sub_f32_e32 v21, v19, v18
	v_pk_add_f32 v[40:41], v[18:19], v[20:21] neg_lo:[0,1] neg_hi:[0,1]
	v_mov_b32_e32 v39, v18
	v_add_f32_e32 v1, v11, v1
	v_pk_add_f32 v[18:19], v[40:41], v[38:39] neg_lo:[0,1] neg_hi:[0,1]
	v_add_f32_e32 v1, v1, v19
	v_add_f32_e32 v1, v18, v1
	;; [unrolled: 1-line block ×4, first 2 shown]
	v_sub_f32_e32 v11, v19, v44
	v_mul_f32_e32 v1, v43, v1
	v_sub_f32_e32 v11, v45, v11
	v_add_f32_e32 v1, v11, v1
	v_add_f32_e32 v20, v19, v1
	v_cvt_f32_i32_e32 v18, v17
	v_mul_f32_e32 v38, v20, v20
	v_mov_b32_e32 v11, 0x3ecc95a3
	v_fmac_f32_e32 v11, 0x3e9b6dac, v38
	v_fma_f32 v11, v38, v11, v23
	v_sub_f32_e32 v17, v20, v19
	v_mul_f32_e32 v19, v20, v38
	v_pk_mul_f32 v[38:39], v[18:19], v[10:11]
	v_ldexp_f32 v21, v20, 1
	v_fma_f32 v20, v18, s42, -v38
	v_fmac_f32_e32 v20, 0xb102e308, v18
	v_pk_add_f32 v[18:19], v[38:39], v[20:21]
	v_sub_f32_e32 v1, v1, v17
	v_sub_f32_e32 v11, v19, v21
	v_ldexp_f32 v1, v1, 1
	v_sub_f32_e32 v11, v39, v11
	v_add_f32_e32 v41, v1, v11
	v_mov_b32_e32 v40, v38
	v_pk_add_f32 v[38:39], v[18:19], v[38:39] neg_lo:[0,1] neg_hi:[0,1]
	v_pk_add_f32 v[42:43], v[18:19], v[40:41]
	v_mov_b32_e32 v39, v43
	v_mov_b32_e32 v21, v18
	v_pk_add_f32 v[44:45], v[20:21], v[38:39] neg_lo:[0,1] neg_hi:[0,1]
	v_pk_add_f32 v[20:21], v[20:21], v[38:39]
	v_mov_b32_e32 v38, v21
	v_pk_add_f32 v[46:47], v[38:39], v[18:19] neg_lo:[0,1] neg_hi:[0,1]
	v_mov_b32_e32 v1, v46
	v_pk_add_f32 v[48:49], v[42:43], v[0:1] neg_lo:[0,1] neg_hi:[0,1]
	v_mov_b32_e32 v20, v43
	v_mov_b32_e32 v42, v19
	;; [unrolled: 1-line block ×4, first 2 shown]
	v_pk_add_f32 v[20:21], v[20:21], v[42:43] neg_lo:[0,1] neg_hi:[0,1]
	v_mov_b32_e32 v40, v41
	v_mov_b32_e32 v41, v18
	v_pk_add_f32 v[18:19], v[40:41], v[20:21] neg_lo:[0,1] neg_hi:[0,1]
	v_mov_b32_e32 v48, v44
	v_pk_add_f32 v[20:21], v[48:49], v[18:19]
	v_mov_b32_e32 v40, v21
	v_pk_add_f32 v[40:41], v[20:21], v[40:41]
	v_pk_add_f32 v[38:39], v[38:39], v[40:41]
	v_mov_b32_e32 v21, v38
	v_pk_add_f32 v[42:43], v[20:21], v[44:45] neg_lo:[0,1] neg_hi:[0,1]
	v_mov_b32_e32 v19, v40
	v_sub_f32_e32 v1, v20, v42
	v_pk_add_f32 v[18:19], v[18:19], v[42:43] neg_lo:[0,1] neg_hi:[0,1]
	v_sub_f32_e32 v1, v44, v1
	v_add_f32_e32 v1, v18, v1
	v_add_f32_e32 v1, v1, v19
	;; [unrolled: 1-line block ×3, first 2 shown]
	v_cmp_eq_f32_e32 vcc, s43, v16
	v_cndmask_b32_e32 v1, v1, v16, vcc
	v_cmp_ngt_f32_e32 vcc, -1.0, v16
	v_cndmask_b32_e32 v1, v30, v1, vcc
	v_cmp_neq_f32_e32 vcc, -1.0, v16
	v_cndmask_b32_e32 v1, v31, v1, vcc
	v_cmp_lt_f32_e64 vcc, |v16|, s44
	v_cndmask_b32_e32 v1, v1, v16, vcc
	v_max_f32_e64 v11, |v7|, |v7|
	v_max_f32_e64 v16, |v6|, |v6|
	v_min_f32_e32 v17, v16, v11
	v_max_f32_e32 v11, v16, v11
	v_frexp_mant_f32_e32 v16, v11
	v_rcp_f32_e32 v16, v16
	v_frexp_exp_i32_f32_e32 v11, v11
	v_frexp_exp_i32_f32_e32 v18, v17
	v_frexp_mant_f32_e32 v17, v17
	v_mul_f32_e32 v16, v17, v16
	v_sub_u32_e32 v11, v18, v11
	v_ldexp_f32 v11, v16, v11
	v_mul_f32_e32 v16, v11, v11
	v_mov_b32_e32 v17, 0xbc7a590c
	v_fmac_f32_e32 v17, 0x3b2d2a58, v16
	v_fma_f32 v17, v16, v17, v24
	v_fma_f32 v17, v16, v17, v25
	;; [unrolled: 1-line block ×6, first 2 shown]
	v_mul_f32_e32 v16, v16, v17
	v_fmac_f32_e32 v11, v11, v16
	v_sub_f32_e32 v16, 0x3fc90fdb, v11
	v_cndmask_b32_e64 v11, v11, v16, s[0:1]
	v_sub_f32_e32 v16, 0x40490fdb, v11
	v_cmp_gt_f32_e32 vcc, 0, v6
	v_cmp_gt_i32_e64 s[2:3], 0, v6
	v_cndmask_b32_e32 v11, v11, v16, vcc
	v_cndmask_b32_e64 v16, 0, v32, s[2:3]
	v_cmp_eq_f32_e64 s[2:3], 0, v7
	v_cndmask_b32_e64 v11, v11, v16, s[2:3]
	v_cmp_class_f32_e64 s[2:3], v6, s45
	v_cmp_class_f32_e64 s[28:29], v7, s45
	v_cndmask_b32_e32 v16, v33, v34, vcc
	s_and_b64 vcc, s[2:3], s[28:29]
	v_mul_f32_e32 v1, 0.5, v1
	v_cndmask_b32_e32 v38, v11, v16, vcc
                                        ; implicit-def: $vgpr16_vgpr17
.LBB181_11:                             ;   in Loop: Header=BB181_5 Depth=1
	s_andn2_saveexec_b64 s[26:27], s[26:27]
	s_cbranch_execz .LBB181_19
; %bb.12:                               ;   in Loop: Header=BB181_5 Depth=1
	v_pk_mul_f32 v[18:19], v[16:17], v[16:17]
	v_add_f32_e32 v11, v19, v18
	v_cmp_ge_f32_e32 vcc, s46, v11
                                        ; implicit-def: $vgpr1
                                        ; implicit-def: $vgpr38
	s_and_saveexec_b64 s[2:3], vcc
	s_xor_b64 s[28:29], exec, s[2:3]
	s_cbranch_execz .LBB181_14
; %bb.13:                               ;   in Loop: Header=BB181_5 Depth=1
	v_cmp_gt_f32_e32 vcc, s47, v11
	v_cndmask_b32_e32 v1, 1.0, v35, vcc
	v_mul_f32_e32 v1, v11, v1
	v_log_f32_e32 v1, v1
	v_cndmask_b32_e32 v11, 0, v36, vcc
	v_cmp_gt_i32_e64 s[2:3], 0, v6
	v_cmp_class_f32_e64 s[30:31], v7, s45
	v_mul_f32_e32 v16, 0x3f317217, v1
	v_fma_f32 v17, v1, s48, -v16
	v_fmac_f32_e32 v17, 0x3377d1cf, v1
	v_add_f32_e32 v16, v16, v17
	v_cmp_lt_f32_e64 vcc, |v1|, s43
	v_cndmask_b32_e32 v1, v1, v16, vcc
	v_sub_f32_e32 v1, v1, v11
	v_max_f32_e64 v11, |v7|, |v7|
	v_max_f32_e64 v16, |v6|, |v6|
	v_min_f32_e32 v17, v16, v11
	v_max_f32_e32 v11, v16, v11
	v_frexp_mant_f32_e32 v16, v11
	v_rcp_f32_e32 v16, v16
	v_frexp_exp_i32_f32_e32 v11, v11
	v_frexp_exp_i32_f32_e32 v18, v17
	v_frexp_mant_f32_e32 v17, v17
	v_mul_f32_e32 v16, v17, v16
	v_sub_u32_e32 v11, v18, v11
	v_ldexp_f32 v11, v16, v11
	v_mul_f32_e32 v16, v11, v11
	v_mov_b32_e32 v17, 0xbc7a590c
	v_fmac_f32_e32 v17, 0x3b2d2a58, v16
	v_fma_f32 v17, v16, v17, v24
	v_fma_f32 v17, v16, v17, v25
	;; [unrolled: 1-line block ×6, first 2 shown]
	v_mul_f32_e32 v16, v16, v17
	v_fmac_f32_e32 v11, v11, v16
	v_sub_f32_e32 v16, 0x3fc90fdb, v11
	v_cndmask_b32_e64 v11, v11, v16, s[0:1]
	v_sub_f32_e32 v16, 0x40490fdb, v11
	v_cmp_gt_f32_e32 vcc, 0, v6
	v_cndmask_b32_e32 v11, v11, v16, vcc
	v_cndmask_b32_e64 v16, 0, v32, s[2:3]
	v_cmp_eq_f32_e64 s[2:3], 0, v7
	v_cndmask_b32_e64 v11, v11, v16, s[2:3]
	v_cmp_class_f32_e64 s[2:3], v6, s45
	v_cndmask_b32_e32 v16, v33, v34, vcc
	s_and_b64 vcc, s[2:3], s[30:31]
	v_mul_f32_e32 v1, 0.5, v1
	v_cndmask_b32_e32 v38, v11, v16, vcc
                                        ; implicit-def: $vgpr16_vgpr17
.LBB181_14:                             ;   in Loop: Header=BB181_5 Depth=1
	s_andn2_saveexec_b64 s[28:29], s[28:29]
	s_cbranch_execz .LBB181_18
; %bb.15:                               ;   in Loop: Header=BB181_5 Depth=1
	v_and_b32_e32 v19, 0x7fff0000, v16
	v_and_b32_e32 v18, 0x7fff0000, v17
	v_pk_add_f32 v[16:17], v[16:17], v[18:19] op_sel:[1,0] op_sel_hi:[0,1] neg_lo:[0,1] neg_hi:[0,1]
	v_and_b32_e32 v21, 0xffff0000, v17
	v_and_b32_e32 v20, 0xffff0000, v16
	v_add_f32_e32 v38, v18, v18
	v_pk_add_f32 v[42:43], v[16:17], v[20:21] neg_lo:[0,1] neg_hi:[0,1]
	v_pk_mul_f32 v[16:17], v[18:19], v[18:19]
	v_mul_f32_e32 v11, v38, v20
	v_add_f32_e32 v40, v19, v19
	v_pk_mul_f32 v[18:19], v[20:21], v[20:21]
	v_add_f32_e32 v20, v20, v20
	v_mul_f32_e32 v1, v40, v21
	v_mul_f32_e32 v39, v38, v42
	;; [unrolled: 1-line block ×4, first 2 shown]
	v_add_f32_e32 v20, v21, v21
	v_mul_f32_e32 v41, v20, v43
	v_pk_mul_f32 v[20:21], v[42:43], v[42:43]
	s_mov_b64 s[30:31], 0
.LBB181_16:                             ;   Parent Loop BB181_5 Depth=1
                                        ; =>  This Inner Loop Header: Depth=2
	v_cmp_nlt_f32_e32 vcc, v16, v17
	v_cndmask_b32_e32 v42, v16, v17, vcc
	v_cmp_nlt_f32_e64 s[2:3], v42, v11
	v_cndmask_b32_e64 v43, v42, v11, s[2:3]
	v_cndmask_b32_e32 v16, v17, v16, vcc
	s_and_b64 s[54:55], vcc, s[2:3]
	v_cmp_nlt_f32_e32 vcc, v43, v1
	v_cndmask_b32_e64 v17, v11, v42, s[2:3]
	v_cndmask_b32_e32 v42, v43, v1, vcc
	v_cmp_nlt_f32_e64 s[2:3], v42, v18
	v_cndmask_b32_e32 v11, v1, v43, vcc
	v_cndmask_b32_e64 v43, v42, v18, s[2:3]
	s_and_b64 s[56:57], vcc, s[2:3]
	v_cmp_nlt_f32_e32 vcc, v43, v19
	v_cndmask_b32_e64 v1, v18, v42, s[2:3]
	v_cndmask_b32_e32 v42, v43, v19, vcc
	v_cmp_nlt_f32_e64 s[2:3], v42, v39
	v_cndmask_b32_e32 v18, v19, v43, vcc
	v_cndmask_b32_e64 v43, v42, v39, s[2:3]
	v_cndmask_b32_e64 v19, v39, v42, s[2:3]
	s_and_b64 s[2:3], vcc, s[2:3]
	v_cmp_nlt_f32_e32 vcc, v43, v38
	v_cndmask_b32_e32 v42, v43, v38, vcc
	v_cndmask_b32_e32 v39, v38, v43, vcc
	s_and_b64 s[2:3], s[2:3], vcc
	v_cmp_nlt_f32_e32 vcc, v42, v40
	v_cndmask_b32_e32 v43, v42, v40, vcc
	v_cndmask_b32_e32 v38, v40, v42, vcc
	s_and_b64 s[2:3], s[2:3], vcc
	;; [unrolled: 4-line block ×4, first 2 shown]
	v_cmp_nlt_f32_e32 vcc, v43, v21
	s_and_b64 s[2:3], s[2:3], vcc
	s_and_b64 s[2:3], s[2:3], s[56:57]
	s_and_b64 s[2:3], s[2:3], s[54:55]
	s_and_b64 s[2:3], exec, s[2:3]
	v_cndmask_b32_e32 v20, v21, v43, vcc
	s_or_b64 s[30:31], s[2:3], s[30:31]
	v_cndmask_b32_e32 v21, v43, v21, vcc
	s_andn2_b64 exec, exec, s[30:31]
	s_cbranch_execnz .LBB181_16
; %bb.17:                               ;   in Loop: Header=BB181_5 Depth=1
	s_or_b64 exec, exec, s[30:31]
	v_add_f32_e32 v16, -1.0, v16
	v_add_f32_e32 v16, v16, v17
	v_add_f32_e32 v11, v16, v11
	;; [unrolled: 1-line block ×11, first 2 shown]
	v_add_f32_e32 v19, 1.0, v16
	v_add_f32_e32 v17, -1.0, v19
	v_mov_b32_e32 v18, v17
	v_pk_add_f32 v[20:21], v[16:17], v[18:19] neg_lo:[0,1] neg_hi:[0,1]
	v_add_f32_e32 v1, 1.0, v21
	v_add_f32_e32 v1, v20, v1
	v_frexp_mant_f32_e32 v11, v19
	v_cvt_f64_f32_e32 v[20:21], v19
	v_frexp_exp_i32_f64_e32 v17, v[20:21]
	v_cmp_gt_f32_e32 vcc, s41, v11
	v_subbrev_co_u32_e32 v17, vcc, 0, v17, vcc
	v_sub_u32_e32 v11, 0, v17
	v_ldexp_f32 v18, v19, v11
	v_ldexp_f32 v1, v1, v11
	v_add_f32_e32 v11, -1.0, v18
	v_add_f32_e32 v19, 1.0, v11
	v_sub_f32_e32 v19, v18, v19
	v_add_f32_e32 v20, v1, v19
	v_add_f32_e32 v19, 1.0, v18
	v_add_f32_e32 v21, -1.0, v19
	v_sub_f32_e32 v18, v18, v21
	v_add_f32_e32 v1, v1, v18
	v_add_f32_e32 v42, v19, v1
	v_rcp_f32_e32 v43, v42
	v_sub_f32_e32 v18, v42, v19
	v_add_f32_e32 v19, v11, v20
	v_sub_f32_e32 v11, v19, v11
	v_mul_f32_e32 v44, v19, v43
	v_sub_f32_e32 v11, v20, v11
	v_mul_f32_e32 v20, v42, v44
	v_sub_f32_e32 v1, v1, v18
	v_fma_f32 v38, v44, v42, -v20
	v_fmac_f32_e32 v38, v44, v1
	v_add_f32_e32 v18, v20, v38
	v_sub_f32_e32 v21, v19, v18
	v_pk_add_f32 v[40:41], v[18:19], v[20:21] neg_lo:[0,1] neg_hi:[0,1]
	v_mov_b32_e32 v39, v18
	v_pk_add_f32 v[18:19], v[40:41], v[38:39] neg_lo:[0,1] neg_hi:[0,1]
	v_add_f32_e32 v11, v11, v19
	v_add_f32_e32 v11, v18, v11
	;; [unrolled: 1-line block ×3, first 2 shown]
	v_mul_f32_e32 v45, v43, v19
	v_mul_f32_e32 v20, v42, v45
	v_fma_f32 v38, v45, v42, -v20
	v_fmac_f32_e32 v38, v45, v1
	v_add_f32_e32 v18, v20, v38
	v_sub_f32_e32 v1, v21, v19
	v_sub_f32_e32 v21, v19, v18
	v_pk_add_f32 v[40:41], v[18:19], v[20:21] neg_lo:[0,1] neg_hi:[0,1]
	v_mov_b32_e32 v39, v18
	v_add_f32_e32 v1, v11, v1
	v_pk_add_f32 v[18:19], v[40:41], v[38:39] neg_lo:[0,1] neg_hi:[0,1]
	v_add_f32_e32 v1, v1, v19
	v_add_f32_e32 v1, v18, v1
	;; [unrolled: 1-line block ×4, first 2 shown]
	v_sub_f32_e32 v11, v19, v44
	v_mul_f32_e32 v1, v43, v1
	v_sub_f32_e32 v11, v45, v11
	v_add_f32_e32 v1, v11, v1
	v_add_f32_e32 v20, v19, v1
	v_cvt_f32_i32_e32 v18, v17
	v_mul_f32_e32 v38, v20, v20
	v_mov_b32_e32 v11, 0x3ecc95a3
	v_fmac_f32_e32 v11, 0x3e9b6dac, v38
	v_fma_f32 v11, v38, v11, v23
	v_sub_f32_e32 v17, v20, v19
	v_mul_f32_e32 v19, v20, v38
	v_pk_mul_f32 v[38:39], v[18:19], v[10:11]
	v_ldexp_f32 v21, v20, 1
	v_fma_f32 v20, v18, s42, -v38
	v_fmac_f32_e32 v20, 0xb102e308, v18
	v_pk_add_f32 v[18:19], v[38:39], v[20:21]
	v_sub_f32_e32 v1, v1, v17
	v_sub_f32_e32 v11, v19, v21
	v_ldexp_f32 v1, v1, 1
	v_sub_f32_e32 v11, v39, v11
	v_add_f32_e32 v41, v1, v11
	v_mov_b32_e32 v40, v38
	v_pk_add_f32 v[38:39], v[18:19], v[38:39] neg_lo:[0,1] neg_hi:[0,1]
	v_pk_add_f32 v[42:43], v[18:19], v[40:41]
	v_mov_b32_e32 v39, v43
	v_mov_b32_e32 v21, v18
	v_pk_add_f32 v[44:45], v[20:21], v[38:39] neg_lo:[0,1] neg_hi:[0,1]
	v_pk_add_f32 v[20:21], v[20:21], v[38:39]
	v_mov_b32_e32 v38, v21
	v_pk_add_f32 v[46:47], v[38:39], v[18:19] neg_lo:[0,1] neg_hi:[0,1]
	v_mov_b32_e32 v1, v46
	v_pk_add_f32 v[48:49], v[42:43], v[0:1] neg_lo:[0,1] neg_hi:[0,1]
	v_mov_b32_e32 v20, v43
	v_mov_b32_e32 v42, v19
	;; [unrolled: 1-line block ×4, first 2 shown]
	v_pk_add_f32 v[20:21], v[20:21], v[42:43] neg_lo:[0,1] neg_hi:[0,1]
	v_mov_b32_e32 v40, v41
	v_mov_b32_e32 v41, v18
	v_pk_add_f32 v[18:19], v[40:41], v[20:21] neg_lo:[0,1] neg_hi:[0,1]
	v_mov_b32_e32 v48, v44
	v_pk_add_f32 v[20:21], v[48:49], v[18:19]
	v_mov_b32_e32 v40, v21
	v_pk_add_f32 v[40:41], v[20:21], v[40:41]
	v_pk_add_f32 v[38:39], v[38:39], v[40:41]
	v_mov_b32_e32 v21, v38
	v_pk_add_f32 v[42:43], v[20:21], v[44:45] neg_lo:[0,1] neg_hi:[0,1]
	v_mov_b32_e32 v19, v40
	v_sub_f32_e32 v1, v20, v42
	v_pk_add_f32 v[18:19], v[18:19], v[42:43] neg_lo:[0,1] neg_hi:[0,1]
	v_sub_f32_e32 v1, v44, v1
	v_add_f32_e32 v1, v18, v1
	v_add_f32_e32 v1, v1, v19
	;; [unrolled: 1-line block ×3, first 2 shown]
	v_cmp_eq_f32_e32 vcc, s43, v16
	v_cndmask_b32_e32 v1, v1, v16, vcc
	v_cmp_ngt_f32_e32 vcc, -1.0, v16
	v_cndmask_b32_e32 v1, v30, v1, vcc
	v_cmp_neq_f32_e32 vcc, -1.0, v16
	v_cndmask_b32_e32 v1, v31, v1, vcc
	v_cmp_lt_f32_e64 vcc, |v16|, s44
	v_cndmask_b32_e32 v1, v1, v16, vcc
	v_max_f32_e64 v11, |v7|, |v7|
	v_max_f32_e64 v16, |v6|, |v6|
	v_min_f32_e32 v17, v16, v11
	v_max_f32_e32 v11, v16, v11
	v_frexp_mant_f32_e32 v16, v11
	v_rcp_f32_e32 v16, v16
	v_frexp_exp_i32_f32_e32 v11, v11
	v_frexp_exp_i32_f32_e32 v18, v17
	v_frexp_mant_f32_e32 v17, v17
	v_mul_f32_e32 v16, v17, v16
	v_sub_u32_e32 v11, v18, v11
	v_ldexp_f32 v11, v16, v11
	v_mul_f32_e32 v16, v11, v11
	v_mov_b32_e32 v17, 0xbc7a590c
	v_fmac_f32_e32 v17, 0x3b2d2a58, v16
	v_fma_f32 v17, v16, v17, v24
	v_fma_f32 v17, v16, v17, v25
	;; [unrolled: 1-line block ×6, first 2 shown]
	v_mul_f32_e32 v16, v16, v17
	v_fmac_f32_e32 v11, v11, v16
	v_sub_f32_e32 v16, 0x3fc90fdb, v11
	v_cndmask_b32_e64 v11, v11, v16, s[0:1]
	v_sub_f32_e32 v16, 0x40490fdb, v11
	v_cmp_gt_f32_e32 vcc, 0, v6
	v_cmp_gt_i32_e64 s[2:3], 0, v6
	v_cndmask_b32_e32 v11, v11, v16, vcc
	v_cndmask_b32_e64 v16, 0, v32, s[2:3]
	v_cmp_eq_f32_e64 s[2:3], 0, v7
	v_cndmask_b32_e64 v11, v11, v16, s[2:3]
	v_cmp_class_f32_e64 s[2:3], v6, s45
	v_cmp_class_f32_e64 s[30:31], v7, s45
	v_cndmask_b32_e32 v16, v33, v34, vcc
	s_and_b64 vcc, s[2:3], s[30:31]
	v_mul_f32_e32 v1, 0.5, v1
	v_cndmask_b32_e32 v38, v11, v16, vcc
.LBB181_18:                             ;   in Loop: Header=BB181_5 Depth=1
	s_or_b64 exec, exec, s[28:29]
.LBB181_19:                             ;   in Loop: Header=BB181_5 Depth=1
	s_or_b64 exec, exec, s[26:27]
.LBB181_20:                             ;   in Loop: Header=BB181_5 Depth=1
	s_andn2_saveexec_b64 s[24:25], s[24:25]
	s_cbranch_execz .LBB181_22
; %bb.21:                               ;   in Loop: Header=BB181_5 Depth=1
	v_max_f32_e64 v11, |v7|, |v7|
	v_max_f32_e64 v18, |v6|, |v6|
	v_max_f32_e32 v19, v18, v11
	v_cvt_f64_f32_e32 v[16:17], v19
	v_frexp_exp_i32_f64_e32 v1, v[16:17]
	v_sub_u32_e32 v16, 0, v1
	v_ldexp_f32 v17, |v6|, v16
	v_ldexp_f32 v16, |v7|, v16
	v_mul_f32_e32 v16, v16, v16
	v_fmac_f32_e32 v16, v17, v17
	v_sqrt_f32_e32 v16, v16
	v_cmp_neq_f32_e32 vcc, s43, v19
	v_min_f32_e32 v11, v18, v11
	v_frexp_exp_i32_f32_e32 v18, v11
	v_ldexp_f32 v1, v16, v1
	v_cndmask_b32_e32 v1, v37, v1, vcc
	v_cmp_gt_f32_e32 vcc, s47, v1
	v_cndmask_b32_e32 v16, 1.0, v35, vcc
	v_mul_f32_e32 v1, v1, v16
	v_log_f32_e32 v1, v1
	v_cndmask_b32_e32 v16, 0, v36, vcc
	v_frexp_mant_f32_e32 v11, v11
	v_cmp_gt_i32_e64 s[2:3], 0, v6
	v_mul_f32_e32 v17, 0x3f317217, v1
	v_fma_f32 v20, v1, s48, -v17
	v_fmac_f32_e32 v20, 0x3377d1cf, v1
	v_add_f32_e32 v17, v17, v20
	v_cmp_lt_f32_e64 vcc, |v1|, s43
	v_cndmask_b32_e32 v1, v1, v17, vcc
	v_sub_f32_e32 v1, v1, v16
	v_frexp_mant_f32_e32 v16, v19
	v_rcp_f32_e32 v16, v16
	v_frexp_exp_i32_f32_e32 v17, v19
	v_cmp_gt_f32_e32 vcc, 0, v6
	v_cmp_class_f32_e64 s[26:27], v7, s45
	v_mul_f32_e32 v11, v11, v16
	v_sub_u32_e32 v16, v18, v17
	v_ldexp_f32 v11, v11, v16
	v_mul_f32_e32 v16, v11, v11
	v_mov_b32_e32 v17, 0xbc7a590c
	v_fmac_f32_e32 v17, 0x3b2d2a58, v16
	v_fma_f32 v17, v16, v17, v24
	v_fma_f32 v17, v16, v17, v25
	;; [unrolled: 1-line block ×6, first 2 shown]
	v_mul_f32_e32 v16, v16, v17
	v_fmac_f32_e32 v11, v11, v16
	v_sub_f32_e32 v16, 0x3fc90fdb, v11
	v_cndmask_b32_e64 v11, v11, v16, s[0:1]
	v_sub_f32_e32 v16, 0x40490fdb, v11
	v_cndmask_b32_e32 v11, v11, v16, vcc
	v_cndmask_b32_e64 v16, 0, v32, s[2:3]
	v_cmp_eq_f32_e64 s[2:3], 0, v7
	v_cndmask_b32_e64 v11, v11, v16, s[2:3]
	v_cmp_class_f32_e64 s[2:3], v6, s45
	v_cndmask_b32_e32 v16, v33, v34, vcc
	s_and_b64 vcc, s[2:3], s[26:27]
	v_cndmask_b32_e32 v38, v11, v16, vcc
.LBB181_22:                             ;   in Loop: Header=BB181_5 Depth=1
	s_or_b64 exec, exec, s[24:25]
                                        ; implicit-def: $vgpr16
.LBB181_23:                             ;   in Loop: Header=BB181_5 Depth=1
	s_andn2_saveexec_b64 s[22:23], s[22:23]
	s_cbranch_execz .LBB181_29
; %bb.24:                               ;   in Loop: Header=BB181_5 Depth=1
	v_cmp_ngt_f32_e32 vcc, s49, v16
                                        ; implicit-def: $vgpr1
                                        ; implicit-def: $vgpr38
	s_and_saveexec_b64 s[2:3], vcc
	s_xor_b64 s[24:25], exec, s[2:3]
	s_cbranch_execz .LBB181_26
; %bb.25:                               ;   in Loop: Header=BB181_5 Depth=1
	v_pk_mul_f32 v[16:17], v[16:17], v[16:17]
	v_add_f32_e32 v19, 1.0, v16
	v_add_f32_e32 v17, -1.0, v19
	v_mov_b32_e32 v18, v17
	v_pk_add_f32 v[20:21], v[16:17], v[18:19] neg_lo:[0,1] neg_hi:[0,1]
	v_add_f32_e32 v1, 1.0, v21
	v_add_f32_e32 v1, v20, v1
	v_frexp_mant_f32_e32 v11, v19
	v_cvt_f64_f32_e32 v[20:21], v19
	v_frexp_exp_i32_f64_e32 v17, v[20:21]
	v_cmp_gt_f32_e32 vcc, s41, v11
	v_subbrev_co_u32_e32 v17, vcc, 0, v17, vcc
	v_sub_u32_e32 v11, 0, v17
	v_ldexp_f32 v18, v19, v11
	v_ldexp_f32 v1, v1, v11
	v_add_f32_e32 v11, -1.0, v18
	v_add_f32_e32 v19, 1.0, v11
	v_sub_f32_e32 v19, v18, v19
	v_add_f32_e32 v20, v1, v19
	v_add_f32_e32 v19, 1.0, v18
	v_add_f32_e32 v21, -1.0, v19
	v_sub_f32_e32 v18, v18, v21
	v_add_f32_e32 v1, v1, v18
	v_add_f32_e32 v42, v19, v1
	v_rcp_f32_e32 v43, v42
	v_sub_f32_e32 v18, v19, v42
	v_add_f32_e32 v19, v11, v20
	v_sub_f32_e32 v11, v11, v19
	v_mul_f32_e32 v44, v19, v43
	v_add_f32_e32 v11, v20, v11
	v_mul_f32_e32 v20, v42, v44
	v_add_f32_e32 v1, v1, v18
	v_fma_f32 v38, v44, v42, -v20
	v_fmac_f32_e32 v38, v44, v1
	v_add_f32_e32 v18, v20, v38
	v_sub_f32_e32 v21, v19, v18
	v_pk_add_f32 v[40:41], v[18:19], v[20:21] neg_lo:[0,1] neg_hi:[0,1]
	v_mov_b32_e32 v39, v18
	v_pk_add_f32 v[18:19], v[40:41], v[38:39] neg_lo:[0,1] neg_hi:[0,1]
	v_add_f32_e32 v11, v11, v19
	v_add_f32_e32 v11, v18, v11
	;; [unrolled: 1-line block ×3, first 2 shown]
	v_mul_f32_e32 v45, v43, v19
	v_mul_f32_e32 v20, v42, v45
	v_fma_f32 v38, v45, v42, -v20
	v_fmac_f32_e32 v38, v45, v1
	v_add_f32_e32 v18, v20, v38
	v_sub_f32_e32 v1, v21, v19
	v_sub_f32_e32 v21, v19, v18
	v_pk_add_f32 v[40:41], v[18:19], v[20:21] neg_lo:[0,1] neg_hi:[0,1]
	v_mov_b32_e32 v39, v18
	v_add_f32_e32 v1, v11, v1
	v_pk_add_f32 v[18:19], v[40:41], v[38:39] neg_lo:[0,1] neg_hi:[0,1]
	v_add_f32_e32 v1, v1, v19
	v_add_f32_e32 v1, v18, v1
	;; [unrolled: 1-line block ×4, first 2 shown]
	v_sub_f32_e32 v11, v19, v44
	v_mul_f32_e32 v1, v43, v1
	v_sub_f32_e32 v11, v45, v11
	v_add_f32_e32 v1, v11, v1
	v_add_f32_e32 v20, v19, v1
	v_cvt_f32_i32_e32 v18, v17
	v_mul_f32_e32 v38, v20, v20
	v_mov_b32_e32 v11, 0x3ecc95a3
	v_fmac_f32_e32 v11, 0x3e9b6dac, v38
	v_fma_f32 v11, v38, v11, v23
	v_sub_f32_e32 v17, v20, v19
	v_mul_f32_e32 v19, v20, v38
	v_pk_mul_f32 v[38:39], v[18:19], v[10:11]
	v_ldexp_f32 v21, v20, 1
	v_fma_f32 v20, v18, s42, -v38
	v_fmac_f32_e32 v20, 0xb102e308, v18
	v_pk_add_f32 v[18:19], v[38:39], v[20:21]
	v_sub_f32_e32 v1, v1, v17
	v_sub_f32_e32 v11, v19, v21
	v_ldexp_f32 v1, v1, 1
	v_sub_f32_e32 v11, v39, v11
	v_add_f32_e32 v41, v1, v11
	v_mov_b32_e32 v40, v38
	v_pk_add_f32 v[38:39], v[18:19], v[38:39] neg_lo:[0,1] neg_hi:[0,1]
	v_pk_add_f32 v[42:43], v[18:19], v[40:41]
	v_mov_b32_e32 v39, v43
	v_mov_b32_e32 v21, v18
	v_pk_add_f32 v[44:45], v[20:21], v[38:39] neg_lo:[0,1] neg_hi:[0,1]
	v_pk_add_f32 v[20:21], v[20:21], v[38:39]
	v_mov_b32_e32 v38, v21
	v_pk_add_f32 v[46:47], v[38:39], v[18:19] neg_lo:[0,1] neg_hi:[0,1]
	v_mov_b32_e32 v1, v46
	v_pk_add_f32 v[48:49], v[42:43], v[0:1] neg_lo:[0,1] neg_hi:[0,1]
	v_mov_b32_e32 v20, v43
	v_mov_b32_e32 v42, v19
	;; [unrolled: 1-line block ×4, first 2 shown]
	v_pk_add_f32 v[20:21], v[20:21], v[42:43] neg_lo:[0,1] neg_hi:[0,1]
	v_mov_b32_e32 v40, v41
	v_mov_b32_e32 v41, v18
	v_pk_add_f32 v[18:19], v[40:41], v[20:21] neg_lo:[0,1] neg_hi:[0,1]
	v_mov_b32_e32 v48, v44
	v_pk_add_f32 v[20:21], v[48:49], v[18:19]
	v_mov_b32_e32 v40, v21
	v_pk_add_f32 v[40:41], v[20:21], v[40:41]
	v_pk_add_f32 v[38:39], v[38:39], v[40:41]
	v_mov_b32_e32 v21, v38
	v_pk_add_f32 v[42:43], v[20:21], v[44:45] neg_lo:[0,1] neg_hi:[0,1]
	v_mov_b32_e32 v19, v40
	v_sub_f32_e32 v1, v20, v42
	v_pk_add_f32 v[18:19], v[18:19], v[42:43] neg_lo:[0,1] neg_hi:[0,1]
	v_sub_f32_e32 v1, v44, v1
	v_add_f32_e32 v1, v18, v1
	v_add_f32_e32 v1, v1, v19
	v_cmp_eq_f32_e32 vcc, s43, v16
	v_cmp_lt_f32_e64 s[2:3], |v16|, s44
	v_add_f32_e32 v1, v38, v1
	s_or_b64 vcc, vcc, s[2:3]
	v_cndmask_b32_e32 v1, v1, v16, vcc
	v_max_f32_e64 v11, |v7|, |v7|
	v_max_f32_e64 v16, |v6|, |v6|
	v_min_f32_e32 v17, v16, v11
	v_max_f32_e32 v11, v16, v11
	v_frexp_mant_f32_e32 v16, v11
	v_rcp_f32_e32 v16, v16
	v_frexp_exp_i32_f32_e32 v11, v11
	v_frexp_exp_i32_f32_e32 v18, v17
	v_frexp_mant_f32_e32 v17, v17
	v_mul_f32_e32 v16, v17, v16
	v_sub_u32_e32 v11, v18, v11
	v_ldexp_f32 v11, v16, v11
	v_mul_f32_e32 v16, v11, v11
	v_mov_b32_e32 v17, 0xbc7a590c
	v_fmac_f32_e32 v17, 0x3b2d2a58, v16
	v_fma_f32 v17, v16, v17, v24
	v_fma_f32 v17, v16, v17, v25
	;; [unrolled: 1-line block ×6, first 2 shown]
	v_mul_f32_e32 v16, v16, v17
	v_fmac_f32_e32 v11, v11, v16
	v_sub_f32_e32 v16, 0x3fc90fdb, v11
	v_cndmask_b32_e64 v11, v11, v16, s[0:1]
	v_sub_f32_e32 v16, 0x40490fdb, v11
	v_cmp_gt_f32_e32 vcc, 0, v6
	v_cmp_gt_i32_e64 s[2:3], 0, v6
	v_cndmask_b32_e32 v11, v11, v16, vcc
	v_cndmask_b32_e64 v16, 0, v32, s[2:3]
	v_cmp_eq_f32_e64 s[2:3], 0, v7
	v_cndmask_b32_e64 v11, v11, v16, s[2:3]
	v_cmp_class_f32_e64 s[2:3], v6, s45
	v_cmp_class_f32_e64 s[26:27], v7, s45
	v_cndmask_b32_e32 v16, v33, v34, vcc
	s_and_b64 vcc, s[2:3], s[26:27]
	v_mul_f32_e32 v1, 0.5, v1
	v_cndmask_b32_e32 v38, v11, v16, vcc
                                        ; implicit-def: $vgpr16
.LBB181_26:                             ;   in Loop: Header=BB181_5 Depth=1
	s_andn2_saveexec_b64 s[24:25], s[24:25]
	s_cbranch_execz .LBB181_28
; %bb.27:                               ;   in Loop: Header=BB181_5 Depth=1
	v_mul_f32_e32 v1, 0.5, v16
	v_mul_f32_e32 v1, v16, v1
	v_max_f32_e64 v11, |v7|, |v7|
	v_max_f32_e64 v16, |v6|, |v6|
	v_min_f32_e32 v17, v16, v11
	v_max_f32_e32 v11, v16, v11
	v_frexp_mant_f32_e32 v16, v11
	v_rcp_f32_e32 v16, v16
	v_frexp_exp_i32_f32_e32 v11, v11
	v_frexp_exp_i32_f32_e32 v18, v17
	v_frexp_mant_f32_e32 v17, v17
	v_mul_f32_e32 v16, v17, v16
	v_sub_u32_e32 v11, v18, v11
	v_ldexp_f32 v11, v16, v11
	v_mul_f32_e32 v16, v11, v11
	v_mov_b32_e32 v17, 0xbc7a590c
	v_fmac_f32_e32 v17, 0x3b2d2a58, v16
	v_fma_f32 v17, v16, v17, v24
	v_fma_f32 v17, v16, v17, v25
	;; [unrolled: 1-line block ×6, first 2 shown]
	v_mul_f32_e32 v16, v16, v17
	v_fmac_f32_e32 v11, v11, v16
	v_sub_f32_e32 v16, 0x3fc90fdb, v11
	v_cndmask_b32_e64 v11, v11, v16, s[0:1]
	v_sub_f32_e32 v16, 0x40490fdb, v11
	v_cmp_gt_f32_e32 vcc, 0, v6
	v_cmp_gt_i32_e64 s[2:3], 0, v6
	v_cndmask_b32_e32 v11, v11, v16, vcc
	v_cndmask_b32_e64 v16, 0, v32, s[2:3]
	v_cmp_eq_f32_e64 s[2:3], 0, v7
	v_cndmask_b32_e64 v11, v11, v16, s[2:3]
	v_cmp_class_f32_e64 s[2:3], v6, s45
	v_cmp_class_f32_e64 s[26:27], v7, s45
	v_cndmask_b32_e32 v16, v33, v34, vcc
	s_and_b64 vcc, s[2:3], s[26:27]
	v_cndmask_b32_e32 v38, v11, v16, vcc
.LBB181_28:                             ;   in Loop: Header=BB181_5 Depth=1
	s_or_b64 exec, exec, s[24:25]
.LBB181_29:                             ;   in Loop: Header=BB181_5 Depth=1
	s_or_b64 exec, exec, s[22:23]
.LBB181_30:                             ;   in Loop: Header=BB181_5 Depth=1
	s_andn2_saveexec_b64 s[20:21], s[20:21]
	s_cbranch_execz .LBB181_32
; %bb.31:                               ;   in Loop: Header=BB181_5 Depth=1
	v_div_scale_f32 v1, s[2:3], s50, s50, v6
	v_rcp_f32_e32 v11, v1
	v_div_scale_f32 v16, vcc, v6, s50, v6
	v_fma_f32 v17, -v1, v11, 1.0
	v_fmac_f32_e32 v11, v17, v11
	v_mul_f32_e32 v17, v16, v11
	v_fma_f32 v18, -v1, v17, v16
	v_fmac_f32_e32 v17, v18, v11
	v_fma_f32 v1, -v1, v17, v16
	v_div_scale_f32 v16, s[2:3], s50, s50, v7
	v_rcp_f32_e32 v18, v16
	v_div_fmas_f32 v1, v1, v11, v17
	v_div_fixup_f32 v1, v1, s50, v6
	v_fma_f32 v11, -v16, v18, 1.0
	v_fmac_f32_e32 v18, v11, v18
	v_div_scale_f32 v11, vcc, v7, s50, v7
	v_mul_f32_e32 v17, v11, v18
	v_fma_f32 v19, -v16, v17, v11
	v_fmac_f32_e32 v17, v19, v18
	v_fma_f32 v11, -v16, v17, v11
	v_div_fmas_f32 v11, v11, v18, v17
	v_div_fixup_f32 v11, v11, s50, v7
	v_max_f32_e64 v18, |v1|, |v11|
	v_cvt_f64_f32_e32 v[16:17], v18
	v_frexp_exp_i32_f64_e32 v16, v[16:17]
	v_sub_u32_e32 v17, 0, v16
	v_ldexp_f32 v11, |v11|, v17
	v_ldexp_f32 v1, |v1|, v17
	v_mul_f32_e32 v11, v11, v11
	v_fmac_f32_e32 v11, v1, v1
	v_sqrt_f32_e32 v1, v11
	v_cmp_neq_f32_e32 vcc, s43, v18
	v_ldexp_f32 v1, v1, v16
	v_cndmask_b32_e32 v1, v37, v1, vcc
	v_cmp_gt_f32_e32 vcc, s47, v1
	v_cndmask_b32_e32 v11, 1.0, v35, vcc
	v_mul_f32_e32 v1, v1, v11
	v_log_f32_e32 v1, v1
	v_mul_f32_e32 v11, 0x3f317217, v1
	v_fma_f32 v16, v1, s48, -v11
	v_fmac_f32_e32 v16, 0x3377d1cf, v1
	v_add_f32_e32 v11, v11, v16
	v_cmp_lt_f32_e64 s[2:3], |v1|, s43
	v_cndmask_b32_e64 v1, v1, v11, s[2:3]
	v_cndmask_b32_e32 v11, 0, v36, vcc
	v_sub_f32_e32 v1, v1, v11
	v_max_f32_e64 v11, |v7|, |v7|
	v_max_f32_e64 v16, |v6|, |v6|
	v_min_f32_e32 v17, v16, v11
	v_max_f32_e32 v11, v16, v11
	v_frexp_mant_f32_e32 v16, v11
	v_rcp_f32_e32 v16, v16
	v_frexp_exp_i32_f32_e32 v11, v11
	v_frexp_exp_i32_f32_e32 v18, v17
	v_frexp_mant_f32_e32 v17, v17
	v_mul_f32_e32 v16, v17, v16
	v_sub_u32_e32 v11, v18, v11
	v_ldexp_f32 v11, v16, v11
	v_mul_f32_e32 v16, v11, v11
	v_mov_b32_e32 v17, 0xbc7a590c
	v_fmac_f32_e32 v17, 0x3b2d2a58, v16
	v_fma_f32 v17, v16, v17, v24
	v_fma_f32 v17, v16, v17, v25
	;; [unrolled: 1-line block ×6, first 2 shown]
	v_mul_f32_e32 v16, v16, v17
	v_fmac_f32_e32 v11, v11, v16
	v_sub_f32_e32 v16, 0x3fc90fdb, v11
	v_cndmask_b32_e64 v11, v11, v16, s[0:1]
	v_sub_f32_e32 v16, 0x40490fdb, v11
	v_cmp_gt_f32_e32 vcc, 0, v6
	v_cmp_gt_i32_e64 s[0:1], 0, v6
	v_cndmask_b32_e32 v11, v11, v16, vcc
	v_cndmask_b32_e64 v16, 0, v32, s[0:1]
	v_cmp_eq_f32_e64 s[0:1], 0, v7
	v_cndmask_b32_e64 v11, v11, v16, s[0:1]
	v_cmp_class_f32_e64 s[0:1], v6, s45
	v_cmp_class_f32_e64 s[2:3], v7, s45
	v_cndmask_b32_e32 v16, v33, v34, vcc
	s_and_b64 vcc, s[0:1], s[2:3]
	v_add_f32_e32 v1, 1.0, v1
	v_cndmask_b32_e32 v38, v11, v16, vcc
.LBB181_32:                             ;   in Loop: Header=BB181_5 Depth=1
	s_or_b64 exec, exec, s[20:21]
.LBB181_33:                             ;   in Loop: Header=BB181_5 Depth=1
	s_andn2_saveexec_b64 s[0:1], s[18:19]
	s_cbranch_execz .LBB181_39
; %bb.34:                               ;   in Loop: Header=BB181_5 Depth=1
	v_cmp_nlt_f32_e64 s[2:3], |v6|, s51
	v_cmp_nlt_f32_e64 s[18:19], |v7|, s51
	s_or_b64 s[2:3], s[2:3], s[18:19]
                                        ; implicit-def: $vgpr1
	s_and_saveexec_b64 s[18:19], s[2:3]
	s_xor_b64 s[2:3], exec, s[18:19]
; %bb.35:                               ;   in Loop: Header=BB181_5 Depth=1
	v_pk_mul_f32 v[16:17], v[6:7], v[6:7]
	v_add_f32_e32 v1, v16, v17
; %bb.36:                               ;   in Loop: Header=BB181_5 Depth=1
	s_andn2_saveexec_b64 s[2:3], s[2:3]
; %bb.37:                               ;   in Loop: Header=BB181_5 Depth=1
	v_pk_mul_f32 v[16:17], v[6:7], 4.0 op_sel_hi:[1,0]
	v_pk_mul_f32 v[16:17], v[16:17], v[16:17]
	v_add_f32_e32 v1, v16, v17
	v_mul_f32_e32 v1, 0x3d800000, v1
; %bb.38:                               ;   in Loop: Header=BB181_5 Depth=1
	s_or_b64 exec, exec, s[2:3]
	v_cmp_gt_f32_e32 vcc, s47, v1
	v_cndmask_b32_e32 v6, 1.0, v35, vcc
	v_mul_f32_e32 v1, v1, v6
	v_log_f32_e32 v1, v1
	v_cndmask_b32_e32 v6, 0, v36, vcc
	v_mov_b32_e32 v38, 0x7fc00000
	v_mul_f32_e32 v11, 0x3f317217, v1
	v_fma_f32 v16, v1, s48, -v11
	v_fmac_f32_e32 v16, 0x3377d1cf, v1
	v_add_f32_e32 v11, v11, v16
	v_cmp_lt_f32_e64 vcc, |v1|, s43
	v_cndmask_b32_e32 v1, v1, v11, vcc
	v_sub_f32_e32 v1, v1, v6
.LBB181_39:                             ;   in Loop: Header=BB181_5 Depth=1
	s_or_b64 exec, exec, s[0:1]
	v_cmp_o_f32_e32 vcc, v9, v8
                                        ; implicit-def: $vgpr6
                                        ; implicit-def: $vgpr39
	s_and_saveexec_b64 s[0:1], vcc
	s_xor_b64 s[18:19], exec, s[0:1]
	s_cbranch_execz .LBB181_67
; %bb.40:                               ;   in Loop: Header=BB181_5 Depth=1
	v_cmp_lt_f32_e64 s[0:1], |v8|, |v9|
	v_cndmask_b32_e64 v11, v9, v8, s[0:1]
	v_cmp_ngt_f32_e64 s[2:3], |v11|, s35
                                        ; implicit-def: $vgpr6
                                        ; implicit-def: $vgpr39
	s_and_saveexec_b64 s[20:21], s[2:3]
	s_xor_b64 s[20:21], exec, s[20:21]
	s_cbranch_execz .LBB181_64
; %bb.41:                               ;   in Loop: Header=BB181_5 Depth=1
	v_cndmask_b32_e64 v6, v8, v9, s[0:1]
	v_and_b32_e32 v17, 0x7fffffff, v6
	v_and_b32_e32 v16, 0x7fffffff, v11
	v_cmp_neq_f32_e32 vcc, 1.0, v17
                                        ; implicit-def: $vgpr6
                                        ; implicit-def: $vgpr39
	s_and_saveexec_b64 s[2:3], vcc
	s_xor_b64 s[22:23], exec, s[2:3]
	s_cbranch_execz .LBB181_57
; %bb.42:                               ;   in Loop: Header=BB181_5 Depth=1
	v_max_f32_e32 v6, v16, v16
	v_max_f32_e32 v11, v17, v17
	v_min_f32_e32 v18, v11, v6
	v_max_f32_e32 v6, v11, v6
	v_cmp_ngt_f32_e32 vcc, s39, v18
	v_cmp_nlt_f32_e64 s[2:3], s40, v6
	s_and_b64 s[2:3], s[2:3], vcc
                                        ; implicit-def: $vgpr6
                                        ; implicit-def: $vgpr39
	s_and_saveexec_b64 s[24:25], s[2:3]
	s_xor_b64 s[24:25], exec, s[24:25]
	s_cbranch_execz .LBB181_54
; %bb.43:                               ;   in Loop: Header=BB181_5 Depth=1
	v_cmp_le_f32_e32 vcc, 1.0, v17
                                        ; implicit-def: $vgpr6
                                        ; implicit-def: $vgpr39
	s_and_saveexec_b64 s[2:3], vcc
	s_xor_b64 s[26:27], exec, s[2:3]
	s_cbranch_execz .LBB181_45
; %bb.44:                               ;   in Loop: Header=BB181_5 Depth=1
	v_pk_add_f32 v[18:19], v[16:17], s[14:15] op_sel:[1,0]
	v_mov_b32_e32 v6, v19
	v_pk_mul_f32 v[18:19], v[18:19], v[6:7]
	v_pk_fma_f32 v[16:17], v[16:17], v[16:17], v[18:19]
	v_add_f32_e32 v19, 1.0, v16
	v_add_f32_e32 v17, -1.0, v19
	v_mov_b32_e32 v18, v17
	v_pk_add_f32 v[20:21], v[16:17], v[18:19] neg_lo:[0,1] neg_hi:[0,1]
	v_add_f32_e32 v6, 1.0, v21
	v_add_f32_e32 v6, v20, v6
	v_frexp_mant_f32_e32 v11, v19
	v_cvt_f64_f32_e32 v[20:21], v19
	v_frexp_exp_i32_f64_e32 v17, v[20:21]
	v_cmp_gt_f32_e32 vcc, s41, v11
	v_subbrev_co_u32_e32 v17, vcc, 0, v17, vcc
	v_sub_u32_e32 v11, 0, v17
	v_ldexp_f32 v18, v19, v11
	v_ldexp_f32 v6, v6, v11
	v_add_f32_e32 v11, -1.0, v18
	v_add_f32_e32 v19, 1.0, v11
	v_sub_f32_e32 v19, v18, v19
	v_add_f32_e32 v20, v6, v19
	v_add_f32_e32 v19, 1.0, v18
	v_add_f32_e32 v21, -1.0, v19
	v_sub_f32_e32 v18, v18, v21
	v_add_f32_e32 v6, v6, v18
	v_add_f32_e32 v39, v19, v6
	v_rcp_f32_e32 v44, v39
	v_sub_f32_e32 v18, v39, v19
	v_add_f32_e32 v19, v11, v20
	v_sub_f32_e32 v11, v19, v11
	v_mul_f32_e32 v45, v19, v44
	v_sub_f32_e32 v11, v20, v11
	v_mul_f32_e32 v20, v39, v45
	v_sub_f32_e32 v6, v6, v18
	v_fma_f32 v40, v45, v39, -v20
	v_fmac_f32_e32 v40, v45, v6
	v_add_f32_e32 v18, v20, v40
	v_sub_f32_e32 v21, v19, v18
	v_pk_add_f32 v[42:43], v[18:19], v[20:21] neg_lo:[0,1] neg_hi:[0,1]
	v_mov_b32_e32 v41, v18
	v_pk_add_f32 v[18:19], v[42:43], v[40:41] neg_lo:[0,1] neg_hi:[0,1]
	v_add_f32_e32 v11, v11, v19
	v_add_f32_e32 v11, v18, v11
	;; [unrolled: 1-line block ×3, first 2 shown]
	v_mul_f32_e32 v46, v44, v19
	v_mul_f32_e32 v20, v39, v46
	v_fma_f32 v40, v46, v39, -v20
	v_fmac_f32_e32 v40, v46, v6
	v_add_f32_e32 v18, v20, v40
	v_sub_f32_e32 v6, v21, v19
	v_sub_f32_e32 v21, v19, v18
	v_pk_add_f32 v[42:43], v[18:19], v[20:21] neg_lo:[0,1] neg_hi:[0,1]
	v_mov_b32_e32 v41, v18
	v_add_f32_e32 v6, v11, v6
	v_pk_add_f32 v[18:19], v[42:43], v[40:41] neg_lo:[0,1] neg_hi:[0,1]
	v_add_f32_e32 v6, v6, v19
	v_add_f32_e32 v6, v18, v6
	;; [unrolled: 1-line block ×4, first 2 shown]
	v_sub_f32_e32 v11, v19, v45
	v_mul_f32_e32 v6, v44, v6
	v_sub_f32_e32 v11, v46, v11
	v_add_f32_e32 v6, v11, v6
	v_add_f32_e32 v20, v19, v6
	v_cvt_f32_i32_e32 v18, v17
	v_mul_f32_e32 v39, v20, v20
	v_mov_b32_e32 v11, 0x3ecc95a3
	v_fmac_f32_e32 v11, 0x3e9b6dac, v39
	v_fma_f32 v11, v39, v11, v23
	v_sub_f32_e32 v17, v20, v19
	v_mul_f32_e32 v19, v20, v39
	v_pk_mul_f32 v[40:41], v[18:19], v[10:11]
	v_ldexp_f32 v21, v20, 1
	v_fma_f32 v20, v18, s42, -v40
	v_fmac_f32_e32 v20, 0xb102e308, v18
	v_pk_add_f32 v[18:19], v[40:41], v[20:21]
	v_sub_f32_e32 v6, v6, v17
	v_sub_f32_e32 v11, v19, v21
	v_ldexp_f32 v6, v6, 1
	v_sub_f32_e32 v11, v41, v11
	v_add_f32_e32 v43, v6, v11
	v_mov_b32_e32 v42, v40
	v_pk_add_f32 v[40:41], v[18:19], v[40:41] neg_lo:[0,1] neg_hi:[0,1]
	v_pk_add_f32 v[44:45], v[18:19], v[42:43]
	v_mov_b32_e32 v41, v45
	v_mov_b32_e32 v21, v18
	v_pk_add_f32 v[46:47], v[20:21], v[40:41] neg_lo:[0,1] neg_hi:[0,1]
	v_pk_add_f32 v[20:21], v[20:21], v[40:41]
	v_mov_b32_e32 v6, v21
	v_pk_add_f32 v[40:41], v[6:7], v[18:19] neg_lo:[0,1] neg_hi:[0,1]
	v_mov_b32_e32 v11, v40
	v_pk_add_f32 v[48:49], v[44:45], v[10:11] neg_lo:[0,1] neg_hi:[0,1]
	v_mov_b32_e32 v20, v45
	v_mov_b32_e32 v44, v19
	;; [unrolled: 1-line block ×4, first 2 shown]
	v_pk_add_f32 v[20:21], v[20:21], v[44:45] neg_lo:[0,1] neg_hi:[0,1]
	v_mov_b32_e32 v40, v43
	v_mov_b32_e32 v41, v18
	v_pk_add_f32 v[18:19], v[40:41], v[20:21] neg_lo:[0,1] neg_hi:[0,1]
	v_mov_b32_e32 v48, v46
	v_pk_add_f32 v[20:21], v[48:49], v[18:19]
	v_mov_b32_e32 v40, v21
	v_pk_add_f32 v[40:41], v[20:21], v[40:41]
	v_pk_add_f32 v[42:43], v[6:7], v[40:41]
	v_mov_b32_e32 v21, v42
	v_pk_add_f32 v[44:45], v[20:21], v[46:47] neg_lo:[0,1] neg_hi:[0,1]
	v_mov_b32_e32 v19, v40
	v_sub_f32_e32 v6, v20, v44
	v_pk_add_f32 v[18:19], v[18:19], v[44:45] neg_lo:[0,1] neg_hi:[0,1]
	v_sub_f32_e32 v6, v46, v6
	v_add_f32_e32 v6, v18, v6
	v_add_f32_e32 v6, v6, v19
	;; [unrolled: 1-line block ×3, first 2 shown]
	v_cmp_eq_f32_e32 vcc, s43, v16
	v_cndmask_b32_e32 v6, v6, v16, vcc
	v_cmp_ngt_f32_e32 vcc, -1.0, v16
	v_cndmask_b32_e32 v6, v30, v6, vcc
	v_cmp_neq_f32_e32 vcc, -1.0, v16
	v_cndmask_b32_e32 v6, v31, v6, vcc
	v_cmp_lt_f32_e64 vcc, |v16|, s44
	v_cndmask_b32_e32 v6, v6, v16, vcc
	v_max_f32_e64 v11, |v9|, |v9|
	v_max_f32_e64 v16, |v8|, |v8|
	v_min_f32_e32 v17, v16, v11
	v_max_f32_e32 v11, v16, v11
	v_frexp_mant_f32_e32 v16, v11
	v_rcp_f32_e32 v16, v16
	v_frexp_exp_i32_f32_e32 v11, v11
	v_frexp_exp_i32_f32_e32 v18, v17
	v_frexp_mant_f32_e32 v17, v17
	v_mul_f32_e32 v16, v17, v16
	v_sub_u32_e32 v11, v18, v11
	v_ldexp_f32 v11, v16, v11
	v_mul_f32_e32 v16, v11, v11
	v_mov_b32_e32 v17, 0xbc7a590c
	v_fmac_f32_e32 v17, 0x3b2d2a58, v16
	v_fma_f32 v17, v16, v17, v24
	v_fma_f32 v17, v16, v17, v25
	;; [unrolled: 1-line block ×6, first 2 shown]
	v_mul_f32_e32 v16, v16, v17
	v_fmac_f32_e32 v11, v11, v16
	v_sub_f32_e32 v16, 0x3fc90fdb, v11
	v_cndmask_b32_e64 v11, v11, v16, s[0:1]
	v_sub_f32_e32 v16, 0x40490fdb, v11
	v_cmp_gt_f32_e32 vcc, 0, v8
	v_cmp_gt_i32_e64 s[2:3], 0, v8
	v_cndmask_b32_e32 v11, v11, v16, vcc
	v_cndmask_b32_e64 v16, 0, v32, s[2:3]
	v_cmp_eq_f32_e64 s[2:3], 0, v9
	v_cndmask_b32_e64 v11, v11, v16, s[2:3]
	v_cmp_class_f32_e64 s[2:3], v8, s45
	v_cmp_class_f32_e64 s[28:29], v9, s45
	v_cndmask_b32_e32 v16, v33, v34, vcc
	s_and_b64 vcc, s[2:3], s[28:29]
	v_mul_f32_e32 v6, 0.5, v6
	v_cndmask_b32_e32 v39, v11, v16, vcc
                                        ; implicit-def: $vgpr16_vgpr17
.LBB181_45:                             ;   in Loop: Header=BB181_5 Depth=1
	s_andn2_saveexec_b64 s[26:27], s[26:27]
	s_cbranch_execz .LBB181_53
; %bb.46:                               ;   in Loop: Header=BB181_5 Depth=1
	v_pk_mul_f32 v[18:19], v[16:17], v[16:17]
	v_add_f32_e32 v11, v19, v18
	v_cmp_ge_f32_e32 vcc, s46, v11
                                        ; implicit-def: $vgpr6
                                        ; implicit-def: $vgpr39
	s_and_saveexec_b64 s[2:3], vcc
	s_xor_b64 s[28:29], exec, s[2:3]
	s_cbranch_execz .LBB181_48
; %bb.47:                               ;   in Loop: Header=BB181_5 Depth=1
	v_cmp_gt_f32_e32 vcc, s47, v11
	v_cndmask_b32_e32 v6, 1.0, v35, vcc
	v_mul_f32_e32 v6, v11, v6
	v_log_f32_e32 v6, v6
	v_cndmask_b32_e32 v11, 0, v36, vcc
	v_cmp_gt_i32_e64 s[2:3], 0, v8
	v_cmp_class_f32_e64 s[30:31], v9, s45
	v_mul_f32_e32 v16, 0x3f317217, v6
	v_fma_f32 v17, v6, s48, -v16
	v_fmac_f32_e32 v17, 0x3377d1cf, v6
	v_add_f32_e32 v16, v16, v17
	v_cmp_lt_f32_e64 vcc, |v6|, s43
	v_cndmask_b32_e32 v6, v6, v16, vcc
	v_sub_f32_e32 v6, v6, v11
	v_max_f32_e64 v11, |v9|, |v9|
	v_max_f32_e64 v16, |v8|, |v8|
	v_min_f32_e32 v17, v16, v11
	v_max_f32_e32 v11, v16, v11
	v_frexp_mant_f32_e32 v16, v11
	v_rcp_f32_e32 v16, v16
	v_frexp_exp_i32_f32_e32 v11, v11
	v_frexp_exp_i32_f32_e32 v18, v17
	v_frexp_mant_f32_e32 v17, v17
	v_mul_f32_e32 v16, v17, v16
	v_sub_u32_e32 v11, v18, v11
	v_ldexp_f32 v11, v16, v11
	v_mul_f32_e32 v16, v11, v11
	v_mov_b32_e32 v17, 0xbc7a590c
	v_fmac_f32_e32 v17, 0x3b2d2a58, v16
	v_fma_f32 v17, v16, v17, v24
	v_fma_f32 v17, v16, v17, v25
	;; [unrolled: 1-line block ×6, first 2 shown]
	v_mul_f32_e32 v16, v16, v17
	v_fmac_f32_e32 v11, v11, v16
	v_sub_f32_e32 v16, 0x3fc90fdb, v11
	v_cndmask_b32_e64 v11, v11, v16, s[0:1]
	v_sub_f32_e32 v16, 0x40490fdb, v11
	v_cmp_gt_f32_e32 vcc, 0, v8
	v_cndmask_b32_e32 v11, v11, v16, vcc
	v_cndmask_b32_e64 v16, 0, v32, s[2:3]
	v_cmp_eq_f32_e64 s[2:3], 0, v9
	v_cndmask_b32_e64 v11, v11, v16, s[2:3]
	v_cmp_class_f32_e64 s[2:3], v8, s45
	v_cndmask_b32_e32 v16, v33, v34, vcc
	s_and_b64 vcc, s[2:3], s[30:31]
	v_mul_f32_e32 v6, 0.5, v6
	v_cndmask_b32_e32 v39, v11, v16, vcc
                                        ; implicit-def: $vgpr16_vgpr17
.LBB181_48:                             ;   in Loop: Header=BB181_5 Depth=1
	s_andn2_saveexec_b64 s[28:29], s[28:29]
	s_cbranch_execz .LBB181_52
; %bb.49:                               ;   in Loop: Header=BB181_5 Depth=1
	v_and_b32_e32 v19, 0x7fff0000, v16
	v_and_b32_e32 v18, 0x7fff0000, v17
	v_pk_add_f32 v[16:17], v[16:17], v[18:19] op_sel:[1,0] op_sel_hi:[0,1] neg_lo:[0,1] neg_hi:[0,1]
	v_and_b32_e32 v21, 0xffff0000, v17
	v_and_b32_e32 v20, 0xffff0000, v16
	v_add_f32_e32 v39, v18, v18
	v_pk_add_f32 v[44:45], v[16:17], v[20:21] neg_lo:[0,1] neg_hi:[0,1]
	v_pk_mul_f32 v[16:17], v[18:19], v[18:19]
	v_mul_f32_e32 v11, v39, v20
	v_add_f32_e32 v41, v19, v19
	v_pk_mul_f32 v[18:19], v[20:21], v[20:21]
	v_add_f32_e32 v20, v20, v20
	v_mul_f32_e32 v6, v41, v21
	v_mul_f32_e32 v40, v39, v44
	;; [unrolled: 1-line block ×4, first 2 shown]
	v_add_f32_e32 v20, v21, v21
	v_mul_f32_e32 v42, v20, v45
	v_pk_mul_f32 v[20:21], v[44:45], v[44:45]
	s_mov_b64 s[30:31], 0
.LBB181_50:                             ;   Parent Loop BB181_5 Depth=1
                                        ; =>  This Inner Loop Header: Depth=2
	v_cmp_nlt_f32_e32 vcc, v16, v17
	v_cndmask_b32_e32 v43, v16, v17, vcc
	v_cmp_nlt_f32_e64 s[2:3], v43, v11
	v_cndmask_b32_e64 v44, v43, v11, s[2:3]
	v_cndmask_b32_e32 v16, v17, v16, vcc
	s_and_b64 s[54:55], vcc, s[2:3]
	v_cmp_nlt_f32_e32 vcc, v44, v6
	v_cndmask_b32_e64 v17, v11, v43, s[2:3]
	v_cndmask_b32_e32 v43, v44, v6, vcc
	v_cmp_nlt_f32_e64 s[2:3], v43, v18
	v_cndmask_b32_e32 v11, v6, v44, vcc
	v_cndmask_b32_e64 v44, v43, v18, s[2:3]
	s_and_b64 s[56:57], vcc, s[2:3]
	v_cmp_nlt_f32_e32 vcc, v44, v19
	v_cndmask_b32_e64 v6, v18, v43, s[2:3]
	v_cndmask_b32_e32 v43, v44, v19, vcc
	v_cmp_nlt_f32_e64 s[2:3], v43, v40
	v_cndmask_b32_e32 v18, v19, v44, vcc
	v_cndmask_b32_e64 v44, v43, v40, s[2:3]
	v_cndmask_b32_e64 v19, v40, v43, s[2:3]
	s_and_b64 s[2:3], vcc, s[2:3]
	v_cmp_nlt_f32_e32 vcc, v44, v39
	v_cndmask_b32_e32 v43, v44, v39, vcc
	v_cndmask_b32_e32 v40, v39, v44, vcc
	s_and_b64 s[2:3], s[2:3], vcc
	v_cmp_nlt_f32_e32 vcc, v43, v41
	v_cndmask_b32_e32 v44, v43, v41, vcc
	v_cndmask_b32_e32 v39, v41, v43, vcc
	s_and_b64 s[2:3], s[2:3], vcc
	;; [unrolled: 4-line block ×4, first 2 shown]
	v_cmp_nlt_f32_e32 vcc, v44, v21
	s_and_b64 s[2:3], s[2:3], vcc
	s_and_b64 s[2:3], s[2:3], s[56:57]
	s_and_b64 s[2:3], s[2:3], s[54:55]
	s_and_b64 s[2:3], exec, s[2:3]
	v_cndmask_b32_e32 v20, v21, v44, vcc
	s_or_b64 s[30:31], s[2:3], s[30:31]
	v_cndmask_b32_e32 v21, v44, v21, vcc
	s_andn2_b64 exec, exec, s[30:31]
	s_cbranch_execnz .LBB181_50
; %bb.51:                               ;   in Loop: Header=BB181_5 Depth=1
	s_or_b64 exec, exec, s[30:31]
	v_add_f32_e32 v16, -1.0, v16
	v_add_f32_e32 v16, v16, v17
	v_add_f32_e32 v11, v16, v11
	;; [unrolled: 1-line block ×11, first 2 shown]
	v_add_f32_e32 v19, 1.0, v16
	v_add_f32_e32 v17, -1.0, v19
	v_mov_b32_e32 v18, v17
	v_pk_add_f32 v[20:21], v[16:17], v[18:19] neg_lo:[0,1] neg_hi:[0,1]
	v_add_f32_e32 v6, 1.0, v21
	v_add_f32_e32 v6, v20, v6
	v_frexp_mant_f32_e32 v11, v19
	v_cvt_f64_f32_e32 v[20:21], v19
	v_frexp_exp_i32_f64_e32 v17, v[20:21]
	v_cmp_gt_f32_e32 vcc, s41, v11
	v_subbrev_co_u32_e32 v17, vcc, 0, v17, vcc
	v_sub_u32_e32 v11, 0, v17
	v_ldexp_f32 v18, v19, v11
	v_ldexp_f32 v6, v6, v11
	v_add_f32_e32 v11, -1.0, v18
	v_add_f32_e32 v19, 1.0, v11
	v_sub_f32_e32 v19, v18, v19
	v_add_f32_e32 v20, v6, v19
	v_add_f32_e32 v19, 1.0, v18
	v_add_f32_e32 v21, -1.0, v19
	v_sub_f32_e32 v18, v18, v21
	v_add_f32_e32 v6, v6, v18
	v_add_f32_e32 v39, v19, v6
	v_rcp_f32_e32 v44, v39
	v_sub_f32_e32 v18, v39, v19
	v_add_f32_e32 v19, v11, v20
	v_sub_f32_e32 v11, v19, v11
	v_mul_f32_e32 v45, v19, v44
	v_sub_f32_e32 v11, v20, v11
	v_mul_f32_e32 v20, v39, v45
	v_sub_f32_e32 v6, v6, v18
	v_fma_f32 v40, v45, v39, -v20
	v_fmac_f32_e32 v40, v45, v6
	v_add_f32_e32 v18, v20, v40
	v_sub_f32_e32 v21, v19, v18
	v_pk_add_f32 v[42:43], v[18:19], v[20:21] neg_lo:[0,1] neg_hi:[0,1]
	v_mov_b32_e32 v41, v18
	v_pk_add_f32 v[18:19], v[42:43], v[40:41] neg_lo:[0,1] neg_hi:[0,1]
	v_add_f32_e32 v11, v11, v19
	v_add_f32_e32 v11, v18, v11
	;; [unrolled: 1-line block ×3, first 2 shown]
	v_mul_f32_e32 v46, v44, v19
	v_mul_f32_e32 v20, v39, v46
	v_fma_f32 v40, v46, v39, -v20
	v_fmac_f32_e32 v40, v46, v6
	v_add_f32_e32 v18, v20, v40
	v_sub_f32_e32 v6, v21, v19
	v_sub_f32_e32 v21, v19, v18
	v_pk_add_f32 v[42:43], v[18:19], v[20:21] neg_lo:[0,1] neg_hi:[0,1]
	v_mov_b32_e32 v41, v18
	v_add_f32_e32 v6, v11, v6
	v_pk_add_f32 v[18:19], v[42:43], v[40:41] neg_lo:[0,1] neg_hi:[0,1]
	v_add_f32_e32 v6, v6, v19
	v_add_f32_e32 v6, v18, v6
	;; [unrolled: 1-line block ×4, first 2 shown]
	v_sub_f32_e32 v11, v19, v45
	v_mul_f32_e32 v6, v44, v6
	v_sub_f32_e32 v11, v46, v11
	v_add_f32_e32 v6, v11, v6
	v_add_f32_e32 v20, v19, v6
	v_cvt_f32_i32_e32 v18, v17
	v_mul_f32_e32 v39, v20, v20
	v_mov_b32_e32 v11, 0x3ecc95a3
	v_fmac_f32_e32 v11, 0x3e9b6dac, v39
	v_fma_f32 v11, v39, v11, v23
	v_sub_f32_e32 v17, v20, v19
	v_mul_f32_e32 v19, v20, v39
	v_pk_mul_f32 v[40:41], v[18:19], v[10:11]
	v_ldexp_f32 v21, v20, 1
	v_fma_f32 v20, v18, s42, -v40
	v_fmac_f32_e32 v20, 0xb102e308, v18
	v_pk_add_f32 v[18:19], v[40:41], v[20:21]
	v_sub_f32_e32 v6, v6, v17
	v_sub_f32_e32 v11, v19, v21
	v_ldexp_f32 v6, v6, 1
	v_sub_f32_e32 v11, v41, v11
	v_add_f32_e32 v43, v6, v11
	v_mov_b32_e32 v42, v40
	v_pk_add_f32 v[40:41], v[18:19], v[40:41] neg_lo:[0,1] neg_hi:[0,1]
	v_pk_add_f32 v[44:45], v[18:19], v[42:43]
	v_mov_b32_e32 v41, v45
	v_mov_b32_e32 v21, v18
	v_pk_add_f32 v[46:47], v[20:21], v[40:41] neg_lo:[0,1] neg_hi:[0,1]
	v_pk_add_f32 v[20:21], v[20:21], v[40:41]
	v_mov_b32_e32 v6, v21
	v_pk_add_f32 v[40:41], v[6:7], v[18:19] neg_lo:[0,1] neg_hi:[0,1]
	v_mov_b32_e32 v11, v40
	v_pk_add_f32 v[48:49], v[44:45], v[10:11] neg_lo:[0,1] neg_hi:[0,1]
	v_mov_b32_e32 v20, v45
	v_mov_b32_e32 v44, v19
	;; [unrolled: 1-line block ×4, first 2 shown]
	v_pk_add_f32 v[20:21], v[20:21], v[44:45] neg_lo:[0,1] neg_hi:[0,1]
	v_mov_b32_e32 v40, v43
	v_mov_b32_e32 v41, v18
	v_pk_add_f32 v[18:19], v[40:41], v[20:21] neg_lo:[0,1] neg_hi:[0,1]
	v_mov_b32_e32 v48, v46
	v_pk_add_f32 v[20:21], v[48:49], v[18:19]
	v_mov_b32_e32 v40, v21
	v_pk_add_f32 v[40:41], v[20:21], v[40:41]
	v_pk_add_f32 v[42:43], v[6:7], v[40:41]
	v_mov_b32_e32 v21, v42
	v_pk_add_f32 v[44:45], v[20:21], v[46:47] neg_lo:[0,1] neg_hi:[0,1]
	v_mov_b32_e32 v19, v40
	v_sub_f32_e32 v6, v20, v44
	v_pk_add_f32 v[18:19], v[18:19], v[44:45] neg_lo:[0,1] neg_hi:[0,1]
	v_sub_f32_e32 v6, v46, v6
	v_add_f32_e32 v6, v18, v6
	v_add_f32_e32 v6, v6, v19
	;; [unrolled: 1-line block ×3, first 2 shown]
	v_cmp_eq_f32_e32 vcc, s43, v16
	v_cndmask_b32_e32 v6, v6, v16, vcc
	v_cmp_ngt_f32_e32 vcc, -1.0, v16
	v_cndmask_b32_e32 v6, v30, v6, vcc
	v_cmp_neq_f32_e32 vcc, -1.0, v16
	v_cndmask_b32_e32 v6, v31, v6, vcc
	v_cmp_lt_f32_e64 vcc, |v16|, s44
	v_cndmask_b32_e32 v6, v6, v16, vcc
	v_max_f32_e64 v11, |v9|, |v9|
	v_max_f32_e64 v16, |v8|, |v8|
	v_min_f32_e32 v17, v16, v11
	v_max_f32_e32 v11, v16, v11
	v_frexp_mant_f32_e32 v16, v11
	v_rcp_f32_e32 v16, v16
	v_frexp_exp_i32_f32_e32 v11, v11
	v_frexp_exp_i32_f32_e32 v18, v17
	v_frexp_mant_f32_e32 v17, v17
	v_mul_f32_e32 v16, v17, v16
	v_sub_u32_e32 v11, v18, v11
	v_ldexp_f32 v11, v16, v11
	v_mul_f32_e32 v16, v11, v11
	v_mov_b32_e32 v17, 0xbc7a590c
	v_fmac_f32_e32 v17, 0x3b2d2a58, v16
	v_fma_f32 v17, v16, v17, v24
	v_fma_f32 v17, v16, v17, v25
	v_fma_f32 v17, v16, v17, v26
	v_fma_f32 v17, v16, v17, v27
	v_fma_f32 v17, v16, v17, v28
	v_fma_f32 v17, v16, v17, v29
	v_mul_f32_e32 v16, v16, v17
	v_fmac_f32_e32 v11, v11, v16
	v_sub_f32_e32 v16, 0x3fc90fdb, v11
	v_cndmask_b32_e64 v11, v11, v16, s[0:1]
	v_sub_f32_e32 v16, 0x40490fdb, v11
	v_cmp_gt_f32_e32 vcc, 0, v8
	v_cmp_gt_i32_e64 s[2:3], 0, v8
	v_cndmask_b32_e32 v11, v11, v16, vcc
	v_cndmask_b32_e64 v16, 0, v32, s[2:3]
	v_cmp_eq_f32_e64 s[2:3], 0, v9
	v_cndmask_b32_e64 v11, v11, v16, s[2:3]
	v_cmp_class_f32_e64 s[2:3], v8, s45
	v_cmp_class_f32_e64 s[30:31], v9, s45
	v_cndmask_b32_e32 v16, v33, v34, vcc
	s_and_b64 vcc, s[2:3], s[30:31]
	v_mul_f32_e32 v6, 0.5, v6
	v_cndmask_b32_e32 v39, v11, v16, vcc
.LBB181_52:                             ;   in Loop: Header=BB181_5 Depth=1
	s_or_b64 exec, exec, s[28:29]
.LBB181_53:                             ;   in Loop: Header=BB181_5 Depth=1
	s_or_b64 exec, exec, s[26:27]
.LBB181_54:                             ;   in Loop: Header=BB181_5 Depth=1
	s_andn2_saveexec_b64 s[24:25], s[24:25]
	s_cbranch_execz .LBB181_56
; %bb.55:                               ;   in Loop: Header=BB181_5 Depth=1
	v_max_f32_e64 v11, |v9|, |v9|
	v_max_f32_e64 v18, |v8|, |v8|
	v_max_f32_e32 v19, v18, v11
	v_cvt_f64_f32_e32 v[16:17], v19
	v_frexp_exp_i32_f64_e32 v6, v[16:17]
	v_sub_u32_e32 v16, 0, v6
	v_ldexp_f32 v17, |v8|, v16
	v_ldexp_f32 v16, |v9|, v16
	v_mul_f32_e32 v16, v16, v16
	v_fmac_f32_e32 v16, v17, v17
	v_sqrt_f32_e32 v16, v16
	v_cmp_neq_f32_e32 vcc, s43, v19
	v_min_f32_e32 v11, v18, v11
	v_frexp_exp_i32_f32_e32 v18, v11
	v_ldexp_f32 v6, v16, v6
	v_cndmask_b32_e32 v6, v37, v6, vcc
	v_cmp_gt_f32_e32 vcc, s47, v6
	v_cndmask_b32_e32 v16, 1.0, v35, vcc
	v_mul_f32_e32 v6, v6, v16
	v_log_f32_e32 v6, v6
	v_cndmask_b32_e32 v16, 0, v36, vcc
	v_frexp_mant_f32_e32 v11, v11
	v_cmp_gt_i32_e64 s[2:3], 0, v8
	v_mul_f32_e32 v17, 0x3f317217, v6
	v_fma_f32 v20, v6, s48, -v17
	v_fmac_f32_e32 v20, 0x3377d1cf, v6
	v_add_f32_e32 v17, v17, v20
	v_cmp_lt_f32_e64 vcc, |v6|, s43
	v_cndmask_b32_e32 v6, v6, v17, vcc
	v_sub_f32_e32 v6, v6, v16
	v_frexp_mant_f32_e32 v16, v19
	v_rcp_f32_e32 v16, v16
	v_frexp_exp_i32_f32_e32 v17, v19
	v_cmp_gt_f32_e32 vcc, 0, v8
	v_cmp_class_f32_e64 s[26:27], v9, s45
	v_mul_f32_e32 v11, v11, v16
	v_sub_u32_e32 v16, v18, v17
	v_ldexp_f32 v11, v11, v16
	v_mul_f32_e32 v16, v11, v11
	v_mov_b32_e32 v17, 0xbc7a590c
	v_fmac_f32_e32 v17, 0x3b2d2a58, v16
	v_fma_f32 v17, v16, v17, v24
	v_fma_f32 v17, v16, v17, v25
	;; [unrolled: 1-line block ×6, first 2 shown]
	v_mul_f32_e32 v16, v16, v17
	v_fmac_f32_e32 v11, v11, v16
	v_sub_f32_e32 v16, 0x3fc90fdb, v11
	v_cndmask_b32_e64 v11, v11, v16, s[0:1]
	v_sub_f32_e32 v16, 0x40490fdb, v11
	v_cndmask_b32_e32 v11, v11, v16, vcc
	v_cndmask_b32_e64 v16, 0, v32, s[2:3]
	v_cmp_eq_f32_e64 s[2:3], 0, v9
	v_cndmask_b32_e64 v11, v11, v16, s[2:3]
	v_cmp_class_f32_e64 s[2:3], v8, s45
	v_cndmask_b32_e32 v16, v33, v34, vcc
	s_and_b64 vcc, s[2:3], s[26:27]
	v_cndmask_b32_e32 v39, v11, v16, vcc
.LBB181_56:                             ;   in Loop: Header=BB181_5 Depth=1
	s_or_b64 exec, exec, s[24:25]
                                        ; implicit-def: $vgpr16
.LBB181_57:                             ;   in Loop: Header=BB181_5 Depth=1
	s_andn2_saveexec_b64 s[22:23], s[22:23]
	s_cbranch_execz .LBB181_63
; %bb.58:                               ;   in Loop: Header=BB181_5 Depth=1
	v_cmp_ngt_f32_e32 vcc, s49, v16
                                        ; implicit-def: $vgpr6
                                        ; implicit-def: $vgpr39
	s_and_saveexec_b64 s[2:3], vcc
	s_xor_b64 s[24:25], exec, s[2:3]
	s_cbranch_execz .LBB181_60
; %bb.59:                               ;   in Loop: Header=BB181_5 Depth=1
	v_pk_mul_f32 v[16:17], v[16:17], v[16:17]
	v_add_f32_e32 v19, 1.0, v16
	v_add_f32_e32 v17, -1.0, v19
	v_mov_b32_e32 v18, v17
	v_pk_add_f32 v[20:21], v[16:17], v[18:19] neg_lo:[0,1] neg_hi:[0,1]
	v_add_f32_e32 v6, 1.0, v21
	v_add_f32_e32 v6, v20, v6
	v_frexp_mant_f32_e32 v11, v19
	v_cvt_f64_f32_e32 v[20:21], v19
	v_frexp_exp_i32_f64_e32 v17, v[20:21]
	v_cmp_gt_f32_e32 vcc, s41, v11
	v_subbrev_co_u32_e32 v17, vcc, 0, v17, vcc
	v_sub_u32_e32 v11, 0, v17
	v_ldexp_f32 v18, v19, v11
	v_ldexp_f32 v6, v6, v11
	v_add_f32_e32 v11, -1.0, v18
	v_add_f32_e32 v19, 1.0, v11
	v_sub_f32_e32 v19, v18, v19
	v_add_f32_e32 v20, v6, v19
	v_add_f32_e32 v19, 1.0, v18
	v_add_f32_e32 v21, -1.0, v19
	v_sub_f32_e32 v18, v18, v21
	v_add_f32_e32 v6, v6, v18
	v_add_f32_e32 v39, v19, v6
	v_rcp_f32_e32 v44, v39
	v_sub_f32_e32 v18, v19, v39
	v_add_f32_e32 v19, v11, v20
	v_sub_f32_e32 v11, v11, v19
	v_mul_f32_e32 v45, v19, v44
	v_add_f32_e32 v11, v20, v11
	v_mul_f32_e32 v20, v39, v45
	v_add_f32_e32 v6, v6, v18
	v_fma_f32 v40, v45, v39, -v20
	v_fmac_f32_e32 v40, v45, v6
	v_add_f32_e32 v18, v20, v40
	v_sub_f32_e32 v21, v19, v18
	v_pk_add_f32 v[42:43], v[18:19], v[20:21] neg_lo:[0,1] neg_hi:[0,1]
	v_mov_b32_e32 v41, v18
	v_pk_add_f32 v[18:19], v[42:43], v[40:41] neg_lo:[0,1] neg_hi:[0,1]
	v_add_f32_e32 v11, v11, v19
	v_add_f32_e32 v11, v18, v11
	;; [unrolled: 1-line block ×3, first 2 shown]
	v_mul_f32_e32 v46, v44, v19
	v_mul_f32_e32 v20, v39, v46
	v_fma_f32 v40, v46, v39, -v20
	v_fmac_f32_e32 v40, v46, v6
	v_add_f32_e32 v18, v20, v40
	v_sub_f32_e32 v6, v21, v19
	v_sub_f32_e32 v21, v19, v18
	v_pk_add_f32 v[42:43], v[18:19], v[20:21] neg_lo:[0,1] neg_hi:[0,1]
	v_mov_b32_e32 v41, v18
	v_add_f32_e32 v6, v11, v6
	v_pk_add_f32 v[18:19], v[42:43], v[40:41] neg_lo:[0,1] neg_hi:[0,1]
	v_add_f32_e32 v6, v6, v19
	v_add_f32_e32 v6, v18, v6
	;; [unrolled: 1-line block ×4, first 2 shown]
	v_sub_f32_e32 v11, v19, v45
	v_mul_f32_e32 v6, v44, v6
	v_sub_f32_e32 v11, v46, v11
	v_add_f32_e32 v6, v11, v6
	v_add_f32_e32 v20, v19, v6
	v_cvt_f32_i32_e32 v18, v17
	v_mul_f32_e32 v39, v20, v20
	v_mov_b32_e32 v11, 0x3ecc95a3
	v_fmac_f32_e32 v11, 0x3e9b6dac, v39
	v_fma_f32 v11, v39, v11, v23
	v_sub_f32_e32 v17, v20, v19
	v_mul_f32_e32 v19, v20, v39
	v_pk_mul_f32 v[40:41], v[18:19], v[10:11]
	v_ldexp_f32 v21, v20, 1
	v_fma_f32 v20, v18, s42, -v40
	v_fmac_f32_e32 v20, 0xb102e308, v18
	v_pk_add_f32 v[18:19], v[40:41], v[20:21]
	v_sub_f32_e32 v6, v6, v17
	v_sub_f32_e32 v11, v19, v21
	v_ldexp_f32 v6, v6, 1
	v_sub_f32_e32 v11, v41, v11
	v_add_f32_e32 v43, v6, v11
	v_mov_b32_e32 v42, v40
	v_pk_add_f32 v[40:41], v[18:19], v[40:41] neg_lo:[0,1] neg_hi:[0,1]
	v_pk_add_f32 v[44:45], v[18:19], v[42:43]
	v_mov_b32_e32 v41, v45
	v_mov_b32_e32 v21, v18
	v_pk_add_f32 v[46:47], v[20:21], v[40:41] neg_lo:[0,1] neg_hi:[0,1]
	v_pk_add_f32 v[20:21], v[20:21], v[40:41]
	v_mov_b32_e32 v6, v21
	v_pk_add_f32 v[40:41], v[6:7], v[18:19] neg_lo:[0,1] neg_hi:[0,1]
	v_mov_b32_e32 v11, v40
	v_pk_add_f32 v[48:49], v[44:45], v[10:11] neg_lo:[0,1] neg_hi:[0,1]
	v_mov_b32_e32 v20, v45
	v_mov_b32_e32 v44, v19
	v_mov_b32_e32 v45, v40
	v_mov_b32_e32 v47, v21
	v_pk_add_f32 v[20:21], v[20:21], v[44:45] neg_lo:[0,1] neg_hi:[0,1]
	v_mov_b32_e32 v40, v43
	v_mov_b32_e32 v41, v18
	v_pk_add_f32 v[18:19], v[40:41], v[20:21] neg_lo:[0,1] neg_hi:[0,1]
	v_mov_b32_e32 v48, v46
	v_pk_add_f32 v[20:21], v[48:49], v[18:19]
	v_mov_b32_e32 v40, v21
	v_pk_add_f32 v[40:41], v[20:21], v[40:41]
	v_pk_add_f32 v[42:43], v[6:7], v[40:41]
	v_mov_b32_e32 v21, v42
	v_pk_add_f32 v[44:45], v[20:21], v[46:47] neg_lo:[0,1] neg_hi:[0,1]
	v_mov_b32_e32 v19, v40
	v_sub_f32_e32 v6, v20, v44
	v_pk_add_f32 v[18:19], v[18:19], v[44:45] neg_lo:[0,1] neg_hi:[0,1]
	v_sub_f32_e32 v6, v46, v6
	v_add_f32_e32 v6, v18, v6
	v_add_f32_e32 v6, v6, v19
	v_cmp_eq_f32_e32 vcc, s43, v16
	v_cmp_lt_f32_e64 s[2:3], |v16|, s44
	v_add_f32_e32 v6, v42, v6
	s_or_b64 vcc, vcc, s[2:3]
	v_cndmask_b32_e32 v6, v6, v16, vcc
	v_max_f32_e64 v11, |v9|, |v9|
	v_max_f32_e64 v16, |v8|, |v8|
	v_min_f32_e32 v17, v16, v11
	v_max_f32_e32 v11, v16, v11
	v_frexp_mant_f32_e32 v16, v11
	v_rcp_f32_e32 v16, v16
	v_frexp_exp_i32_f32_e32 v11, v11
	v_frexp_exp_i32_f32_e32 v18, v17
	v_frexp_mant_f32_e32 v17, v17
	v_mul_f32_e32 v16, v17, v16
	v_sub_u32_e32 v11, v18, v11
	v_ldexp_f32 v11, v16, v11
	v_mul_f32_e32 v16, v11, v11
	v_mov_b32_e32 v17, 0xbc7a590c
	v_fmac_f32_e32 v17, 0x3b2d2a58, v16
	v_fma_f32 v17, v16, v17, v24
	v_fma_f32 v17, v16, v17, v25
	v_fma_f32 v17, v16, v17, v26
	v_fma_f32 v17, v16, v17, v27
	v_fma_f32 v17, v16, v17, v28
	v_fma_f32 v17, v16, v17, v29
	v_mul_f32_e32 v16, v16, v17
	v_fmac_f32_e32 v11, v11, v16
	v_sub_f32_e32 v16, 0x3fc90fdb, v11
	v_cndmask_b32_e64 v11, v11, v16, s[0:1]
	v_sub_f32_e32 v16, 0x40490fdb, v11
	v_cmp_gt_f32_e32 vcc, 0, v8
	v_cmp_gt_i32_e64 s[2:3], 0, v8
	v_cndmask_b32_e32 v11, v11, v16, vcc
	v_cndmask_b32_e64 v16, 0, v32, s[2:3]
	v_cmp_eq_f32_e64 s[2:3], 0, v9
	v_cndmask_b32_e64 v11, v11, v16, s[2:3]
	v_cmp_class_f32_e64 s[2:3], v8, s45
	v_cmp_class_f32_e64 s[26:27], v9, s45
	v_cndmask_b32_e32 v16, v33, v34, vcc
	s_and_b64 vcc, s[2:3], s[26:27]
	v_mul_f32_e32 v6, 0.5, v6
	v_cndmask_b32_e32 v39, v11, v16, vcc
                                        ; implicit-def: $vgpr16
.LBB181_60:                             ;   in Loop: Header=BB181_5 Depth=1
	s_andn2_saveexec_b64 s[24:25], s[24:25]
	s_cbranch_execz .LBB181_62
; %bb.61:                               ;   in Loop: Header=BB181_5 Depth=1
	v_mul_f32_e32 v6, 0.5, v16
	v_mul_f32_e32 v6, v16, v6
	v_max_f32_e64 v11, |v9|, |v9|
	v_max_f32_e64 v16, |v8|, |v8|
	v_min_f32_e32 v17, v16, v11
	v_max_f32_e32 v11, v16, v11
	v_frexp_mant_f32_e32 v16, v11
	v_rcp_f32_e32 v16, v16
	v_frexp_exp_i32_f32_e32 v11, v11
	v_frexp_exp_i32_f32_e32 v18, v17
	v_frexp_mant_f32_e32 v17, v17
	v_mul_f32_e32 v16, v17, v16
	v_sub_u32_e32 v11, v18, v11
	v_ldexp_f32 v11, v16, v11
	v_mul_f32_e32 v16, v11, v11
	v_mov_b32_e32 v17, 0xbc7a590c
	v_fmac_f32_e32 v17, 0x3b2d2a58, v16
	v_fma_f32 v17, v16, v17, v24
	v_fma_f32 v17, v16, v17, v25
	v_fma_f32 v17, v16, v17, v26
	v_fma_f32 v17, v16, v17, v27
	v_fma_f32 v17, v16, v17, v28
	v_fma_f32 v17, v16, v17, v29
	v_mul_f32_e32 v16, v16, v17
	v_fmac_f32_e32 v11, v11, v16
	v_sub_f32_e32 v16, 0x3fc90fdb, v11
	v_cndmask_b32_e64 v11, v11, v16, s[0:1]
	v_sub_f32_e32 v16, 0x40490fdb, v11
	v_cmp_gt_f32_e32 vcc, 0, v8
	v_cmp_gt_i32_e64 s[2:3], 0, v8
	v_cndmask_b32_e32 v11, v11, v16, vcc
	v_cndmask_b32_e64 v16, 0, v32, s[2:3]
	v_cmp_eq_f32_e64 s[2:3], 0, v9
	v_cndmask_b32_e64 v11, v11, v16, s[2:3]
	v_cmp_class_f32_e64 s[2:3], v8, s45
	v_cmp_class_f32_e64 s[26:27], v9, s45
	v_cndmask_b32_e32 v16, v33, v34, vcc
	s_and_b64 vcc, s[2:3], s[26:27]
	v_cndmask_b32_e32 v39, v11, v16, vcc
.LBB181_62:                             ;   in Loop: Header=BB181_5 Depth=1
	s_or_b64 exec, exec, s[24:25]
.LBB181_63:                             ;   in Loop: Header=BB181_5 Depth=1
	s_or_b64 exec, exec, s[22:23]
.LBB181_64:                             ;   in Loop: Header=BB181_5 Depth=1
	s_andn2_saveexec_b64 s[20:21], s[20:21]
	s_cbranch_execz .LBB181_66
; %bb.65:                               ;   in Loop: Header=BB181_5 Depth=1
	v_div_scale_f32 v6, s[2:3], s50, s50, v8
	v_rcp_f32_e32 v11, v6
	v_div_scale_f32 v16, vcc, v8, s50, v8
	v_fma_f32 v17, -v6, v11, 1.0
	v_fmac_f32_e32 v11, v17, v11
	v_mul_f32_e32 v17, v16, v11
	v_fma_f32 v18, -v6, v17, v16
	v_fmac_f32_e32 v17, v18, v11
	v_fma_f32 v6, -v6, v17, v16
	v_div_scale_f32 v16, s[2:3], s50, s50, v9
	v_rcp_f32_e32 v18, v16
	v_div_fmas_f32 v6, v6, v11, v17
	v_div_fixup_f32 v6, v6, s50, v8
	v_fma_f32 v11, -v16, v18, 1.0
	v_fmac_f32_e32 v18, v11, v18
	v_div_scale_f32 v11, vcc, v9, s50, v9
	v_mul_f32_e32 v17, v11, v18
	v_fma_f32 v19, -v16, v17, v11
	v_fmac_f32_e32 v17, v19, v18
	v_fma_f32 v11, -v16, v17, v11
	v_div_fmas_f32 v11, v11, v18, v17
	v_div_fixup_f32 v11, v11, s50, v9
	v_max_f32_e64 v18, |v6|, |v11|
	v_cvt_f64_f32_e32 v[16:17], v18
	v_frexp_exp_i32_f64_e32 v16, v[16:17]
	v_sub_u32_e32 v17, 0, v16
	v_ldexp_f32 v11, |v11|, v17
	v_ldexp_f32 v6, |v6|, v17
	v_mul_f32_e32 v11, v11, v11
	v_fmac_f32_e32 v11, v6, v6
	v_sqrt_f32_e32 v6, v11
	v_cmp_neq_f32_e32 vcc, s43, v18
	v_ldexp_f32 v6, v6, v16
	v_cndmask_b32_e32 v6, v37, v6, vcc
	v_cmp_gt_f32_e32 vcc, s47, v6
	v_cndmask_b32_e32 v11, 1.0, v35, vcc
	v_mul_f32_e32 v6, v6, v11
	v_log_f32_e32 v6, v6
	v_mul_f32_e32 v11, 0x3f317217, v6
	v_fma_f32 v16, v6, s48, -v11
	v_fmac_f32_e32 v16, 0x3377d1cf, v6
	v_add_f32_e32 v11, v11, v16
	v_cmp_lt_f32_e64 s[2:3], |v6|, s43
	v_cndmask_b32_e64 v6, v6, v11, s[2:3]
	v_cndmask_b32_e32 v11, 0, v36, vcc
	v_sub_f32_e32 v6, v6, v11
	v_max_f32_e64 v11, |v9|, |v9|
	v_max_f32_e64 v16, |v8|, |v8|
	v_min_f32_e32 v17, v16, v11
	v_max_f32_e32 v11, v16, v11
	v_frexp_mant_f32_e32 v16, v11
	v_rcp_f32_e32 v16, v16
	v_frexp_exp_i32_f32_e32 v11, v11
	v_frexp_exp_i32_f32_e32 v18, v17
	v_frexp_mant_f32_e32 v17, v17
	v_mul_f32_e32 v16, v17, v16
	v_sub_u32_e32 v11, v18, v11
	v_ldexp_f32 v11, v16, v11
	v_mul_f32_e32 v16, v11, v11
	v_mov_b32_e32 v17, 0xbc7a590c
	v_fmac_f32_e32 v17, 0x3b2d2a58, v16
	v_fma_f32 v17, v16, v17, v24
	v_fma_f32 v17, v16, v17, v25
	;; [unrolled: 1-line block ×6, first 2 shown]
	v_mul_f32_e32 v16, v16, v17
	v_fmac_f32_e32 v11, v11, v16
	v_sub_f32_e32 v16, 0x3fc90fdb, v11
	v_cndmask_b32_e64 v11, v11, v16, s[0:1]
	v_sub_f32_e32 v16, 0x40490fdb, v11
	v_cmp_gt_f32_e32 vcc, 0, v8
	v_cmp_gt_i32_e64 s[0:1], 0, v8
	v_cndmask_b32_e32 v11, v11, v16, vcc
	v_cndmask_b32_e64 v16, 0, v32, s[0:1]
	v_cmp_eq_f32_e64 s[0:1], 0, v9
	v_cndmask_b32_e64 v11, v11, v16, s[0:1]
	v_cmp_class_f32_e64 s[0:1], v8, s45
	v_cmp_class_f32_e64 s[2:3], v9, s45
	v_cndmask_b32_e32 v16, v33, v34, vcc
	s_and_b64 vcc, s[0:1], s[2:3]
	v_add_f32_e32 v6, 1.0, v6
	v_cndmask_b32_e32 v39, v11, v16, vcc
.LBB181_66:                             ;   in Loop: Header=BB181_5 Depth=1
	s_or_b64 exec, exec, s[20:21]
.LBB181_67:                             ;   in Loop: Header=BB181_5 Depth=1
	s_andn2_saveexec_b64 s[0:1], s[18:19]
	s_cbranch_execz .LBB181_73
; %bb.68:                               ;   in Loop: Header=BB181_5 Depth=1
	v_cmp_nlt_f32_e64 s[2:3], |v8|, s51
	v_cmp_nlt_f32_e64 s[18:19], |v9|, s51
	s_or_b64 s[2:3], s[2:3], s[18:19]
                                        ; implicit-def: $vgpr6
	s_and_saveexec_b64 s[18:19], s[2:3]
	s_xor_b64 s[2:3], exec, s[18:19]
; %bb.69:                               ;   in Loop: Header=BB181_5 Depth=1
	v_pk_mul_f32 v[16:17], v[8:9], v[8:9]
	v_add_f32_e32 v6, v16, v17
; %bb.70:                               ;   in Loop: Header=BB181_5 Depth=1
	s_andn2_saveexec_b64 s[2:3], s[2:3]
; %bb.71:                               ;   in Loop: Header=BB181_5 Depth=1
	v_pk_mul_f32 v[16:17], v[8:9], 4.0 op_sel_hi:[1,0]
	v_pk_mul_f32 v[16:17], v[16:17], v[16:17]
	v_add_f32_e32 v6, v16, v17
	v_mul_f32_e32 v6, 0x3d800000, v6
; %bb.72:                               ;   in Loop: Header=BB181_5 Depth=1
	s_or_b64 exec, exec, s[2:3]
	v_cmp_gt_f32_e32 vcc, s47, v6
	v_cndmask_b32_e32 v8, 1.0, v35, vcc
	v_mul_f32_e32 v6, v6, v8
	v_log_f32_e32 v6, v6
	v_cndmask_b32_e32 v8, 0, v36, vcc
	v_mov_b32_e32 v39, 0x7fc00000
	v_mul_f32_e32 v11, 0x3f317217, v6
	v_fma_f32 v16, v6, s48, -v11
	v_fmac_f32_e32 v16, 0x3377d1cf, v6
	v_add_f32_e32 v11, v11, v16
	v_cmp_lt_f32_e64 vcc, |v6|, s43
	v_cndmask_b32_e32 v6, v6, v11, vcc
	v_sub_f32_e32 v6, v6, v8
.LBB181_73:                             ;   in Loop: Header=BB181_5 Depth=1
	s_or_b64 exec, exec, s[0:1]
	s_waitcnt vmcnt(0)
	v_cmp_o_f32_e32 vcc, v3, v2
                                        ; implicit-def: $vgpr8
                                        ; implicit-def: $vgpr40
	s_and_saveexec_b64 s[0:1], vcc
	s_xor_b64 s[18:19], exec, s[0:1]
	s_cbranch_execz .LBB181_101
; %bb.74:                               ;   in Loop: Header=BB181_5 Depth=1
	v_cmp_lt_f32_e64 s[0:1], |v2|, |v3|
	v_cndmask_b32_e64 v11, v3, v2, s[0:1]
	v_cmp_ngt_f32_e64 s[2:3], |v11|, s35
                                        ; implicit-def: $vgpr8
                                        ; implicit-def: $vgpr40
	s_and_saveexec_b64 s[20:21], s[2:3]
	s_xor_b64 s[20:21], exec, s[20:21]
	s_cbranch_execz .LBB181_98
; %bb.75:                               ;   in Loop: Header=BB181_5 Depth=1
	v_cndmask_b32_e64 v8, v2, v3, s[0:1]
	v_and_b32_e32 v17, 0x7fffffff, v8
	v_and_b32_e32 v16, 0x7fffffff, v11
	v_cmp_neq_f32_e32 vcc, 1.0, v17
                                        ; implicit-def: $vgpr8
                                        ; implicit-def: $vgpr40
	s_and_saveexec_b64 s[2:3], vcc
	s_xor_b64 s[22:23], exec, s[2:3]
	s_cbranch_execz .LBB181_91
; %bb.76:                               ;   in Loop: Header=BB181_5 Depth=1
	v_max_f32_e32 v8, v16, v16
	v_max_f32_e32 v11, v17, v17
	v_min_f32_e32 v18, v11, v8
	v_max_f32_e32 v8, v11, v8
	v_cmp_ngt_f32_e32 vcc, s39, v18
	v_cmp_nlt_f32_e64 s[2:3], s40, v8
	s_and_b64 s[2:3], s[2:3], vcc
                                        ; implicit-def: $vgpr8
                                        ; implicit-def: $vgpr40
	s_and_saveexec_b64 s[24:25], s[2:3]
	s_xor_b64 s[24:25], exec, s[24:25]
	s_cbranch_execz .LBB181_88
; %bb.77:                               ;   in Loop: Header=BB181_5 Depth=1
	v_cmp_le_f32_e32 vcc, 1.0, v17
                                        ; implicit-def: $vgpr8
                                        ; implicit-def: $vgpr40
	s_and_saveexec_b64 s[2:3], vcc
	s_xor_b64 s[26:27], exec, s[2:3]
	s_cbranch_execz .LBB181_79
; %bb.78:                               ;   in Loop: Header=BB181_5 Depth=1
	v_pk_add_f32 v[18:19], v[16:17], s[14:15] op_sel:[1,0]
	v_mov_b32_e32 v8, v19
	v_pk_mul_f32 v[18:19], v[18:19], v[8:9]
	v_pk_fma_f32 v[16:17], v[16:17], v[16:17], v[18:19]
	v_add_f32_e32 v19, 1.0, v16
	v_add_f32_e32 v17, -1.0, v19
	v_mov_b32_e32 v18, v17
	v_pk_add_f32 v[20:21], v[16:17], v[18:19] neg_lo:[0,1] neg_hi:[0,1]
	v_add_f32_e32 v8, 1.0, v21
	v_add_f32_e32 v8, v20, v8
	v_frexp_mant_f32_e32 v11, v19
	v_cvt_f64_f32_e32 v[20:21], v19
	v_frexp_exp_i32_f64_e32 v17, v[20:21]
	v_cmp_gt_f32_e32 vcc, s41, v11
	v_subbrev_co_u32_e32 v17, vcc, 0, v17, vcc
	v_sub_u32_e32 v11, 0, v17
	v_ldexp_f32 v18, v19, v11
	v_ldexp_f32 v8, v8, v11
	v_add_f32_e32 v11, -1.0, v18
	v_add_f32_e32 v19, 1.0, v11
	v_sub_f32_e32 v19, v18, v19
	v_add_f32_e32 v20, v8, v19
	v_add_f32_e32 v19, 1.0, v18
	v_add_f32_e32 v21, -1.0, v19
	v_sub_f32_e32 v18, v18, v21
	v_add_f32_e32 v8, v8, v18
	v_add_f32_e32 v44, v19, v8
	v_rcp_f32_e32 v45, v44
	v_sub_f32_e32 v18, v44, v19
	v_add_f32_e32 v19, v11, v20
	v_sub_f32_e32 v11, v19, v11
	v_mul_f32_e32 v46, v19, v45
	v_sub_f32_e32 v11, v20, v11
	v_mul_f32_e32 v20, v44, v46
	v_sub_f32_e32 v8, v8, v18
	v_fma_f32 v40, v46, v44, -v20
	v_fmac_f32_e32 v40, v46, v8
	v_add_f32_e32 v18, v20, v40
	v_sub_f32_e32 v21, v19, v18
	v_pk_add_f32 v[42:43], v[18:19], v[20:21] neg_lo:[0,1] neg_hi:[0,1]
	v_mov_b32_e32 v41, v18
	v_pk_add_f32 v[18:19], v[42:43], v[40:41] neg_lo:[0,1] neg_hi:[0,1]
	v_add_f32_e32 v11, v11, v19
	v_add_f32_e32 v11, v18, v11
	;; [unrolled: 1-line block ×3, first 2 shown]
	v_mul_f32_e32 v47, v45, v19
	v_mul_f32_e32 v20, v44, v47
	v_fma_f32 v40, v47, v44, -v20
	v_fmac_f32_e32 v40, v47, v8
	v_add_f32_e32 v18, v20, v40
	v_sub_f32_e32 v8, v21, v19
	v_sub_f32_e32 v21, v19, v18
	v_pk_add_f32 v[42:43], v[18:19], v[20:21] neg_lo:[0,1] neg_hi:[0,1]
	v_mov_b32_e32 v41, v18
	v_add_f32_e32 v8, v11, v8
	v_pk_add_f32 v[18:19], v[42:43], v[40:41] neg_lo:[0,1] neg_hi:[0,1]
	v_add_f32_e32 v8, v8, v19
	v_add_f32_e32 v8, v18, v8
	;; [unrolled: 1-line block ×4, first 2 shown]
	v_sub_f32_e32 v11, v19, v46
	v_mul_f32_e32 v8, v45, v8
	v_sub_f32_e32 v11, v47, v11
	v_add_f32_e32 v8, v11, v8
	v_add_f32_e32 v20, v19, v8
	v_cvt_f32_i32_e32 v18, v17
	v_mul_f32_e32 v40, v20, v20
	v_mov_b32_e32 v11, 0x3ecc95a3
	v_fmac_f32_e32 v11, 0x3e9b6dac, v40
	v_fma_f32 v11, v40, v11, v23
	v_sub_f32_e32 v17, v20, v19
	v_mul_f32_e32 v19, v20, v40
	v_pk_mul_f32 v[40:41], v[18:19], v[10:11]
	v_ldexp_f32 v21, v20, 1
	v_fma_f32 v20, v18, s42, -v40
	v_fmac_f32_e32 v20, 0xb102e308, v18
	v_pk_add_f32 v[18:19], v[40:41], v[20:21]
	v_sub_f32_e32 v8, v8, v17
	v_sub_f32_e32 v11, v19, v21
	v_ldexp_f32 v8, v8, 1
	v_sub_f32_e32 v11, v41, v11
	v_add_f32_e32 v43, v8, v11
	v_mov_b32_e32 v42, v40
	v_pk_add_f32 v[40:41], v[18:19], v[40:41] neg_lo:[0,1] neg_hi:[0,1]
	v_pk_add_f32 v[44:45], v[18:19], v[42:43]
	v_mov_b32_e32 v41, v45
	v_mov_b32_e32 v21, v18
	v_pk_add_f32 v[46:47], v[20:21], v[40:41] neg_lo:[0,1] neg_hi:[0,1]
	v_pk_add_f32 v[20:21], v[20:21], v[40:41]
	v_mov_b32_e32 v8, v21
	v_pk_add_f32 v[40:41], v[8:9], v[18:19] neg_lo:[0,1] neg_hi:[0,1]
	v_mov_b32_e32 v11, v40
	v_pk_add_f32 v[48:49], v[44:45], v[10:11] neg_lo:[0,1] neg_hi:[0,1]
	v_mov_b32_e32 v20, v45
	v_mov_b32_e32 v44, v19
	;; [unrolled: 1-line block ×4, first 2 shown]
	v_pk_add_f32 v[20:21], v[20:21], v[44:45] neg_lo:[0,1] neg_hi:[0,1]
	v_mov_b32_e32 v40, v43
	v_mov_b32_e32 v41, v18
	v_pk_add_f32 v[18:19], v[40:41], v[20:21] neg_lo:[0,1] neg_hi:[0,1]
	v_mov_b32_e32 v48, v46
	v_pk_add_f32 v[20:21], v[48:49], v[18:19]
	v_mov_b32_e32 v40, v21
	v_pk_add_f32 v[40:41], v[20:21], v[40:41]
	v_pk_add_f32 v[42:43], v[8:9], v[40:41]
	v_mov_b32_e32 v21, v42
	v_pk_add_f32 v[44:45], v[20:21], v[46:47] neg_lo:[0,1] neg_hi:[0,1]
	v_mov_b32_e32 v19, v40
	v_sub_f32_e32 v8, v20, v44
	v_pk_add_f32 v[18:19], v[18:19], v[44:45] neg_lo:[0,1] neg_hi:[0,1]
	v_sub_f32_e32 v8, v46, v8
	v_add_f32_e32 v8, v18, v8
	v_add_f32_e32 v8, v8, v19
	;; [unrolled: 1-line block ×3, first 2 shown]
	v_cmp_eq_f32_e32 vcc, s43, v16
	v_cndmask_b32_e32 v8, v8, v16, vcc
	v_cmp_ngt_f32_e32 vcc, -1.0, v16
	v_cndmask_b32_e32 v8, v30, v8, vcc
	v_cmp_neq_f32_e32 vcc, -1.0, v16
	v_cndmask_b32_e32 v8, v31, v8, vcc
	v_cmp_lt_f32_e64 vcc, |v16|, s44
	v_cndmask_b32_e32 v8, v8, v16, vcc
	v_max_f32_e64 v11, |v3|, |v3|
	v_max_f32_e64 v16, |v2|, |v2|
	v_min_f32_e32 v17, v16, v11
	v_max_f32_e32 v11, v16, v11
	v_frexp_mant_f32_e32 v16, v11
	v_rcp_f32_e32 v16, v16
	v_frexp_exp_i32_f32_e32 v11, v11
	v_frexp_exp_i32_f32_e32 v18, v17
	v_frexp_mant_f32_e32 v17, v17
	v_mul_f32_e32 v16, v17, v16
	v_sub_u32_e32 v11, v18, v11
	v_ldexp_f32 v11, v16, v11
	v_mul_f32_e32 v16, v11, v11
	v_mov_b32_e32 v17, 0xbc7a590c
	v_fmac_f32_e32 v17, 0x3b2d2a58, v16
	v_fma_f32 v17, v16, v17, v24
	v_fma_f32 v17, v16, v17, v25
	;; [unrolled: 1-line block ×6, first 2 shown]
	v_mul_f32_e32 v16, v16, v17
	v_fmac_f32_e32 v11, v11, v16
	v_sub_f32_e32 v16, 0x3fc90fdb, v11
	v_cndmask_b32_e64 v11, v11, v16, s[0:1]
	v_sub_f32_e32 v16, 0x40490fdb, v11
	v_cmp_gt_f32_e32 vcc, 0, v2
	v_cmp_gt_i32_e64 s[2:3], 0, v2
	v_cndmask_b32_e32 v11, v11, v16, vcc
	v_cndmask_b32_e64 v16, 0, v32, s[2:3]
	v_cmp_eq_f32_e64 s[2:3], 0, v3
	v_cndmask_b32_e64 v11, v11, v16, s[2:3]
	v_cmp_class_f32_e64 s[2:3], v2, s45
	v_cmp_class_f32_e64 s[28:29], v3, s45
	v_cndmask_b32_e32 v16, v33, v34, vcc
	s_and_b64 vcc, s[2:3], s[28:29]
	v_mul_f32_e32 v8, 0.5, v8
	v_cndmask_b32_e32 v40, v11, v16, vcc
                                        ; implicit-def: $vgpr16_vgpr17
.LBB181_79:                             ;   in Loop: Header=BB181_5 Depth=1
	s_andn2_saveexec_b64 s[26:27], s[26:27]
	s_cbranch_execz .LBB181_87
; %bb.80:                               ;   in Loop: Header=BB181_5 Depth=1
	v_pk_mul_f32 v[18:19], v[16:17], v[16:17]
	v_add_f32_e32 v11, v19, v18
	v_cmp_ge_f32_e32 vcc, s46, v11
                                        ; implicit-def: $vgpr8
                                        ; implicit-def: $vgpr40
	s_and_saveexec_b64 s[2:3], vcc
	s_xor_b64 s[28:29], exec, s[2:3]
	s_cbranch_execz .LBB181_82
; %bb.81:                               ;   in Loop: Header=BB181_5 Depth=1
	v_cmp_gt_f32_e32 vcc, s47, v11
	v_cndmask_b32_e32 v8, 1.0, v35, vcc
	v_mul_f32_e32 v8, v11, v8
	v_log_f32_e32 v8, v8
	v_cndmask_b32_e32 v11, 0, v36, vcc
	v_cmp_gt_i32_e64 s[2:3], 0, v2
	v_cmp_class_f32_e64 s[30:31], v3, s45
	v_mul_f32_e32 v16, 0x3f317217, v8
	v_fma_f32 v17, v8, s48, -v16
	v_fmac_f32_e32 v17, 0x3377d1cf, v8
	v_add_f32_e32 v16, v16, v17
	v_cmp_lt_f32_e64 vcc, |v8|, s43
	v_cndmask_b32_e32 v8, v8, v16, vcc
	v_sub_f32_e32 v8, v8, v11
	v_max_f32_e64 v11, |v3|, |v3|
	v_max_f32_e64 v16, |v2|, |v2|
	v_min_f32_e32 v17, v16, v11
	v_max_f32_e32 v11, v16, v11
	v_frexp_mant_f32_e32 v16, v11
	v_rcp_f32_e32 v16, v16
	v_frexp_exp_i32_f32_e32 v11, v11
	v_frexp_exp_i32_f32_e32 v18, v17
	v_frexp_mant_f32_e32 v17, v17
	v_mul_f32_e32 v16, v17, v16
	v_sub_u32_e32 v11, v18, v11
	v_ldexp_f32 v11, v16, v11
	v_mul_f32_e32 v16, v11, v11
	v_mov_b32_e32 v17, 0xbc7a590c
	v_fmac_f32_e32 v17, 0x3b2d2a58, v16
	v_fma_f32 v17, v16, v17, v24
	v_fma_f32 v17, v16, v17, v25
	;; [unrolled: 1-line block ×6, first 2 shown]
	v_mul_f32_e32 v16, v16, v17
	v_fmac_f32_e32 v11, v11, v16
	v_sub_f32_e32 v16, 0x3fc90fdb, v11
	v_cndmask_b32_e64 v11, v11, v16, s[0:1]
	v_sub_f32_e32 v16, 0x40490fdb, v11
	v_cmp_gt_f32_e32 vcc, 0, v2
	v_cndmask_b32_e32 v11, v11, v16, vcc
	v_cndmask_b32_e64 v16, 0, v32, s[2:3]
	v_cmp_eq_f32_e64 s[2:3], 0, v3
	v_cndmask_b32_e64 v11, v11, v16, s[2:3]
	v_cmp_class_f32_e64 s[2:3], v2, s45
	v_cndmask_b32_e32 v16, v33, v34, vcc
	s_and_b64 vcc, s[2:3], s[30:31]
	v_mul_f32_e32 v8, 0.5, v8
	v_cndmask_b32_e32 v40, v11, v16, vcc
                                        ; implicit-def: $vgpr16_vgpr17
.LBB181_82:                             ;   in Loop: Header=BB181_5 Depth=1
	s_andn2_saveexec_b64 s[28:29], s[28:29]
	s_cbranch_execz .LBB181_86
; %bb.83:                               ;   in Loop: Header=BB181_5 Depth=1
	v_and_b32_e32 v19, 0x7fff0000, v16
	v_and_b32_e32 v18, 0x7fff0000, v17
	v_pk_add_f32 v[16:17], v[16:17], v[18:19] op_sel:[1,0] op_sel_hi:[0,1] neg_lo:[0,1] neg_hi:[0,1]
	v_and_b32_e32 v21, 0xffff0000, v17
	v_and_b32_e32 v20, 0xffff0000, v16
	v_add_f32_e32 v40, v18, v18
	v_pk_add_f32 v[44:45], v[16:17], v[20:21] neg_lo:[0,1] neg_hi:[0,1]
	v_pk_mul_f32 v[16:17], v[18:19], v[18:19]
	v_mul_f32_e32 v11, v40, v20
	v_add_f32_e32 v42, v19, v19
	v_pk_mul_f32 v[18:19], v[20:21], v[20:21]
	v_add_f32_e32 v20, v20, v20
	v_mul_f32_e32 v8, v42, v21
	v_mul_f32_e32 v41, v40, v44
	;; [unrolled: 1-line block ×4, first 2 shown]
	v_add_f32_e32 v20, v21, v21
	v_mul_f32_e32 v43, v20, v45
	v_pk_mul_f32 v[20:21], v[44:45], v[44:45]
	s_mov_b64 s[30:31], 0
.LBB181_84:                             ;   Parent Loop BB181_5 Depth=1
                                        ; =>  This Inner Loop Header: Depth=2
	v_cmp_nlt_f32_e32 vcc, v16, v17
	v_cndmask_b32_e32 v44, v16, v17, vcc
	v_cmp_nlt_f32_e64 s[2:3], v44, v11
	v_cndmask_b32_e64 v45, v44, v11, s[2:3]
	v_cndmask_b32_e32 v16, v17, v16, vcc
	s_and_b64 s[54:55], vcc, s[2:3]
	v_cmp_nlt_f32_e32 vcc, v45, v8
	v_cndmask_b32_e64 v17, v11, v44, s[2:3]
	v_cndmask_b32_e32 v44, v45, v8, vcc
	v_cmp_nlt_f32_e64 s[2:3], v44, v18
	v_cndmask_b32_e32 v11, v8, v45, vcc
	v_cndmask_b32_e64 v45, v44, v18, s[2:3]
	s_and_b64 s[56:57], vcc, s[2:3]
	v_cmp_nlt_f32_e32 vcc, v45, v19
	v_cndmask_b32_e64 v8, v18, v44, s[2:3]
	v_cndmask_b32_e32 v44, v45, v19, vcc
	v_cmp_nlt_f32_e64 s[2:3], v44, v41
	v_cndmask_b32_e32 v18, v19, v45, vcc
	v_cndmask_b32_e64 v45, v44, v41, s[2:3]
	v_cndmask_b32_e64 v19, v41, v44, s[2:3]
	s_and_b64 s[2:3], vcc, s[2:3]
	v_cmp_nlt_f32_e32 vcc, v45, v40
	v_cndmask_b32_e32 v44, v45, v40, vcc
	v_cndmask_b32_e32 v41, v40, v45, vcc
	s_and_b64 s[2:3], s[2:3], vcc
	v_cmp_nlt_f32_e32 vcc, v44, v42
	v_cndmask_b32_e32 v45, v44, v42, vcc
	v_cndmask_b32_e32 v40, v42, v44, vcc
	s_and_b64 s[2:3], s[2:3], vcc
	;; [unrolled: 4-line block ×4, first 2 shown]
	v_cmp_nlt_f32_e32 vcc, v45, v21
	s_and_b64 s[2:3], s[2:3], vcc
	s_and_b64 s[2:3], s[2:3], s[56:57]
	s_and_b64 s[2:3], s[2:3], s[54:55]
	s_and_b64 s[2:3], exec, s[2:3]
	v_cndmask_b32_e32 v20, v21, v45, vcc
	s_or_b64 s[30:31], s[2:3], s[30:31]
	v_cndmask_b32_e32 v21, v45, v21, vcc
	s_andn2_b64 exec, exec, s[30:31]
	s_cbranch_execnz .LBB181_84
; %bb.85:                               ;   in Loop: Header=BB181_5 Depth=1
	s_or_b64 exec, exec, s[30:31]
	v_add_f32_e32 v16, -1.0, v16
	v_add_f32_e32 v16, v16, v17
	v_add_f32_e32 v11, v16, v11
	;; [unrolled: 1-line block ×11, first 2 shown]
	v_add_f32_e32 v19, 1.0, v16
	v_add_f32_e32 v17, -1.0, v19
	v_mov_b32_e32 v18, v17
	v_pk_add_f32 v[20:21], v[16:17], v[18:19] neg_lo:[0,1] neg_hi:[0,1]
	v_add_f32_e32 v8, 1.0, v21
	v_add_f32_e32 v8, v20, v8
	v_frexp_mant_f32_e32 v11, v19
	v_cvt_f64_f32_e32 v[20:21], v19
	v_frexp_exp_i32_f64_e32 v17, v[20:21]
	v_cmp_gt_f32_e32 vcc, s41, v11
	v_subbrev_co_u32_e32 v17, vcc, 0, v17, vcc
	v_sub_u32_e32 v11, 0, v17
	v_ldexp_f32 v18, v19, v11
	v_ldexp_f32 v8, v8, v11
	v_add_f32_e32 v11, -1.0, v18
	v_add_f32_e32 v19, 1.0, v11
	v_sub_f32_e32 v19, v18, v19
	v_add_f32_e32 v20, v8, v19
	v_add_f32_e32 v19, 1.0, v18
	v_add_f32_e32 v21, -1.0, v19
	v_sub_f32_e32 v18, v18, v21
	v_add_f32_e32 v8, v8, v18
	v_add_f32_e32 v44, v19, v8
	v_rcp_f32_e32 v45, v44
	v_sub_f32_e32 v18, v44, v19
	v_add_f32_e32 v19, v11, v20
	v_sub_f32_e32 v11, v19, v11
	v_mul_f32_e32 v46, v19, v45
	v_sub_f32_e32 v11, v20, v11
	v_mul_f32_e32 v20, v44, v46
	v_sub_f32_e32 v8, v8, v18
	v_fma_f32 v40, v46, v44, -v20
	v_fmac_f32_e32 v40, v46, v8
	v_add_f32_e32 v18, v20, v40
	v_sub_f32_e32 v21, v19, v18
	v_pk_add_f32 v[42:43], v[18:19], v[20:21] neg_lo:[0,1] neg_hi:[0,1]
	v_mov_b32_e32 v41, v18
	v_pk_add_f32 v[18:19], v[42:43], v[40:41] neg_lo:[0,1] neg_hi:[0,1]
	v_add_f32_e32 v11, v11, v19
	v_add_f32_e32 v11, v18, v11
	;; [unrolled: 1-line block ×3, first 2 shown]
	v_mul_f32_e32 v47, v45, v19
	v_mul_f32_e32 v20, v44, v47
	v_fma_f32 v40, v47, v44, -v20
	v_fmac_f32_e32 v40, v47, v8
	v_add_f32_e32 v18, v20, v40
	v_sub_f32_e32 v8, v21, v19
	v_sub_f32_e32 v21, v19, v18
	v_pk_add_f32 v[42:43], v[18:19], v[20:21] neg_lo:[0,1] neg_hi:[0,1]
	v_mov_b32_e32 v41, v18
	v_add_f32_e32 v8, v11, v8
	v_pk_add_f32 v[18:19], v[42:43], v[40:41] neg_lo:[0,1] neg_hi:[0,1]
	v_add_f32_e32 v8, v8, v19
	v_add_f32_e32 v8, v18, v8
	;; [unrolled: 1-line block ×4, first 2 shown]
	v_sub_f32_e32 v11, v19, v46
	v_mul_f32_e32 v8, v45, v8
	v_sub_f32_e32 v11, v47, v11
	v_add_f32_e32 v8, v11, v8
	v_add_f32_e32 v20, v19, v8
	v_cvt_f32_i32_e32 v18, v17
	v_mul_f32_e32 v40, v20, v20
	v_mov_b32_e32 v11, 0x3ecc95a3
	v_fmac_f32_e32 v11, 0x3e9b6dac, v40
	v_fma_f32 v11, v40, v11, v23
	v_sub_f32_e32 v17, v20, v19
	v_mul_f32_e32 v19, v20, v40
	v_pk_mul_f32 v[40:41], v[18:19], v[10:11]
	v_ldexp_f32 v21, v20, 1
	v_fma_f32 v20, v18, s42, -v40
	v_fmac_f32_e32 v20, 0xb102e308, v18
	v_pk_add_f32 v[18:19], v[40:41], v[20:21]
	v_sub_f32_e32 v8, v8, v17
	v_sub_f32_e32 v11, v19, v21
	v_ldexp_f32 v8, v8, 1
	v_sub_f32_e32 v11, v41, v11
	v_add_f32_e32 v43, v8, v11
	v_mov_b32_e32 v42, v40
	v_pk_add_f32 v[40:41], v[18:19], v[40:41] neg_lo:[0,1] neg_hi:[0,1]
	v_pk_add_f32 v[44:45], v[18:19], v[42:43]
	v_mov_b32_e32 v41, v45
	v_mov_b32_e32 v21, v18
	v_pk_add_f32 v[46:47], v[20:21], v[40:41] neg_lo:[0,1] neg_hi:[0,1]
	v_pk_add_f32 v[20:21], v[20:21], v[40:41]
	v_mov_b32_e32 v8, v21
	v_pk_add_f32 v[40:41], v[8:9], v[18:19] neg_lo:[0,1] neg_hi:[0,1]
	v_mov_b32_e32 v11, v40
	v_pk_add_f32 v[48:49], v[44:45], v[10:11] neg_lo:[0,1] neg_hi:[0,1]
	v_mov_b32_e32 v20, v45
	v_mov_b32_e32 v44, v19
	;; [unrolled: 1-line block ×4, first 2 shown]
	v_pk_add_f32 v[20:21], v[20:21], v[44:45] neg_lo:[0,1] neg_hi:[0,1]
	v_mov_b32_e32 v40, v43
	v_mov_b32_e32 v41, v18
	v_pk_add_f32 v[18:19], v[40:41], v[20:21] neg_lo:[0,1] neg_hi:[0,1]
	v_mov_b32_e32 v48, v46
	v_pk_add_f32 v[20:21], v[48:49], v[18:19]
	v_mov_b32_e32 v40, v21
	v_pk_add_f32 v[40:41], v[20:21], v[40:41]
	v_pk_add_f32 v[42:43], v[8:9], v[40:41]
	v_mov_b32_e32 v21, v42
	v_pk_add_f32 v[44:45], v[20:21], v[46:47] neg_lo:[0,1] neg_hi:[0,1]
	v_mov_b32_e32 v19, v40
	v_sub_f32_e32 v8, v20, v44
	v_pk_add_f32 v[18:19], v[18:19], v[44:45] neg_lo:[0,1] neg_hi:[0,1]
	v_sub_f32_e32 v8, v46, v8
	v_add_f32_e32 v8, v18, v8
	v_add_f32_e32 v8, v8, v19
	;; [unrolled: 1-line block ×3, first 2 shown]
	v_cmp_eq_f32_e32 vcc, s43, v16
	v_cndmask_b32_e32 v8, v8, v16, vcc
	v_cmp_ngt_f32_e32 vcc, -1.0, v16
	v_cndmask_b32_e32 v8, v30, v8, vcc
	v_cmp_neq_f32_e32 vcc, -1.0, v16
	v_cndmask_b32_e32 v8, v31, v8, vcc
	v_cmp_lt_f32_e64 vcc, |v16|, s44
	v_cndmask_b32_e32 v8, v8, v16, vcc
	v_max_f32_e64 v11, |v3|, |v3|
	v_max_f32_e64 v16, |v2|, |v2|
	v_min_f32_e32 v17, v16, v11
	v_max_f32_e32 v11, v16, v11
	v_frexp_mant_f32_e32 v16, v11
	v_rcp_f32_e32 v16, v16
	v_frexp_exp_i32_f32_e32 v11, v11
	v_frexp_exp_i32_f32_e32 v18, v17
	v_frexp_mant_f32_e32 v17, v17
	v_mul_f32_e32 v16, v17, v16
	v_sub_u32_e32 v11, v18, v11
	v_ldexp_f32 v11, v16, v11
	v_mul_f32_e32 v16, v11, v11
	v_mov_b32_e32 v17, 0xbc7a590c
	v_fmac_f32_e32 v17, 0x3b2d2a58, v16
	v_fma_f32 v17, v16, v17, v24
	v_fma_f32 v17, v16, v17, v25
	;; [unrolled: 1-line block ×6, first 2 shown]
	v_mul_f32_e32 v16, v16, v17
	v_fmac_f32_e32 v11, v11, v16
	v_sub_f32_e32 v16, 0x3fc90fdb, v11
	v_cndmask_b32_e64 v11, v11, v16, s[0:1]
	v_sub_f32_e32 v16, 0x40490fdb, v11
	v_cmp_gt_f32_e32 vcc, 0, v2
	v_cmp_gt_i32_e64 s[2:3], 0, v2
	v_cndmask_b32_e32 v11, v11, v16, vcc
	v_cndmask_b32_e64 v16, 0, v32, s[2:3]
	v_cmp_eq_f32_e64 s[2:3], 0, v3
	v_cndmask_b32_e64 v11, v11, v16, s[2:3]
	v_cmp_class_f32_e64 s[2:3], v2, s45
	v_cmp_class_f32_e64 s[30:31], v3, s45
	v_cndmask_b32_e32 v16, v33, v34, vcc
	s_and_b64 vcc, s[2:3], s[30:31]
	v_mul_f32_e32 v8, 0.5, v8
	v_cndmask_b32_e32 v40, v11, v16, vcc
.LBB181_86:                             ;   in Loop: Header=BB181_5 Depth=1
	s_or_b64 exec, exec, s[28:29]
.LBB181_87:                             ;   in Loop: Header=BB181_5 Depth=1
	s_or_b64 exec, exec, s[26:27]
.LBB181_88:                             ;   in Loop: Header=BB181_5 Depth=1
	s_andn2_saveexec_b64 s[24:25], s[24:25]
	s_cbranch_execz .LBB181_90
; %bb.89:                               ;   in Loop: Header=BB181_5 Depth=1
	v_max_f32_e64 v11, |v3|, |v3|
	v_max_f32_e64 v18, |v2|, |v2|
	v_max_f32_e32 v19, v18, v11
	v_cvt_f64_f32_e32 v[16:17], v19
	v_frexp_exp_i32_f64_e32 v8, v[16:17]
	v_sub_u32_e32 v16, 0, v8
	v_ldexp_f32 v17, |v2|, v16
	v_ldexp_f32 v16, |v3|, v16
	v_mul_f32_e32 v16, v16, v16
	v_fmac_f32_e32 v16, v17, v17
	v_sqrt_f32_e32 v16, v16
	v_cmp_neq_f32_e32 vcc, s43, v19
	v_min_f32_e32 v11, v18, v11
	v_frexp_exp_i32_f32_e32 v18, v11
	v_ldexp_f32 v8, v16, v8
	v_cndmask_b32_e32 v8, v37, v8, vcc
	v_cmp_gt_f32_e32 vcc, s47, v8
	v_cndmask_b32_e32 v16, 1.0, v35, vcc
	v_mul_f32_e32 v8, v8, v16
	v_log_f32_e32 v8, v8
	v_cndmask_b32_e32 v16, 0, v36, vcc
	v_frexp_mant_f32_e32 v11, v11
	v_cmp_gt_i32_e64 s[2:3], 0, v2
	v_mul_f32_e32 v17, 0x3f317217, v8
	v_fma_f32 v20, v8, s48, -v17
	v_fmac_f32_e32 v20, 0x3377d1cf, v8
	v_add_f32_e32 v17, v17, v20
	v_cmp_lt_f32_e64 vcc, |v8|, s43
	v_cndmask_b32_e32 v8, v8, v17, vcc
	v_sub_f32_e32 v8, v8, v16
	v_frexp_mant_f32_e32 v16, v19
	v_rcp_f32_e32 v16, v16
	v_frexp_exp_i32_f32_e32 v17, v19
	v_cmp_gt_f32_e32 vcc, 0, v2
	v_cmp_class_f32_e64 s[26:27], v3, s45
	v_mul_f32_e32 v11, v11, v16
	v_sub_u32_e32 v16, v18, v17
	v_ldexp_f32 v11, v11, v16
	v_mul_f32_e32 v16, v11, v11
	v_mov_b32_e32 v17, 0xbc7a590c
	v_fmac_f32_e32 v17, 0x3b2d2a58, v16
	v_fma_f32 v17, v16, v17, v24
	v_fma_f32 v17, v16, v17, v25
	;; [unrolled: 1-line block ×6, first 2 shown]
	v_mul_f32_e32 v16, v16, v17
	v_fmac_f32_e32 v11, v11, v16
	v_sub_f32_e32 v16, 0x3fc90fdb, v11
	v_cndmask_b32_e64 v11, v11, v16, s[0:1]
	v_sub_f32_e32 v16, 0x40490fdb, v11
	v_cndmask_b32_e32 v11, v11, v16, vcc
	v_cndmask_b32_e64 v16, 0, v32, s[2:3]
	v_cmp_eq_f32_e64 s[2:3], 0, v3
	v_cndmask_b32_e64 v11, v11, v16, s[2:3]
	v_cmp_class_f32_e64 s[2:3], v2, s45
	v_cndmask_b32_e32 v16, v33, v34, vcc
	s_and_b64 vcc, s[2:3], s[26:27]
	v_cndmask_b32_e32 v40, v11, v16, vcc
.LBB181_90:                             ;   in Loop: Header=BB181_5 Depth=1
	s_or_b64 exec, exec, s[24:25]
                                        ; implicit-def: $vgpr16
.LBB181_91:                             ;   in Loop: Header=BB181_5 Depth=1
	s_andn2_saveexec_b64 s[22:23], s[22:23]
	s_cbranch_execz .LBB181_97
; %bb.92:                               ;   in Loop: Header=BB181_5 Depth=1
	v_cmp_ngt_f32_e32 vcc, s49, v16
                                        ; implicit-def: $vgpr8
                                        ; implicit-def: $vgpr40
	s_and_saveexec_b64 s[2:3], vcc
	s_xor_b64 s[24:25], exec, s[2:3]
	s_cbranch_execz .LBB181_94
; %bb.93:                               ;   in Loop: Header=BB181_5 Depth=1
	v_pk_mul_f32 v[16:17], v[16:17], v[16:17]
	v_add_f32_e32 v19, 1.0, v16
	v_add_f32_e32 v17, -1.0, v19
	v_mov_b32_e32 v18, v17
	v_pk_add_f32 v[20:21], v[16:17], v[18:19] neg_lo:[0,1] neg_hi:[0,1]
	v_add_f32_e32 v8, 1.0, v21
	v_add_f32_e32 v8, v20, v8
	v_frexp_mant_f32_e32 v11, v19
	v_cvt_f64_f32_e32 v[20:21], v19
	v_frexp_exp_i32_f64_e32 v17, v[20:21]
	v_cmp_gt_f32_e32 vcc, s41, v11
	v_subbrev_co_u32_e32 v17, vcc, 0, v17, vcc
	v_sub_u32_e32 v11, 0, v17
	v_ldexp_f32 v18, v19, v11
	v_ldexp_f32 v8, v8, v11
	v_add_f32_e32 v11, -1.0, v18
	v_add_f32_e32 v19, 1.0, v11
	v_sub_f32_e32 v19, v18, v19
	v_add_f32_e32 v20, v8, v19
	v_add_f32_e32 v19, 1.0, v18
	v_add_f32_e32 v21, -1.0, v19
	v_sub_f32_e32 v18, v18, v21
	v_add_f32_e32 v8, v8, v18
	v_add_f32_e32 v44, v19, v8
	v_rcp_f32_e32 v45, v44
	v_sub_f32_e32 v18, v19, v44
	v_add_f32_e32 v19, v11, v20
	v_sub_f32_e32 v11, v11, v19
	v_mul_f32_e32 v46, v19, v45
	v_add_f32_e32 v11, v20, v11
	v_mul_f32_e32 v20, v44, v46
	v_add_f32_e32 v8, v8, v18
	v_fma_f32 v40, v46, v44, -v20
	v_fmac_f32_e32 v40, v46, v8
	v_add_f32_e32 v18, v20, v40
	v_sub_f32_e32 v21, v19, v18
	v_pk_add_f32 v[42:43], v[18:19], v[20:21] neg_lo:[0,1] neg_hi:[0,1]
	v_mov_b32_e32 v41, v18
	v_pk_add_f32 v[18:19], v[42:43], v[40:41] neg_lo:[0,1] neg_hi:[0,1]
	v_add_f32_e32 v11, v11, v19
	v_add_f32_e32 v11, v18, v11
	;; [unrolled: 1-line block ×3, first 2 shown]
	v_mul_f32_e32 v47, v45, v19
	v_mul_f32_e32 v20, v44, v47
	v_fma_f32 v40, v47, v44, -v20
	v_fmac_f32_e32 v40, v47, v8
	v_add_f32_e32 v18, v20, v40
	v_sub_f32_e32 v8, v21, v19
	v_sub_f32_e32 v21, v19, v18
	v_pk_add_f32 v[42:43], v[18:19], v[20:21] neg_lo:[0,1] neg_hi:[0,1]
	v_mov_b32_e32 v41, v18
	v_add_f32_e32 v8, v11, v8
	v_pk_add_f32 v[18:19], v[42:43], v[40:41] neg_lo:[0,1] neg_hi:[0,1]
	v_add_f32_e32 v8, v8, v19
	v_add_f32_e32 v8, v18, v8
	;; [unrolled: 1-line block ×4, first 2 shown]
	v_sub_f32_e32 v11, v19, v46
	v_mul_f32_e32 v8, v45, v8
	v_sub_f32_e32 v11, v47, v11
	v_add_f32_e32 v8, v11, v8
	v_add_f32_e32 v20, v19, v8
	v_cvt_f32_i32_e32 v18, v17
	v_mul_f32_e32 v40, v20, v20
	v_mov_b32_e32 v11, 0x3ecc95a3
	v_fmac_f32_e32 v11, 0x3e9b6dac, v40
	v_fma_f32 v11, v40, v11, v23
	v_sub_f32_e32 v17, v20, v19
	v_mul_f32_e32 v19, v20, v40
	v_pk_mul_f32 v[40:41], v[18:19], v[10:11]
	v_ldexp_f32 v21, v20, 1
	v_fma_f32 v20, v18, s42, -v40
	v_fmac_f32_e32 v20, 0xb102e308, v18
	v_pk_add_f32 v[18:19], v[40:41], v[20:21]
	v_sub_f32_e32 v8, v8, v17
	v_sub_f32_e32 v11, v19, v21
	v_ldexp_f32 v8, v8, 1
	v_sub_f32_e32 v11, v41, v11
	v_add_f32_e32 v43, v8, v11
	v_mov_b32_e32 v42, v40
	v_pk_add_f32 v[40:41], v[18:19], v[40:41] neg_lo:[0,1] neg_hi:[0,1]
	v_pk_add_f32 v[44:45], v[18:19], v[42:43]
	v_mov_b32_e32 v41, v45
	v_mov_b32_e32 v21, v18
	v_pk_add_f32 v[46:47], v[20:21], v[40:41] neg_lo:[0,1] neg_hi:[0,1]
	v_pk_add_f32 v[20:21], v[20:21], v[40:41]
	v_mov_b32_e32 v8, v21
	v_pk_add_f32 v[40:41], v[8:9], v[18:19] neg_lo:[0,1] neg_hi:[0,1]
	v_mov_b32_e32 v11, v40
	v_pk_add_f32 v[48:49], v[44:45], v[10:11] neg_lo:[0,1] neg_hi:[0,1]
	v_mov_b32_e32 v20, v45
	v_mov_b32_e32 v44, v19
	;; [unrolled: 1-line block ×4, first 2 shown]
	v_pk_add_f32 v[20:21], v[20:21], v[44:45] neg_lo:[0,1] neg_hi:[0,1]
	v_mov_b32_e32 v40, v43
	v_mov_b32_e32 v41, v18
	v_pk_add_f32 v[18:19], v[40:41], v[20:21] neg_lo:[0,1] neg_hi:[0,1]
	v_mov_b32_e32 v48, v46
	v_pk_add_f32 v[20:21], v[48:49], v[18:19]
	v_mov_b32_e32 v40, v21
	v_pk_add_f32 v[40:41], v[20:21], v[40:41]
	v_pk_add_f32 v[42:43], v[8:9], v[40:41]
	v_mov_b32_e32 v21, v42
	v_pk_add_f32 v[44:45], v[20:21], v[46:47] neg_lo:[0,1] neg_hi:[0,1]
	v_mov_b32_e32 v19, v40
	v_sub_f32_e32 v8, v20, v44
	v_pk_add_f32 v[18:19], v[18:19], v[44:45] neg_lo:[0,1] neg_hi:[0,1]
	v_sub_f32_e32 v8, v46, v8
	v_add_f32_e32 v8, v18, v8
	v_add_f32_e32 v8, v8, v19
	v_cmp_eq_f32_e32 vcc, s43, v16
	v_cmp_lt_f32_e64 s[2:3], |v16|, s44
	v_add_f32_e32 v8, v42, v8
	s_or_b64 vcc, vcc, s[2:3]
	v_cndmask_b32_e32 v8, v8, v16, vcc
	v_max_f32_e64 v11, |v3|, |v3|
	v_max_f32_e64 v16, |v2|, |v2|
	v_min_f32_e32 v17, v16, v11
	v_max_f32_e32 v11, v16, v11
	v_frexp_mant_f32_e32 v16, v11
	v_rcp_f32_e32 v16, v16
	v_frexp_exp_i32_f32_e32 v11, v11
	v_frexp_exp_i32_f32_e32 v18, v17
	v_frexp_mant_f32_e32 v17, v17
	v_mul_f32_e32 v16, v17, v16
	v_sub_u32_e32 v11, v18, v11
	v_ldexp_f32 v11, v16, v11
	v_mul_f32_e32 v16, v11, v11
	v_mov_b32_e32 v17, 0xbc7a590c
	v_fmac_f32_e32 v17, 0x3b2d2a58, v16
	v_fma_f32 v17, v16, v17, v24
	v_fma_f32 v17, v16, v17, v25
	v_fma_f32 v17, v16, v17, v26
	v_fma_f32 v17, v16, v17, v27
	v_fma_f32 v17, v16, v17, v28
	v_fma_f32 v17, v16, v17, v29
	v_mul_f32_e32 v16, v16, v17
	v_fmac_f32_e32 v11, v11, v16
	v_sub_f32_e32 v16, 0x3fc90fdb, v11
	v_cndmask_b32_e64 v11, v11, v16, s[0:1]
	v_sub_f32_e32 v16, 0x40490fdb, v11
	v_cmp_gt_f32_e32 vcc, 0, v2
	v_cmp_gt_i32_e64 s[2:3], 0, v2
	v_cndmask_b32_e32 v11, v11, v16, vcc
	v_cndmask_b32_e64 v16, 0, v32, s[2:3]
	v_cmp_eq_f32_e64 s[2:3], 0, v3
	v_cndmask_b32_e64 v11, v11, v16, s[2:3]
	v_cmp_class_f32_e64 s[2:3], v2, s45
	v_cmp_class_f32_e64 s[26:27], v3, s45
	v_cndmask_b32_e32 v16, v33, v34, vcc
	s_and_b64 vcc, s[2:3], s[26:27]
	v_mul_f32_e32 v8, 0.5, v8
	v_cndmask_b32_e32 v40, v11, v16, vcc
                                        ; implicit-def: $vgpr16
.LBB181_94:                             ;   in Loop: Header=BB181_5 Depth=1
	s_andn2_saveexec_b64 s[24:25], s[24:25]
	s_cbranch_execz .LBB181_96
; %bb.95:                               ;   in Loop: Header=BB181_5 Depth=1
	v_mul_f32_e32 v8, 0.5, v16
	v_mul_f32_e32 v8, v16, v8
	v_max_f32_e64 v11, |v3|, |v3|
	v_max_f32_e64 v16, |v2|, |v2|
	v_min_f32_e32 v17, v16, v11
	v_max_f32_e32 v11, v16, v11
	v_frexp_mant_f32_e32 v16, v11
	v_rcp_f32_e32 v16, v16
	v_frexp_exp_i32_f32_e32 v11, v11
	v_frexp_exp_i32_f32_e32 v18, v17
	v_frexp_mant_f32_e32 v17, v17
	v_mul_f32_e32 v16, v17, v16
	v_sub_u32_e32 v11, v18, v11
	v_ldexp_f32 v11, v16, v11
	v_mul_f32_e32 v16, v11, v11
	v_mov_b32_e32 v17, 0xbc7a590c
	v_fmac_f32_e32 v17, 0x3b2d2a58, v16
	v_fma_f32 v17, v16, v17, v24
	v_fma_f32 v17, v16, v17, v25
	;; [unrolled: 1-line block ×6, first 2 shown]
	v_mul_f32_e32 v16, v16, v17
	v_fmac_f32_e32 v11, v11, v16
	v_sub_f32_e32 v16, 0x3fc90fdb, v11
	v_cndmask_b32_e64 v11, v11, v16, s[0:1]
	v_sub_f32_e32 v16, 0x40490fdb, v11
	v_cmp_gt_f32_e32 vcc, 0, v2
	v_cmp_gt_i32_e64 s[2:3], 0, v2
	v_cndmask_b32_e32 v11, v11, v16, vcc
	v_cndmask_b32_e64 v16, 0, v32, s[2:3]
	v_cmp_eq_f32_e64 s[2:3], 0, v3
	v_cndmask_b32_e64 v11, v11, v16, s[2:3]
	v_cmp_class_f32_e64 s[2:3], v2, s45
	v_cmp_class_f32_e64 s[26:27], v3, s45
	v_cndmask_b32_e32 v16, v33, v34, vcc
	s_and_b64 vcc, s[2:3], s[26:27]
	v_cndmask_b32_e32 v40, v11, v16, vcc
.LBB181_96:                             ;   in Loop: Header=BB181_5 Depth=1
	s_or_b64 exec, exec, s[24:25]
.LBB181_97:                             ;   in Loop: Header=BB181_5 Depth=1
	s_or_b64 exec, exec, s[22:23]
.LBB181_98:                             ;   in Loop: Header=BB181_5 Depth=1
	s_andn2_saveexec_b64 s[20:21], s[20:21]
	s_cbranch_execz .LBB181_100
; %bb.99:                               ;   in Loop: Header=BB181_5 Depth=1
	v_div_scale_f32 v8, s[2:3], s50, s50, v2
	v_rcp_f32_e32 v11, v8
	v_div_scale_f32 v16, vcc, v2, s50, v2
	v_fma_f32 v17, -v8, v11, 1.0
	v_fmac_f32_e32 v11, v17, v11
	v_mul_f32_e32 v17, v16, v11
	v_fma_f32 v18, -v8, v17, v16
	v_fmac_f32_e32 v17, v18, v11
	v_fma_f32 v8, -v8, v17, v16
	v_div_scale_f32 v16, s[2:3], s50, s50, v3
	v_rcp_f32_e32 v18, v16
	v_div_fmas_f32 v8, v8, v11, v17
	v_div_fixup_f32 v8, v8, s50, v2
	v_fma_f32 v11, -v16, v18, 1.0
	v_fmac_f32_e32 v18, v11, v18
	v_div_scale_f32 v11, vcc, v3, s50, v3
	v_mul_f32_e32 v17, v11, v18
	v_fma_f32 v19, -v16, v17, v11
	v_fmac_f32_e32 v17, v19, v18
	v_fma_f32 v11, -v16, v17, v11
	v_div_fmas_f32 v11, v11, v18, v17
	v_div_fixup_f32 v11, v11, s50, v3
	v_max_f32_e64 v18, |v8|, |v11|
	v_cvt_f64_f32_e32 v[16:17], v18
	v_frexp_exp_i32_f64_e32 v16, v[16:17]
	v_sub_u32_e32 v17, 0, v16
	v_ldexp_f32 v11, |v11|, v17
	v_ldexp_f32 v8, |v8|, v17
	v_mul_f32_e32 v11, v11, v11
	v_fmac_f32_e32 v11, v8, v8
	v_sqrt_f32_e32 v8, v11
	v_cmp_neq_f32_e32 vcc, s43, v18
	v_ldexp_f32 v8, v8, v16
	v_cndmask_b32_e32 v8, v37, v8, vcc
	v_cmp_gt_f32_e32 vcc, s47, v8
	v_cndmask_b32_e32 v11, 1.0, v35, vcc
	v_mul_f32_e32 v8, v8, v11
	v_log_f32_e32 v8, v8
	v_mul_f32_e32 v11, 0x3f317217, v8
	v_fma_f32 v16, v8, s48, -v11
	v_fmac_f32_e32 v16, 0x3377d1cf, v8
	v_add_f32_e32 v11, v11, v16
	v_cmp_lt_f32_e64 s[2:3], |v8|, s43
	v_cndmask_b32_e64 v8, v8, v11, s[2:3]
	v_cndmask_b32_e32 v11, 0, v36, vcc
	v_sub_f32_e32 v8, v8, v11
	v_max_f32_e64 v11, |v3|, |v3|
	v_max_f32_e64 v16, |v2|, |v2|
	v_min_f32_e32 v17, v16, v11
	v_max_f32_e32 v11, v16, v11
	v_frexp_mant_f32_e32 v16, v11
	v_rcp_f32_e32 v16, v16
	v_frexp_exp_i32_f32_e32 v11, v11
	v_frexp_exp_i32_f32_e32 v18, v17
	v_frexp_mant_f32_e32 v17, v17
	v_mul_f32_e32 v16, v17, v16
	v_sub_u32_e32 v11, v18, v11
	v_ldexp_f32 v11, v16, v11
	v_mul_f32_e32 v16, v11, v11
	v_mov_b32_e32 v17, 0xbc7a590c
	v_fmac_f32_e32 v17, 0x3b2d2a58, v16
	v_fma_f32 v17, v16, v17, v24
	v_fma_f32 v17, v16, v17, v25
	v_fma_f32 v17, v16, v17, v26
	v_fma_f32 v17, v16, v17, v27
	v_fma_f32 v17, v16, v17, v28
	v_fma_f32 v17, v16, v17, v29
	v_mul_f32_e32 v16, v16, v17
	v_fmac_f32_e32 v11, v11, v16
	v_sub_f32_e32 v16, 0x3fc90fdb, v11
	v_cndmask_b32_e64 v11, v11, v16, s[0:1]
	v_sub_f32_e32 v16, 0x40490fdb, v11
	v_cmp_gt_f32_e32 vcc, 0, v2
	v_cmp_gt_i32_e64 s[0:1], 0, v2
	v_cndmask_b32_e32 v11, v11, v16, vcc
	v_cndmask_b32_e64 v16, 0, v32, s[0:1]
	v_cmp_eq_f32_e64 s[0:1], 0, v3
	v_cndmask_b32_e64 v11, v11, v16, s[0:1]
	v_cmp_class_f32_e64 s[0:1], v2, s45
	v_cmp_class_f32_e64 s[2:3], v3, s45
	v_cndmask_b32_e32 v16, v33, v34, vcc
	s_and_b64 vcc, s[0:1], s[2:3]
	v_add_f32_e32 v8, 1.0, v8
	v_cndmask_b32_e32 v40, v11, v16, vcc
.LBB181_100:                            ;   in Loop: Header=BB181_5 Depth=1
	s_or_b64 exec, exec, s[20:21]
.LBB181_101:                            ;   in Loop: Header=BB181_5 Depth=1
	s_andn2_saveexec_b64 s[0:1], s[18:19]
	s_cbranch_execz .LBB181_107
; %bb.102:                              ;   in Loop: Header=BB181_5 Depth=1
	v_cmp_nlt_f32_e64 s[2:3], |v2|, s51
	v_cmp_nlt_f32_e64 s[18:19], |v3|, s51
	s_or_b64 s[2:3], s[2:3], s[18:19]
                                        ; implicit-def: $vgpr8
	s_and_saveexec_b64 s[18:19], s[2:3]
	s_xor_b64 s[2:3], exec, s[18:19]
; %bb.103:                              ;   in Loop: Header=BB181_5 Depth=1
	v_pk_mul_f32 v[16:17], v[2:3], v[2:3]
	v_add_f32_e32 v8, v16, v17
; %bb.104:                              ;   in Loop: Header=BB181_5 Depth=1
	s_andn2_saveexec_b64 s[2:3], s[2:3]
; %bb.105:                              ;   in Loop: Header=BB181_5 Depth=1
	v_pk_mul_f32 v[16:17], v[2:3], 4.0 op_sel_hi:[1,0]
	v_pk_mul_f32 v[16:17], v[16:17], v[16:17]
	v_add_f32_e32 v2, v16, v17
	v_mul_f32_e32 v8, 0x3d800000, v2
; %bb.106:                              ;   in Loop: Header=BB181_5 Depth=1
	s_or_b64 exec, exec, s[2:3]
	v_cmp_gt_f32_e32 vcc, s47, v8
	v_cndmask_b32_e32 v2, 1.0, v35, vcc
	v_mul_f32_e32 v2, v8, v2
	v_log_f32_e32 v2, v2
	v_cndmask_b32_e32 v8, 0, v36, vcc
	v_mov_b32_e32 v40, 0x7fc00000
	v_mul_f32_e32 v11, 0x3f317217, v2
	v_fma_f32 v16, v2, s48, -v11
	v_fmac_f32_e32 v16, 0x3377d1cf, v2
	v_add_f32_e32 v11, v11, v16
	v_cmp_lt_f32_e64 vcc, |v2|, s43
	v_cndmask_b32_e32 v2, v2, v11, vcc
	v_sub_f32_e32 v8, v2, v8
.LBB181_107:                            ;   in Loop: Header=BB181_5 Depth=1
	s_or_b64 exec, exec, s[0:1]
	v_cmp_o_f32_e32 vcc, v5, v4
                                        ; implicit-def: $vgpr2
                                        ; implicit-def: $vgpr11
	s_and_saveexec_b64 s[0:1], vcc
	s_xor_b64 s[18:19], exec, s[0:1]
	s_cbranch_execz .LBB181_135
; %bb.108:                              ;   in Loop: Header=BB181_5 Depth=1
	v_cmp_lt_f32_e64 s[0:1], |v4|, |v5|
	v_cndmask_b32_e64 v16, v5, v4, s[0:1]
	v_cmp_ngt_f32_e64 s[2:3], |v16|, s35
                                        ; implicit-def: $vgpr2
                                        ; implicit-def: $vgpr11
	s_and_saveexec_b64 s[20:21], s[2:3]
	s_xor_b64 s[20:21], exec, s[20:21]
	s_cbranch_execz .LBB181_132
; %bb.109:                              ;   in Loop: Header=BB181_5 Depth=1
	v_cndmask_b32_e64 v2, v4, v5, s[0:1]
	v_and_b32_e32 v17, 0x7fffffff, v2
	v_and_b32_e32 v16, 0x7fffffff, v16
	v_cmp_neq_f32_e32 vcc, 1.0, v17
                                        ; implicit-def: $vgpr2
                                        ; implicit-def: $vgpr11
	s_and_saveexec_b64 s[2:3], vcc
	s_xor_b64 s[22:23], exec, s[2:3]
	s_cbranch_execz .LBB181_125
; %bb.110:                              ;   in Loop: Header=BB181_5 Depth=1
	v_max_f32_e32 v2, v16, v16
	v_max_f32_e32 v11, v17, v17
	v_min_f32_e32 v18, v11, v2
	v_max_f32_e32 v2, v11, v2
	v_cmp_ngt_f32_e32 vcc, s39, v18
	v_cmp_nlt_f32_e64 s[2:3], s40, v2
	s_and_b64 s[2:3], s[2:3], vcc
                                        ; implicit-def: $vgpr2
                                        ; implicit-def: $vgpr11
	s_and_saveexec_b64 s[24:25], s[2:3]
	s_xor_b64 s[24:25], exec, s[24:25]
	s_cbranch_execz .LBB181_122
; %bb.111:                              ;   in Loop: Header=BB181_5 Depth=1
	v_cmp_le_f32_e32 vcc, 1.0, v17
                                        ; implicit-def: $vgpr2
                                        ; implicit-def: $vgpr11
	s_and_saveexec_b64 s[2:3], vcc
	s_xor_b64 s[26:27], exec, s[2:3]
	s_cbranch_execz .LBB181_113
; %bb.112:                              ;   in Loop: Header=BB181_5 Depth=1
	v_pk_add_f32 v[18:19], v[16:17], s[14:15] op_sel:[1,0]
	v_mov_b32_e32 v2, v19
	v_pk_mul_f32 v[18:19], v[18:19], v[2:3]
	v_pk_fma_f32 v[16:17], v[16:17], v[16:17], v[18:19]
	v_add_f32_e32 v19, 1.0, v16
	v_add_f32_e32 v17, -1.0, v19
	v_mov_b32_e32 v18, v17
	v_pk_add_f32 v[20:21], v[16:17], v[18:19] neg_lo:[0,1] neg_hi:[0,1]
	v_add_f32_e32 v2, 1.0, v21
	v_add_f32_e32 v2, v20, v2
	v_frexp_mant_f32_e32 v11, v19
	v_cvt_f64_f32_e32 v[20:21], v19
	v_frexp_exp_i32_f64_e32 v17, v[20:21]
	v_cmp_gt_f32_e32 vcc, s41, v11
	v_subbrev_co_u32_e32 v17, vcc, 0, v17, vcc
	v_sub_u32_e32 v11, 0, v17
	v_ldexp_f32 v18, v19, v11
	v_ldexp_f32 v2, v2, v11
	v_add_f32_e32 v11, -1.0, v18
	v_add_f32_e32 v19, 1.0, v11
	v_sub_f32_e32 v19, v18, v19
	v_add_f32_e32 v20, v2, v19
	v_add_f32_e32 v19, 1.0, v18
	v_add_f32_e32 v21, -1.0, v19
	v_sub_f32_e32 v18, v18, v21
	v_add_f32_e32 v2, v2, v18
	v_add_f32_e32 v41, v19, v2
	v_rcp_f32_e32 v46, v41
	v_sub_f32_e32 v18, v41, v19
	v_add_f32_e32 v19, v11, v20
	v_sub_f32_e32 v11, v19, v11
	v_mul_f32_e32 v47, v19, v46
	v_sub_f32_e32 v11, v20, v11
	v_mul_f32_e32 v20, v41, v47
	v_sub_f32_e32 v2, v2, v18
	v_fma_f32 v42, v47, v41, -v20
	v_fmac_f32_e32 v42, v47, v2
	v_add_f32_e32 v18, v20, v42
	v_sub_f32_e32 v21, v19, v18
	v_pk_add_f32 v[44:45], v[18:19], v[20:21] neg_lo:[0,1] neg_hi:[0,1]
	v_mov_b32_e32 v43, v18
	v_pk_add_f32 v[18:19], v[44:45], v[42:43] neg_lo:[0,1] neg_hi:[0,1]
	v_add_f32_e32 v11, v11, v19
	v_add_f32_e32 v11, v18, v11
	;; [unrolled: 1-line block ×3, first 2 shown]
	v_mul_f32_e32 v48, v46, v19
	v_mul_f32_e32 v20, v41, v48
	v_fma_f32 v42, v48, v41, -v20
	v_fmac_f32_e32 v42, v48, v2
	v_add_f32_e32 v18, v20, v42
	v_sub_f32_e32 v2, v21, v19
	v_sub_f32_e32 v21, v19, v18
	v_pk_add_f32 v[44:45], v[18:19], v[20:21] neg_lo:[0,1] neg_hi:[0,1]
	v_mov_b32_e32 v43, v18
	v_add_f32_e32 v2, v11, v2
	v_pk_add_f32 v[18:19], v[44:45], v[42:43] neg_lo:[0,1] neg_hi:[0,1]
	v_add_f32_e32 v2, v2, v19
	v_add_f32_e32 v2, v18, v2
	v_add_f32_e32 v19, v47, v48
	v_add_f32_e32 v2, v21, v2
	v_sub_f32_e32 v11, v19, v47
	v_mul_f32_e32 v2, v46, v2
	v_sub_f32_e32 v11, v48, v11
	v_add_f32_e32 v2, v11, v2
	v_add_f32_e32 v20, v19, v2
	v_cvt_f32_i32_e32 v18, v17
	v_mul_f32_e32 v41, v20, v20
	v_mov_b32_e32 v11, 0x3ecc95a3
	v_fmac_f32_e32 v11, 0x3e9b6dac, v41
	v_fma_f32 v11, v41, v11, v23
	v_sub_f32_e32 v17, v20, v19
	v_mul_f32_e32 v19, v20, v41
	v_pk_mul_f32 v[42:43], v[18:19], v[10:11]
	v_ldexp_f32 v21, v20, 1
	v_fma_f32 v20, v18, s42, -v42
	v_fmac_f32_e32 v20, 0xb102e308, v18
	v_pk_add_f32 v[18:19], v[42:43], v[20:21]
	v_sub_f32_e32 v2, v2, v17
	v_sub_f32_e32 v11, v19, v21
	v_ldexp_f32 v2, v2, 1
	v_sub_f32_e32 v11, v43, v11
	v_add_f32_e32 v45, v2, v11
	v_mov_b32_e32 v44, v42
	v_pk_add_f32 v[42:43], v[18:19], v[42:43] neg_lo:[0,1] neg_hi:[0,1]
	v_pk_add_f32 v[46:47], v[18:19], v[44:45]
	v_mov_b32_e32 v43, v47
	v_mov_b32_e32 v21, v18
	v_pk_add_f32 v[48:49], v[20:21], v[42:43] neg_lo:[0,1] neg_hi:[0,1]
	v_pk_add_f32 v[20:21], v[20:21], v[42:43]
	v_mov_b32_e32 v2, v21
	v_pk_add_f32 v[42:43], v[2:3], v[18:19] neg_lo:[0,1] neg_hi:[0,1]
	v_mov_b32_e32 v11, v42
	v_pk_add_f32 v[50:51], v[46:47], v[10:11] neg_lo:[0,1] neg_hi:[0,1]
	v_mov_b32_e32 v20, v47
	v_mov_b32_e32 v46, v19
	;; [unrolled: 1-line block ×4, first 2 shown]
	v_pk_add_f32 v[20:21], v[20:21], v[46:47] neg_lo:[0,1] neg_hi:[0,1]
	v_mov_b32_e32 v42, v45
	v_mov_b32_e32 v43, v18
	v_pk_add_f32 v[18:19], v[42:43], v[20:21] neg_lo:[0,1] neg_hi:[0,1]
	v_mov_b32_e32 v50, v48
	v_pk_add_f32 v[20:21], v[50:51], v[18:19]
	v_mov_b32_e32 v42, v21
	v_pk_add_f32 v[42:43], v[20:21], v[42:43]
	v_pk_add_f32 v[44:45], v[2:3], v[42:43]
	v_mov_b32_e32 v21, v44
	v_pk_add_f32 v[46:47], v[20:21], v[48:49] neg_lo:[0,1] neg_hi:[0,1]
	v_mov_b32_e32 v19, v42
	v_sub_f32_e32 v2, v20, v46
	v_pk_add_f32 v[18:19], v[18:19], v[46:47] neg_lo:[0,1] neg_hi:[0,1]
	v_sub_f32_e32 v2, v48, v2
	v_add_f32_e32 v2, v18, v2
	v_add_f32_e32 v2, v2, v19
	;; [unrolled: 1-line block ×3, first 2 shown]
	v_cmp_eq_f32_e32 vcc, s43, v16
	v_cndmask_b32_e32 v2, v2, v16, vcc
	v_cmp_ngt_f32_e32 vcc, -1.0, v16
	v_cndmask_b32_e32 v2, v30, v2, vcc
	v_cmp_neq_f32_e32 vcc, -1.0, v16
	v_cndmask_b32_e32 v2, v31, v2, vcc
	v_cmp_lt_f32_e64 vcc, |v16|, s44
	v_cndmask_b32_e32 v2, v2, v16, vcc
	v_max_f32_e64 v11, |v5|, |v5|
	v_max_f32_e64 v16, |v4|, |v4|
	v_min_f32_e32 v17, v16, v11
	v_max_f32_e32 v11, v16, v11
	v_frexp_mant_f32_e32 v16, v11
	v_rcp_f32_e32 v16, v16
	v_frexp_exp_i32_f32_e32 v11, v11
	v_frexp_exp_i32_f32_e32 v18, v17
	v_frexp_mant_f32_e32 v17, v17
	v_mul_f32_e32 v16, v17, v16
	v_sub_u32_e32 v11, v18, v11
	v_ldexp_f32 v11, v16, v11
	v_mul_f32_e32 v16, v11, v11
	v_mov_b32_e32 v17, 0xbc7a590c
	v_fmac_f32_e32 v17, 0x3b2d2a58, v16
	v_fma_f32 v17, v16, v17, v24
	v_fma_f32 v17, v16, v17, v25
	;; [unrolled: 1-line block ×6, first 2 shown]
	v_mul_f32_e32 v16, v16, v17
	v_fmac_f32_e32 v11, v11, v16
	v_sub_f32_e32 v16, 0x3fc90fdb, v11
	v_cndmask_b32_e64 v11, v11, v16, s[0:1]
	v_sub_f32_e32 v16, 0x40490fdb, v11
	v_cmp_gt_f32_e32 vcc, 0, v4
	v_cmp_gt_i32_e64 s[2:3], 0, v4
	v_cndmask_b32_e32 v11, v11, v16, vcc
	v_cndmask_b32_e64 v16, 0, v32, s[2:3]
	v_cmp_eq_f32_e64 s[2:3], 0, v5
	v_cndmask_b32_e64 v11, v11, v16, s[2:3]
	v_cmp_class_f32_e64 s[2:3], v4, s45
	v_cmp_class_f32_e64 s[28:29], v5, s45
	v_cndmask_b32_e32 v16, v33, v34, vcc
	s_and_b64 vcc, s[2:3], s[28:29]
	v_mul_f32_e32 v2, 0.5, v2
	v_cndmask_b32_e32 v11, v11, v16, vcc
                                        ; implicit-def: $vgpr16_vgpr17
.LBB181_113:                            ;   in Loop: Header=BB181_5 Depth=1
	s_andn2_saveexec_b64 s[26:27], s[26:27]
	s_cbranch_execz .LBB181_121
; %bb.114:                              ;   in Loop: Header=BB181_5 Depth=1
	v_pk_mul_f32 v[18:19], v[16:17], v[16:17]
	v_add_f32_e32 v18, v19, v18
	v_cmp_ge_f32_e32 vcc, s46, v18
                                        ; implicit-def: $vgpr2
                                        ; implicit-def: $vgpr11
	s_and_saveexec_b64 s[2:3], vcc
	s_xor_b64 s[28:29], exec, s[2:3]
	s_cbranch_execz .LBB181_116
; %bb.115:                              ;   in Loop: Header=BB181_5 Depth=1
	v_cmp_gt_f32_e32 vcc, s47, v18
	v_cndmask_b32_e32 v2, 1.0, v35, vcc
	v_mul_f32_e32 v2, v18, v2
	v_log_f32_e32 v2, v2
	v_cndmask_b32_e32 v11, 0, v36, vcc
	v_cmp_gt_i32_e64 s[2:3], 0, v4
	v_cmp_class_f32_e64 s[30:31], v5, s45
	v_mul_f32_e32 v16, 0x3f317217, v2
	v_fma_f32 v17, v2, s48, -v16
	v_fmac_f32_e32 v17, 0x3377d1cf, v2
	v_add_f32_e32 v16, v16, v17
	v_cmp_lt_f32_e64 vcc, |v2|, s43
	v_cndmask_b32_e32 v2, v2, v16, vcc
	v_sub_f32_e32 v2, v2, v11
	v_max_f32_e64 v11, |v5|, |v5|
	v_max_f32_e64 v16, |v4|, |v4|
	v_min_f32_e32 v17, v16, v11
	v_max_f32_e32 v11, v16, v11
	v_frexp_mant_f32_e32 v16, v11
	v_rcp_f32_e32 v16, v16
	v_frexp_exp_i32_f32_e32 v11, v11
	v_frexp_exp_i32_f32_e32 v18, v17
	v_frexp_mant_f32_e32 v17, v17
	v_mul_f32_e32 v16, v17, v16
	v_sub_u32_e32 v11, v18, v11
	v_ldexp_f32 v11, v16, v11
	v_mul_f32_e32 v16, v11, v11
	v_mov_b32_e32 v17, 0xbc7a590c
	v_fmac_f32_e32 v17, 0x3b2d2a58, v16
	v_fma_f32 v17, v16, v17, v24
	v_fma_f32 v17, v16, v17, v25
	;; [unrolled: 1-line block ×6, first 2 shown]
	v_mul_f32_e32 v16, v16, v17
	v_fmac_f32_e32 v11, v11, v16
	v_sub_f32_e32 v16, 0x3fc90fdb, v11
	v_cndmask_b32_e64 v11, v11, v16, s[0:1]
	v_sub_f32_e32 v16, 0x40490fdb, v11
	v_cmp_gt_f32_e32 vcc, 0, v4
	v_cndmask_b32_e32 v11, v11, v16, vcc
	v_cndmask_b32_e64 v16, 0, v32, s[2:3]
	v_cmp_eq_f32_e64 s[2:3], 0, v5
	v_cndmask_b32_e64 v11, v11, v16, s[2:3]
	v_cmp_class_f32_e64 s[2:3], v4, s45
	v_cndmask_b32_e32 v16, v33, v34, vcc
	s_and_b64 vcc, s[2:3], s[30:31]
	v_mul_f32_e32 v2, 0.5, v2
	v_cndmask_b32_e32 v11, v11, v16, vcc
                                        ; implicit-def: $vgpr16_vgpr17
.LBB181_116:                            ;   in Loop: Header=BB181_5 Depth=1
	s_andn2_saveexec_b64 s[28:29], s[28:29]
	s_cbranch_execz .LBB181_120
; %bb.117:                              ;   in Loop: Header=BB181_5 Depth=1
	v_and_b32_e32 v19, 0x7fff0000, v16
	v_and_b32_e32 v18, 0x7fff0000, v17
	v_pk_add_f32 v[16:17], v[16:17], v[18:19] op_sel:[1,0] op_sel_hi:[0,1] neg_lo:[0,1] neg_hi:[0,1]
	v_and_b32_e32 v21, 0xffff0000, v17
	v_and_b32_e32 v20, 0xffff0000, v16
	v_add_f32_e32 v41, v18, v18
	v_pk_add_f32 v[46:47], v[16:17], v[20:21] neg_lo:[0,1] neg_hi:[0,1]
	v_pk_mul_f32 v[16:17], v[18:19], v[18:19]
	v_mul_f32_e32 v11, v41, v20
	v_add_f32_e32 v43, v19, v19
	v_pk_mul_f32 v[18:19], v[20:21], v[20:21]
	v_add_f32_e32 v20, v20, v20
	v_mul_f32_e32 v2, v43, v21
	v_mul_f32_e32 v42, v41, v46
	;; [unrolled: 1-line block ×4, first 2 shown]
	v_add_f32_e32 v20, v21, v21
	v_mul_f32_e32 v44, v20, v47
	v_pk_mul_f32 v[20:21], v[46:47], v[46:47]
	s_mov_b64 s[30:31], 0
.LBB181_118:                            ;   Parent Loop BB181_5 Depth=1
                                        ; =>  This Inner Loop Header: Depth=2
	v_cmp_nlt_f32_e32 vcc, v16, v17
	v_cndmask_b32_e32 v45, v16, v17, vcc
	v_cmp_nlt_f32_e64 s[2:3], v45, v11
	v_cndmask_b32_e64 v46, v45, v11, s[2:3]
	v_cndmask_b32_e32 v16, v17, v16, vcc
	s_and_b64 s[54:55], vcc, s[2:3]
	v_cmp_nlt_f32_e32 vcc, v46, v2
	v_cndmask_b32_e64 v17, v11, v45, s[2:3]
	v_cndmask_b32_e32 v45, v46, v2, vcc
	v_cmp_nlt_f32_e64 s[2:3], v45, v18
	v_cndmask_b32_e32 v11, v2, v46, vcc
	v_cndmask_b32_e64 v46, v45, v18, s[2:3]
	s_and_b64 s[56:57], vcc, s[2:3]
	v_cmp_nlt_f32_e32 vcc, v46, v19
	v_cndmask_b32_e64 v2, v18, v45, s[2:3]
	v_cndmask_b32_e32 v45, v46, v19, vcc
	v_cmp_nlt_f32_e64 s[2:3], v45, v42
	v_cndmask_b32_e32 v18, v19, v46, vcc
	v_cndmask_b32_e64 v46, v45, v42, s[2:3]
	v_cndmask_b32_e64 v19, v42, v45, s[2:3]
	s_and_b64 s[2:3], vcc, s[2:3]
	v_cmp_nlt_f32_e32 vcc, v46, v41
	v_cndmask_b32_e32 v45, v46, v41, vcc
	v_cndmask_b32_e32 v42, v41, v46, vcc
	s_and_b64 s[2:3], s[2:3], vcc
	v_cmp_nlt_f32_e32 vcc, v45, v43
	v_cndmask_b32_e32 v46, v45, v43, vcc
	v_cndmask_b32_e32 v41, v43, v45, vcc
	s_and_b64 s[2:3], s[2:3], vcc
	v_cmp_nlt_f32_e32 vcc, v46, v44
	v_cndmask_b32_e32 v45, v46, v44, vcc
	v_cndmask_b32_e32 v43, v44, v46, vcc
	s_and_b64 s[2:3], s[2:3], vcc
	v_cmp_nlt_f32_e32 vcc, v45, v20
	v_cndmask_b32_e32 v46, v45, v20, vcc
	v_cndmask_b32_e32 v44, v20, v45, vcc
	s_and_b64 s[2:3], s[2:3], vcc
	v_cmp_nlt_f32_e32 vcc, v46, v21
	s_and_b64 s[2:3], s[2:3], vcc
	s_and_b64 s[2:3], s[2:3], s[56:57]
	s_and_b64 s[2:3], s[2:3], s[54:55]
	s_and_b64 s[2:3], exec, s[2:3]
	v_cndmask_b32_e32 v20, v21, v46, vcc
	s_or_b64 s[30:31], s[2:3], s[30:31]
	v_cndmask_b32_e32 v21, v46, v21, vcc
	s_andn2_b64 exec, exec, s[30:31]
	s_cbranch_execnz .LBB181_118
; %bb.119:                              ;   in Loop: Header=BB181_5 Depth=1
	s_or_b64 exec, exec, s[30:31]
	v_add_f32_e32 v16, -1.0, v16
	v_add_f32_e32 v16, v16, v17
	v_add_f32_e32 v11, v16, v11
	;; [unrolled: 1-line block ×11, first 2 shown]
	v_add_f32_e32 v19, 1.0, v16
	v_add_f32_e32 v17, -1.0, v19
	v_mov_b32_e32 v18, v17
	v_pk_add_f32 v[20:21], v[16:17], v[18:19] neg_lo:[0,1] neg_hi:[0,1]
	v_add_f32_e32 v2, 1.0, v21
	v_add_f32_e32 v2, v20, v2
	v_frexp_mant_f32_e32 v11, v19
	v_cvt_f64_f32_e32 v[20:21], v19
	v_frexp_exp_i32_f64_e32 v17, v[20:21]
	v_cmp_gt_f32_e32 vcc, s41, v11
	v_subbrev_co_u32_e32 v17, vcc, 0, v17, vcc
	v_sub_u32_e32 v11, 0, v17
	v_ldexp_f32 v18, v19, v11
	v_ldexp_f32 v2, v2, v11
	v_add_f32_e32 v11, -1.0, v18
	v_add_f32_e32 v19, 1.0, v11
	v_sub_f32_e32 v19, v18, v19
	v_add_f32_e32 v20, v2, v19
	v_add_f32_e32 v19, 1.0, v18
	v_add_f32_e32 v21, -1.0, v19
	v_sub_f32_e32 v18, v18, v21
	v_add_f32_e32 v2, v2, v18
	v_add_f32_e32 v41, v19, v2
	v_rcp_f32_e32 v46, v41
	v_sub_f32_e32 v18, v41, v19
	v_add_f32_e32 v19, v11, v20
	v_sub_f32_e32 v11, v19, v11
	v_mul_f32_e32 v47, v19, v46
	v_sub_f32_e32 v11, v20, v11
	v_mul_f32_e32 v20, v41, v47
	v_sub_f32_e32 v2, v2, v18
	v_fma_f32 v42, v47, v41, -v20
	v_fmac_f32_e32 v42, v47, v2
	v_add_f32_e32 v18, v20, v42
	v_sub_f32_e32 v21, v19, v18
	v_pk_add_f32 v[44:45], v[18:19], v[20:21] neg_lo:[0,1] neg_hi:[0,1]
	v_mov_b32_e32 v43, v18
	v_pk_add_f32 v[18:19], v[44:45], v[42:43] neg_lo:[0,1] neg_hi:[0,1]
	v_add_f32_e32 v11, v11, v19
	v_add_f32_e32 v11, v18, v11
	;; [unrolled: 1-line block ×3, first 2 shown]
	v_mul_f32_e32 v48, v46, v19
	v_mul_f32_e32 v20, v41, v48
	v_fma_f32 v42, v48, v41, -v20
	v_fmac_f32_e32 v42, v48, v2
	v_add_f32_e32 v18, v20, v42
	v_sub_f32_e32 v2, v21, v19
	v_sub_f32_e32 v21, v19, v18
	v_pk_add_f32 v[44:45], v[18:19], v[20:21] neg_lo:[0,1] neg_hi:[0,1]
	v_mov_b32_e32 v43, v18
	v_add_f32_e32 v2, v11, v2
	v_pk_add_f32 v[18:19], v[44:45], v[42:43] neg_lo:[0,1] neg_hi:[0,1]
	v_add_f32_e32 v2, v2, v19
	v_add_f32_e32 v2, v18, v2
	;; [unrolled: 1-line block ×4, first 2 shown]
	v_sub_f32_e32 v11, v19, v47
	v_mul_f32_e32 v2, v46, v2
	v_sub_f32_e32 v11, v48, v11
	v_add_f32_e32 v2, v11, v2
	v_add_f32_e32 v20, v19, v2
	v_cvt_f32_i32_e32 v18, v17
	v_mul_f32_e32 v41, v20, v20
	v_mov_b32_e32 v11, 0x3ecc95a3
	v_fmac_f32_e32 v11, 0x3e9b6dac, v41
	v_fma_f32 v11, v41, v11, v23
	v_sub_f32_e32 v17, v20, v19
	v_mul_f32_e32 v19, v20, v41
	v_pk_mul_f32 v[42:43], v[18:19], v[10:11]
	v_ldexp_f32 v21, v20, 1
	v_fma_f32 v20, v18, s42, -v42
	v_fmac_f32_e32 v20, 0xb102e308, v18
	v_pk_add_f32 v[18:19], v[42:43], v[20:21]
	v_sub_f32_e32 v2, v2, v17
	v_sub_f32_e32 v11, v19, v21
	v_ldexp_f32 v2, v2, 1
	v_sub_f32_e32 v11, v43, v11
	v_add_f32_e32 v45, v2, v11
	v_mov_b32_e32 v44, v42
	v_pk_add_f32 v[42:43], v[18:19], v[42:43] neg_lo:[0,1] neg_hi:[0,1]
	v_pk_add_f32 v[46:47], v[18:19], v[44:45]
	v_mov_b32_e32 v43, v47
	v_mov_b32_e32 v21, v18
	v_pk_add_f32 v[48:49], v[20:21], v[42:43] neg_lo:[0,1] neg_hi:[0,1]
	v_pk_add_f32 v[20:21], v[20:21], v[42:43]
	v_mov_b32_e32 v2, v21
	v_pk_add_f32 v[42:43], v[2:3], v[18:19] neg_lo:[0,1] neg_hi:[0,1]
	v_mov_b32_e32 v11, v42
	v_pk_add_f32 v[50:51], v[46:47], v[10:11] neg_lo:[0,1] neg_hi:[0,1]
	v_mov_b32_e32 v20, v47
	v_mov_b32_e32 v46, v19
	;; [unrolled: 1-line block ×4, first 2 shown]
	v_pk_add_f32 v[20:21], v[20:21], v[46:47] neg_lo:[0,1] neg_hi:[0,1]
	v_mov_b32_e32 v42, v45
	v_mov_b32_e32 v43, v18
	v_pk_add_f32 v[18:19], v[42:43], v[20:21] neg_lo:[0,1] neg_hi:[0,1]
	v_mov_b32_e32 v50, v48
	v_pk_add_f32 v[20:21], v[50:51], v[18:19]
	v_mov_b32_e32 v42, v21
	v_pk_add_f32 v[42:43], v[20:21], v[42:43]
	v_pk_add_f32 v[44:45], v[2:3], v[42:43]
	v_mov_b32_e32 v21, v44
	v_pk_add_f32 v[46:47], v[20:21], v[48:49] neg_lo:[0,1] neg_hi:[0,1]
	v_mov_b32_e32 v19, v42
	v_sub_f32_e32 v2, v20, v46
	v_pk_add_f32 v[18:19], v[18:19], v[46:47] neg_lo:[0,1] neg_hi:[0,1]
	v_sub_f32_e32 v2, v48, v2
	v_add_f32_e32 v2, v18, v2
	v_add_f32_e32 v2, v2, v19
	;; [unrolled: 1-line block ×3, first 2 shown]
	v_cmp_eq_f32_e32 vcc, s43, v16
	v_cndmask_b32_e32 v2, v2, v16, vcc
	v_cmp_ngt_f32_e32 vcc, -1.0, v16
	v_cndmask_b32_e32 v2, v30, v2, vcc
	v_cmp_neq_f32_e32 vcc, -1.0, v16
	v_cndmask_b32_e32 v2, v31, v2, vcc
	v_cmp_lt_f32_e64 vcc, |v16|, s44
	v_cndmask_b32_e32 v2, v2, v16, vcc
	v_max_f32_e64 v11, |v5|, |v5|
	v_max_f32_e64 v16, |v4|, |v4|
	v_min_f32_e32 v17, v16, v11
	v_max_f32_e32 v11, v16, v11
	v_frexp_mant_f32_e32 v16, v11
	v_rcp_f32_e32 v16, v16
	v_frexp_exp_i32_f32_e32 v11, v11
	v_frexp_exp_i32_f32_e32 v18, v17
	v_frexp_mant_f32_e32 v17, v17
	v_mul_f32_e32 v16, v17, v16
	v_sub_u32_e32 v11, v18, v11
	v_ldexp_f32 v11, v16, v11
	v_mul_f32_e32 v16, v11, v11
	v_mov_b32_e32 v17, 0xbc7a590c
	v_fmac_f32_e32 v17, 0x3b2d2a58, v16
	v_fma_f32 v17, v16, v17, v24
	v_fma_f32 v17, v16, v17, v25
	;; [unrolled: 1-line block ×6, first 2 shown]
	v_mul_f32_e32 v16, v16, v17
	v_fmac_f32_e32 v11, v11, v16
	v_sub_f32_e32 v16, 0x3fc90fdb, v11
	v_cndmask_b32_e64 v11, v11, v16, s[0:1]
	v_sub_f32_e32 v16, 0x40490fdb, v11
	v_cmp_gt_f32_e32 vcc, 0, v4
	v_cmp_gt_i32_e64 s[2:3], 0, v4
	v_cndmask_b32_e32 v11, v11, v16, vcc
	v_cndmask_b32_e64 v16, 0, v32, s[2:3]
	v_cmp_eq_f32_e64 s[2:3], 0, v5
	v_cndmask_b32_e64 v11, v11, v16, s[2:3]
	v_cmp_class_f32_e64 s[2:3], v4, s45
	v_cmp_class_f32_e64 s[30:31], v5, s45
	v_cndmask_b32_e32 v16, v33, v34, vcc
	s_and_b64 vcc, s[2:3], s[30:31]
	v_mul_f32_e32 v2, 0.5, v2
	v_cndmask_b32_e32 v11, v11, v16, vcc
.LBB181_120:                            ;   in Loop: Header=BB181_5 Depth=1
	s_or_b64 exec, exec, s[28:29]
.LBB181_121:                            ;   in Loop: Header=BB181_5 Depth=1
	s_or_b64 exec, exec, s[26:27]
.LBB181_122:                            ;   in Loop: Header=BB181_5 Depth=1
	s_andn2_saveexec_b64 s[24:25], s[24:25]
	s_cbranch_execz .LBB181_124
; %bb.123:                              ;   in Loop: Header=BB181_5 Depth=1
	v_max_f32_e64 v11, |v5|, |v5|
	v_max_f32_e64 v18, |v4|, |v4|
	v_max_f32_e32 v19, v18, v11
	v_cvt_f64_f32_e32 v[16:17], v19
	v_frexp_exp_i32_f64_e32 v2, v[16:17]
	v_sub_u32_e32 v16, 0, v2
	v_ldexp_f32 v17, |v4|, v16
	v_ldexp_f32 v16, |v5|, v16
	v_mul_f32_e32 v16, v16, v16
	v_fmac_f32_e32 v16, v17, v17
	v_sqrt_f32_e32 v16, v16
	v_cmp_neq_f32_e32 vcc, s43, v19
	v_min_f32_e32 v11, v18, v11
	v_frexp_exp_i32_f32_e32 v18, v11
	v_ldexp_f32 v2, v16, v2
	v_cndmask_b32_e32 v2, v37, v2, vcc
	v_cmp_gt_f32_e32 vcc, s47, v2
	v_cndmask_b32_e32 v16, 1.0, v35, vcc
	v_mul_f32_e32 v2, v2, v16
	v_log_f32_e32 v2, v2
	v_cndmask_b32_e32 v16, 0, v36, vcc
	v_frexp_mant_f32_e32 v11, v11
	v_cmp_gt_i32_e64 s[2:3], 0, v4
	v_mul_f32_e32 v17, 0x3f317217, v2
	v_fma_f32 v20, v2, s48, -v17
	v_fmac_f32_e32 v20, 0x3377d1cf, v2
	v_add_f32_e32 v17, v17, v20
	v_cmp_lt_f32_e64 vcc, |v2|, s43
	v_cndmask_b32_e32 v2, v2, v17, vcc
	v_sub_f32_e32 v2, v2, v16
	v_frexp_mant_f32_e32 v16, v19
	v_rcp_f32_e32 v16, v16
	v_frexp_exp_i32_f32_e32 v17, v19
	v_cmp_gt_f32_e32 vcc, 0, v4
	v_cmp_class_f32_e64 s[26:27], v5, s45
	v_mul_f32_e32 v11, v11, v16
	v_sub_u32_e32 v16, v18, v17
	v_ldexp_f32 v11, v11, v16
	v_mul_f32_e32 v16, v11, v11
	v_mov_b32_e32 v17, 0xbc7a590c
	v_fmac_f32_e32 v17, 0x3b2d2a58, v16
	v_fma_f32 v17, v16, v17, v24
	v_fma_f32 v17, v16, v17, v25
	;; [unrolled: 1-line block ×6, first 2 shown]
	v_mul_f32_e32 v16, v16, v17
	v_fmac_f32_e32 v11, v11, v16
	v_sub_f32_e32 v16, 0x3fc90fdb, v11
	v_cndmask_b32_e64 v11, v11, v16, s[0:1]
	v_sub_f32_e32 v16, 0x40490fdb, v11
	v_cndmask_b32_e32 v11, v11, v16, vcc
	v_cndmask_b32_e64 v16, 0, v32, s[2:3]
	v_cmp_eq_f32_e64 s[2:3], 0, v5
	v_cndmask_b32_e64 v11, v11, v16, s[2:3]
	v_cmp_class_f32_e64 s[2:3], v4, s45
	v_cndmask_b32_e32 v16, v33, v34, vcc
	s_and_b64 vcc, s[2:3], s[26:27]
	v_cndmask_b32_e32 v11, v11, v16, vcc
.LBB181_124:                            ;   in Loop: Header=BB181_5 Depth=1
	s_or_b64 exec, exec, s[24:25]
                                        ; implicit-def: $vgpr16
.LBB181_125:                            ;   in Loop: Header=BB181_5 Depth=1
	s_andn2_saveexec_b64 s[22:23], s[22:23]
	s_cbranch_execz .LBB181_131
; %bb.126:                              ;   in Loop: Header=BB181_5 Depth=1
	v_cmp_ngt_f32_e32 vcc, s49, v16
                                        ; implicit-def: $vgpr2
                                        ; implicit-def: $vgpr11
	s_and_saveexec_b64 s[2:3], vcc
	s_xor_b64 s[24:25], exec, s[2:3]
	s_cbranch_execz .LBB181_128
; %bb.127:                              ;   in Loop: Header=BB181_5 Depth=1
	v_pk_mul_f32 v[16:17], v[16:17], v[16:17]
	v_add_f32_e32 v19, 1.0, v16
	v_add_f32_e32 v17, -1.0, v19
	v_mov_b32_e32 v18, v17
	v_pk_add_f32 v[20:21], v[16:17], v[18:19] neg_lo:[0,1] neg_hi:[0,1]
	v_add_f32_e32 v2, 1.0, v21
	v_add_f32_e32 v2, v20, v2
	v_frexp_mant_f32_e32 v11, v19
	v_cvt_f64_f32_e32 v[20:21], v19
	v_frexp_exp_i32_f64_e32 v17, v[20:21]
	v_cmp_gt_f32_e32 vcc, s41, v11
	v_subbrev_co_u32_e32 v17, vcc, 0, v17, vcc
	v_sub_u32_e32 v11, 0, v17
	v_ldexp_f32 v18, v19, v11
	v_ldexp_f32 v2, v2, v11
	v_add_f32_e32 v11, -1.0, v18
	v_add_f32_e32 v19, 1.0, v11
	v_sub_f32_e32 v19, v18, v19
	v_add_f32_e32 v20, v2, v19
	v_add_f32_e32 v19, 1.0, v18
	v_add_f32_e32 v21, -1.0, v19
	v_sub_f32_e32 v18, v18, v21
	v_add_f32_e32 v2, v2, v18
	v_add_f32_e32 v41, v19, v2
	v_rcp_f32_e32 v46, v41
	v_sub_f32_e32 v18, v19, v41
	v_add_f32_e32 v19, v11, v20
	v_sub_f32_e32 v11, v11, v19
	v_mul_f32_e32 v47, v19, v46
	v_add_f32_e32 v11, v20, v11
	v_mul_f32_e32 v20, v41, v47
	v_add_f32_e32 v2, v2, v18
	v_fma_f32 v42, v47, v41, -v20
	v_fmac_f32_e32 v42, v47, v2
	v_add_f32_e32 v18, v20, v42
	v_sub_f32_e32 v21, v19, v18
	v_pk_add_f32 v[44:45], v[18:19], v[20:21] neg_lo:[0,1] neg_hi:[0,1]
	v_mov_b32_e32 v43, v18
	v_pk_add_f32 v[18:19], v[44:45], v[42:43] neg_lo:[0,1] neg_hi:[0,1]
	v_add_f32_e32 v11, v11, v19
	v_add_f32_e32 v11, v18, v11
	v_add_f32_e32 v19, v21, v11
	v_mul_f32_e32 v48, v46, v19
	v_mul_f32_e32 v20, v41, v48
	v_fma_f32 v42, v48, v41, -v20
	v_fmac_f32_e32 v42, v48, v2
	v_add_f32_e32 v18, v20, v42
	v_sub_f32_e32 v2, v21, v19
	v_sub_f32_e32 v21, v19, v18
	v_pk_add_f32 v[44:45], v[18:19], v[20:21] neg_lo:[0,1] neg_hi:[0,1]
	v_mov_b32_e32 v43, v18
	v_add_f32_e32 v2, v11, v2
	v_pk_add_f32 v[18:19], v[44:45], v[42:43] neg_lo:[0,1] neg_hi:[0,1]
	v_add_f32_e32 v2, v2, v19
	v_add_f32_e32 v2, v18, v2
	;; [unrolled: 1-line block ×4, first 2 shown]
	v_sub_f32_e32 v11, v19, v47
	v_mul_f32_e32 v2, v46, v2
	v_sub_f32_e32 v11, v48, v11
	v_add_f32_e32 v2, v11, v2
	v_add_f32_e32 v20, v19, v2
	v_cvt_f32_i32_e32 v18, v17
	v_mul_f32_e32 v41, v20, v20
	v_mov_b32_e32 v11, 0x3ecc95a3
	v_fmac_f32_e32 v11, 0x3e9b6dac, v41
	v_fma_f32 v11, v41, v11, v23
	v_sub_f32_e32 v17, v20, v19
	v_mul_f32_e32 v19, v20, v41
	v_pk_mul_f32 v[42:43], v[18:19], v[10:11]
	v_ldexp_f32 v21, v20, 1
	v_fma_f32 v20, v18, s42, -v42
	v_fmac_f32_e32 v20, 0xb102e308, v18
	v_pk_add_f32 v[18:19], v[42:43], v[20:21]
	v_sub_f32_e32 v2, v2, v17
	v_sub_f32_e32 v11, v19, v21
	v_ldexp_f32 v2, v2, 1
	v_sub_f32_e32 v11, v43, v11
	v_add_f32_e32 v45, v2, v11
	v_mov_b32_e32 v44, v42
	v_pk_add_f32 v[42:43], v[18:19], v[42:43] neg_lo:[0,1] neg_hi:[0,1]
	v_pk_add_f32 v[46:47], v[18:19], v[44:45]
	v_mov_b32_e32 v43, v47
	v_mov_b32_e32 v21, v18
	v_pk_add_f32 v[48:49], v[20:21], v[42:43] neg_lo:[0,1] neg_hi:[0,1]
	v_pk_add_f32 v[20:21], v[20:21], v[42:43]
	v_mov_b32_e32 v2, v21
	v_pk_add_f32 v[42:43], v[2:3], v[18:19] neg_lo:[0,1] neg_hi:[0,1]
	v_mov_b32_e32 v11, v42
	v_pk_add_f32 v[50:51], v[46:47], v[10:11] neg_lo:[0,1] neg_hi:[0,1]
	v_mov_b32_e32 v20, v47
	v_mov_b32_e32 v46, v19
	;; [unrolled: 1-line block ×4, first 2 shown]
	v_pk_add_f32 v[20:21], v[20:21], v[46:47] neg_lo:[0,1] neg_hi:[0,1]
	v_mov_b32_e32 v42, v45
	v_mov_b32_e32 v43, v18
	v_pk_add_f32 v[18:19], v[42:43], v[20:21] neg_lo:[0,1] neg_hi:[0,1]
	v_mov_b32_e32 v50, v48
	v_pk_add_f32 v[20:21], v[50:51], v[18:19]
	v_mov_b32_e32 v42, v21
	v_pk_add_f32 v[42:43], v[20:21], v[42:43]
	v_pk_add_f32 v[44:45], v[2:3], v[42:43]
	v_mov_b32_e32 v21, v44
	v_pk_add_f32 v[46:47], v[20:21], v[48:49] neg_lo:[0,1] neg_hi:[0,1]
	v_mov_b32_e32 v19, v42
	v_sub_f32_e32 v2, v20, v46
	v_pk_add_f32 v[18:19], v[18:19], v[46:47] neg_lo:[0,1] neg_hi:[0,1]
	v_sub_f32_e32 v2, v48, v2
	v_add_f32_e32 v2, v18, v2
	v_add_f32_e32 v2, v2, v19
	v_cmp_eq_f32_e32 vcc, s43, v16
	v_cmp_lt_f32_e64 s[2:3], |v16|, s44
	v_add_f32_e32 v2, v44, v2
	s_or_b64 vcc, vcc, s[2:3]
	v_cndmask_b32_e32 v2, v2, v16, vcc
	v_max_f32_e64 v11, |v5|, |v5|
	v_max_f32_e64 v16, |v4|, |v4|
	v_min_f32_e32 v17, v16, v11
	v_max_f32_e32 v11, v16, v11
	v_frexp_mant_f32_e32 v16, v11
	v_rcp_f32_e32 v16, v16
	v_frexp_exp_i32_f32_e32 v11, v11
	v_frexp_exp_i32_f32_e32 v18, v17
	v_frexp_mant_f32_e32 v17, v17
	v_mul_f32_e32 v16, v17, v16
	v_sub_u32_e32 v11, v18, v11
	v_ldexp_f32 v11, v16, v11
	v_mul_f32_e32 v16, v11, v11
	v_mov_b32_e32 v17, 0xbc7a590c
	v_fmac_f32_e32 v17, 0x3b2d2a58, v16
	v_fma_f32 v17, v16, v17, v24
	v_fma_f32 v17, v16, v17, v25
	;; [unrolled: 1-line block ×6, first 2 shown]
	v_mul_f32_e32 v16, v16, v17
	v_fmac_f32_e32 v11, v11, v16
	v_sub_f32_e32 v16, 0x3fc90fdb, v11
	v_cndmask_b32_e64 v11, v11, v16, s[0:1]
	v_sub_f32_e32 v16, 0x40490fdb, v11
	v_cmp_gt_f32_e32 vcc, 0, v4
	v_cmp_gt_i32_e64 s[2:3], 0, v4
	v_cndmask_b32_e32 v11, v11, v16, vcc
	v_cndmask_b32_e64 v16, 0, v32, s[2:3]
	v_cmp_eq_f32_e64 s[2:3], 0, v5
	v_cndmask_b32_e64 v11, v11, v16, s[2:3]
	v_cmp_class_f32_e64 s[2:3], v4, s45
	v_cmp_class_f32_e64 s[26:27], v5, s45
	v_cndmask_b32_e32 v16, v33, v34, vcc
	s_and_b64 vcc, s[2:3], s[26:27]
	v_mul_f32_e32 v2, 0.5, v2
	v_cndmask_b32_e32 v11, v11, v16, vcc
                                        ; implicit-def: $vgpr16
.LBB181_128:                            ;   in Loop: Header=BB181_5 Depth=1
	s_andn2_saveexec_b64 s[24:25], s[24:25]
	s_cbranch_execz .LBB181_130
; %bb.129:                              ;   in Loop: Header=BB181_5 Depth=1
	v_mul_f32_e32 v2, 0.5, v16
	v_mul_f32_e32 v2, v16, v2
	v_max_f32_e64 v11, |v5|, |v5|
	v_max_f32_e64 v16, |v4|, |v4|
	v_min_f32_e32 v17, v16, v11
	v_max_f32_e32 v11, v16, v11
	v_frexp_mant_f32_e32 v16, v11
	v_rcp_f32_e32 v16, v16
	v_frexp_exp_i32_f32_e32 v11, v11
	v_frexp_exp_i32_f32_e32 v18, v17
	v_frexp_mant_f32_e32 v17, v17
	v_mul_f32_e32 v16, v17, v16
	v_sub_u32_e32 v11, v18, v11
	v_ldexp_f32 v11, v16, v11
	v_mul_f32_e32 v16, v11, v11
	v_mov_b32_e32 v17, 0xbc7a590c
	v_fmac_f32_e32 v17, 0x3b2d2a58, v16
	v_fma_f32 v17, v16, v17, v24
	v_fma_f32 v17, v16, v17, v25
	;; [unrolled: 1-line block ×6, first 2 shown]
	v_mul_f32_e32 v16, v16, v17
	v_fmac_f32_e32 v11, v11, v16
	v_sub_f32_e32 v16, 0x3fc90fdb, v11
	v_cndmask_b32_e64 v11, v11, v16, s[0:1]
	v_sub_f32_e32 v16, 0x40490fdb, v11
	v_cmp_gt_f32_e32 vcc, 0, v4
	v_cmp_gt_i32_e64 s[2:3], 0, v4
	v_cndmask_b32_e32 v11, v11, v16, vcc
	v_cndmask_b32_e64 v16, 0, v32, s[2:3]
	v_cmp_eq_f32_e64 s[2:3], 0, v5
	v_cndmask_b32_e64 v11, v11, v16, s[2:3]
	v_cmp_class_f32_e64 s[2:3], v4, s45
	v_cmp_class_f32_e64 s[26:27], v5, s45
	v_cndmask_b32_e32 v16, v33, v34, vcc
	s_and_b64 vcc, s[2:3], s[26:27]
	v_cndmask_b32_e32 v11, v11, v16, vcc
.LBB181_130:                            ;   in Loop: Header=BB181_5 Depth=1
	s_or_b64 exec, exec, s[24:25]
.LBB181_131:                            ;   in Loop: Header=BB181_5 Depth=1
	s_or_b64 exec, exec, s[22:23]
.LBB181_132:                            ;   in Loop: Header=BB181_5 Depth=1
	s_andn2_saveexec_b64 s[20:21], s[20:21]
	s_cbranch_execz .LBB181_134
; %bb.133:                              ;   in Loop: Header=BB181_5 Depth=1
	v_div_scale_f32 v2, s[2:3], s50, s50, v4
	v_rcp_f32_e32 v11, v2
	v_div_scale_f32 v16, vcc, v4, s50, v4
	v_fma_f32 v17, -v2, v11, 1.0
	v_fmac_f32_e32 v11, v17, v11
	v_mul_f32_e32 v17, v16, v11
	v_fma_f32 v18, -v2, v17, v16
	v_fmac_f32_e32 v17, v18, v11
	v_fma_f32 v2, -v2, v17, v16
	v_div_scale_f32 v16, s[2:3], s50, s50, v5
	v_rcp_f32_e32 v18, v16
	v_div_fmas_f32 v2, v2, v11, v17
	v_div_fixup_f32 v2, v2, s50, v4
	v_fma_f32 v11, -v16, v18, 1.0
	v_fmac_f32_e32 v18, v11, v18
	v_div_scale_f32 v11, vcc, v5, s50, v5
	v_mul_f32_e32 v17, v11, v18
	v_fma_f32 v19, -v16, v17, v11
	v_fmac_f32_e32 v17, v19, v18
	v_fma_f32 v11, -v16, v17, v11
	v_div_fmas_f32 v11, v11, v18, v17
	v_div_fixup_f32 v11, v11, s50, v5
	v_max_f32_e64 v18, |v2|, |v11|
	v_cvt_f64_f32_e32 v[16:17], v18
	v_frexp_exp_i32_f64_e32 v16, v[16:17]
	v_sub_u32_e32 v17, 0, v16
	v_ldexp_f32 v11, |v11|, v17
	v_ldexp_f32 v2, |v2|, v17
	v_mul_f32_e32 v11, v11, v11
	v_fmac_f32_e32 v11, v2, v2
	v_sqrt_f32_e32 v2, v11
	v_cmp_neq_f32_e32 vcc, s43, v18
	v_ldexp_f32 v2, v2, v16
	v_cndmask_b32_e32 v2, v37, v2, vcc
	v_cmp_gt_f32_e32 vcc, s47, v2
	v_cndmask_b32_e32 v11, 1.0, v35, vcc
	v_mul_f32_e32 v2, v2, v11
	v_log_f32_e32 v2, v2
	v_mul_f32_e32 v11, 0x3f317217, v2
	v_fma_f32 v16, v2, s48, -v11
	v_fmac_f32_e32 v16, 0x3377d1cf, v2
	v_add_f32_e32 v11, v11, v16
	v_cmp_lt_f32_e64 s[2:3], |v2|, s43
	v_cndmask_b32_e64 v2, v2, v11, s[2:3]
	v_cndmask_b32_e32 v11, 0, v36, vcc
	v_sub_f32_e32 v2, v2, v11
	v_max_f32_e64 v11, |v5|, |v5|
	v_max_f32_e64 v16, |v4|, |v4|
	v_min_f32_e32 v17, v16, v11
	v_max_f32_e32 v11, v16, v11
	v_frexp_mant_f32_e32 v16, v11
	v_rcp_f32_e32 v16, v16
	v_frexp_exp_i32_f32_e32 v11, v11
	v_frexp_exp_i32_f32_e32 v18, v17
	v_frexp_mant_f32_e32 v17, v17
	v_mul_f32_e32 v16, v17, v16
	v_sub_u32_e32 v11, v18, v11
	v_ldexp_f32 v11, v16, v11
	v_mul_f32_e32 v16, v11, v11
	v_mov_b32_e32 v17, 0xbc7a590c
	v_fmac_f32_e32 v17, 0x3b2d2a58, v16
	v_fma_f32 v17, v16, v17, v24
	v_fma_f32 v17, v16, v17, v25
	;; [unrolled: 1-line block ×6, first 2 shown]
	v_mul_f32_e32 v16, v16, v17
	v_fmac_f32_e32 v11, v11, v16
	v_sub_f32_e32 v16, 0x3fc90fdb, v11
	v_cndmask_b32_e64 v11, v11, v16, s[0:1]
	v_sub_f32_e32 v16, 0x40490fdb, v11
	v_cmp_gt_f32_e32 vcc, 0, v4
	v_cmp_gt_i32_e64 s[0:1], 0, v4
	v_cndmask_b32_e32 v11, v11, v16, vcc
	v_cndmask_b32_e64 v16, 0, v32, s[0:1]
	v_cmp_eq_f32_e64 s[0:1], 0, v5
	v_cndmask_b32_e64 v11, v11, v16, s[0:1]
	v_cmp_class_f32_e64 s[0:1], v4, s45
	v_cmp_class_f32_e64 s[2:3], v5, s45
	v_cndmask_b32_e32 v16, v33, v34, vcc
	s_and_b64 vcc, s[0:1], s[2:3]
	v_add_f32_e32 v2, 1.0, v2
	v_cndmask_b32_e32 v11, v11, v16, vcc
.LBB181_134:                            ;   in Loop: Header=BB181_5 Depth=1
	s_or_b64 exec, exec, s[20:21]
.LBB181_135:                            ;   in Loop: Header=BB181_5 Depth=1
	s_andn2_saveexec_b64 s[0:1], s[18:19]
	s_cbranch_execz .LBB181_4
; %bb.136:                              ;   in Loop: Header=BB181_5 Depth=1
	v_cmp_nlt_f32_e64 s[2:3], |v4|, s51
	v_cmp_nlt_f32_e64 s[18:19], |v5|, s51
	s_or_b64 s[2:3], s[2:3], s[18:19]
                                        ; implicit-def: $vgpr2
	s_and_saveexec_b64 s[18:19], s[2:3]
	s_xor_b64 s[2:3], exec, s[18:19]
; %bb.137:                              ;   in Loop: Header=BB181_5 Depth=1
	v_pk_mul_f32 v[16:17], v[4:5], v[4:5]
	v_add_f32_e32 v2, v16, v17
; %bb.138:                              ;   in Loop: Header=BB181_5 Depth=1
	s_andn2_saveexec_b64 s[2:3], s[2:3]
	s_cbranch_execz .LBB181_3
; %bb.139:                              ;   in Loop: Header=BB181_5 Depth=1
	v_pk_mul_f32 v[16:17], v[4:5], 4.0 op_sel_hi:[1,0]
	v_pk_mul_f32 v[16:17], v[16:17], v[16:17]
	v_add_f32_e32 v2, v16, v17
	v_mul_f32_e32 v2, 0x3d800000, v2
	s_branch .LBB181_3
.LBB181_140:
	s_or_b64 exec, exec, s[8:9]
	s_mov_b64 s[0:1], 0
.LBB181_141:
	s_andn2_b64 vcc, exec, s[0:1]
	s_cbranch_vccnz .LBB181_297
; %bb.142:
	v_cmp_lt_i64_e64 s[0:1], s[12:13], 1
	s_and_b64 vcc, exec, s[0:1]
	s_cbranch_vccnz .LBB181_297
; %bb.143:
	s_load_dword s0, s[4:5], 0xc5c
	v_mov_b32_e32 v2, 0x10000
	v_mov_b32_e32 v3, 0
	v_cmp_lt_u64_e32 vcc, s[12:13], v[2:3]
	s_mov_b32 s2, 0
	s_waitcnt lgkmcnt(0)
	s_and_b32 s39, s0, 0xffff
	s_and_b64 s[0:1], vcc, exec
	s_mov_b32 s18, -1.0
	s_cselect_b32 s15, s13, 0
	s_cselect_b32 s14, s12, 0x10000
	s_lshl_b32 s40, s39, 1
	s_mul_i32 s41, s39, 3
	s_lshl_b32 s42, s39, 2
	s_mov_b64 s[16:17], 0
	v_mov_b32_e32 v1, s2
	v_mov_b32_e32 v26, s2
	;; [unrolled: 1-line block ×3, first 2 shown]
	s_brev_b32 s43, -2
	s_mov_b32 s44, 0x77f684df
	s_mov_b32 s19, 1.0
	s_mov_b32 s45, 0x358637bd
	s_mov_b32 s46, 0x49742400
	;; [unrolled: 1-line block ×3, first 2 shown]
	v_mov_b32_e32 v28, 0x3f2aaada
	s_mov_b32 s48, 0x3f317218
	s_mov_b32 s49, 0x7f800000
	;; [unrolled: 1-line block ×3, first 2 shown]
	v_mov_b32_e32 v29, 0x3d29fb3f
	v_mov_b32_e32 v30, 0xbd97d4d7
	v_mov_b32_e32 v31, 0x3dd931b2
	v_mov_b32_e32 v32, 0xbe1160e6
	v_mov_b32_e32 v33, 0x3e4cb8bf
	v_mov_b32_e32 v34, 0xbeaaaa62
	s_movk_i32 s51, 0x204
	s_mov_b32 s52, 0x3f333333
	s_mov_b32 s53, 0x800000
	;; [unrolled: 1-line block ×5, first 2 shown]
	s_brev_b32 s57, 4
	s_mov_b32 s58, 0x40135d8e
	v_mov_b32_e32 v2, 0x3f317218
	v_mov_b32_e32 v35, 0x7fc00000
	;; [unrolled: 1-line block ×9, first 2 shown]
	s_branch .LBB181_145
.LBB181_144:                            ;   in Loop: Header=BB181_145 Depth=1
	s_or_b64 exec, exec, s[2:3]
	s_add_u32 s16, s16, s42
	s_addc_u32 s17, s17, 0
	v_pk_mov_b32 v[4:5], s[12:13], s[12:13] op_sel:[0,1]
	v_cmp_ge_i64_e32 vcc, s[16:17], v[4:5]
	v_mov_b32_e32 v4, 0xffff
	v_mov_b32_e32 v5, 0
	v_cmp_gt_u64_e64 s[0:1], s[16:17], v[4:5]
	s_or_b64 s[0:1], vcc, s[0:1]
	s_and_b64 vcc, exec, s[0:1]
	s_cbranch_vccnz .LBB181_297
.LBB181_145:                            ; =>This Loop Header: Depth=1
                                        ;     Child Loop BB181_164 Depth 2
                                        ;     Child Loop BB181_198 Depth 2
	;; [unrolled: 1-line block ×4, first 2 shown]
	v_mov_b32_e32 v3, s17
	v_add_co_u32_e32 v14, vcc, s16, v0
	v_addc_co_u32_e32 v15, vcc, 0, v3, vcc
	v_cmp_gt_u64_e64 s[6:7], s[14:15], v[14:15]
	v_mov_b32_e32 v18, 0
	v_mov_b32_e32 v19, 0
	s_and_saveexec_b64 s[0:1], s[6:7]
	s_cbranch_execz .LBB181_147
; %bb.146:                              ;   in Loop: Header=BB181_145 Depth=1
	v_lshlrev_b64 v[4:5], 3, v[14:15]
	v_mov_b32_e32 v3, s36
	v_add_co_u32_e32 v4, vcc, s33, v4
	v_addc_co_u32_e32 v5, vcc, v3, v5, vcc
	global_load_dwordx2 v[18:19], v[4:5], off
.LBB181_147:                            ;   in Loop: Header=BB181_145 Depth=1
	s_or_b64 exec, exec, s[0:1]
	v_add_co_u32_e32 v10, vcc, s39, v14
	v_addc_co_u32_e32 v11, vcc, v15, v1, vcc
	v_cmp_gt_u64_e64 s[4:5], s[14:15], v[10:11]
	v_mov_b32_e32 v8, 0
	v_mov_b32_e32 v16, 0
	;; [unrolled: 1-line block ×3, first 2 shown]
	s_and_saveexec_b64 s[0:1], s[4:5]
	s_cbranch_execz .LBB181_149
; %bb.148:                              ;   in Loop: Header=BB181_145 Depth=1
	v_lshlrev_b64 v[4:5], 3, v[10:11]
	v_mov_b32_e32 v3, s36
	v_add_co_u32_e32 v4, vcc, s33, v4
	v_addc_co_u32_e32 v5, vcc, v3, v5, vcc
	global_load_dwordx2 v[16:17], v[4:5], off
.LBB181_149:                            ;   in Loop: Header=BB181_145 Depth=1
	s_or_b64 exec, exec, s[0:1]
	v_add_co_u32_e32 v6, vcc, s40, v14
	v_addc_co_u32_e32 v7, vcc, v15, v26, vcc
	v_cmp_gt_u64_e64 s[2:3], s[14:15], v[6:7]
	v_mov_b32_e32 v9, 0
	s_and_saveexec_b64 s[0:1], s[2:3]
	s_cbranch_execz .LBB181_151
; %bb.150:                              ;   in Loop: Header=BB181_145 Depth=1
	v_lshlrev_b64 v[4:5], 3, v[6:7]
	v_mov_b32_e32 v3, s36
	v_add_co_u32_e32 v4, vcc, s33, v4
	v_addc_co_u32_e32 v5, vcc, v3, v5, vcc
	global_load_dwordx2 v[8:9], v[4:5], off
.LBB181_151:                            ;   in Loop: Header=BB181_145 Depth=1
	s_or_b64 exec, exec, s[0:1]
	v_add_co_u32_e32 v4, vcc, s41, v14
	v_addc_co_u32_e32 v5, vcc, v15, v27, vcc
	v_mov_b32_e32 v12, 0
	v_cmp_gt_u64_e64 s[0:1], s[14:15], v[4:5]
	v_mov_b32_e32 v13, v12
	s_and_saveexec_b64 s[8:9], s[0:1]
	s_cbranch_execz .LBB181_153
; %bb.152:                              ;   in Loop: Header=BB181_145 Depth=1
	v_lshlrev_b64 v[12:13], 3, v[4:5]
	v_mov_b32_e32 v3, s36
	v_add_co_u32_e32 v12, vcc, s33, v12
	v_addc_co_u32_e32 v13, vcc, v3, v13, vcc
	global_load_dwordx2 v[12:13], v[12:13], off
.LBB181_153:                            ;   in Loop: Header=BB181_145 Depth=1
	s_or_b64 exec, exec, s[8:9]
	s_waitcnt vmcnt(0)
	v_cmp_o_f32_e32 vcc, v19, v18
                                        ; implicit-def: $vgpr43
                                        ; implicit-def: $vgpr44
	s_and_saveexec_b64 s[8:9], vcc
	s_xor_b64 s[20:21], exec, s[8:9]
	s_cbranch_execz .LBB181_181
; %bb.154:                              ;   in Loop: Header=BB181_145 Depth=1
	v_cmp_lt_f32_e64 s[8:9], |v18|, |v19|
	v_cndmask_b32_e64 v3, v19, v18, s[8:9]
	v_cmp_ngt_f32_e64 s[10:11], |v3|, s44
                                        ; implicit-def: $vgpr43
                                        ; implicit-def: $vgpr44
	s_and_saveexec_b64 s[22:23], s[10:11]
	s_xor_b64 s[22:23], exec, s[22:23]
	s_cbranch_execz .LBB181_178
; %bb.155:                              ;   in Loop: Header=BB181_145 Depth=1
	v_cndmask_b32_e64 v20, v18, v19, s[8:9]
	v_and_b32_e32 v21, 0x7fffffff, v20
	v_and_b32_e32 v20, 0x7fffffff, v3
	v_cmp_neq_f32_e32 vcc, 1.0, v21
                                        ; implicit-def: $vgpr43
                                        ; implicit-def: $vgpr44
	s_and_saveexec_b64 s[10:11], vcc
	s_xor_b64 s[24:25], exec, s[10:11]
	s_cbranch_execz .LBB181_171
; %bb.156:                              ;   in Loop: Header=BB181_145 Depth=1
	v_max_f32_e32 v3, v20, v20
	v_max_f32_e32 v22, v21, v21
	v_min_f32_e32 v23, v22, v3
	v_max_f32_e32 v3, v22, v3
	v_cmp_ngt_f32_e32 vcc, s45, v23
	v_cmp_nlt_f32_e64 s[10:11], s46, v3
	s_and_b64 s[10:11], s[10:11], vcc
                                        ; implicit-def: $vgpr43
                                        ; implicit-def: $vgpr44
	s_and_saveexec_b64 s[26:27], s[10:11]
	s_xor_b64 s[26:27], exec, s[26:27]
	s_cbranch_execz .LBB181_168
; %bb.157:                              ;   in Loop: Header=BB181_145 Depth=1
	v_cmp_le_f32_e32 vcc, 1.0, v21
                                        ; implicit-def: $vgpr43
                                        ; implicit-def: $vgpr44
	s_and_saveexec_b64 s[10:11], vcc
	s_xor_b64 s[28:29], exec, s[10:11]
	s_cbranch_execz .LBB181_159
; %bb.158:                              ;   in Loop: Header=BB181_145 Depth=1
	v_pk_add_f32 v[22:23], v[20:21], s[18:19] op_sel:[1,0]
	v_mov_b32_e32 v24, v23
	v_pk_mul_f32 v[22:23], v[22:23], v[24:25]
	v_pk_fma_f32 v[20:21], v[20:21], v[20:21], v[22:23]
	v_add_f32_e32 v23, 1.0, v20
	v_add_f32_e32 v21, -1.0, v23
	v_mov_b32_e32 v22, v21
	v_pk_add_f32 v[24:25], v[20:21], v[22:23] neg_lo:[0,1] neg_hi:[0,1]
	v_add_f32_e32 v3, 1.0, v25
	v_add_f32_e32 v3, v24, v3
	v_frexp_mant_f32_e32 v21, v23
	v_cvt_f64_f32_e32 v[24:25], v23
	v_frexp_exp_i32_f64_e32 v22, v[24:25]
	v_cmp_gt_f32_e32 vcc, s47, v21
	v_subbrev_co_u32_e32 v21, vcc, 0, v22, vcc
	v_sub_u32_e32 v22, 0, v21
	v_ldexp_f32 v23, v23, v22
	v_ldexp_f32 v3, v3, v22
	v_add_f32_e32 v22, -1.0, v23
	v_add_f32_e32 v25, 1.0, v23
	v_add_f32_e32 v24, 1.0, v22
	v_add_f32_e32 v43, -1.0, v25
	v_sub_f32_e32 v24, v23, v24
	v_sub_f32_e32 v23, v23, v43
	v_add_f32_e32 v24, v3, v24
	v_add_f32_e32 v3, v3, v23
	;; [unrolled: 1-line block ×3, first 2 shown]
	v_rcp_f32_e32 v48, v43
	v_sub_f32_e32 v23, v43, v25
	v_sub_f32_e32 v3, v3, v23
	v_add_f32_e32 v23, v22, v24
	v_sub_f32_e32 v22, v23, v22
	v_mul_f32_e32 v50, v23, v48
	v_sub_f32_e32 v49, v24, v22
	v_mul_f32_e32 v24, v43, v50
	v_fma_f32 v44, v50, v43, -v24
	v_fmac_f32_e32 v44, v50, v3
	v_add_f32_e32 v22, v24, v44
	v_sub_f32_e32 v25, v23, v22
	v_pk_add_f32 v[46:47], v[22:23], v[24:25] neg_lo:[0,1] neg_hi:[0,1]
	v_mov_b32_e32 v45, v22
	v_pk_add_f32 v[22:23], v[46:47], v[44:45] neg_lo:[0,1] neg_hi:[0,1]
	v_add_f32_e32 v23, v49, v23
	v_add_f32_e32 v22, v22, v23
	;; [unrolled: 1-line block ×3, first 2 shown]
	v_mul_f32_e32 v49, v48, v23
	v_mul_f32_e32 v24, v43, v49
	v_fma_f32 v44, v49, v43, -v24
	v_fmac_f32_e32 v44, v49, v3
	v_sub_f32_e32 v3, v25, v23
	v_add_f32_e32 v3, v22, v3
	v_add_f32_e32 v22, v24, v44
	v_sub_f32_e32 v25, v23, v22
	v_pk_add_f32 v[46:47], v[22:23], v[24:25] neg_lo:[0,1] neg_hi:[0,1]
	v_mov_b32_e32 v45, v22
	v_pk_add_f32 v[22:23], v[46:47], v[44:45] neg_lo:[0,1] neg_hi:[0,1]
	v_add_f32_e32 v3, v3, v23
	v_add_f32_e32 v3, v22, v3
	;; [unrolled: 1-line block ×4, first 2 shown]
	v_sub_f32_e32 v22, v23, v50
	v_mul_f32_e32 v3, v48, v3
	v_sub_f32_e32 v22, v49, v22
	v_add_f32_e32 v24, v22, v3
	v_add_f32_e32 v43, v23, v24
	v_cvt_f32_i32_e32 v22, v21
	v_mul_f32_e32 v44, v43, v43
	v_mov_b32_e32 v3, 0x3ecc95a3
	v_fmac_f32_e32 v3, 0x3e9b6dac, v44
	v_fma_f32 v3, v44, v3, v28
	v_sub_f32_e32 v21, v43, v23
	v_mul_f32_e32 v23, v43, v44
	v_pk_mul_f32 v[44:45], v[22:23], v[2:3]
	v_sub_f32_e32 v21, v24, v21
	v_fma_f32 v24, v22, s48, -v44
	v_ldexp_f32 v25, v43, 1
	v_fmac_f32_e32 v24, 0xb102e308, v22
	v_pk_add_f32 v[22:23], v[44:45], v[24:25]
	v_sub_f32_e32 v3, v23, v25
	v_ldexp_f32 v21, v21, 1
	v_sub_f32_e32 v3, v45, v3
	v_add_f32_e32 v47, v21, v3
	v_mov_b32_e32 v46, v44
	v_pk_add_f32 v[44:45], v[22:23], v[44:45] neg_lo:[0,1] neg_hi:[0,1]
	v_pk_add_f32 v[48:49], v[22:23], v[46:47]
	v_mov_b32_e32 v45, v49
	v_mov_b32_e32 v25, v22
	v_pk_add_f32 v[50:51], v[24:25], v[44:45] neg_lo:[0,1] neg_hi:[0,1]
	v_pk_add_f32 v[24:25], v[24:25], v[44:45]
	v_mov_b32_e32 v44, v25
	v_pk_add_f32 v[52:53], v[44:45], v[22:23] neg_lo:[0,1] neg_hi:[0,1]
	v_mov_b32_e32 v3, v52
	v_pk_add_f32 v[54:55], v[48:49], v[2:3] neg_lo:[0,1] neg_hi:[0,1]
	v_mov_b32_e32 v24, v49
	v_mov_b32_e32 v48, v23
	;; [unrolled: 1-line block ×4, first 2 shown]
	v_pk_add_f32 v[24:25], v[24:25], v[48:49] neg_lo:[0,1] neg_hi:[0,1]
	v_mov_b32_e32 v46, v47
	v_mov_b32_e32 v47, v22
	v_pk_add_f32 v[22:23], v[46:47], v[24:25] neg_lo:[0,1] neg_hi:[0,1]
	v_mov_b32_e32 v54, v50
	v_pk_add_f32 v[24:25], v[54:55], v[22:23]
	v_mov_b32_e32 v46, v25
	v_pk_add_f32 v[46:47], v[24:25], v[46:47]
	v_pk_add_f32 v[44:45], v[44:45], v[46:47]
	v_mov_b32_e32 v25, v44
	v_pk_add_f32 v[48:49], v[24:25], v[50:51] neg_lo:[0,1] neg_hi:[0,1]
	v_mov_b32_e32 v23, v46
	v_sub_f32_e32 v3, v24, v48
	v_pk_add_f32 v[22:23], v[22:23], v[48:49] neg_lo:[0,1] neg_hi:[0,1]
	v_sub_f32_e32 v3, v50, v3
	v_add_f32_e32 v3, v22, v3
	v_add_f32_e32 v3, v3, v23
	;; [unrolled: 1-line block ×3, first 2 shown]
	v_cmp_eq_f32_e32 vcc, s49, v20
	v_cndmask_b32_e32 v3, v3, v20, vcc
	v_cmp_ngt_f32_e32 vcc, -1.0, v20
	v_cndmask_b32_e32 v3, v35, v3, vcc
	v_cmp_neq_f32_e32 vcc, -1.0, v20
	v_cndmask_b32_e32 v3, v36, v3, vcc
	v_cmp_lt_f32_e64 vcc, |v20|, s50
	v_cndmask_b32_e32 v3, v3, v20, vcc
	v_mul_f32_e32 v43, 0.5, v3
	v_max_f32_e64 v3, |v19|, |v19|
	v_max_f32_e64 v20, |v18|, |v18|
	v_min_f32_e32 v21, v20, v3
	v_max_f32_e32 v3, v20, v3
	v_frexp_mant_f32_e32 v20, v3
	v_rcp_f32_e32 v20, v20
	v_frexp_exp_i32_f32_e32 v3, v3
	v_frexp_exp_i32_f32_e32 v22, v21
	v_frexp_mant_f32_e32 v21, v21
	v_mul_f32_e32 v20, v21, v20
	v_sub_u32_e32 v3, v22, v3
	v_ldexp_f32 v3, v20, v3
	v_mul_f32_e32 v20, v3, v3
	v_mov_b32_e32 v21, 0xbc7a590c
	v_fmac_f32_e32 v21, 0x3b2d2a58, v20
	v_fma_f32 v21, v20, v21, v29
	v_fma_f32 v21, v20, v21, v30
	;; [unrolled: 1-line block ×6, first 2 shown]
	v_mul_f32_e32 v20, v20, v21
	v_fmac_f32_e32 v3, v3, v20
	v_sub_f32_e32 v20, 0x3fc90fdb, v3
	v_cndmask_b32_e64 v3, v3, v20, s[8:9]
	v_sub_f32_e32 v20, 0x40490fdb, v3
	v_cmp_gt_f32_e32 vcc, 0, v18
	v_cmp_gt_i32_e64 s[10:11], 0, v18
	v_cndmask_b32_e32 v3, v3, v20, vcc
	v_cndmask_b32_e64 v20, 0, v37, s[10:11]
	v_cmp_eq_f32_e64 s[10:11], 0, v19
	v_cndmask_b32_e64 v3, v3, v20, s[10:11]
	v_cmp_class_f32_e64 s[10:11], v18, s51
	v_cmp_class_f32_e64 s[30:31], v19, s51
	v_cndmask_b32_e32 v20, v38, v39, vcc
	s_and_b64 vcc, s[30:31], s[10:11]
	v_cndmask_b32_e32 v44, v3, v20, vcc
                                        ; implicit-def: $vgpr20_vgpr21
.LBB181_159:                            ;   in Loop: Header=BB181_145 Depth=1
	s_andn2_saveexec_b64 s[28:29], s[28:29]
	s_cbranch_execz .LBB181_167
; %bb.160:                              ;   in Loop: Header=BB181_145 Depth=1
	v_pk_mul_f32 v[22:23], v[20:21], v[20:21]
	v_add_f32_e32 v3, v23, v22
	v_cmp_ge_f32_e32 vcc, s52, v3
                                        ; implicit-def: $vgpr43
                                        ; implicit-def: $vgpr44
	s_and_saveexec_b64 s[10:11], vcc
	s_xor_b64 s[30:31], exec, s[10:11]
	s_cbranch_execz .LBB181_162
; %bb.161:                              ;   in Loop: Header=BB181_145 Depth=1
	v_cmp_gt_f32_e32 vcc, s53, v3
	v_cndmask_b32_e32 v20, 1.0, v40, vcc
	v_mul_f32_e32 v3, v3, v20
	v_log_f32_e32 v3, v3
	v_cndmask_b32_e32 v20, 0, v41, vcc
	v_cmp_gt_i32_e64 s[10:11], 0, v18
	v_cmp_class_f32_e64 s[34:35], v19, s51
	v_mul_f32_e32 v21, 0x3f317217, v3
	v_fma_f32 v22, v3, s54, -v21
	v_fmac_f32_e32 v22, 0x3377d1cf, v3
	v_add_f32_e32 v21, v21, v22
	v_cmp_lt_f32_e64 vcc, |v3|, s49
	v_cndmask_b32_e32 v3, v3, v21, vcc
	v_sub_f32_e32 v3, v3, v20
	v_mul_f32_e32 v43, 0.5, v3
	v_max_f32_e64 v3, |v19|, |v19|
	v_max_f32_e64 v20, |v18|, |v18|
	v_min_f32_e32 v21, v20, v3
	v_max_f32_e32 v3, v20, v3
	v_frexp_mant_f32_e32 v20, v3
	v_rcp_f32_e32 v20, v20
	v_frexp_exp_i32_f32_e32 v3, v3
	v_frexp_exp_i32_f32_e32 v22, v21
	v_frexp_mant_f32_e32 v21, v21
	v_mul_f32_e32 v20, v21, v20
	v_sub_u32_e32 v3, v22, v3
	v_ldexp_f32 v3, v20, v3
	v_mul_f32_e32 v20, v3, v3
	v_mov_b32_e32 v21, 0xbc7a590c
	v_fmac_f32_e32 v21, 0x3b2d2a58, v20
	v_fma_f32 v21, v20, v21, v29
	v_fma_f32 v21, v20, v21, v30
	;; [unrolled: 1-line block ×6, first 2 shown]
	v_mul_f32_e32 v20, v20, v21
	v_fmac_f32_e32 v3, v3, v20
	v_sub_f32_e32 v20, 0x3fc90fdb, v3
	v_cndmask_b32_e64 v3, v3, v20, s[8:9]
	v_sub_f32_e32 v20, 0x40490fdb, v3
	v_cmp_gt_f32_e32 vcc, 0, v18
	v_cndmask_b32_e32 v3, v3, v20, vcc
	v_cndmask_b32_e64 v20, 0, v37, s[10:11]
	v_cmp_eq_f32_e64 s[10:11], 0, v19
	v_cndmask_b32_e64 v3, v3, v20, s[10:11]
	v_cmp_class_f32_e64 s[10:11], v18, s51
	v_cndmask_b32_e32 v20, v38, v39, vcc
	s_and_b64 vcc, s[34:35], s[10:11]
	v_cndmask_b32_e32 v44, v3, v20, vcc
                                        ; implicit-def: $vgpr20_vgpr21
.LBB181_162:                            ;   in Loop: Header=BB181_145 Depth=1
	s_andn2_saveexec_b64 s[30:31], s[30:31]
	s_cbranch_execz .LBB181_166
; %bb.163:                              ;   in Loop: Header=BB181_145 Depth=1
	v_and_b32_e32 v23, 0x7fff0000, v20
	v_and_b32_e32 v22, 0x7fff0000, v21
	v_pk_add_f32 v[20:21], v[20:21], v[22:23] op_sel:[1,0] op_sel_hi:[0,1] neg_lo:[0,1] neg_hi:[0,1]
	v_and_b32_e32 v25, 0xffff0000, v21
	v_and_b32_e32 v24, 0xffff0000, v20
	v_add_f32_e32 v44, v22, v22
	v_pk_add_f32 v[48:49], v[20:21], v[24:25] neg_lo:[0,1] neg_hi:[0,1]
	v_pk_mul_f32 v[20:21], v[22:23], v[22:23]
	v_mul_f32_e32 v43, v44, v24
	v_add_f32_e32 v46, v23, v23
	v_pk_mul_f32 v[22:23], v[24:25], v[24:25]
	v_add_f32_e32 v24, v24, v24
	v_mul_f32_e32 v3, v46, v25
	v_mul_f32_e32 v45, v44, v48
	v_mul_f32_e32 v44, v46, v49
	v_mul_f32_e32 v46, v24, v48
	v_add_f32_e32 v24, v25, v25
	v_mul_f32_e32 v47, v24, v49
	v_pk_mul_f32 v[24:25], v[48:49], v[48:49]
	s_mov_b64 s[34:35], 0
.LBB181_164:                            ;   Parent Loop BB181_145 Depth=1
                                        ; =>  This Inner Loop Header: Depth=2
	v_cmp_nlt_f32_e32 vcc, v20, v21
	v_cndmask_b32_e32 v48, v20, v21, vcc
	v_cmp_nlt_f32_e64 s[10:11], v48, v43
	v_cndmask_b32_e64 v49, v48, v43, s[10:11]
	v_cndmask_b32_e32 v20, v21, v20, vcc
	s_and_b64 s[60:61], vcc, s[10:11]
	v_cmp_nlt_f32_e32 vcc, v49, v3
	v_cndmask_b32_e64 v21, v43, v48, s[10:11]
	v_cndmask_b32_e32 v48, v49, v3, vcc
	v_cmp_nlt_f32_e64 s[10:11], v48, v22
	v_cndmask_b32_e32 v43, v3, v49, vcc
	v_cndmask_b32_e64 v49, v48, v22, s[10:11]
	s_and_b64 s[62:63], vcc, s[10:11]
	v_cmp_nlt_f32_e32 vcc, v49, v23
	v_cndmask_b32_e64 v3, v22, v48, s[10:11]
	v_cndmask_b32_e32 v48, v49, v23, vcc
	v_cmp_nlt_f32_e64 s[10:11], v48, v45
	v_cndmask_b32_e32 v22, v23, v49, vcc
	v_cndmask_b32_e64 v49, v48, v45, s[10:11]
	v_cndmask_b32_e64 v23, v45, v48, s[10:11]
	s_and_b64 s[10:11], vcc, s[10:11]
	v_cmp_nlt_f32_e32 vcc, v49, v44
	v_cndmask_b32_e32 v48, v49, v44, vcc
	v_cndmask_b32_e32 v45, v44, v49, vcc
	s_and_b64 s[10:11], s[10:11], vcc
	v_cmp_nlt_f32_e32 vcc, v48, v46
	v_cndmask_b32_e32 v49, v48, v46, vcc
	v_cndmask_b32_e32 v44, v46, v48, vcc
	s_and_b64 s[10:11], s[10:11], vcc
	v_cmp_nlt_f32_e32 vcc, v49, v47
	v_cndmask_b32_e32 v48, v49, v47, vcc
	v_cndmask_b32_e32 v46, v47, v49, vcc
	s_and_b64 s[10:11], s[10:11], vcc
	v_cmp_nlt_f32_e32 vcc, v48, v24
	v_cndmask_b32_e32 v49, v48, v24, vcc
	v_cndmask_b32_e32 v47, v24, v48, vcc
	s_and_b64 s[10:11], s[10:11], vcc
	v_cmp_nlt_f32_e32 vcc, v49, v25
	s_and_b64 s[10:11], s[10:11], vcc
	s_and_b64 s[10:11], s[10:11], s[62:63]
	s_and_b64 s[10:11], s[10:11], s[60:61]
	s_and_b64 s[10:11], exec, s[10:11]
	v_cndmask_b32_e32 v24, v25, v49, vcc
	s_or_b64 s[34:35], s[10:11], s[34:35]
	v_cndmask_b32_e32 v25, v49, v25, vcc
	s_andn2_b64 exec, exec, s[34:35]
	s_cbranch_execnz .LBB181_164
; %bb.165:                              ;   in Loop: Header=BB181_145 Depth=1
	s_or_b64 exec, exec, s[34:35]
	v_add_f32_e32 v20, -1.0, v20
	v_add_f32_e32 v20, v20, v21
	v_add_f32_e32 v20, v20, v43
	;; [unrolled: 1-line block ×11, first 2 shown]
	v_add_f32_e32 v23, 1.0, v20
	v_add_f32_e32 v21, -1.0, v23
	v_mov_b32_e32 v22, v21
	v_pk_add_f32 v[24:25], v[20:21], v[22:23] neg_lo:[0,1] neg_hi:[0,1]
	v_add_f32_e32 v3, 1.0, v25
	v_add_f32_e32 v3, v24, v3
	v_frexp_mant_f32_e32 v21, v23
	v_cvt_f64_f32_e32 v[24:25], v23
	v_frexp_exp_i32_f64_e32 v22, v[24:25]
	v_cmp_gt_f32_e32 vcc, s47, v21
	v_subbrev_co_u32_e32 v21, vcc, 0, v22, vcc
	v_sub_u32_e32 v22, 0, v21
	v_ldexp_f32 v23, v23, v22
	v_ldexp_f32 v3, v3, v22
	v_add_f32_e32 v22, -1.0, v23
	v_add_f32_e32 v25, 1.0, v23
	v_add_f32_e32 v24, 1.0, v22
	v_add_f32_e32 v43, -1.0, v25
	v_sub_f32_e32 v24, v23, v24
	v_sub_f32_e32 v23, v23, v43
	v_add_f32_e32 v24, v3, v24
	v_add_f32_e32 v3, v3, v23
	;; [unrolled: 1-line block ×3, first 2 shown]
	v_rcp_f32_e32 v48, v43
	v_sub_f32_e32 v23, v43, v25
	v_sub_f32_e32 v3, v3, v23
	v_add_f32_e32 v23, v22, v24
	v_sub_f32_e32 v22, v23, v22
	v_mul_f32_e32 v50, v23, v48
	v_sub_f32_e32 v49, v24, v22
	v_mul_f32_e32 v24, v43, v50
	v_fma_f32 v44, v50, v43, -v24
	v_fmac_f32_e32 v44, v50, v3
	v_add_f32_e32 v22, v24, v44
	v_sub_f32_e32 v25, v23, v22
	v_pk_add_f32 v[46:47], v[22:23], v[24:25] neg_lo:[0,1] neg_hi:[0,1]
	v_mov_b32_e32 v45, v22
	v_pk_add_f32 v[22:23], v[46:47], v[44:45] neg_lo:[0,1] neg_hi:[0,1]
	v_add_f32_e32 v23, v49, v23
	v_add_f32_e32 v22, v22, v23
	v_add_f32_e32 v23, v25, v22
	v_mul_f32_e32 v49, v48, v23
	v_mul_f32_e32 v24, v43, v49
	v_fma_f32 v44, v49, v43, -v24
	v_fmac_f32_e32 v44, v49, v3
	v_sub_f32_e32 v3, v25, v23
	v_add_f32_e32 v3, v22, v3
	v_add_f32_e32 v22, v24, v44
	v_sub_f32_e32 v25, v23, v22
	v_pk_add_f32 v[46:47], v[22:23], v[24:25] neg_lo:[0,1] neg_hi:[0,1]
	v_mov_b32_e32 v45, v22
	v_pk_add_f32 v[22:23], v[46:47], v[44:45] neg_lo:[0,1] neg_hi:[0,1]
	v_add_f32_e32 v3, v3, v23
	v_add_f32_e32 v3, v22, v3
	;; [unrolled: 1-line block ×4, first 2 shown]
	v_sub_f32_e32 v22, v23, v50
	v_mul_f32_e32 v3, v48, v3
	v_sub_f32_e32 v22, v49, v22
	v_add_f32_e32 v24, v22, v3
	v_add_f32_e32 v43, v23, v24
	v_cvt_f32_i32_e32 v22, v21
	v_mul_f32_e32 v44, v43, v43
	v_mov_b32_e32 v3, 0x3ecc95a3
	v_fmac_f32_e32 v3, 0x3e9b6dac, v44
	v_fma_f32 v3, v44, v3, v28
	v_sub_f32_e32 v21, v43, v23
	v_mul_f32_e32 v23, v43, v44
	v_pk_mul_f32 v[44:45], v[22:23], v[2:3]
	v_sub_f32_e32 v21, v24, v21
	v_fma_f32 v24, v22, s48, -v44
	v_ldexp_f32 v25, v43, 1
	v_fmac_f32_e32 v24, 0xb102e308, v22
	v_pk_add_f32 v[22:23], v[44:45], v[24:25]
	v_sub_f32_e32 v3, v23, v25
	v_ldexp_f32 v21, v21, 1
	v_sub_f32_e32 v3, v45, v3
	v_add_f32_e32 v47, v21, v3
	v_mov_b32_e32 v46, v44
	v_pk_add_f32 v[44:45], v[22:23], v[44:45] neg_lo:[0,1] neg_hi:[0,1]
	v_pk_add_f32 v[48:49], v[22:23], v[46:47]
	v_mov_b32_e32 v45, v49
	v_mov_b32_e32 v25, v22
	v_pk_add_f32 v[50:51], v[24:25], v[44:45] neg_lo:[0,1] neg_hi:[0,1]
	v_pk_add_f32 v[24:25], v[24:25], v[44:45]
	v_mov_b32_e32 v44, v25
	v_pk_add_f32 v[52:53], v[44:45], v[22:23] neg_lo:[0,1] neg_hi:[0,1]
	v_mov_b32_e32 v3, v52
	v_pk_add_f32 v[54:55], v[48:49], v[2:3] neg_lo:[0,1] neg_hi:[0,1]
	v_mov_b32_e32 v24, v49
	v_mov_b32_e32 v48, v23
	;; [unrolled: 1-line block ×4, first 2 shown]
	v_pk_add_f32 v[24:25], v[24:25], v[48:49] neg_lo:[0,1] neg_hi:[0,1]
	v_mov_b32_e32 v46, v47
	v_mov_b32_e32 v47, v22
	v_pk_add_f32 v[22:23], v[46:47], v[24:25] neg_lo:[0,1] neg_hi:[0,1]
	v_mov_b32_e32 v54, v50
	v_pk_add_f32 v[24:25], v[54:55], v[22:23]
	v_mov_b32_e32 v46, v25
	v_pk_add_f32 v[46:47], v[24:25], v[46:47]
	v_pk_add_f32 v[44:45], v[44:45], v[46:47]
	v_mov_b32_e32 v25, v44
	v_pk_add_f32 v[48:49], v[24:25], v[50:51] neg_lo:[0,1] neg_hi:[0,1]
	v_mov_b32_e32 v23, v46
	v_sub_f32_e32 v3, v24, v48
	v_pk_add_f32 v[22:23], v[22:23], v[48:49] neg_lo:[0,1] neg_hi:[0,1]
	v_sub_f32_e32 v3, v50, v3
	v_add_f32_e32 v3, v22, v3
	v_add_f32_e32 v3, v3, v23
	;; [unrolled: 1-line block ×3, first 2 shown]
	v_cmp_eq_f32_e32 vcc, s49, v20
	v_cndmask_b32_e32 v3, v3, v20, vcc
	v_cmp_ngt_f32_e32 vcc, -1.0, v20
	v_cndmask_b32_e32 v3, v35, v3, vcc
	v_cmp_neq_f32_e32 vcc, -1.0, v20
	v_cndmask_b32_e32 v3, v36, v3, vcc
	v_cmp_lt_f32_e64 vcc, |v20|, s50
	v_cndmask_b32_e32 v3, v3, v20, vcc
	v_mul_f32_e32 v43, 0.5, v3
	v_max_f32_e64 v3, |v19|, |v19|
	v_max_f32_e64 v20, |v18|, |v18|
	v_min_f32_e32 v21, v20, v3
	v_max_f32_e32 v3, v20, v3
	v_frexp_mant_f32_e32 v20, v3
	v_rcp_f32_e32 v20, v20
	v_frexp_exp_i32_f32_e32 v3, v3
	v_frexp_exp_i32_f32_e32 v22, v21
	v_frexp_mant_f32_e32 v21, v21
	v_mul_f32_e32 v20, v21, v20
	v_sub_u32_e32 v3, v22, v3
	v_ldexp_f32 v3, v20, v3
	v_mul_f32_e32 v20, v3, v3
	v_mov_b32_e32 v21, 0xbc7a590c
	v_fmac_f32_e32 v21, 0x3b2d2a58, v20
	v_fma_f32 v21, v20, v21, v29
	v_fma_f32 v21, v20, v21, v30
	;; [unrolled: 1-line block ×6, first 2 shown]
	v_mul_f32_e32 v20, v20, v21
	v_fmac_f32_e32 v3, v3, v20
	v_sub_f32_e32 v20, 0x3fc90fdb, v3
	v_cndmask_b32_e64 v3, v3, v20, s[8:9]
	v_sub_f32_e32 v20, 0x40490fdb, v3
	v_cmp_gt_f32_e32 vcc, 0, v18
	v_cmp_gt_i32_e64 s[10:11], 0, v18
	v_cndmask_b32_e32 v3, v3, v20, vcc
	v_cndmask_b32_e64 v20, 0, v37, s[10:11]
	v_cmp_eq_f32_e64 s[10:11], 0, v19
	v_cndmask_b32_e64 v3, v3, v20, s[10:11]
	v_cmp_class_f32_e64 s[10:11], v18, s51
	v_cmp_class_f32_e64 s[34:35], v19, s51
	v_cndmask_b32_e32 v20, v38, v39, vcc
	s_and_b64 vcc, s[34:35], s[10:11]
	v_cndmask_b32_e32 v44, v3, v20, vcc
.LBB181_166:                            ;   in Loop: Header=BB181_145 Depth=1
	s_or_b64 exec, exec, s[30:31]
.LBB181_167:                            ;   in Loop: Header=BB181_145 Depth=1
	s_or_b64 exec, exec, s[28:29]
.LBB181_168:                            ;   in Loop: Header=BB181_145 Depth=1
	s_andn2_saveexec_b64 s[26:27], s[26:27]
	s_cbranch_execz .LBB181_170
; %bb.169:                              ;   in Loop: Header=BB181_145 Depth=1
	v_max_f32_e64 v3, |v19|, |v19|
	v_max_f32_e64 v22, |v18|, |v18|
	v_max_f32_e32 v23, v22, v3
	v_cvt_f64_f32_e32 v[20:21], v23
	v_frexp_exp_i32_f64_e32 v20, v[20:21]
	v_sub_u32_e32 v21, 0, v20
	v_ldexp_f32 v24, |v18|, v21
	v_ldexp_f32 v21, |v19|, v21
	v_mul_f32_e32 v21, v21, v21
	v_fmac_f32_e32 v21, v24, v24
	v_sqrt_f32_e32 v21, v21
	v_cmp_neq_f32_e32 vcc, s49, v23
	v_min_f32_e32 v3, v22, v3
	v_frexp_exp_i32_f32_e32 v22, v3
	v_ldexp_f32 v20, v21, v20
	v_cndmask_b32_e32 v20, v42, v20, vcc
	v_cmp_gt_f32_e32 vcc, s53, v20
	v_cndmask_b32_e32 v21, 1.0, v40, vcc
	v_mul_f32_e32 v20, v20, v21
	v_log_f32_e32 v20, v20
	v_cndmask_b32_e32 v21, 0, v41, vcc
	v_frexp_mant_f32_e32 v3, v3
	v_cmp_gt_i32_e64 s[10:11], 0, v18
	v_mul_f32_e32 v24, 0x3f317217, v20
	v_fma_f32 v25, v20, s54, -v24
	v_fmac_f32_e32 v25, 0x3377d1cf, v20
	v_add_f32_e32 v24, v24, v25
	v_cmp_lt_f32_e64 vcc, |v20|, s49
	v_cndmask_b32_e32 v20, v20, v24, vcc
	v_sub_f32_e32 v43, v20, v21
	v_frexp_mant_f32_e32 v20, v23
	v_rcp_f32_e32 v20, v20
	v_frexp_exp_i32_f32_e32 v21, v23
	v_cmp_gt_f32_e32 vcc, 0, v18
	v_cmp_class_f32_e64 s[28:29], v19, s51
	v_mul_f32_e32 v3, v3, v20
	v_sub_u32_e32 v20, v22, v21
	v_ldexp_f32 v3, v3, v20
	v_mul_f32_e32 v20, v3, v3
	v_mov_b32_e32 v21, 0xbc7a590c
	v_fmac_f32_e32 v21, 0x3b2d2a58, v20
	v_fma_f32 v21, v20, v21, v29
	v_fma_f32 v21, v20, v21, v30
	;; [unrolled: 1-line block ×6, first 2 shown]
	v_mul_f32_e32 v20, v20, v21
	v_fmac_f32_e32 v3, v3, v20
	v_sub_f32_e32 v20, 0x3fc90fdb, v3
	v_cndmask_b32_e64 v3, v3, v20, s[8:9]
	v_sub_f32_e32 v20, 0x40490fdb, v3
	v_cndmask_b32_e32 v3, v3, v20, vcc
	v_cndmask_b32_e64 v20, 0, v37, s[10:11]
	v_cmp_eq_f32_e64 s[10:11], 0, v19
	v_cndmask_b32_e64 v3, v3, v20, s[10:11]
	v_cmp_class_f32_e64 s[10:11], v18, s51
	v_cndmask_b32_e32 v20, v38, v39, vcc
	s_and_b64 vcc, s[28:29], s[10:11]
	v_cndmask_b32_e32 v44, v3, v20, vcc
.LBB181_170:                            ;   in Loop: Header=BB181_145 Depth=1
	s_or_b64 exec, exec, s[26:27]
                                        ; implicit-def: $vgpr20
.LBB181_171:                            ;   in Loop: Header=BB181_145 Depth=1
	s_andn2_saveexec_b64 s[24:25], s[24:25]
	s_cbranch_execz .LBB181_177
; %bb.172:                              ;   in Loop: Header=BB181_145 Depth=1
	v_cmp_ngt_f32_e32 vcc, s55, v20
                                        ; implicit-def: $vgpr43
                                        ; implicit-def: $vgpr44
	s_and_saveexec_b64 s[10:11], vcc
	s_xor_b64 s[26:27], exec, s[10:11]
	s_cbranch_execz .LBB181_174
; %bb.173:                              ;   in Loop: Header=BB181_145 Depth=1
	v_pk_mul_f32 v[20:21], v[20:21], v[20:21]
	v_add_f32_e32 v23, 1.0, v20
	v_add_f32_e32 v21, -1.0, v23
	v_mov_b32_e32 v22, v21
	v_pk_add_f32 v[24:25], v[20:21], v[22:23] neg_lo:[0,1] neg_hi:[0,1]
	v_add_f32_e32 v3, 1.0, v25
	v_add_f32_e32 v3, v24, v3
	v_frexp_mant_f32_e32 v21, v23
	v_cvt_f64_f32_e32 v[24:25], v23
	v_frexp_exp_i32_f64_e32 v22, v[24:25]
	v_cmp_gt_f32_e32 vcc, s47, v21
	v_subbrev_co_u32_e32 v21, vcc, 0, v22, vcc
	v_sub_u32_e32 v22, 0, v21
	v_ldexp_f32 v23, v23, v22
	v_ldexp_f32 v3, v3, v22
	v_add_f32_e32 v22, -1.0, v23
	v_add_f32_e32 v25, 1.0, v23
	v_add_f32_e32 v24, 1.0, v22
	v_add_f32_e32 v43, -1.0, v25
	v_sub_f32_e32 v24, v23, v24
	v_sub_f32_e32 v23, v23, v43
	v_add_f32_e32 v24, v3, v24
	v_add_f32_e32 v3, v3, v23
	;; [unrolled: 1-line block ×3, first 2 shown]
	v_rcp_f32_e32 v48, v43
	v_sub_f32_e32 v23, v25, v43
	v_add_f32_e32 v3, v3, v23
	v_add_f32_e32 v23, v22, v24
	v_sub_f32_e32 v22, v22, v23
	v_mul_f32_e32 v50, v23, v48
	v_add_f32_e32 v49, v24, v22
	v_mul_f32_e32 v24, v43, v50
	v_fma_f32 v44, v50, v43, -v24
	v_fmac_f32_e32 v44, v50, v3
	v_add_f32_e32 v22, v24, v44
	v_sub_f32_e32 v25, v23, v22
	v_pk_add_f32 v[46:47], v[22:23], v[24:25] neg_lo:[0,1] neg_hi:[0,1]
	v_mov_b32_e32 v45, v22
	v_pk_add_f32 v[22:23], v[46:47], v[44:45] neg_lo:[0,1] neg_hi:[0,1]
	v_add_f32_e32 v23, v49, v23
	v_add_f32_e32 v22, v22, v23
	;; [unrolled: 1-line block ×3, first 2 shown]
	v_mul_f32_e32 v49, v48, v23
	v_mul_f32_e32 v24, v43, v49
	v_fma_f32 v44, v49, v43, -v24
	v_fmac_f32_e32 v44, v49, v3
	v_sub_f32_e32 v3, v25, v23
	v_add_f32_e32 v3, v22, v3
	v_add_f32_e32 v22, v24, v44
	v_sub_f32_e32 v25, v23, v22
	v_pk_add_f32 v[46:47], v[22:23], v[24:25] neg_lo:[0,1] neg_hi:[0,1]
	v_mov_b32_e32 v45, v22
	v_pk_add_f32 v[22:23], v[46:47], v[44:45] neg_lo:[0,1] neg_hi:[0,1]
	v_add_f32_e32 v3, v3, v23
	v_add_f32_e32 v3, v22, v3
	;; [unrolled: 1-line block ×4, first 2 shown]
	v_sub_f32_e32 v22, v23, v50
	v_mul_f32_e32 v3, v48, v3
	v_sub_f32_e32 v22, v49, v22
	v_add_f32_e32 v24, v22, v3
	v_add_f32_e32 v43, v23, v24
	v_cvt_f32_i32_e32 v22, v21
	v_mul_f32_e32 v44, v43, v43
	v_mov_b32_e32 v3, 0x3ecc95a3
	v_fmac_f32_e32 v3, 0x3e9b6dac, v44
	v_fma_f32 v3, v44, v3, v28
	v_sub_f32_e32 v21, v43, v23
	v_mul_f32_e32 v23, v43, v44
	v_pk_mul_f32 v[44:45], v[22:23], v[2:3]
	v_sub_f32_e32 v21, v24, v21
	v_fma_f32 v24, v22, s48, -v44
	v_ldexp_f32 v25, v43, 1
	v_fmac_f32_e32 v24, 0xb102e308, v22
	v_pk_add_f32 v[22:23], v[44:45], v[24:25]
	v_sub_f32_e32 v3, v23, v25
	v_ldexp_f32 v21, v21, 1
	v_sub_f32_e32 v3, v45, v3
	v_add_f32_e32 v47, v21, v3
	v_mov_b32_e32 v46, v44
	v_pk_add_f32 v[44:45], v[22:23], v[44:45] neg_lo:[0,1] neg_hi:[0,1]
	v_pk_add_f32 v[48:49], v[22:23], v[46:47]
	v_mov_b32_e32 v45, v49
	v_mov_b32_e32 v25, v22
	v_pk_add_f32 v[50:51], v[24:25], v[44:45] neg_lo:[0,1] neg_hi:[0,1]
	v_pk_add_f32 v[24:25], v[24:25], v[44:45]
	v_mov_b32_e32 v44, v25
	v_pk_add_f32 v[52:53], v[44:45], v[22:23] neg_lo:[0,1] neg_hi:[0,1]
	v_mov_b32_e32 v3, v52
	v_pk_add_f32 v[54:55], v[48:49], v[2:3] neg_lo:[0,1] neg_hi:[0,1]
	v_mov_b32_e32 v24, v49
	v_mov_b32_e32 v48, v23
	;; [unrolled: 1-line block ×4, first 2 shown]
	v_pk_add_f32 v[24:25], v[24:25], v[48:49] neg_lo:[0,1] neg_hi:[0,1]
	v_mov_b32_e32 v46, v47
	v_mov_b32_e32 v47, v22
	v_pk_add_f32 v[22:23], v[46:47], v[24:25] neg_lo:[0,1] neg_hi:[0,1]
	v_mov_b32_e32 v54, v50
	v_pk_add_f32 v[24:25], v[54:55], v[22:23]
	v_mov_b32_e32 v46, v25
	v_pk_add_f32 v[46:47], v[24:25], v[46:47]
	v_pk_add_f32 v[44:45], v[44:45], v[46:47]
	v_mov_b32_e32 v25, v44
	v_pk_add_f32 v[48:49], v[24:25], v[50:51] neg_lo:[0,1] neg_hi:[0,1]
	v_mov_b32_e32 v23, v46
	v_sub_f32_e32 v3, v24, v48
	v_pk_add_f32 v[22:23], v[22:23], v[48:49] neg_lo:[0,1] neg_hi:[0,1]
	v_sub_f32_e32 v3, v50, v3
	v_add_f32_e32 v3, v22, v3
	v_add_f32_e32 v3, v3, v23
	v_cmp_eq_f32_e32 vcc, s49, v20
	v_cmp_lt_f32_e64 s[10:11], |v20|, s50
	v_add_f32_e32 v3, v44, v3
	s_or_b64 vcc, vcc, s[10:11]
	v_cndmask_b32_e32 v3, v3, v20, vcc
	v_mul_f32_e32 v43, 0.5, v3
	v_max_f32_e64 v3, |v19|, |v19|
	v_max_f32_e64 v20, |v18|, |v18|
	v_min_f32_e32 v21, v20, v3
	v_max_f32_e32 v3, v20, v3
	v_frexp_mant_f32_e32 v20, v3
	v_rcp_f32_e32 v20, v20
	v_frexp_exp_i32_f32_e32 v3, v3
	v_frexp_exp_i32_f32_e32 v22, v21
	v_frexp_mant_f32_e32 v21, v21
	v_mul_f32_e32 v20, v21, v20
	v_sub_u32_e32 v3, v22, v3
	v_ldexp_f32 v3, v20, v3
	v_mul_f32_e32 v20, v3, v3
	v_mov_b32_e32 v21, 0xbc7a590c
	v_fmac_f32_e32 v21, 0x3b2d2a58, v20
	v_fma_f32 v21, v20, v21, v29
	v_fma_f32 v21, v20, v21, v30
	;; [unrolled: 1-line block ×6, first 2 shown]
	v_mul_f32_e32 v20, v20, v21
	v_fmac_f32_e32 v3, v3, v20
	v_sub_f32_e32 v20, 0x3fc90fdb, v3
	v_cndmask_b32_e64 v3, v3, v20, s[8:9]
	v_sub_f32_e32 v20, 0x40490fdb, v3
	v_cmp_gt_f32_e32 vcc, 0, v18
	v_cmp_gt_i32_e64 s[10:11], 0, v18
	v_cndmask_b32_e32 v3, v3, v20, vcc
	v_cndmask_b32_e64 v20, 0, v37, s[10:11]
	v_cmp_eq_f32_e64 s[10:11], 0, v19
	v_cndmask_b32_e64 v3, v3, v20, s[10:11]
	v_cmp_class_f32_e64 s[10:11], v18, s51
	v_cmp_class_f32_e64 s[28:29], v19, s51
	v_cndmask_b32_e32 v20, v38, v39, vcc
	s_and_b64 vcc, s[28:29], s[10:11]
	v_cndmask_b32_e32 v44, v3, v20, vcc
                                        ; implicit-def: $vgpr20
.LBB181_174:                            ;   in Loop: Header=BB181_145 Depth=1
	s_andn2_saveexec_b64 s[26:27], s[26:27]
	s_cbranch_execz .LBB181_176
; %bb.175:                              ;   in Loop: Header=BB181_145 Depth=1
	v_mul_f32_e32 v3, 0.5, v20
	v_mul_f32_e32 v43, v20, v3
	v_max_f32_e64 v3, |v19|, |v19|
	v_max_f32_e64 v20, |v18|, |v18|
	v_min_f32_e32 v21, v20, v3
	v_max_f32_e32 v3, v20, v3
	v_frexp_mant_f32_e32 v20, v3
	v_rcp_f32_e32 v20, v20
	v_frexp_exp_i32_f32_e32 v3, v3
	v_frexp_exp_i32_f32_e32 v22, v21
	v_frexp_mant_f32_e32 v21, v21
	v_mul_f32_e32 v20, v21, v20
	v_sub_u32_e32 v3, v22, v3
	v_ldexp_f32 v3, v20, v3
	v_mul_f32_e32 v20, v3, v3
	v_mov_b32_e32 v21, 0xbc7a590c
	v_fmac_f32_e32 v21, 0x3b2d2a58, v20
	v_fma_f32 v21, v20, v21, v29
	v_fma_f32 v21, v20, v21, v30
	;; [unrolled: 1-line block ×6, first 2 shown]
	v_mul_f32_e32 v20, v20, v21
	v_fmac_f32_e32 v3, v3, v20
	v_sub_f32_e32 v20, 0x3fc90fdb, v3
	v_cndmask_b32_e64 v3, v3, v20, s[8:9]
	v_sub_f32_e32 v20, 0x40490fdb, v3
	v_cmp_gt_f32_e32 vcc, 0, v18
	v_cmp_gt_i32_e64 s[10:11], 0, v18
	v_cndmask_b32_e32 v3, v3, v20, vcc
	v_cndmask_b32_e64 v20, 0, v37, s[10:11]
	v_cmp_eq_f32_e64 s[10:11], 0, v19
	v_cndmask_b32_e64 v3, v3, v20, s[10:11]
	v_cmp_class_f32_e64 s[10:11], v18, s51
	v_cmp_class_f32_e64 s[28:29], v19, s51
	v_cndmask_b32_e32 v20, v38, v39, vcc
	s_and_b64 vcc, s[28:29], s[10:11]
	v_cndmask_b32_e32 v44, v3, v20, vcc
.LBB181_176:                            ;   in Loop: Header=BB181_145 Depth=1
	s_or_b64 exec, exec, s[26:27]
.LBB181_177:                            ;   in Loop: Header=BB181_145 Depth=1
	s_or_b64 exec, exec, s[24:25]
.LBB181_178:                            ;   in Loop: Header=BB181_145 Depth=1
	s_andn2_saveexec_b64 s[22:23], s[22:23]
	s_cbranch_execz .LBB181_180
; %bb.179:                              ;   in Loop: Header=BB181_145 Depth=1
	v_div_scale_f32 v3, s[10:11], s56, s56, v18
	v_rcp_f32_e32 v20, v3
	v_div_scale_f32 v21, vcc, v18, s56, v18
	v_fma_f32 v22, -v3, v20, 1.0
	v_fmac_f32_e32 v20, v22, v20
	v_mul_f32_e32 v22, v21, v20
	v_fma_f32 v23, -v3, v22, v21
	v_fmac_f32_e32 v22, v23, v20
	v_fma_f32 v3, -v3, v22, v21
	v_div_scale_f32 v21, s[10:11], s56, s56, v19
	v_rcp_f32_e32 v23, v21
	v_div_fmas_f32 v3, v3, v20, v22
	v_div_fixup_f32 v3, v3, s56, v18
	v_fma_f32 v20, -v21, v23, 1.0
	v_fmac_f32_e32 v23, v20, v23
	v_div_scale_f32 v20, vcc, v19, s56, v19
	v_mul_f32_e32 v22, v20, v23
	v_fma_f32 v24, -v21, v22, v20
	v_fmac_f32_e32 v22, v24, v23
	v_fma_f32 v20, -v21, v22, v20
	v_div_fmas_f32 v20, v20, v23, v22
	v_div_fixup_f32 v22, v20, s56, v19
	v_max_f32_e64 v23, |v3|, |v22|
	v_cvt_f64_f32_e32 v[20:21], v23
	v_frexp_exp_i32_f64_e32 v20, v[20:21]
	v_sub_u32_e32 v21, 0, v20
	v_ldexp_f32 v3, |v3|, v21
	v_ldexp_f32 v21, |v22|, v21
	v_mul_f32_e32 v21, v21, v21
	v_fmac_f32_e32 v21, v3, v3
	v_sqrt_f32_e32 v3, v21
	v_cmp_neq_f32_e32 vcc, s49, v23
	v_ldexp_f32 v3, v3, v20
	v_cndmask_b32_e32 v3, v42, v3, vcc
	v_cmp_gt_f32_e32 vcc, s53, v3
	v_cndmask_b32_e32 v20, 1.0, v40, vcc
	v_mul_f32_e32 v3, v3, v20
	v_log_f32_e32 v3, v3
	v_mul_f32_e32 v20, 0x3f317217, v3
	v_fma_f32 v21, v3, s54, -v20
	v_fmac_f32_e32 v21, 0x3377d1cf, v3
	v_add_f32_e32 v20, v20, v21
	v_cmp_lt_f32_e64 s[10:11], |v3|, s49
	v_cndmask_b32_e64 v3, v3, v20, s[10:11]
	v_cndmask_b32_e32 v20, 0, v41, vcc
	v_sub_f32_e32 v3, v3, v20
	v_add_f32_e32 v43, 1.0, v3
	v_max_f32_e64 v3, |v19|, |v19|
	v_max_f32_e64 v20, |v18|, |v18|
	v_min_f32_e32 v21, v20, v3
	v_max_f32_e32 v3, v20, v3
	v_frexp_mant_f32_e32 v20, v3
	v_rcp_f32_e32 v20, v20
	v_frexp_exp_i32_f32_e32 v3, v3
	v_frexp_exp_i32_f32_e32 v22, v21
	v_frexp_mant_f32_e32 v21, v21
	v_mul_f32_e32 v20, v21, v20
	v_sub_u32_e32 v3, v22, v3
	v_ldexp_f32 v3, v20, v3
	v_mul_f32_e32 v20, v3, v3
	v_mov_b32_e32 v21, 0xbc7a590c
	v_fmac_f32_e32 v21, 0x3b2d2a58, v20
	v_fma_f32 v21, v20, v21, v29
	v_fma_f32 v21, v20, v21, v30
	;; [unrolled: 1-line block ×6, first 2 shown]
	v_mul_f32_e32 v20, v20, v21
	v_fmac_f32_e32 v3, v3, v20
	v_sub_f32_e32 v20, 0x3fc90fdb, v3
	v_cndmask_b32_e64 v3, v3, v20, s[8:9]
	v_sub_f32_e32 v20, 0x40490fdb, v3
	v_cmp_gt_f32_e32 vcc, 0, v18
	v_cmp_gt_i32_e64 s[8:9], 0, v18
	v_cndmask_b32_e32 v3, v3, v20, vcc
	v_cndmask_b32_e64 v20, 0, v37, s[8:9]
	v_cmp_eq_f32_e64 s[8:9], 0, v19
	v_cndmask_b32_e64 v3, v3, v20, s[8:9]
	v_cmp_class_f32_e64 s[8:9], v18, s51
	v_cmp_class_f32_e64 s[10:11], v19, s51
	v_cndmask_b32_e32 v20, v38, v39, vcc
	s_and_b64 vcc, s[10:11], s[8:9]
	v_cndmask_b32_e32 v44, v3, v20, vcc
.LBB181_180:                            ;   in Loop: Header=BB181_145 Depth=1
	s_or_b64 exec, exec, s[22:23]
.LBB181_181:                            ;   in Loop: Header=BB181_145 Depth=1
	s_andn2_saveexec_b64 s[8:9], s[20:21]
	s_cbranch_execz .LBB181_187
; %bb.182:                              ;   in Loop: Header=BB181_145 Depth=1
	v_cmp_nlt_f32_e64 s[10:11], |v18|, s57
	v_cmp_nlt_f32_e64 s[20:21], |v19|, s57
	s_or_b64 s[10:11], s[20:21], s[10:11]
                                        ; implicit-def: $vgpr3
	s_and_saveexec_b64 s[20:21], s[10:11]
	s_xor_b64 s[10:11], exec, s[20:21]
; %bb.183:                              ;   in Loop: Header=BB181_145 Depth=1
	v_pk_mul_f32 v[20:21], v[18:19], v[18:19]
	v_add_f32_e32 v3, v21, v20
; %bb.184:                              ;   in Loop: Header=BB181_145 Depth=1
	s_andn2_saveexec_b64 s[10:11], s[10:11]
; %bb.185:                              ;   in Loop: Header=BB181_145 Depth=1
	v_pk_mul_f32 v[20:21], v[18:19], 4.0 op_sel_hi:[1,0]
	v_pk_mul_f32 v[20:21], v[20:21], v[20:21]
	v_add_f32_e32 v3, v21, v20
	v_mul_f32_e32 v3, 0x3d800000, v3
; %bb.186:                              ;   in Loop: Header=BB181_145 Depth=1
	s_or_b64 exec, exec, s[10:11]
	v_cmp_gt_f32_e32 vcc, s53, v3
	v_cndmask_b32_e32 v18, 1.0, v40, vcc
	v_mul_f32_e32 v3, v3, v18
	v_log_f32_e32 v3, v3
	v_cndmask_b32_e32 v18, 0, v41, vcc
	v_mov_b32_e32 v44, 0x7fc00000
	v_mul_f32_e32 v20, 0x3f317217, v3
	v_fma_f32 v21, v3, s54, -v20
	v_fmac_f32_e32 v21, 0x3377d1cf, v3
	v_add_f32_e32 v20, v20, v21
	v_cmp_lt_f32_e64 vcc, |v3|, s49
	v_cndmask_b32_e32 v3, v3, v20, vcc
	v_sub_f32_e32 v43, v3, v18
.LBB181_187:                            ;   in Loop: Header=BB181_145 Depth=1
	s_or_b64 exec, exec, s[8:9]
	v_cmp_o_f32_e32 vcc, v17, v16
                                        ; implicit-def: $vgpr18
                                        ; implicit-def: $vgpr45
	s_and_saveexec_b64 s[8:9], vcc
	s_xor_b64 s[20:21], exec, s[8:9]
	s_cbranch_execz .LBB181_215
; %bb.188:                              ;   in Loop: Header=BB181_145 Depth=1
	v_cmp_lt_f32_e64 s[8:9], |v16|, |v17|
	v_cndmask_b32_e64 v3, v17, v16, s[8:9]
	v_cmp_ngt_f32_e64 s[10:11], |v3|, s44
                                        ; implicit-def: $vgpr18
                                        ; implicit-def: $vgpr45
	s_and_saveexec_b64 s[22:23], s[10:11]
	s_xor_b64 s[22:23], exec, s[22:23]
	s_cbranch_execz .LBB181_212
; %bb.189:                              ;   in Loop: Header=BB181_145 Depth=1
	v_cndmask_b32_e64 v18, v16, v17, s[8:9]
	v_and_b32_e32 v21, 0x7fffffff, v18
	v_and_b32_e32 v20, 0x7fffffff, v3
	v_cmp_neq_f32_e32 vcc, 1.0, v21
                                        ; implicit-def: $vgpr18
                                        ; implicit-def: $vgpr45
	s_and_saveexec_b64 s[10:11], vcc
	s_xor_b64 s[24:25], exec, s[10:11]
	s_cbranch_execz .LBB181_205
; %bb.190:                              ;   in Loop: Header=BB181_145 Depth=1
	v_max_f32_e32 v3, v20, v20
	v_max_f32_e32 v18, v21, v21
	v_min_f32_e32 v22, v18, v3
	v_max_f32_e32 v3, v18, v3
	v_cmp_ngt_f32_e32 vcc, s45, v22
	v_cmp_nlt_f32_e64 s[10:11], s46, v3
	s_and_b64 s[10:11], s[10:11], vcc
                                        ; implicit-def: $vgpr18
                                        ; implicit-def: $vgpr45
	s_and_saveexec_b64 s[26:27], s[10:11]
	s_xor_b64 s[26:27], exec, s[26:27]
	s_cbranch_execz .LBB181_202
; %bb.191:                              ;   in Loop: Header=BB181_145 Depth=1
	v_cmp_le_f32_e32 vcc, 1.0, v21
                                        ; implicit-def: $vgpr18
                                        ; implicit-def: $vgpr45
	s_and_saveexec_b64 s[10:11], vcc
	s_xor_b64 s[28:29], exec, s[10:11]
	s_cbranch_execz .LBB181_193
; %bb.192:                              ;   in Loop: Header=BB181_145 Depth=1
	v_pk_add_f32 v[22:23], v[20:21], s[18:19] op_sel:[1,0]
	v_mov_b32_e32 v18, v23
	v_pk_mul_f32 v[22:23], v[22:23], v[18:19]
	v_pk_fma_f32 v[20:21], v[20:21], v[20:21], v[22:23]
	v_add_f32_e32 v23, 1.0, v20
	v_add_f32_e32 v21, -1.0, v23
	v_mov_b32_e32 v22, v21
	v_pk_add_f32 v[24:25], v[20:21], v[22:23] neg_lo:[0,1] neg_hi:[0,1]
	v_add_f32_e32 v3, 1.0, v25
	v_add_f32_e32 v3, v24, v3
	v_frexp_mant_f32_e32 v18, v23
	v_cvt_f64_f32_e32 v[24:25], v23
	v_frexp_exp_i32_f64_e32 v21, v[24:25]
	v_cmp_gt_f32_e32 vcc, s47, v18
	v_subbrev_co_u32_e32 v18, vcc, 0, v21, vcc
	v_sub_u32_e32 v21, 0, v18
	v_ldexp_f32 v22, v23, v21
	v_ldexp_f32 v3, v3, v21
	v_add_f32_e32 v21, -1.0, v22
	v_add_f32_e32 v23, 1.0, v21
	v_sub_f32_e32 v23, v22, v23
	v_add_f32_e32 v24, v3, v23
	v_add_f32_e32 v23, 1.0, v22
	v_add_f32_e32 v25, -1.0, v23
	v_sub_f32_e32 v22, v22, v25
	v_add_f32_e32 v3, v3, v22
	v_add_f32_e32 v45, v23, v3
	v_rcp_f32_e32 v50, v45
	v_sub_f32_e32 v22, v45, v23
	v_add_f32_e32 v23, v21, v24
	v_sub_f32_e32 v21, v23, v21
	v_mul_f32_e32 v51, v23, v50
	v_sub_f32_e32 v21, v24, v21
	v_mul_f32_e32 v24, v45, v51
	v_sub_f32_e32 v3, v3, v22
	v_fma_f32 v46, v51, v45, -v24
	v_fmac_f32_e32 v46, v51, v3
	v_add_f32_e32 v22, v24, v46
	v_sub_f32_e32 v25, v23, v22
	v_pk_add_f32 v[48:49], v[22:23], v[24:25] neg_lo:[0,1] neg_hi:[0,1]
	v_mov_b32_e32 v47, v22
	v_pk_add_f32 v[22:23], v[48:49], v[46:47] neg_lo:[0,1] neg_hi:[0,1]
	v_add_f32_e32 v21, v21, v23
	v_add_f32_e32 v21, v22, v21
	;; [unrolled: 1-line block ×3, first 2 shown]
	v_mul_f32_e32 v52, v50, v23
	v_mul_f32_e32 v24, v45, v52
	v_fma_f32 v46, v52, v45, -v24
	v_fmac_f32_e32 v46, v52, v3
	v_add_f32_e32 v22, v24, v46
	v_sub_f32_e32 v3, v25, v23
	v_sub_f32_e32 v25, v23, v22
	v_pk_add_f32 v[48:49], v[22:23], v[24:25] neg_lo:[0,1] neg_hi:[0,1]
	v_mov_b32_e32 v47, v22
	v_add_f32_e32 v3, v21, v3
	v_pk_add_f32 v[22:23], v[48:49], v[46:47] neg_lo:[0,1] neg_hi:[0,1]
	v_add_f32_e32 v3, v3, v23
	v_add_f32_e32 v3, v22, v3
	;; [unrolled: 1-line block ×4, first 2 shown]
	v_sub_f32_e32 v22, v21, v51
	v_mul_f32_e32 v3, v50, v3
	v_sub_f32_e32 v22, v52, v22
	v_add_f32_e32 v23, v22, v3
	v_add_f32_e32 v24, v21, v23
	v_cvt_f32_i32_e32 v22, v18
	v_mul_f32_e32 v45, v24, v24
	v_mov_b32_e32 v3, 0x3ecc95a3
	v_fmac_f32_e32 v3, 0x3e9b6dac, v45
	v_sub_f32_e32 v18, v24, v21
	v_fma_f32 v3, v45, v3, v28
	v_sub_f32_e32 v18, v23, v18
	v_mul_f32_e32 v23, v24, v45
	v_pk_mul_f32 v[46:47], v[22:23], v[2:3]
	v_ldexp_f32 v25, v24, 1
	v_fma_f32 v24, v22, s48, -v46
	v_fmac_f32_e32 v24, 0xb102e308, v22
	v_pk_add_f32 v[22:23], v[46:47], v[24:25]
	v_sub_f32_e32 v3, v23, v25
	v_ldexp_f32 v18, v18, 1
	v_sub_f32_e32 v3, v47, v3
	v_add_f32_e32 v49, v18, v3
	v_mov_b32_e32 v48, v46
	v_pk_add_f32 v[46:47], v[22:23], v[46:47] neg_lo:[0,1] neg_hi:[0,1]
	v_pk_add_f32 v[50:51], v[22:23], v[48:49]
	v_mov_b32_e32 v47, v51
	v_mov_b32_e32 v25, v22
	v_pk_add_f32 v[52:53], v[24:25], v[46:47] neg_lo:[0,1] neg_hi:[0,1]
	v_pk_add_f32 v[24:25], v[24:25], v[46:47]
	v_mov_b32_e32 v18, v25
	v_pk_add_f32 v[46:47], v[18:19], v[22:23] neg_lo:[0,1] neg_hi:[0,1]
	v_mov_b32_e32 v3, v46
	v_pk_add_f32 v[54:55], v[50:51], v[2:3] neg_lo:[0,1] neg_hi:[0,1]
	v_mov_b32_e32 v24, v51
	v_mov_b32_e32 v50, v23
	;; [unrolled: 1-line block ×4, first 2 shown]
	v_pk_add_f32 v[24:25], v[24:25], v[50:51] neg_lo:[0,1] neg_hi:[0,1]
	v_mov_b32_e32 v46, v49
	v_mov_b32_e32 v47, v22
	v_pk_add_f32 v[22:23], v[46:47], v[24:25] neg_lo:[0,1] neg_hi:[0,1]
	v_mov_b32_e32 v54, v52
	v_pk_add_f32 v[24:25], v[54:55], v[22:23]
	v_mov_b32_e32 v46, v25
	v_pk_add_f32 v[46:47], v[24:25], v[46:47]
	v_pk_add_f32 v[48:49], v[18:19], v[46:47]
	v_mov_b32_e32 v25, v48
	v_pk_add_f32 v[50:51], v[24:25], v[52:53] neg_lo:[0,1] neg_hi:[0,1]
	v_mov_b32_e32 v23, v46
	v_sub_f32_e32 v3, v24, v50
	v_pk_add_f32 v[22:23], v[22:23], v[50:51] neg_lo:[0,1] neg_hi:[0,1]
	v_sub_f32_e32 v3, v52, v3
	v_add_f32_e32 v3, v22, v3
	v_add_f32_e32 v3, v3, v23
	;; [unrolled: 1-line block ×3, first 2 shown]
	v_cmp_eq_f32_e32 vcc, s49, v20
	v_cndmask_b32_e32 v3, v3, v20, vcc
	v_cmp_ngt_f32_e32 vcc, -1.0, v20
	v_cndmask_b32_e32 v3, v35, v3, vcc
	v_cmp_neq_f32_e32 vcc, -1.0, v20
	v_cndmask_b32_e32 v3, v36, v3, vcc
	v_cmp_lt_f32_e64 vcc, |v20|, s50
	v_cndmask_b32_e32 v3, v3, v20, vcc
	v_mul_f32_e32 v18, 0.5, v3
	v_max_f32_e64 v3, |v17|, |v17|
	v_max_f32_e64 v20, |v16|, |v16|
	v_min_f32_e32 v21, v20, v3
	v_max_f32_e32 v3, v20, v3
	v_frexp_mant_f32_e32 v20, v3
	v_rcp_f32_e32 v20, v20
	v_frexp_exp_i32_f32_e32 v3, v3
	v_frexp_exp_i32_f32_e32 v22, v21
	v_frexp_mant_f32_e32 v21, v21
	v_mul_f32_e32 v20, v21, v20
	v_sub_u32_e32 v3, v22, v3
	v_ldexp_f32 v3, v20, v3
	v_mul_f32_e32 v20, v3, v3
	v_mov_b32_e32 v21, 0xbc7a590c
	v_fmac_f32_e32 v21, 0x3b2d2a58, v20
	v_fma_f32 v21, v20, v21, v29
	v_fma_f32 v21, v20, v21, v30
	;; [unrolled: 1-line block ×6, first 2 shown]
	v_mul_f32_e32 v20, v20, v21
	v_fmac_f32_e32 v3, v3, v20
	v_sub_f32_e32 v20, 0x3fc90fdb, v3
	v_cndmask_b32_e64 v3, v3, v20, s[8:9]
	v_sub_f32_e32 v20, 0x40490fdb, v3
	v_cmp_gt_f32_e32 vcc, 0, v16
	v_cmp_gt_i32_e64 s[10:11], 0, v16
	v_cndmask_b32_e32 v3, v3, v20, vcc
	v_cndmask_b32_e64 v20, 0, v37, s[10:11]
	v_cmp_eq_f32_e64 s[10:11], 0, v17
	v_cndmask_b32_e64 v3, v3, v20, s[10:11]
	v_cmp_class_f32_e64 s[10:11], v16, s51
	v_cmp_class_f32_e64 s[30:31], v17, s51
	v_cndmask_b32_e32 v20, v38, v39, vcc
	s_and_b64 vcc, s[30:31], s[10:11]
	v_cndmask_b32_e32 v45, v3, v20, vcc
                                        ; implicit-def: $vgpr20_vgpr21
.LBB181_193:                            ;   in Loop: Header=BB181_145 Depth=1
	s_andn2_saveexec_b64 s[28:29], s[28:29]
	s_cbranch_execz .LBB181_201
; %bb.194:                              ;   in Loop: Header=BB181_145 Depth=1
	v_pk_mul_f32 v[22:23], v[20:21], v[20:21]
	v_add_f32_e32 v3, v23, v22
	v_cmp_ge_f32_e32 vcc, s52, v3
                                        ; implicit-def: $vgpr18
                                        ; implicit-def: $vgpr45
	s_and_saveexec_b64 s[10:11], vcc
	s_xor_b64 s[30:31], exec, s[10:11]
	s_cbranch_execz .LBB181_196
; %bb.195:                              ;   in Loop: Header=BB181_145 Depth=1
	v_cmp_gt_f32_e32 vcc, s53, v3
	v_cndmask_b32_e32 v18, 1.0, v40, vcc
	v_mul_f32_e32 v3, v3, v18
	v_log_f32_e32 v3, v3
	v_cndmask_b32_e32 v18, 0, v41, vcc
	v_cmp_gt_i32_e64 s[10:11], 0, v16
	v_cmp_class_f32_e64 s[34:35], v17, s51
	v_mul_f32_e32 v20, 0x3f317217, v3
	v_fma_f32 v21, v3, s54, -v20
	v_fmac_f32_e32 v21, 0x3377d1cf, v3
	v_add_f32_e32 v20, v20, v21
	v_cmp_lt_f32_e64 vcc, |v3|, s49
	v_cndmask_b32_e32 v3, v3, v20, vcc
	v_sub_f32_e32 v3, v3, v18
	v_mul_f32_e32 v18, 0.5, v3
	v_max_f32_e64 v3, |v17|, |v17|
	v_max_f32_e64 v20, |v16|, |v16|
	v_min_f32_e32 v21, v20, v3
	v_max_f32_e32 v3, v20, v3
	v_frexp_mant_f32_e32 v20, v3
	v_rcp_f32_e32 v20, v20
	v_frexp_exp_i32_f32_e32 v3, v3
	v_frexp_exp_i32_f32_e32 v22, v21
	v_frexp_mant_f32_e32 v21, v21
	v_mul_f32_e32 v20, v21, v20
	v_sub_u32_e32 v3, v22, v3
	v_ldexp_f32 v3, v20, v3
	v_mul_f32_e32 v20, v3, v3
	v_mov_b32_e32 v21, 0xbc7a590c
	v_fmac_f32_e32 v21, 0x3b2d2a58, v20
	v_fma_f32 v21, v20, v21, v29
	v_fma_f32 v21, v20, v21, v30
	;; [unrolled: 1-line block ×6, first 2 shown]
	v_mul_f32_e32 v20, v20, v21
	v_fmac_f32_e32 v3, v3, v20
	v_sub_f32_e32 v20, 0x3fc90fdb, v3
	v_cndmask_b32_e64 v3, v3, v20, s[8:9]
	v_sub_f32_e32 v20, 0x40490fdb, v3
	v_cmp_gt_f32_e32 vcc, 0, v16
	v_cndmask_b32_e32 v3, v3, v20, vcc
	v_cndmask_b32_e64 v20, 0, v37, s[10:11]
	v_cmp_eq_f32_e64 s[10:11], 0, v17
	v_cndmask_b32_e64 v3, v3, v20, s[10:11]
	v_cmp_class_f32_e64 s[10:11], v16, s51
	v_cndmask_b32_e32 v20, v38, v39, vcc
	s_and_b64 vcc, s[34:35], s[10:11]
	v_cndmask_b32_e32 v45, v3, v20, vcc
                                        ; implicit-def: $vgpr20_vgpr21
.LBB181_196:                            ;   in Loop: Header=BB181_145 Depth=1
	s_andn2_saveexec_b64 s[30:31], s[30:31]
	s_cbranch_execz .LBB181_200
; %bb.197:                              ;   in Loop: Header=BB181_145 Depth=1
	v_and_b32_e32 v23, 0x7fff0000, v20
	v_and_b32_e32 v22, 0x7fff0000, v21
	v_pk_add_f32 v[20:21], v[20:21], v[22:23] op_sel:[1,0] op_sel_hi:[0,1] neg_lo:[0,1] neg_hi:[0,1]
	v_and_b32_e32 v25, 0xffff0000, v21
	v_and_b32_e32 v24, 0xffff0000, v20
	v_add_f32_e32 v45, v22, v22
	v_pk_add_f32 v[50:51], v[20:21], v[24:25] neg_lo:[0,1] neg_hi:[0,1]
	v_pk_mul_f32 v[20:21], v[22:23], v[22:23]
	v_mul_f32_e32 v18, v45, v24
	v_add_f32_e32 v47, v23, v23
	v_pk_mul_f32 v[22:23], v[24:25], v[24:25]
	v_add_f32_e32 v24, v24, v24
	v_mul_f32_e32 v3, v47, v25
	v_mul_f32_e32 v46, v45, v50
	;; [unrolled: 1-line block ×4, first 2 shown]
	v_add_f32_e32 v24, v25, v25
	v_mul_f32_e32 v48, v24, v51
	v_pk_mul_f32 v[24:25], v[50:51], v[50:51]
	s_mov_b64 s[34:35], 0
.LBB181_198:                            ;   Parent Loop BB181_145 Depth=1
                                        ; =>  This Inner Loop Header: Depth=2
	v_cmp_nlt_f32_e32 vcc, v20, v21
	v_cndmask_b32_e32 v49, v20, v21, vcc
	v_cmp_nlt_f32_e64 s[10:11], v49, v18
	v_cndmask_b32_e64 v50, v49, v18, s[10:11]
	v_cndmask_b32_e32 v20, v21, v20, vcc
	s_and_b64 s[60:61], vcc, s[10:11]
	v_cmp_nlt_f32_e32 vcc, v50, v3
	v_cndmask_b32_e64 v21, v18, v49, s[10:11]
	v_cndmask_b32_e32 v49, v50, v3, vcc
	v_cmp_nlt_f32_e64 s[10:11], v49, v22
	v_cndmask_b32_e32 v18, v3, v50, vcc
	v_cndmask_b32_e64 v50, v49, v22, s[10:11]
	s_and_b64 s[62:63], vcc, s[10:11]
	v_cmp_nlt_f32_e32 vcc, v50, v23
	v_cndmask_b32_e64 v3, v22, v49, s[10:11]
	v_cndmask_b32_e32 v49, v50, v23, vcc
	v_cmp_nlt_f32_e64 s[10:11], v49, v46
	v_cndmask_b32_e32 v22, v23, v50, vcc
	v_cndmask_b32_e64 v50, v49, v46, s[10:11]
	v_cndmask_b32_e64 v23, v46, v49, s[10:11]
	s_and_b64 s[10:11], vcc, s[10:11]
	v_cmp_nlt_f32_e32 vcc, v50, v45
	v_cndmask_b32_e32 v49, v50, v45, vcc
	v_cndmask_b32_e32 v46, v45, v50, vcc
	s_and_b64 s[10:11], s[10:11], vcc
	v_cmp_nlt_f32_e32 vcc, v49, v47
	v_cndmask_b32_e32 v50, v49, v47, vcc
	v_cndmask_b32_e32 v45, v47, v49, vcc
	s_and_b64 s[10:11], s[10:11], vcc
	;; [unrolled: 4-line block ×4, first 2 shown]
	v_cmp_nlt_f32_e32 vcc, v50, v25
	s_and_b64 s[10:11], s[10:11], vcc
	s_and_b64 s[10:11], s[10:11], s[62:63]
	s_and_b64 s[10:11], s[10:11], s[60:61]
	s_and_b64 s[10:11], exec, s[10:11]
	v_cndmask_b32_e32 v24, v25, v50, vcc
	s_or_b64 s[34:35], s[10:11], s[34:35]
	v_cndmask_b32_e32 v25, v50, v25, vcc
	s_andn2_b64 exec, exec, s[34:35]
	s_cbranch_execnz .LBB181_198
; %bb.199:                              ;   in Loop: Header=BB181_145 Depth=1
	s_or_b64 exec, exec, s[34:35]
	v_add_f32_e32 v20, -1.0, v20
	v_add_f32_e32 v20, v20, v21
	v_add_f32_e32 v18, v20, v18
	;; [unrolled: 1-line block ×11, first 2 shown]
	v_add_f32_e32 v23, 1.0, v20
	v_add_f32_e32 v21, -1.0, v23
	v_mov_b32_e32 v22, v21
	v_pk_add_f32 v[24:25], v[20:21], v[22:23] neg_lo:[0,1] neg_hi:[0,1]
	v_add_f32_e32 v3, 1.0, v25
	v_add_f32_e32 v3, v24, v3
	v_frexp_mant_f32_e32 v18, v23
	v_cvt_f64_f32_e32 v[24:25], v23
	v_frexp_exp_i32_f64_e32 v21, v[24:25]
	v_cmp_gt_f32_e32 vcc, s47, v18
	v_subbrev_co_u32_e32 v18, vcc, 0, v21, vcc
	v_sub_u32_e32 v21, 0, v18
	v_ldexp_f32 v22, v23, v21
	v_ldexp_f32 v3, v3, v21
	v_add_f32_e32 v21, -1.0, v22
	v_add_f32_e32 v23, 1.0, v21
	v_sub_f32_e32 v23, v22, v23
	v_add_f32_e32 v24, v3, v23
	v_add_f32_e32 v23, 1.0, v22
	v_add_f32_e32 v25, -1.0, v23
	v_sub_f32_e32 v22, v22, v25
	v_add_f32_e32 v3, v3, v22
	v_add_f32_e32 v45, v23, v3
	v_rcp_f32_e32 v50, v45
	v_sub_f32_e32 v22, v45, v23
	v_add_f32_e32 v23, v21, v24
	v_sub_f32_e32 v21, v23, v21
	v_mul_f32_e32 v51, v23, v50
	v_sub_f32_e32 v21, v24, v21
	v_mul_f32_e32 v24, v45, v51
	v_sub_f32_e32 v3, v3, v22
	v_fma_f32 v46, v51, v45, -v24
	v_fmac_f32_e32 v46, v51, v3
	v_add_f32_e32 v22, v24, v46
	v_sub_f32_e32 v25, v23, v22
	v_pk_add_f32 v[48:49], v[22:23], v[24:25] neg_lo:[0,1] neg_hi:[0,1]
	v_mov_b32_e32 v47, v22
	v_pk_add_f32 v[22:23], v[48:49], v[46:47] neg_lo:[0,1] neg_hi:[0,1]
	v_add_f32_e32 v21, v21, v23
	v_add_f32_e32 v21, v22, v21
	;; [unrolled: 1-line block ×3, first 2 shown]
	v_mul_f32_e32 v52, v50, v23
	v_mul_f32_e32 v24, v45, v52
	v_fma_f32 v46, v52, v45, -v24
	v_fmac_f32_e32 v46, v52, v3
	v_add_f32_e32 v22, v24, v46
	v_sub_f32_e32 v3, v25, v23
	v_sub_f32_e32 v25, v23, v22
	v_pk_add_f32 v[48:49], v[22:23], v[24:25] neg_lo:[0,1] neg_hi:[0,1]
	v_mov_b32_e32 v47, v22
	v_add_f32_e32 v3, v21, v3
	v_pk_add_f32 v[22:23], v[48:49], v[46:47] neg_lo:[0,1] neg_hi:[0,1]
	v_add_f32_e32 v3, v3, v23
	v_add_f32_e32 v3, v22, v3
	;; [unrolled: 1-line block ×4, first 2 shown]
	v_sub_f32_e32 v22, v21, v51
	v_mul_f32_e32 v3, v50, v3
	v_sub_f32_e32 v22, v52, v22
	v_add_f32_e32 v23, v22, v3
	v_add_f32_e32 v24, v21, v23
	v_cvt_f32_i32_e32 v22, v18
	v_mul_f32_e32 v45, v24, v24
	v_mov_b32_e32 v3, 0x3ecc95a3
	v_fmac_f32_e32 v3, 0x3e9b6dac, v45
	v_sub_f32_e32 v18, v24, v21
	v_fma_f32 v3, v45, v3, v28
	v_sub_f32_e32 v18, v23, v18
	v_mul_f32_e32 v23, v24, v45
	v_pk_mul_f32 v[46:47], v[22:23], v[2:3]
	v_ldexp_f32 v25, v24, 1
	v_fma_f32 v24, v22, s48, -v46
	v_fmac_f32_e32 v24, 0xb102e308, v22
	v_pk_add_f32 v[22:23], v[46:47], v[24:25]
	v_sub_f32_e32 v3, v23, v25
	v_ldexp_f32 v18, v18, 1
	v_sub_f32_e32 v3, v47, v3
	v_add_f32_e32 v49, v18, v3
	v_mov_b32_e32 v48, v46
	v_pk_add_f32 v[46:47], v[22:23], v[46:47] neg_lo:[0,1] neg_hi:[0,1]
	v_pk_add_f32 v[50:51], v[22:23], v[48:49]
	v_mov_b32_e32 v47, v51
	v_mov_b32_e32 v25, v22
	v_pk_add_f32 v[52:53], v[24:25], v[46:47] neg_lo:[0,1] neg_hi:[0,1]
	v_pk_add_f32 v[24:25], v[24:25], v[46:47]
	v_mov_b32_e32 v18, v25
	v_pk_add_f32 v[46:47], v[18:19], v[22:23] neg_lo:[0,1] neg_hi:[0,1]
	v_mov_b32_e32 v3, v46
	v_pk_add_f32 v[54:55], v[50:51], v[2:3] neg_lo:[0,1] neg_hi:[0,1]
	v_mov_b32_e32 v24, v51
	v_mov_b32_e32 v50, v23
	;; [unrolled: 1-line block ×4, first 2 shown]
	v_pk_add_f32 v[24:25], v[24:25], v[50:51] neg_lo:[0,1] neg_hi:[0,1]
	v_mov_b32_e32 v46, v49
	v_mov_b32_e32 v47, v22
	v_pk_add_f32 v[22:23], v[46:47], v[24:25] neg_lo:[0,1] neg_hi:[0,1]
	v_mov_b32_e32 v54, v52
	v_pk_add_f32 v[24:25], v[54:55], v[22:23]
	v_mov_b32_e32 v46, v25
	v_pk_add_f32 v[46:47], v[24:25], v[46:47]
	v_pk_add_f32 v[48:49], v[18:19], v[46:47]
	v_mov_b32_e32 v25, v48
	v_pk_add_f32 v[50:51], v[24:25], v[52:53] neg_lo:[0,1] neg_hi:[0,1]
	v_mov_b32_e32 v23, v46
	v_sub_f32_e32 v3, v24, v50
	v_pk_add_f32 v[22:23], v[22:23], v[50:51] neg_lo:[0,1] neg_hi:[0,1]
	v_sub_f32_e32 v3, v52, v3
	v_add_f32_e32 v3, v22, v3
	v_add_f32_e32 v3, v3, v23
	;; [unrolled: 1-line block ×3, first 2 shown]
	v_cmp_eq_f32_e32 vcc, s49, v20
	v_cndmask_b32_e32 v3, v3, v20, vcc
	v_cmp_ngt_f32_e32 vcc, -1.0, v20
	v_cndmask_b32_e32 v3, v35, v3, vcc
	v_cmp_neq_f32_e32 vcc, -1.0, v20
	v_cndmask_b32_e32 v3, v36, v3, vcc
	v_cmp_lt_f32_e64 vcc, |v20|, s50
	v_cndmask_b32_e32 v3, v3, v20, vcc
	v_mul_f32_e32 v18, 0.5, v3
	v_max_f32_e64 v3, |v17|, |v17|
	v_max_f32_e64 v20, |v16|, |v16|
	v_min_f32_e32 v21, v20, v3
	v_max_f32_e32 v3, v20, v3
	v_frexp_mant_f32_e32 v20, v3
	v_rcp_f32_e32 v20, v20
	v_frexp_exp_i32_f32_e32 v3, v3
	v_frexp_exp_i32_f32_e32 v22, v21
	v_frexp_mant_f32_e32 v21, v21
	v_mul_f32_e32 v20, v21, v20
	v_sub_u32_e32 v3, v22, v3
	v_ldexp_f32 v3, v20, v3
	v_mul_f32_e32 v20, v3, v3
	v_mov_b32_e32 v21, 0xbc7a590c
	v_fmac_f32_e32 v21, 0x3b2d2a58, v20
	v_fma_f32 v21, v20, v21, v29
	v_fma_f32 v21, v20, v21, v30
	;; [unrolled: 1-line block ×6, first 2 shown]
	v_mul_f32_e32 v20, v20, v21
	v_fmac_f32_e32 v3, v3, v20
	v_sub_f32_e32 v20, 0x3fc90fdb, v3
	v_cndmask_b32_e64 v3, v3, v20, s[8:9]
	v_sub_f32_e32 v20, 0x40490fdb, v3
	v_cmp_gt_f32_e32 vcc, 0, v16
	v_cmp_gt_i32_e64 s[10:11], 0, v16
	v_cndmask_b32_e32 v3, v3, v20, vcc
	v_cndmask_b32_e64 v20, 0, v37, s[10:11]
	v_cmp_eq_f32_e64 s[10:11], 0, v17
	v_cndmask_b32_e64 v3, v3, v20, s[10:11]
	v_cmp_class_f32_e64 s[10:11], v16, s51
	v_cmp_class_f32_e64 s[34:35], v17, s51
	v_cndmask_b32_e32 v20, v38, v39, vcc
	s_and_b64 vcc, s[34:35], s[10:11]
	v_cndmask_b32_e32 v45, v3, v20, vcc
.LBB181_200:                            ;   in Loop: Header=BB181_145 Depth=1
	s_or_b64 exec, exec, s[30:31]
.LBB181_201:                            ;   in Loop: Header=BB181_145 Depth=1
	s_or_b64 exec, exec, s[28:29]
.LBB181_202:                            ;   in Loop: Header=BB181_145 Depth=1
	s_andn2_saveexec_b64 s[26:27], s[26:27]
	s_cbranch_execz .LBB181_204
; %bb.203:                              ;   in Loop: Header=BB181_145 Depth=1
	v_max_f32_e64 v3, |v17|, |v17|
	v_max_f32_e64 v22, |v16|, |v16|
	v_max_f32_e32 v23, v22, v3
	v_cvt_f64_f32_e32 v[20:21], v23
	v_frexp_exp_i32_f64_e32 v18, v[20:21]
	v_sub_u32_e32 v20, 0, v18
	v_ldexp_f32 v21, |v16|, v20
	v_ldexp_f32 v20, |v17|, v20
	v_mul_f32_e32 v20, v20, v20
	v_fmac_f32_e32 v20, v21, v21
	v_sqrt_f32_e32 v20, v20
	v_cmp_neq_f32_e32 vcc, s49, v23
	v_min_f32_e32 v3, v22, v3
	v_frexp_exp_i32_f32_e32 v22, v3
	v_ldexp_f32 v18, v20, v18
	v_cndmask_b32_e32 v18, v42, v18, vcc
	v_cmp_gt_f32_e32 vcc, s53, v18
	v_cndmask_b32_e32 v20, 1.0, v40, vcc
	v_mul_f32_e32 v18, v18, v20
	v_log_f32_e32 v18, v18
	v_cndmask_b32_e32 v20, 0, v41, vcc
	v_frexp_mant_f32_e32 v3, v3
	v_cmp_gt_i32_e64 s[10:11], 0, v16
	v_mul_f32_e32 v21, 0x3f317217, v18
	v_fma_f32 v24, v18, s54, -v21
	v_fmac_f32_e32 v24, 0x3377d1cf, v18
	v_add_f32_e32 v21, v21, v24
	v_cmp_lt_f32_e64 vcc, |v18|, s49
	v_cndmask_b32_e32 v18, v18, v21, vcc
	v_sub_f32_e32 v18, v18, v20
	v_frexp_mant_f32_e32 v20, v23
	v_rcp_f32_e32 v20, v20
	v_frexp_exp_i32_f32_e32 v21, v23
	v_cmp_gt_f32_e32 vcc, 0, v16
	v_cmp_class_f32_e64 s[28:29], v17, s51
	v_mul_f32_e32 v3, v3, v20
	v_sub_u32_e32 v20, v22, v21
	v_ldexp_f32 v3, v3, v20
	v_mul_f32_e32 v20, v3, v3
	v_mov_b32_e32 v21, 0xbc7a590c
	v_fmac_f32_e32 v21, 0x3b2d2a58, v20
	v_fma_f32 v21, v20, v21, v29
	v_fma_f32 v21, v20, v21, v30
	;; [unrolled: 1-line block ×6, first 2 shown]
	v_mul_f32_e32 v20, v20, v21
	v_fmac_f32_e32 v3, v3, v20
	v_sub_f32_e32 v20, 0x3fc90fdb, v3
	v_cndmask_b32_e64 v3, v3, v20, s[8:9]
	v_sub_f32_e32 v20, 0x40490fdb, v3
	v_cndmask_b32_e32 v3, v3, v20, vcc
	v_cndmask_b32_e64 v20, 0, v37, s[10:11]
	v_cmp_eq_f32_e64 s[10:11], 0, v17
	v_cndmask_b32_e64 v3, v3, v20, s[10:11]
	v_cmp_class_f32_e64 s[10:11], v16, s51
	v_cndmask_b32_e32 v20, v38, v39, vcc
	s_and_b64 vcc, s[28:29], s[10:11]
	v_cndmask_b32_e32 v45, v3, v20, vcc
.LBB181_204:                            ;   in Loop: Header=BB181_145 Depth=1
	s_or_b64 exec, exec, s[26:27]
                                        ; implicit-def: $vgpr20
.LBB181_205:                            ;   in Loop: Header=BB181_145 Depth=1
	s_andn2_saveexec_b64 s[24:25], s[24:25]
	s_cbranch_execz .LBB181_211
; %bb.206:                              ;   in Loop: Header=BB181_145 Depth=1
	v_cmp_ngt_f32_e32 vcc, s55, v20
                                        ; implicit-def: $vgpr18
                                        ; implicit-def: $vgpr45
	s_and_saveexec_b64 s[10:11], vcc
	s_xor_b64 s[26:27], exec, s[10:11]
	s_cbranch_execz .LBB181_208
; %bb.207:                              ;   in Loop: Header=BB181_145 Depth=1
	v_pk_mul_f32 v[20:21], v[20:21], v[20:21]
	v_add_f32_e32 v23, 1.0, v20
	v_add_f32_e32 v21, -1.0, v23
	v_mov_b32_e32 v22, v21
	v_pk_add_f32 v[24:25], v[20:21], v[22:23] neg_lo:[0,1] neg_hi:[0,1]
	v_add_f32_e32 v3, 1.0, v25
	v_add_f32_e32 v3, v24, v3
	v_frexp_mant_f32_e32 v18, v23
	v_cvt_f64_f32_e32 v[24:25], v23
	v_frexp_exp_i32_f64_e32 v21, v[24:25]
	v_cmp_gt_f32_e32 vcc, s47, v18
	v_subbrev_co_u32_e32 v18, vcc, 0, v21, vcc
	v_sub_u32_e32 v21, 0, v18
	v_ldexp_f32 v22, v23, v21
	v_ldexp_f32 v3, v3, v21
	v_add_f32_e32 v21, -1.0, v22
	v_add_f32_e32 v23, 1.0, v21
	v_sub_f32_e32 v23, v22, v23
	v_add_f32_e32 v24, v3, v23
	v_add_f32_e32 v23, 1.0, v22
	v_add_f32_e32 v25, -1.0, v23
	v_sub_f32_e32 v22, v22, v25
	v_add_f32_e32 v3, v3, v22
	v_add_f32_e32 v45, v23, v3
	v_rcp_f32_e32 v50, v45
	v_sub_f32_e32 v22, v23, v45
	v_add_f32_e32 v23, v21, v24
	v_sub_f32_e32 v21, v21, v23
	v_mul_f32_e32 v51, v23, v50
	v_add_f32_e32 v21, v24, v21
	v_mul_f32_e32 v24, v45, v51
	v_add_f32_e32 v3, v3, v22
	v_fma_f32 v46, v51, v45, -v24
	v_fmac_f32_e32 v46, v51, v3
	v_add_f32_e32 v22, v24, v46
	v_sub_f32_e32 v25, v23, v22
	v_pk_add_f32 v[48:49], v[22:23], v[24:25] neg_lo:[0,1] neg_hi:[0,1]
	v_mov_b32_e32 v47, v22
	v_pk_add_f32 v[22:23], v[48:49], v[46:47] neg_lo:[0,1] neg_hi:[0,1]
	v_add_f32_e32 v21, v21, v23
	v_add_f32_e32 v21, v22, v21
	;; [unrolled: 1-line block ×3, first 2 shown]
	v_mul_f32_e32 v52, v50, v23
	v_mul_f32_e32 v24, v45, v52
	v_fma_f32 v46, v52, v45, -v24
	v_fmac_f32_e32 v46, v52, v3
	v_add_f32_e32 v22, v24, v46
	v_sub_f32_e32 v3, v25, v23
	v_sub_f32_e32 v25, v23, v22
	v_pk_add_f32 v[48:49], v[22:23], v[24:25] neg_lo:[0,1] neg_hi:[0,1]
	v_mov_b32_e32 v47, v22
	v_add_f32_e32 v3, v21, v3
	v_pk_add_f32 v[22:23], v[48:49], v[46:47] neg_lo:[0,1] neg_hi:[0,1]
	v_add_f32_e32 v3, v3, v23
	v_add_f32_e32 v3, v22, v3
	;; [unrolled: 1-line block ×4, first 2 shown]
	v_sub_f32_e32 v22, v21, v51
	v_mul_f32_e32 v3, v50, v3
	v_sub_f32_e32 v22, v52, v22
	v_add_f32_e32 v23, v22, v3
	v_add_f32_e32 v24, v21, v23
	v_cvt_f32_i32_e32 v22, v18
	v_mul_f32_e32 v45, v24, v24
	v_mov_b32_e32 v3, 0x3ecc95a3
	v_fmac_f32_e32 v3, 0x3e9b6dac, v45
	v_sub_f32_e32 v18, v24, v21
	v_fma_f32 v3, v45, v3, v28
	v_sub_f32_e32 v18, v23, v18
	v_mul_f32_e32 v23, v24, v45
	v_pk_mul_f32 v[46:47], v[22:23], v[2:3]
	v_ldexp_f32 v25, v24, 1
	v_fma_f32 v24, v22, s48, -v46
	v_fmac_f32_e32 v24, 0xb102e308, v22
	v_pk_add_f32 v[22:23], v[46:47], v[24:25]
	v_sub_f32_e32 v3, v23, v25
	v_ldexp_f32 v18, v18, 1
	v_sub_f32_e32 v3, v47, v3
	v_add_f32_e32 v49, v18, v3
	v_mov_b32_e32 v48, v46
	v_pk_add_f32 v[46:47], v[22:23], v[46:47] neg_lo:[0,1] neg_hi:[0,1]
	v_pk_add_f32 v[50:51], v[22:23], v[48:49]
	v_mov_b32_e32 v47, v51
	v_mov_b32_e32 v25, v22
	v_pk_add_f32 v[52:53], v[24:25], v[46:47] neg_lo:[0,1] neg_hi:[0,1]
	v_pk_add_f32 v[24:25], v[24:25], v[46:47]
	v_mov_b32_e32 v18, v25
	v_pk_add_f32 v[46:47], v[18:19], v[22:23] neg_lo:[0,1] neg_hi:[0,1]
	v_mov_b32_e32 v3, v46
	v_pk_add_f32 v[54:55], v[50:51], v[2:3] neg_lo:[0,1] neg_hi:[0,1]
	v_mov_b32_e32 v24, v51
	v_mov_b32_e32 v50, v23
	;; [unrolled: 1-line block ×4, first 2 shown]
	v_pk_add_f32 v[24:25], v[24:25], v[50:51] neg_lo:[0,1] neg_hi:[0,1]
	v_mov_b32_e32 v46, v49
	v_mov_b32_e32 v47, v22
	v_pk_add_f32 v[22:23], v[46:47], v[24:25] neg_lo:[0,1] neg_hi:[0,1]
	v_mov_b32_e32 v54, v52
	v_pk_add_f32 v[24:25], v[54:55], v[22:23]
	v_mov_b32_e32 v46, v25
	v_pk_add_f32 v[46:47], v[24:25], v[46:47]
	v_pk_add_f32 v[48:49], v[18:19], v[46:47]
	v_mov_b32_e32 v25, v48
	v_pk_add_f32 v[50:51], v[24:25], v[52:53] neg_lo:[0,1] neg_hi:[0,1]
	v_mov_b32_e32 v23, v46
	v_sub_f32_e32 v3, v24, v50
	v_pk_add_f32 v[22:23], v[22:23], v[50:51] neg_lo:[0,1] neg_hi:[0,1]
	v_sub_f32_e32 v3, v52, v3
	v_add_f32_e32 v3, v22, v3
	v_add_f32_e32 v3, v3, v23
	v_cmp_eq_f32_e32 vcc, s49, v20
	v_cmp_lt_f32_e64 s[10:11], |v20|, s50
	v_add_f32_e32 v3, v48, v3
	s_or_b64 vcc, vcc, s[10:11]
	v_cndmask_b32_e32 v3, v3, v20, vcc
	v_mul_f32_e32 v18, 0.5, v3
	v_max_f32_e64 v3, |v17|, |v17|
	v_max_f32_e64 v20, |v16|, |v16|
	v_min_f32_e32 v21, v20, v3
	v_max_f32_e32 v3, v20, v3
	v_frexp_mant_f32_e32 v20, v3
	v_rcp_f32_e32 v20, v20
	v_frexp_exp_i32_f32_e32 v3, v3
	v_frexp_exp_i32_f32_e32 v22, v21
	v_frexp_mant_f32_e32 v21, v21
	v_mul_f32_e32 v20, v21, v20
	v_sub_u32_e32 v3, v22, v3
	v_ldexp_f32 v3, v20, v3
	v_mul_f32_e32 v20, v3, v3
	v_mov_b32_e32 v21, 0xbc7a590c
	v_fmac_f32_e32 v21, 0x3b2d2a58, v20
	v_fma_f32 v21, v20, v21, v29
	v_fma_f32 v21, v20, v21, v30
	;; [unrolled: 1-line block ×6, first 2 shown]
	v_mul_f32_e32 v20, v20, v21
	v_fmac_f32_e32 v3, v3, v20
	v_sub_f32_e32 v20, 0x3fc90fdb, v3
	v_cndmask_b32_e64 v3, v3, v20, s[8:9]
	v_sub_f32_e32 v20, 0x40490fdb, v3
	v_cmp_gt_f32_e32 vcc, 0, v16
	v_cmp_gt_i32_e64 s[10:11], 0, v16
	v_cndmask_b32_e32 v3, v3, v20, vcc
	v_cndmask_b32_e64 v20, 0, v37, s[10:11]
	v_cmp_eq_f32_e64 s[10:11], 0, v17
	v_cndmask_b32_e64 v3, v3, v20, s[10:11]
	v_cmp_class_f32_e64 s[10:11], v16, s51
	v_cmp_class_f32_e64 s[28:29], v17, s51
	v_cndmask_b32_e32 v20, v38, v39, vcc
	s_and_b64 vcc, s[28:29], s[10:11]
	v_cndmask_b32_e32 v45, v3, v20, vcc
                                        ; implicit-def: $vgpr20
.LBB181_208:                            ;   in Loop: Header=BB181_145 Depth=1
	s_andn2_saveexec_b64 s[26:27], s[26:27]
	s_cbranch_execz .LBB181_210
; %bb.209:                              ;   in Loop: Header=BB181_145 Depth=1
	v_mul_f32_e32 v3, 0.5, v20
	v_mul_f32_e32 v18, v20, v3
	v_max_f32_e64 v3, |v17|, |v17|
	v_max_f32_e64 v20, |v16|, |v16|
	v_min_f32_e32 v21, v20, v3
	v_max_f32_e32 v3, v20, v3
	v_frexp_mant_f32_e32 v20, v3
	v_rcp_f32_e32 v20, v20
	v_frexp_exp_i32_f32_e32 v3, v3
	v_frexp_exp_i32_f32_e32 v22, v21
	v_frexp_mant_f32_e32 v21, v21
	v_mul_f32_e32 v20, v21, v20
	v_sub_u32_e32 v3, v22, v3
	v_ldexp_f32 v3, v20, v3
	v_mul_f32_e32 v20, v3, v3
	v_mov_b32_e32 v21, 0xbc7a590c
	v_fmac_f32_e32 v21, 0x3b2d2a58, v20
	v_fma_f32 v21, v20, v21, v29
	v_fma_f32 v21, v20, v21, v30
	;; [unrolled: 1-line block ×6, first 2 shown]
	v_mul_f32_e32 v20, v20, v21
	v_fmac_f32_e32 v3, v3, v20
	v_sub_f32_e32 v20, 0x3fc90fdb, v3
	v_cndmask_b32_e64 v3, v3, v20, s[8:9]
	v_sub_f32_e32 v20, 0x40490fdb, v3
	v_cmp_gt_f32_e32 vcc, 0, v16
	v_cmp_gt_i32_e64 s[10:11], 0, v16
	v_cndmask_b32_e32 v3, v3, v20, vcc
	v_cndmask_b32_e64 v20, 0, v37, s[10:11]
	v_cmp_eq_f32_e64 s[10:11], 0, v17
	v_cndmask_b32_e64 v3, v3, v20, s[10:11]
	v_cmp_class_f32_e64 s[10:11], v16, s51
	v_cmp_class_f32_e64 s[28:29], v17, s51
	v_cndmask_b32_e32 v20, v38, v39, vcc
	s_and_b64 vcc, s[28:29], s[10:11]
	v_cndmask_b32_e32 v45, v3, v20, vcc
.LBB181_210:                            ;   in Loop: Header=BB181_145 Depth=1
	s_or_b64 exec, exec, s[26:27]
.LBB181_211:                            ;   in Loop: Header=BB181_145 Depth=1
	s_or_b64 exec, exec, s[24:25]
.LBB181_212:                            ;   in Loop: Header=BB181_145 Depth=1
	s_andn2_saveexec_b64 s[22:23], s[22:23]
	s_cbranch_execz .LBB181_214
; %bb.213:                              ;   in Loop: Header=BB181_145 Depth=1
	v_div_scale_f32 v3, s[10:11], s56, s56, v16
	v_rcp_f32_e32 v18, v3
	v_div_scale_f32 v20, vcc, v16, s56, v16
	v_fma_f32 v21, -v3, v18, 1.0
	v_fmac_f32_e32 v18, v21, v18
	v_mul_f32_e32 v21, v20, v18
	v_fma_f32 v22, -v3, v21, v20
	v_fmac_f32_e32 v21, v22, v18
	v_fma_f32 v3, -v3, v21, v20
	v_div_scale_f32 v20, s[10:11], s56, s56, v17
	v_rcp_f32_e32 v22, v20
	v_div_fmas_f32 v3, v3, v18, v21
	v_div_fixup_f32 v3, v3, s56, v16
	v_fma_f32 v18, -v20, v22, 1.0
	v_fmac_f32_e32 v22, v18, v22
	v_div_scale_f32 v18, vcc, v17, s56, v17
	v_mul_f32_e32 v21, v18, v22
	v_fma_f32 v23, -v20, v21, v18
	v_fmac_f32_e32 v21, v23, v22
	v_fma_f32 v18, -v20, v21, v18
	v_div_fmas_f32 v18, v18, v22, v21
	v_div_fixup_f32 v18, v18, s56, v17
	v_max_f32_e64 v22, |v3|, |v18|
	v_cvt_f64_f32_e32 v[20:21], v22
	v_frexp_exp_i32_f64_e32 v20, v[20:21]
	v_sub_u32_e32 v21, 0, v20
	v_ldexp_f32 v18, |v18|, v21
	v_ldexp_f32 v3, |v3|, v21
	v_mul_f32_e32 v18, v18, v18
	v_fmac_f32_e32 v18, v3, v3
	v_sqrt_f32_e32 v3, v18
	v_cmp_neq_f32_e32 vcc, s49, v22
	v_ldexp_f32 v3, v3, v20
	v_cndmask_b32_e32 v3, v42, v3, vcc
	v_cmp_gt_f32_e32 vcc, s53, v3
	v_cndmask_b32_e32 v18, 1.0, v40, vcc
	v_mul_f32_e32 v3, v3, v18
	v_log_f32_e32 v3, v3
	v_mul_f32_e32 v18, 0x3f317217, v3
	v_fma_f32 v20, v3, s54, -v18
	v_fmac_f32_e32 v20, 0x3377d1cf, v3
	v_add_f32_e32 v18, v18, v20
	v_cmp_lt_f32_e64 s[10:11], |v3|, s49
	v_cndmask_b32_e64 v3, v3, v18, s[10:11]
	v_cndmask_b32_e32 v18, 0, v41, vcc
	v_sub_f32_e32 v3, v3, v18
	v_add_f32_e32 v18, 1.0, v3
	v_max_f32_e64 v3, |v17|, |v17|
	v_max_f32_e64 v20, |v16|, |v16|
	v_min_f32_e32 v21, v20, v3
	v_max_f32_e32 v3, v20, v3
	v_frexp_mant_f32_e32 v20, v3
	v_rcp_f32_e32 v20, v20
	v_frexp_exp_i32_f32_e32 v3, v3
	v_frexp_exp_i32_f32_e32 v22, v21
	v_frexp_mant_f32_e32 v21, v21
	v_mul_f32_e32 v20, v21, v20
	v_sub_u32_e32 v3, v22, v3
	v_ldexp_f32 v3, v20, v3
	v_mul_f32_e32 v20, v3, v3
	v_mov_b32_e32 v21, 0xbc7a590c
	v_fmac_f32_e32 v21, 0x3b2d2a58, v20
	v_fma_f32 v21, v20, v21, v29
	v_fma_f32 v21, v20, v21, v30
	;; [unrolled: 1-line block ×6, first 2 shown]
	v_mul_f32_e32 v20, v20, v21
	v_fmac_f32_e32 v3, v3, v20
	v_sub_f32_e32 v20, 0x3fc90fdb, v3
	v_cndmask_b32_e64 v3, v3, v20, s[8:9]
	v_sub_f32_e32 v20, 0x40490fdb, v3
	v_cmp_gt_f32_e32 vcc, 0, v16
	v_cmp_gt_i32_e64 s[8:9], 0, v16
	v_cndmask_b32_e32 v3, v3, v20, vcc
	v_cndmask_b32_e64 v20, 0, v37, s[8:9]
	v_cmp_eq_f32_e64 s[8:9], 0, v17
	v_cndmask_b32_e64 v3, v3, v20, s[8:9]
	v_cmp_class_f32_e64 s[8:9], v16, s51
	v_cmp_class_f32_e64 s[10:11], v17, s51
	v_cndmask_b32_e32 v20, v38, v39, vcc
	s_and_b64 vcc, s[10:11], s[8:9]
	v_cndmask_b32_e32 v45, v3, v20, vcc
.LBB181_214:                            ;   in Loop: Header=BB181_145 Depth=1
	s_or_b64 exec, exec, s[22:23]
.LBB181_215:                            ;   in Loop: Header=BB181_145 Depth=1
	s_andn2_saveexec_b64 s[8:9], s[20:21]
	s_cbranch_execz .LBB181_221
; %bb.216:                              ;   in Loop: Header=BB181_145 Depth=1
	v_cmp_nlt_f32_e64 s[10:11], |v16|, s57
	v_cmp_nlt_f32_e64 s[20:21], |v17|, s57
	s_or_b64 s[10:11], s[20:21], s[10:11]
                                        ; implicit-def: $vgpr3
	s_and_saveexec_b64 s[20:21], s[10:11]
	s_xor_b64 s[10:11], exec, s[20:21]
; %bb.217:                              ;   in Loop: Header=BB181_145 Depth=1
	v_pk_mul_f32 v[20:21], v[16:17], v[16:17]
	v_add_f32_e32 v3, v21, v20
; %bb.218:                              ;   in Loop: Header=BB181_145 Depth=1
	s_andn2_saveexec_b64 s[10:11], s[10:11]
; %bb.219:                              ;   in Loop: Header=BB181_145 Depth=1
	v_pk_mul_f32 v[20:21], v[16:17], 4.0 op_sel_hi:[1,0]
	v_pk_mul_f32 v[20:21], v[20:21], v[20:21]
	v_add_f32_e32 v3, v21, v20
	v_mul_f32_e32 v3, 0x3d800000, v3
; %bb.220:                              ;   in Loop: Header=BB181_145 Depth=1
	s_or_b64 exec, exec, s[10:11]
	v_cmp_gt_f32_e32 vcc, s53, v3
	v_cndmask_b32_e32 v16, 1.0, v40, vcc
	v_mul_f32_e32 v3, v3, v16
	v_log_f32_e32 v3, v3
	v_cndmask_b32_e32 v16, 0, v41, vcc
	v_mov_b32_e32 v45, 0x7fc00000
	v_mul_f32_e32 v18, 0x3f317217, v3
	v_fma_f32 v20, v3, s54, -v18
	v_fmac_f32_e32 v20, 0x3377d1cf, v3
	v_add_f32_e32 v18, v18, v20
	v_cmp_lt_f32_e64 vcc, |v3|, s49
	v_cndmask_b32_e32 v3, v3, v18, vcc
	v_sub_f32_e32 v18, v3, v16
.LBB181_221:                            ;   in Loop: Header=BB181_145 Depth=1
	s_or_b64 exec, exec, s[8:9]
	v_cmp_o_f32_e32 vcc, v9, v8
                                        ; implicit-def: $vgpr16
                                        ; implicit-def: $vgpr46
	s_and_saveexec_b64 s[8:9], vcc
	s_xor_b64 s[20:21], exec, s[8:9]
	s_cbranch_execz .LBB181_249
; %bb.222:                              ;   in Loop: Header=BB181_145 Depth=1
	v_cmp_lt_f32_e64 s[8:9], |v8|, |v9|
	v_cndmask_b32_e64 v3, v9, v8, s[8:9]
	v_cmp_ngt_f32_e64 s[10:11], |v3|, s44
                                        ; implicit-def: $vgpr16
                                        ; implicit-def: $vgpr46
	s_and_saveexec_b64 s[22:23], s[10:11]
	s_xor_b64 s[22:23], exec, s[22:23]
	s_cbranch_execz .LBB181_246
; %bb.223:                              ;   in Loop: Header=BB181_145 Depth=1
	v_cndmask_b32_e64 v16, v8, v9, s[8:9]
	v_and_b32_e32 v21, 0x7fffffff, v16
	v_and_b32_e32 v20, 0x7fffffff, v3
	v_cmp_neq_f32_e32 vcc, 1.0, v21
                                        ; implicit-def: $vgpr16
                                        ; implicit-def: $vgpr46
	s_and_saveexec_b64 s[10:11], vcc
	s_xor_b64 s[24:25], exec, s[10:11]
	s_cbranch_execz .LBB181_239
; %bb.224:                              ;   in Loop: Header=BB181_145 Depth=1
	v_max_f32_e32 v3, v20, v20
	v_max_f32_e32 v16, v21, v21
	v_min_f32_e32 v22, v16, v3
	v_max_f32_e32 v3, v16, v3
	v_cmp_ngt_f32_e32 vcc, s45, v22
	v_cmp_nlt_f32_e64 s[10:11], s46, v3
	s_and_b64 s[10:11], s[10:11], vcc
                                        ; implicit-def: $vgpr16
                                        ; implicit-def: $vgpr46
	s_and_saveexec_b64 s[26:27], s[10:11]
	s_xor_b64 s[26:27], exec, s[26:27]
	s_cbranch_execz .LBB181_236
; %bb.225:                              ;   in Loop: Header=BB181_145 Depth=1
	v_cmp_le_f32_e32 vcc, 1.0, v21
                                        ; implicit-def: $vgpr16
                                        ; implicit-def: $vgpr46
	s_and_saveexec_b64 s[10:11], vcc
	s_xor_b64 s[28:29], exec, s[10:11]
	s_cbranch_execz .LBB181_227
; %bb.226:                              ;   in Loop: Header=BB181_145 Depth=1
	v_pk_add_f32 v[22:23], v[20:21], s[18:19] op_sel:[1,0]
	v_mov_b32_e32 v16, v23
	v_pk_mul_f32 v[22:23], v[22:23], v[16:17]
	v_pk_fma_f32 v[20:21], v[20:21], v[20:21], v[22:23]
	v_add_f32_e32 v23, 1.0, v20
	v_add_f32_e32 v21, -1.0, v23
	v_mov_b32_e32 v22, v21
	v_pk_add_f32 v[24:25], v[20:21], v[22:23] neg_lo:[0,1] neg_hi:[0,1]
	v_add_f32_e32 v3, 1.0, v25
	v_add_f32_e32 v3, v24, v3
	v_frexp_mant_f32_e32 v16, v23
	v_cvt_f64_f32_e32 v[24:25], v23
	v_frexp_exp_i32_f64_e32 v21, v[24:25]
	v_cmp_gt_f32_e32 vcc, s47, v16
	v_subbrev_co_u32_e32 v16, vcc, 0, v21, vcc
	v_sub_u32_e32 v21, 0, v16
	v_ldexp_f32 v22, v23, v21
	v_ldexp_f32 v3, v3, v21
	v_add_f32_e32 v21, -1.0, v22
	v_add_f32_e32 v23, 1.0, v21
	v_sub_f32_e32 v23, v22, v23
	v_add_f32_e32 v24, v3, v23
	v_add_f32_e32 v23, 1.0, v22
	v_add_f32_e32 v25, -1.0, v23
	v_sub_f32_e32 v22, v22, v25
	v_add_f32_e32 v3, v3, v22
	v_add_f32_e32 v50, v23, v3
	v_rcp_f32_e32 v51, v50
	v_sub_f32_e32 v22, v50, v23
	v_add_f32_e32 v23, v21, v24
	v_sub_f32_e32 v21, v23, v21
	v_mul_f32_e32 v52, v23, v51
	v_sub_f32_e32 v21, v24, v21
	v_mul_f32_e32 v24, v50, v52
	v_sub_f32_e32 v3, v3, v22
	v_fma_f32 v46, v52, v50, -v24
	v_fmac_f32_e32 v46, v52, v3
	v_add_f32_e32 v22, v24, v46
	v_sub_f32_e32 v25, v23, v22
	v_pk_add_f32 v[48:49], v[22:23], v[24:25] neg_lo:[0,1] neg_hi:[0,1]
	v_mov_b32_e32 v47, v22
	v_pk_add_f32 v[22:23], v[48:49], v[46:47] neg_lo:[0,1] neg_hi:[0,1]
	v_add_f32_e32 v21, v21, v23
	v_add_f32_e32 v21, v22, v21
	;; [unrolled: 1-line block ×3, first 2 shown]
	v_mul_f32_e32 v53, v51, v23
	v_mul_f32_e32 v24, v50, v53
	v_fma_f32 v46, v53, v50, -v24
	v_fmac_f32_e32 v46, v53, v3
	v_add_f32_e32 v22, v24, v46
	v_sub_f32_e32 v3, v25, v23
	v_sub_f32_e32 v25, v23, v22
	v_pk_add_f32 v[48:49], v[22:23], v[24:25] neg_lo:[0,1] neg_hi:[0,1]
	v_mov_b32_e32 v47, v22
	v_add_f32_e32 v3, v21, v3
	v_pk_add_f32 v[22:23], v[48:49], v[46:47] neg_lo:[0,1] neg_hi:[0,1]
	v_add_f32_e32 v3, v3, v23
	v_add_f32_e32 v3, v22, v3
	;; [unrolled: 1-line block ×4, first 2 shown]
	v_sub_f32_e32 v22, v21, v52
	v_mul_f32_e32 v3, v51, v3
	v_sub_f32_e32 v22, v53, v22
	v_add_f32_e32 v23, v22, v3
	v_add_f32_e32 v24, v21, v23
	v_cvt_f32_i32_e32 v22, v16
	v_mul_f32_e32 v46, v24, v24
	v_mov_b32_e32 v3, 0x3ecc95a3
	v_fmac_f32_e32 v3, 0x3e9b6dac, v46
	v_sub_f32_e32 v16, v24, v21
	v_fma_f32 v3, v46, v3, v28
	v_sub_f32_e32 v16, v23, v16
	v_mul_f32_e32 v23, v24, v46
	v_pk_mul_f32 v[46:47], v[22:23], v[2:3]
	v_ldexp_f32 v25, v24, 1
	v_fma_f32 v24, v22, s48, -v46
	v_fmac_f32_e32 v24, 0xb102e308, v22
	v_pk_add_f32 v[22:23], v[46:47], v[24:25]
	v_sub_f32_e32 v3, v23, v25
	v_ldexp_f32 v16, v16, 1
	v_sub_f32_e32 v3, v47, v3
	v_add_f32_e32 v49, v16, v3
	v_mov_b32_e32 v48, v46
	v_pk_add_f32 v[46:47], v[22:23], v[46:47] neg_lo:[0,1] neg_hi:[0,1]
	v_pk_add_f32 v[50:51], v[22:23], v[48:49]
	v_mov_b32_e32 v47, v51
	v_mov_b32_e32 v25, v22
	v_pk_add_f32 v[52:53], v[24:25], v[46:47] neg_lo:[0,1] neg_hi:[0,1]
	v_pk_add_f32 v[24:25], v[24:25], v[46:47]
	v_mov_b32_e32 v16, v25
	v_pk_add_f32 v[46:47], v[16:17], v[22:23] neg_lo:[0,1] neg_hi:[0,1]
	v_mov_b32_e32 v3, v46
	v_pk_add_f32 v[54:55], v[50:51], v[2:3] neg_lo:[0,1] neg_hi:[0,1]
	v_mov_b32_e32 v24, v51
	v_mov_b32_e32 v50, v23
	;; [unrolled: 1-line block ×4, first 2 shown]
	v_pk_add_f32 v[24:25], v[24:25], v[50:51] neg_lo:[0,1] neg_hi:[0,1]
	v_mov_b32_e32 v46, v49
	v_mov_b32_e32 v47, v22
	v_pk_add_f32 v[22:23], v[46:47], v[24:25] neg_lo:[0,1] neg_hi:[0,1]
	v_mov_b32_e32 v54, v52
	v_pk_add_f32 v[24:25], v[54:55], v[22:23]
	v_mov_b32_e32 v46, v25
	v_pk_add_f32 v[46:47], v[24:25], v[46:47]
	v_pk_add_f32 v[48:49], v[16:17], v[46:47]
	v_mov_b32_e32 v25, v48
	v_pk_add_f32 v[50:51], v[24:25], v[52:53] neg_lo:[0,1] neg_hi:[0,1]
	v_mov_b32_e32 v23, v46
	v_sub_f32_e32 v3, v24, v50
	v_pk_add_f32 v[22:23], v[22:23], v[50:51] neg_lo:[0,1] neg_hi:[0,1]
	v_sub_f32_e32 v3, v52, v3
	v_add_f32_e32 v3, v22, v3
	v_add_f32_e32 v3, v3, v23
	;; [unrolled: 1-line block ×3, first 2 shown]
	v_cmp_eq_f32_e32 vcc, s49, v20
	v_cndmask_b32_e32 v3, v3, v20, vcc
	v_cmp_ngt_f32_e32 vcc, -1.0, v20
	v_cndmask_b32_e32 v3, v35, v3, vcc
	v_cmp_neq_f32_e32 vcc, -1.0, v20
	v_cndmask_b32_e32 v3, v36, v3, vcc
	v_cmp_lt_f32_e64 vcc, |v20|, s50
	v_cndmask_b32_e32 v3, v3, v20, vcc
	v_mul_f32_e32 v16, 0.5, v3
	v_max_f32_e64 v3, |v9|, |v9|
	v_max_f32_e64 v20, |v8|, |v8|
	v_min_f32_e32 v21, v20, v3
	v_max_f32_e32 v3, v20, v3
	v_frexp_mant_f32_e32 v20, v3
	v_rcp_f32_e32 v20, v20
	v_frexp_exp_i32_f32_e32 v3, v3
	v_frexp_exp_i32_f32_e32 v22, v21
	v_frexp_mant_f32_e32 v21, v21
	v_mul_f32_e32 v20, v21, v20
	v_sub_u32_e32 v3, v22, v3
	v_ldexp_f32 v3, v20, v3
	v_mul_f32_e32 v20, v3, v3
	v_mov_b32_e32 v21, 0xbc7a590c
	v_fmac_f32_e32 v21, 0x3b2d2a58, v20
	v_fma_f32 v21, v20, v21, v29
	v_fma_f32 v21, v20, v21, v30
	;; [unrolled: 1-line block ×6, first 2 shown]
	v_mul_f32_e32 v20, v20, v21
	v_fmac_f32_e32 v3, v3, v20
	v_sub_f32_e32 v20, 0x3fc90fdb, v3
	v_cndmask_b32_e64 v3, v3, v20, s[8:9]
	v_sub_f32_e32 v20, 0x40490fdb, v3
	v_cmp_gt_f32_e32 vcc, 0, v8
	v_cmp_gt_i32_e64 s[10:11], 0, v8
	v_cndmask_b32_e32 v3, v3, v20, vcc
	v_cndmask_b32_e64 v20, 0, v37, s[10:11]
	v_cmp_eq_f32_e64 s[10:11], 0, v9
	v_cndmask_b32_e64 v3, v3, v20, s[10:11]
	v_cmp_class_f32_e64 s[10:11], v8, s51
	v_cmp_class_f32_e64 s[30:31], v9, s51
	v_cndmask_b32_e32 v20, v38, v39, vcc
	s_and_b64 vcc, s[30:31], s[10:11]
	v_cndmask_b32_e32 v46, v3, v20, vcc
                                        ; implicit-def: $vgpr20_vgpr21
.LBB181_227:                            ;   in Loop: Header=BB181_145 Depth=1
	s_andn2_saveexec_b64 s[28:29], s[28:29]
	s_cbranch_execz .LBB181_235
; %bb.228:                              ;   in Loop: Header=BB181_145 Depth=1
	v_pk_mul_f32 v[22:23], v[20:21], v[20:21]
	v_add_f32_e32 v3, v23, v22
	v_cmp_ge_f32_e32 vcc, s52, v3
                                        ; implicit-def: $vgpr16
                                        ; implicit-def: $vgpr46
	s_and_saveexec_b64 s[10:11], vcc
	s_xor_b64 s[30:31], exec, s[10:11]
	s_cbranch_execz .LBB181_230
; %bb.229:                              ;   in Loop: Header=BB181_145 Depth=1
	v_cmp_gt_f32_e32 vcc, s53, v3
	v_cndmask_b32_e32 v16, 1.0, v40, vcc
	v_mul_f32_e32 v3, v3, v16
	v_log_f32_e32 v3, v3
	v_cndmask_b32_e32 v16, 0, v41, vcc
	v_cmp_gt_i32_e64 s[10:11], 0, v8
	v_cmp_class_f32_e64 s[34:35], v9, s51
	v_mul_f32_e32 v20, 0x3f317217, v3
	v_fma_f32 v21, v3, s54, -v20
	v_fmac_f32_e32 v21, 0x3377d1cf, v3
	v_add_f32_e32 v20, v20, v21
	v_cmp_lt_f32_e64 vcc, |v3|, s49
	v_cndmask_b32_e32 v3, v3, v20, vcc
	v_sub_f32_e32 v3, v3, v16
	v_mul_f32_e32 v16, 0.5, v3
	v_max_f32_e64 v3, |v9|, |v9|
	v_max_f32_e64 v20, |v8|, |v8|
	v_min_f32_e32 v21, v20, v3
	v_max_f32_e32 v3, v20, v3
	v_frexp_mant_f32_e32 v20, v3
	v_rcp_f32_e32 v20, v20
	v_frexp_exp_i32_f32_e32 v3, v3
	v_frexp_exp_i32_f32_e32 v22, v21
	v_frexp_mant_f32_e32 v21, v21
	v_mul_f32_e32 v20, v21, v20
	v_sub_u32_e32 v3, v22, v3
	v_ldexp_f32 v3, v20, v3
	v_mul_f32_e32 v20, v3, v3
	v_mov_b32_e32 v21, 0xbc7a590c
	v_fmac_f32_e32 v21, 0x3b2d2a58, v20
	v_fma_f32 v21, v20, v21, v29
	v_fma_f32 v21, v20, v21, v30
	;; [unrolled: 1-line block ×6, first 2 shown]
	v_mul_f32_e32 v20, v20, v21
	v_fmac_f32_e32 v3, v3, v20
	v_sub_f32_e32 v20, 0x3fc90fdb, v3
	v_cndmask_b32_e64 v3, v3, v20, s[8:9]
	v_sub_f32_e32 v20, 0x40490fdb, v3
	v_cmp_gt_f32_e32 vcc, 0, v8
	v_cndmask_b32_e32 v3, v3, v20, vcc
	v_cndmask_b32_e64 v20, 0, v37, s[10:11]
	v_cmp_eq_f32_e64 s[10:11], 0, v9
	v_cndmask_b32_e64 v3, v3, v20, s[10:11]
	v_cmp_class_f32_e64 s[10:11], v8, s51
	v_cndmask_b32_e32 v20, v38, v39, vcc
	s_and_b64 vcc, s[34:35], s[10:11]
	v_cndmask_b32_e32 v46, v3, v20, vcc
                                        ; implicit-def: $vgpr20_vgpr21
.LBB181_230:                            ;   in Loop: Header=BB181_145 Depth=1
	s_andn2_saveexec_b64 s[30:31], s[30:31]
	s_cbranch_execz .LBB181_234
; %bb.231:                              ;   in Loop: Header=BB181_145 Depth=1
	v_and_b32_e32 v23, 0x7fff0000, v20
	v_and_b32_e32 v22, 0x7fff0000, v21
	v_pk_add_f32 v[20:21], v[20:21], v[22:23] op_sel:[1,0] op_sel_hi:[0,1] neg_lo:[0,1] neg_hi:[0,1]
	v_and_b32_e32 v25, 0xffff0000, v21
	v_and_b32_e32 v24, 0xffff0000, v20
	v_add_f32_e32 v46, v22, v22
	v_pk_add_f32 v[50:51], v[20:21], v[24:25] neg_lo:[0,1] neg_hi:[0,1]
	v_pk_mul_f32 v[20:21], v[22:23], v[22:23]
	v_mul_f32_e32 v16, v46, v24
	v_add_f32_e32 v48, v23, v23
	v_pk_mul_f32 v[22:23], v[24:25], v[24:25]
	v_add_f32_e32 v24, v24, v24
	v_mul_f32_e32 v3, v48, v25
	v_mul_f32_e32 v47, v46, v50
	v_mul_f32_e32 v46, v48, v51
	v_mul_f32_e32 v48, v24, v50
	v_add_f32_e32 v24, v25, v25
	v_mul_f32_e32 v49, v24, v51
	v_pk_mul_f32 v[24:25], v[50:51], v[50:51]
	s_mov_b64 s[34:35], 0
.LBB181_232:                            ;   Parent Loop BB181_145 Depth=1
                                        ; =>  This Inner Loop Header: Depth=2
	v_cmp_nlt_f32_e32 vcc, v20, v21
	v_cndmask_b32_e32 v50, v20, v21, vcc
	v_cmp_nlt_f32_e64 s[10:11], v50, v16
	v_cndmask_b32_e64 v51, v50, v16, s[10:11]
	v_cndmask_b32_e32 v20, v21, v20, vcc
	s_and_b64 s[60:61], vcc, s[10:11]
	v_cmp_nlt_f32_e32 vcc, v51, v3
	v_cndmask_b32_e64 v21, v16, v50, s[10:11]
	v_cndmask_b32_e32 v50, v51, v3, vcc
	v_cmp_nlt_f32_e64 s[10:11], v50, v22
	v_cndmask_b32_e32 v16, v3, v51, vcc
	v_cndmask_b32_e64 v51, v50, v22, s[10:11]
	s_and_b64 s[62:63], vcc, s[10:11]
	v_cmp_nlt_f32_e32 vcc, v51, v23
	v_cndmask_b32_e64 v3, v22, v50, s[10:11]
	v_cndmask_b32_e32 v50, v51, v23, vcc
	v_cmp_nlt_f32_e64 s[10:11], v50, v47
	v_cndmask_b32_e32 v22, v23, v51, vcc
	v_cndmask_b32_e64 v51, v50, v47, s[10:11]
	v_cndmask_b32_e64 v23, v47, v50, s[10:11]
	s_and_b64 s[10:11], vcc, s[10:11]
	v_cmp_nlt_f32_e32 vcc, v51, v46
	v_cndmask_b32_e32 v50, v51, v46, vcc
	v_cndmask_b32_e32 v47, v46, v51, vcc
	s_and_b64 s[10:11], s[10:11], vcc
	v_cmp_nlt_f32_e32 vcc, v50, v48
	v_cndmask_b32_e32 v51, v50, v48, vcc
	v_cndmask_b32_e32 v46, v48, v50, vcc
	s_and_b64 s[10:11], s[10:11], vcc
	v_cmp_nlt_f32_e32 vcc, v51, v49
	v_cndmask_b32_e32 v50, v51, v49, vcc
	v_cndmask_b32_e32 v48, v49, v51, vcc
	s_and_b64 s[10:11], s[10:11], vcc
	v_cmp_nlt_f32_e32 vcc, v50, v24
	v_cndmask_b32_e32 v51, v50, v24, vcc
	v_cndmask_b32_e32 v49, v24, v50, vcc
	s_and_b64 s[10:11], s[10:11], vcc
	v_cmp_nlt_f32_e32 vcc, v51, v25
	s_and_b64 s[10:11], s[10:11], vcc
	s_and_b64 s[10:11], s[10:11], s[62:63]
	s_and_b64 s[10:11], s[10:11], s[60:61]
	s_and_b64 s[10:11], exec, s[10:11]
	v_cndmask_b32_e32 v24, v25, v51, vcc
	s_or_b64 s[34:35], s[10:11], s[34:35]
	v_cndmask_b32_e32 v25, v51, v25, vcc
	s_andn2_b64 exec, exec, s[34:35]
	s_cbranch_execnz .LBB181_232
; %bb.233:                              ;   in Loop: Header=BB181_145 Depth=1
	s_or_b64 exec, exec, s[34:35]
	v_add_f32_e32 v20, -1.0, v20
	v_add_f32_e32 v20, v20, v21
	v_add_f32_e32 v16, v20, v16
	;; [unrolled: 1-line block ×11, first 2 shown]
	v_add_f32_e32 v23, 1.0, v20
	v_add_f32_e32 v21, -1.0, v23
	v_mov_b32_e32 v22, v21
	v_pk_add_f32 v[24:25], v[20:21], v[22:23] neg_lo:[0,1] neg_hi:[0,1]
	v_add_f32_e32 v3, 1.0, v25
	v_add_f32_e32 v3, v24, v3
	v_frexp_mant_f32_e32 v16, v23
	v_cvt_f64_f32_e32 v[24:25], v23
	v_frexp_exp_i32_f64_e32 v21, v[24:25]
	v_cmp_gt_f32_e32 vcc, s47, v16
	v_subbrev_co_u32_e32 v16, vcc, 0, v21, vcc
	v_sub_u32_e32 v21, 0, v16
	v_ldexp_f32 v22, v23, v21
	v_ldexp_f32 v3, v3, v21
	v_add_f32_e32 v21, -1.0, v22
	v_add_f32_e32 v23, 1.0, v21
	v_sub_f32_e32 v23, v22, v23
	v_add_f32_e32 v24, v3, v23
	v_add_f32_e32 v23, 1.0, v22
	v_add_f32_e32 v25, -1.0, v23
	v_sub_f32_e32 v22, v22, v25
	v_add_f32_e32 v3, v3, v22
	v_add_f32_e32 v50, v23, v3
	v_rcp_f32_e32 v51, v50
	v_sub_f32_e32 v22, v50, v23
	v_add_f32_e32 v23, v21, v24
	v_sub_f32_e32 v21, v23, v21
	v_mul_f32_e32 v52, v23, v51
	v_sub_f32_e32 v21, v24, v21
	v_mul_f32_e32 v24, v50, v52
	v_sub_f32_e32 v3, v3, v22
	v_fma_f32 v46, v52, v50, -v24
	v_fmac_f32_e32 v46, v52, v3
	v_add_f32_e32 v22, v24, v46
	v_sub_f32_e32 v25, v23, v22
	v_pk_add_f32 v[48:49], v[22:23], v[24:25] neg_lo:[0,1] neg_hi:[0,1]
	v_mov_b32_e32 v47, v22
	v_pk_add_f32 v[22:23], v[48:49], v[46:47] neg_lo:[0,1] neg_hi:[0,1]
	v_add_f32_e32 v21, v21, v23
	v_add_f32_e32 v21, v22, v21
	v_add_f32_e32 v23, v25, v21
	v_mul_f32_e32 v53, v51, v23
	v_mul_f32_e32 v24, v50, v53
	v_fma_f32 v46, v53, v50, -v24
	v_fmac_f32_e32 v46, v53, v3
	v_add_f32_e32 v22, v24, v46
	v_sub_f32_e32 v3, v25, v23
	v_sub_f32_e32 v25, v23, v22
	v_pk_add_f32 v[48:49], v[22:23], v[24:25] neg_lo:[0,1] neg_hi:[0,1]
	v_mov_b32_e32 v47, v22
	v_add_f32_e32 v3, v21, v3
	v_pk_add_f32 v[22:23], v[48:49], v[46:47] neg_lo:[0,1] neg_hi:[0,1]
	v_add_f32_e32 v3, v3, v23
	v_add_f32_e32 v3, v22, v3
	v_add_f32_e32 v21, v52, v53
	v_add_f32_e32 v3, v25, v3
	v_sub_f32_e32 v22, v21, v52
	v_mul_f32_e32 v3, v51, v3
	v_sub_f32_e32 v22, v53, v22
	v_add_f32_e32 v23, v22, v3
	v_add_f32_e32 v24, v21, v23
	v_cvt_f32_i32_e32 v22, v16
	v_mul_f32_e32 v46, v24, v24
	v_mov_b32_e32 v3, 0x3ecc95a3
	v_fmac_f32_e32 v3, 0x3e9b6dac, v46
	v_sub_f32_e32 v16, v24, v21
	v_fma_f32 v3, v46, v3, v28
	v_sub_f32_e32 v16, v23, v16
	v_mul_f32_e32 v23, v24, v46
	v_pk_mul_f32 v[46:47], v[22:23], v[2:3]
	v_ldexp_f32 v25, v24, 1
	v_fma_f32 v24, v22, s48, -v46
	v_fmac_f32_e32 v24, 0xb102e308, v22
	v_pk_add_f32 v[22:23], v[46:47], v[24:25]
	v_sub_f32_e32 v3, v23, v25
	v_ldexp_f32 v16, v16, 1
	v_sub_f32_e32 v3, v47, v3
	v_add_f32_e32 v49, v16, v3
	v_mov_b32_e32 v48, v46
	v_pk_add_f32 v[46:47], v[22:23], v[46:47] neg_lo:[0,1] neg_hi:[0,1]
	v_pk_add_f32 v[50:51], v[22:23], v[48:49]
	v_mov_b32_e32 v47, v51
	v_mov_b32_e32 v25, v22
	v_pk_add_f32 v[52:53], v[24:25], v[46:47] neg_lo:[0,1] neg_hi:[0,1]
	v_pk_add_f32 v[24:25], v[24:25], v[46:47]
	v_mov_b32_e32 v16, v25
	v_pk_add_f32 v[46:47], v[16:17], v[22:23] neg_lo:[0,1] neg_hi:[0,1]
	v_mov_b32_e32 v3, v46
	v_pk_add_f32 v[54:55], v[50:51], v[2:3] neg_lo:[0,1] neg_hi:[0,1]
	v_mov_b32_e32 v24, v51
	v_mov_b32_e32 v50, v23
	v_mov_b32_e32 v51, v46
	v_mov_b32_e32 v53, v25
	v_pk_add_f32 v[24:25], v[24:25], v[50:51] neg_lo:[0,1] neg_hi:[0,1]
	v_mov_b32_e32 v46, v49
	v_mov_b32_e32 v47, v22
	v_pk_add_f32 v[22:23], v[46:47], v[24:25] neg_lo:[0,1] neg_hi:[0,1]
	v_mov_b32_e32 v54, v52
	v_pk_add_f32 v[24:25], v[54:55], v[22:23]
	v_mov_b32_e32 v46, v25
	v_pk_add_f32 v[46:47], v[24:25], v[46:47]
	v_pk_add_f32 v[48:49], v[16:17], v[46:47]
	v_mov_b32_e32 v25, v48
	v_pk_add_f32 v[50:51], v[24:25], v[52:53] neg_lo:[0,1] neg_hi:[0,1]
	v_mov_b32_e32 v23, v46
	v_sub_f32_e32 v3, v24, v50
	v_pk_add_f32 v[22:23], v[22:23], v[50:51] neg_lo:[0,1] neg_hi:[0,1]
	v_sub_f32_e32 v3, v52, v3
	v_add_f32_e32 v3, v22, v3
	v_add_f32_e32 v3, v3, v23
	;; [unrolled: 1-line block ×3, first 2 shown]
	v_cmp_eq_f32_e32 vcc, s49, v20
	v_cndmask_b32_e32 v3, v3, v20, vcc
	v_cmp_ngt_f32_e32 vcc, -1.0, v20
	v_cndmask_b32_e32 v3, v35, v3, vcc
	v_cmp_neq_f32_e32 vcc, -1.0, v20
	v_cndmask_b32_e32 v3, v36, v3, vcc
	v_cmp_lt_f32_e64 vcc, |v20|, s50
	v_cndmask_b32_e32 v3, v3, v20, vcc
	v_mul_f32_e32 v16, 0.5, v3
	v_max_f32_e64 v3, |v9|, |v9|
	v_max_f32_e64 v20, |v8|, |v8|
	v_min_f32_e32 v21, v20, v3
	v_max_f32_e32 v3, v20, v3
	v_frexp_mant_f32_e32 v20, v3
	v_rcp_f32_e32 v20, v20
	v_frexp_exp_i32_f32_e32 v3, v3
	v_frexp_exp_i32_f32_e32 v22, v21
	v_frexp_mant_f32_e32 v21, v21
	v_mul_f32_e32 v20, v21, v20
	v_sub_u32_e32 v3, v22, v3
	v_ldexp_f32 v3, v20, v3
	v_mul_f32_e32 v20, v3, v3
	v_mov_b32_e32 v21, 0xbc7a590c
	v_fmac_f32_e32 v21, 0x3b2d2a58, v20
	v_fma_f32 v21, v20, v21, v29
	v_fma_f32 v21, v20, v21, v30
	;; [unrolled: 1-line block ×6, first 2 shown]
	v_mul_f32_e32 v20, v20, v21
	v_fmac_f32_e32 v3, v3, v20
	v_sub_f32_e32 v20, 0x3fc90fdb, v3
	v_cndmask_b32_e64 v3, v3, v20, s[8:9]
	v_sub_f32_e32 v20, 0x40490fdb, v3
	v_cmp_gt_f32_e32 vcc, 0, v8
	v_cmp_gt_i32_e64 s[10:11], 0, v8
	v_cndmask_b32_e32 v3, v3, v20, vcc
	v_cndmask_b32_e64 v20, 0, v37, s[10:11]
	v_cmp_eq_f32_e64 s[10:11], 0, v9
	v_cndmask_b32_e64 v3, v3, v20, s[10:11]
	v_cmp_class_f32_e64 s[10:11], v8, s51
	v_cmp_class_f32_e64 s[34:35], v9, s51
	v_cndmask_b32_e32 v20, v38, v39, vcc
	s_and_b64 vcc, s[34:35], s[10:11]
	v_cndmask_b32_e32 v46, v3, v20, vcc
.LBB181_234:                            ;   in Loop: Header=BB181_145 Depth=1
	s_or_b64 exec, exec, s[30:31]
.LBB181_235:                            ;   in Loop: Header=BB181_145 Depth=1
	s_or_b64 exec, exec, s[28:29]
.LBB181_236:                            ;   in Loop: Header=BB181_145 Depth=1
	s_andn2_saveexec_b64 s[26:27], s[26:27]
	s_cbranch_execz .LBB181_238
; %bb.237:                              ;   in Loop: Header=BB181_145 Depth=1
	v_max_f32_e64 v3, |v9|, |v9|
	v_max_f32_e64 v22, |v8|, |v8|
	v_max_f32_e32 v23, v22, v3
	v_cvt_f64_f32_e32 v[20:21], v23
	v_frexp_exp_i32_f64_e32 v16, v[20:21]
	v_sub_u32_e32 v20, 0, v16
	v_ldexp_f32 v21, |v8|, v20
	v_ldexp_f32 v20, |v9|, v20
	v_mul_f32_e32 v20, v20, v20
	v_fmac_f32_e32 v20, v21, v21
	v_sqrt_f32_e32 v20, v20
	v_cmp_neq_f32_e32 vcc, s49, v23
	v_min_f32_e32 v3, v22, v3
	v_frexp_exp_i32_f32_e32 v22, v3
	v_ldexp_f32 v16, v20, v16
	v_cndmask_b32_e32 v16, v42, v16, vcc
	v_cmp_gt_f32_e32 vcc, s53, v16
	v_cndmask_b32_e32 v20, 1.0, v40, vcc
	v_mul_f32_e32 v16, v16, v20
	v_log_f32_e32 v16, v16
	v_cndmask_b32_e32 v20, 0, v41, vcc
	v_frexp_mant_f32_e32 v3, v3
	v_cmp_gt_i32_e64 s[10:11], 0, v8
	v_mul_f32_e32 v21, 0x3f317217, v16
	v_fma_f32 v24, v16, s54, -v21
	v_fmac_f32_e32 v24, 0x3377d1cf, v16
	v_add_f32_e32 v21, v21, v24
	v_cmp_lt_f32_e64 vcc, |v16|, s49
	v_cndmask_b32_e32 v16, v16, v21, vcc
	v_sub_f32_e32 v16, v16, v20
	v_frexp_mant_f32_e32 v20, v23
	v_rcp_f32_e32 v20, v20
	v_frexp_exp_i32_f32_e32 v21, v23
	v_cmp_gt_f32_e32 vcc, 0, v8
	v_cmp_class_f32_e64 s[28:29], v9, s51
	v_mul_f32_e32 v3, v3, v20
	v_sub_u32_e32 v20, v22, v21
	v_ldexp_f32 v3, v3, v20
	v_mul_f32_e32 v20, v3, v3
	v_mov_b32_e32 v21, 0xbc7a590c
	v_fmac_f32_e32 v21, 0x3b2d2a58, v20
	v_fma_f32 v21, v20, v21, v29
	v_fma_f32 v21, v20, v21, v30
	;; [unrolled: 1-line block ×6, first 2 shown]
	v_mul_f32_e32 v20, v20, v21
	v_fmac_f32_e32 v3, v3, v20
	v_sub_f32_e32 v20, 0x3fc90fdb, v3
	v_cndmask_b32_e64 v3, v3, v20, s[8:9]
	v_sub_f32_e32 v20, 0x40490fdb, v3
	v_cndmask_b32_e32 v3, v3, v20, vcc
	v_cndmask_b32_e64 v20, 0, v37, s[10:11]
	v_cmp_eq_f32_e64 s[10:11], 0, v9
	v_cndmask_b32_e64 v3, v3, v20, s[10:11]
	v_cmp_class_f32_e64 s[10:11], v8, s51
	v_cndmask_b32_e32 v20, v38, v39, vcc
	s_and_b64 vcc, s[28:29], s[10:11]
	v_cndmask_b32_e32 v46, v3, v20, vcc
.LBB181_238:                            ;   in Loop: Header=BB181_145 Depth=1
	s_or_b64 exec, exec, s[26:27]
                                        ; implicit-def: $vgpr20
.LBB181_239:                            ;   in Loop: Header=BB181_145 Depth=1
	s_andn2_saveexec_b64 s[24:25], s[24:25]
	s_cbranch_execz .LBB181_245
; %bb.240:                              ;   in Loop: Header=BB181_145 Depth=1
	v_cmp_ngt_f32_e32 vcc, s55, v20
                                        ; implicit-def: $vgpr16
                                        ; implicit-def: $vgpr46
	s_and_saveexec_b64 s[10:11], vcc
	s_xor_b64 s[26:27], exec, s[10:11]
	s_cbranch_execz .LBB181_242
; %bb.241:                              ;   in Loop: Header=BB181_145 Depth=1
	v_pk_mul_f32 v[20:21], v[20:21], v[20:21]
	v_add_f32_e32 v23, 1.0, v20
	v_add_f32_e32 v21, -1.0, v23
	v_mov_b32_e32 v22, v21
	v_pk_add_f32 v[24:25], v[20:21], v[22:23] neg_lo:[0,1] neg_hi:[0,1]
	v_add_f32_e32 v3, 1.0, v25
	v_add_f32_e32 v3, v24, v3
	v_frexp_mant_f32_e32 v16, v23
	v_cvt_f64_f32_e32 v[24:25], v23
	v_frexp_exp_i32_f64_e32 v21, v[24:25]
	v_cmp_gt_f32_e32 vcc, s47, v16
	v_subbrev_co_u32_e32 v16, vcc, 0, v21, vcc
	v_sub_u32_e32 v21, 0, v16
	v_ldexp_f32 v22, v23, v21
	v_ldexp_f32 v3, v3, v21
	v_add_f32_e32 v21, -1.0, v22
	v_add_f32_e32 v23, 1.0, v21
	v_sub_f32_e32 v23, v22, v23
	v_add_f32_e32 v24, v3, v23
	v_add_f32_e32 v23, 1.0, v22
	v_add_f32_e32 v25, -1.0, v23
	v_sub_f32_e32 v22, v22, v25
	v_add_f32_e32 v3, v3, v22
	v_add_f32_e32 v50, v23, v3
	v_rcp_f32_e32 v51, v50
	v_sub_f32_e32 v22, v23, v50
	v_add_f32_e32 v23, v21, v24
	v_sub_f32_e32 v21, v21, v23
	v_mul_f32_e32 v52, v23, v51
	v_add_f32_e32 v21, v24, v21
	v_mul_f32_e32 v24, v50, v52
	v_add_f32_e32 v3, v3, v22
	v_fma_f32 v46, v52, v50, -v24
	v_fmac_f32_e32 v46, v52, v3
	v_add_f32_e32 v22, v24, v46
	v_sub_f32_e32 v25, v23, v22
	v_pk_add_f32 v[48:49], v[22:23], v[24:25] neg_lo:[0,1] neg_hi:[0,1]
	v_mov_b32_e32 v47, v22
	v_pk_add_f32 v[22:23], v[48:49], v[46:47] neg_lo:[0,1] neg_hi:[0,1]
	v_add_f32_e32 v21, v21, v23
	v_add_f32_e32 v21, v22, v21
	;; [unrolled: 1-line block ×3, first 2 shown]
	v_mul_f32_e32 v53, v51, v23
	v_mul_f32_e32 v24, v50, v53
	v_fma_f32 v46, v53, v50, -v24
	v_fmac_f32_e32 v46, v53, v3
	v_add_f32_e32 v22, v24, v46
	v_sub_f32_e32 v3, v25, v23
	v_sub_f32_e32 v25, v23, v22
	v_pk_add_f32 v[48:49], v[22:23], v[24:25] neg_lo:[0,1] neg_hi:[0,1]
	v_mov_b32_e32 v47, v22
	v_add_f32_e32 v3, v21, v3
	v_pk_add_f32 v[22:23], v[48:49], v[46:47] neg_lo:[0,1] neg_hi:[0,1]
	v_add_f32_e32 v3, v3, v23
	v_add_f32_e32 v3, v22, v3
	;; [unrolled: 1-line block ×4, first 2 shown]
	v_sub_f32_e32 v22, v21, v52
	v_mul_f32_e32 v3, v51, v3
	v_sub_f32_e32 v22, v53, v22
	v_add_f32_e32 v23, v22, v3
	v_add_f32_e32 v24, v21, v23
	v_cvt_f32_i32_e32 v22, v16
	v_mul_f32_e32 v46, v24, v24
	v_mov_b32_e32 v3, 0x3ecc95a3
	v_fmac_f32_e32 v3, 0x3e9b6dac, v46
	v_sub_f32_e32 v16, v24, v21
	v_fma_f32 v3, v46, v3, v28
	v_sub_f32_e32 v16, v23, v16
	v_mul_f32_e32 v23, v24, v46
	v_pk_mul_f32 v[46:47], v[22:23], v[2:3]
	v_ldexp_f32 v25, v24, 1
	v_fma_f32 v24, v22, s48, -v46
	v_fmac_f32_e32 v24, 0xb102e308, v22
	v_pk_add_f32 v[22:23], v[46:47], v[24:25]
	v_sub_f32_e32 v3, v23, v25
	v_ldexp_f32 v16, v16, 1
	v_sub_f32_e32 v3, v47, v3
	v_add_f32_e32 v49, v16, v3
	v_mov_b32_e32 v48, v46
	v_pk_add_f32 v[46:47], v[22:23], v[46:47] neg_lo:[0,1] neg_hi:[0,1]
	v_pk_add_f32 v[50:51], v[22:23], v[48:49]
	v_mov_b32_e32 v47, v51
	v_mov_b32_e32 v25, v22
	v_pk_add_f32 v[52:53], v[24:25], v[46:47] neg_lo:[0,1] neg_hi:[0,1]
	v_pk_add_f32 v[24:25], v[24:25], v[46:47]
	v_mov_b32_e32 v16, v25
	v_pk_add_f32 v[46:47], v[16:17], v[22:23] neg_lo:[0,1] neg_hi:[0,1]
	v_mov_b32_e32 v3, v46
	v_pk_add_f32 v[54:55], v[50:51], v[2:3] neg_lo:[0,1] neg_hi:[0,1]
	v_mov_b32_e32 v24, v51
	v_mov_b32_e32 v50, v23
	;; [unrolled: 1-line block ×4, first 2 shown]
	v_pk_add_f32 v[24:25], v[24:25], v[50:51] neg_lo:[0,1] neg_hi:[0,1]
	v_mov_b32_e32 v46, v49
	v_mov_b32_e32 v47, v22
	v_pk_add_f32 v[22:23], v[46:47], v[24:25] neg_lo:[0,1] neg_hi:[0,1]
	v_mov_b32_e32 v54, v52
	v_pk_add_f32 v[24:25], v[54:55], v[22:23]
	v_mov_b32_e32 v46, v25
	v_pk_add_f32 v[46:47], v[24:25], v[46:47]
	v_pk_add_f32 v[48:49], v[16:17], v[46:47]
	v_mov_b32_e32 v25, v48
	v_pk_add_f32 v[50:51], v[24:25], v[52:53] neg_lo:[0,1] neg_hi:[0,1]
	v_mov_b32_e32 v23, v46
	v_sub_f32_e32 v3, v24, v50
	v_pk_add_f32 v[22:23], v[22:23], v[50:51] neg_lo:[0,1] neg_hi:[0,1]
	v_sub_f32_e32 v3, v52, v3
	v_add_f32_e32 v3, v22, v3
	v_add_f32_e32 v3, v3, v23
	v_cmp_eq_f32_e32 vcc, s49, v20
	v_cmp_lt_f32_e64 s[10:11], |v20|, s50
	v_add_f32_e32 v3, v48, v3
	s_or_b64 vcc, vcc, s[10:11]
	v_cndmask_b32_e32 v3, v3, v20, vcc
	v_mul_f32_e32 v16, 0.5, v3
	v_max_f32_e64 v3, |v9|, |v9|
	v_max_f32_e64 v20, |v8|, |v8|
	v_min_f32_e32 v21, v20, v3
	v_max_f32_e32 v3, v20, v3
	v_frexp_mant_f32_e32 v20, v3
	v_rcp_f32_e32 v20, v20
	v_frexp_exp_i32_f32_e32 v3, v3
	v_frexp_exp_i32_f32_e32 v22, v21
	v_frexp_mant_f32_e32 v21, v21
	v_mul_f32_e32 v20, v21, v20
	v_sub_u32_e32 v3, v22, v3
	v_ldexp_f32 v3, v20, v3
	v_mul_f32_e32 v20, v3, v3
	v_mov_b32_e32 v21, 0xbc7a590c
	v_fmac_f32_e32 v21, 0x3b2d2a58, v20
	v_fma_f32 v21, v20, v21, v29
	v_fma_f32 v21, v20, v21, v30
	;; [unrolled: 1-line block ×6, first 2 shown]
	v_mul_f32_e32 v20, v20, v21
	v_fmac_f32_e32 v3, v3, v20
	v_sub_f32_e32 v20, 0x3fc90fdb, v3
	v_cndmask_b32_e64 v3, v3, v20, s[8:9]
	v_sub_f32_e32 v20, 0x40490fdb, v3
	v_cmp_gt_f32_e32 vcc, 0, v8
	v_cmp_gt_i32_e64 s[10:11], 0, v8
	v_cndmask_b32_e32 v3, v3, v20, vcc
	v_cndmask_b32_e64 v20, 0, v37, s[10:11]
	v_cmp_eq_f32_e64 s[10:11], 0, v9
	v_cndmask_b32_e64 v3, v3, v20, s[10:11]
	v_cmp_class_f32_e64 s[10:11], v8, s51
	v_cmp_class_f32_e64 s[28:29], v9, s51
	v_cndmask_b32_e32 v20, v38, v39, vcc
	s_and_b64 vcc, s[28:29], s[10:11]
	v_cndmask_b32_e32 v46, v3, v20, vcc
                                        ; implicit-def: $vgpr20
.LBB181_242:                            ;   in Loop: Header=BB181_145 Depth=1
	s_andn2_saveexec_b64 s[26:27], s[26:27]
	s_cbranch_execz .LBB181_244
; %bb.243:                              ;   in Loop: Header=BB181_145 Depth=1
	v_mul_f32_e32 v3, 0.5, v20
	v_mul_f32_e32 v16, v20, v3
	v_max_f32_e64 v3, |v9|, |v9|
	v_max_f32_e64 v20, |v8|, |v8|
	v_min_f32_e32 v21, v20, v3
	v_max_f32_e32 v3, v20, v3
	v_frexp_mant_f32_e32 v20, v3
	v_rcp_f32_e32 v20, v20
	v_frexp_exp_i32_f32_e32 v3, v3
	v_frexp_exp_i32_f32_e32 v22, v21
	v_frexp_mant_f32_e32 v21, v21
	v_mul_f32_e32 v20, v21, v20
	v_sub_u32_e32 v3, v22, v3
	v_ldexp_f32 v3, v20, v3
	v_mul_f32_e32 v20, v3, v3
	v_mov_b32_e32 v21, 0xbc7a590c
	v_fmac_f32_e32 v21, 0x3b2d2a58, v20
	v_fma_f32 v21, v20, v21, v29
	v_fma_f32 v21, v20, v21, v30
	;; [unrolled: 1-line block ×6, first 2 shown]
	v_mul_f32_e32 v20, v20, v21
	v_fmac_f32_e32 v3, v3, v20
	v_sub_f32_e32 v20, 0x3fc90fdb, v3
	v_cndmask_b32_e64 v3, v3, v20, s[8:9]
	v_sub_f32_e32 v20, 0x40490fdb, v3
	v_cmp_gt_f32_e32 vcc, 0, v8
	v_cmp_gt_i32_e64 s[10:11], 0, v8
	v_cndmask_b32_e32 v3, v3, v20, vcc
	v_cndmask_b32_e64 v20, 0, v37, s[10:11]
	v_cmp_eq_f32_e64 s[10:11], 0, v9
	v_cndmask_b32_e64 v3, v3, v20, s[10:11]
	v_cmp_class_f32_e64 s[10:11], v8, s51
	v_cmp_class_f32_e64 s[28:29], v9, s51
	v_cndmask_b32_e32 v20, v38, v39, vcc
	s_and_b64 vcc, s[28:29], s[10:11]
	v_cndmask_b32_e32 v46, v3, v20, vcc
.LBB181_244:                            ;   in Loop: Header=BB181_145 Depth=1
	s_or_b64 exec, exec, s[26:27]
.LBB181_245:                            ;   in Loop: Header=BB181_145 Depth=1
	s_or_b64 exec, exec, s[24:25]
.LBB181_246:                            ;   in Loop: Header=BB181_145 Depth=1
	s_andn2_saveexec_b64 s[22:23], s[22:23]
	s_cbranch_execz .LBB181_248
; %bb.247:                              ;   in Loop: Header=BB181_145 Depth=1
	v_div_scale_f32 v3, s[10:11], s56, s56, v8
	v_rcp_f32_e32 v16, v3
	v_div_scale_f32 v20, vcc, v8, s56, v8
	v_fma_f32 v21, -v3, v16, 1.0
	v_fmac_f32_e32 v16, v21, v16
	v_mul_f32_e32 v21, v20, v16
	v_fma_f32 v22, -v3, v21, v20
	v_fmac_f32_e32 v21, v22, v16
	v_fma_f32 v3, -v3, v21, v20
	v_div_scale_f32 v20, s[10:11], s56, s56, v9
	v_rcp_f32_e32 v22, v20
	v_div_fmas_f32 v3, v3, v16, v21
	v_div_fixup_f32 v3, v3, s56, v8
	v_fma_f32 v16, -v20, v22, 1.0
	v_fmac_f32_e32 v22, v16, v22
	v_div_scale_f32 v16, vcc, v9, s56, v9
	v_mul_f32_e32 v21, v16, v22
	v_fma_f32 v23, -v20, v21, v16
	v_fmac_f32_e32 v21, v23, v22
	v_fma_f32 v16, -v20, v21, v16
	v_div_fmas_f32 v16, v16, v22, v21
	v_div_fixup_f32 v16, v16, s56, v9
	v_max_f32_e64 v22, |v3|, |v16|
	v_cvt_f64_f32_e32 v[20:21], v22
	v_frexp_exp_i32_f64_e32 v20, v[20:21]
	v_sub_u32_e32 v21, 0, v20
	v_ldexp_f32 v16, |v16|, v21
	v_ldexp_f32 v3, |v3|, v21
	v_mul_f32_e32 v16, v16, v16
	v_fmac_f32_e32 v16, v3, v3
	v_sqrt_f32_e32 v3, v16
	v_cmp_neq_f32_e32 vcc, s49, v22
	v_ldexp_f32 v3, v3, v20
	v_cndmask_b32_e32 v3, v42, v3, vcc
	v_cmp_gt_f32_e32 vcc, s53, v3
	v_cndmask_b32_e32 v16, 1.0, v40, vcc
	v_mul_f32_e32 v3, v3, v16
	v_log_f32_e32 v3, v3
	v_mul_f32_e32 v16, 0x3f317217, v3
	v_fma_f32 v20, v3, s54, -v16
	v_fmac_f32_e32 v20, 0x3377d1cf, v3
	v_add_f32_e32 v16, v16, v20
	v_cmp_lt_f32_e64 s[10:11], |v3|, s49
	v_cndmask_b32_e64 v3, v3, v16, s[10:11]
	v_cndmask_b32_e32 v16, 0, v41, vcc
	v_sub_f32_e32 v3, v3, v16
	v_add_f32_e32 v16, 1.0, v3
	v_max_f32_e64 v3, |v9|, |v9|
	v_max_f32_e64 v20, |v8|, |v8|
	v_min_f32_e32 v21, v20, v3
	v_max_f32_e32 v3, v20, v3
	v_frexp_mant_f32_e32 v20, v3
	v_rcp_f32_e32 v20, v20
	v_frexp_exp_i32_f32_e32 v3, v3
	v_frexp_exp_i32_f32_e32 v22, v21
	v_frexp_mant_f32_e32 v21, v21
	v_mul_f32_e32 v20, v21, v20
	v_sub_u32_e32 v3, v22, v3
	v_ldexp_f32 v3, v20, v3
	v_mul_f32_e32 v20, v3, v3
	v_mov_b32_e32 v21, 0xbc7a590c
	v_fmac_f32_e32 v21, 0x3b2d2a58, v20
	v_fma_f32 v21, v20, v21, v29
	v_fma_f32 v21, v20, v21, v30
	v_fma_f32 v21, v20, v21, v31
	v_fma_f32 v21, v20, v21, v32
	v_fma_f32 v21, v20, v21, v33
	v_fma_f32 v21, v20, v21, v34
	v_mul_f32_e32 v20, v20, v21
	v_fmac_f32_e32 v3, v3, v20
	v_sub_f32_e32 v20, 0x3fc90fdb, v3
	v_cndmask_b32_e64 v3, v3, v20, s[8:9]
	v_sub_f32_e32 v20, 0x40490fdb, v3
	v_cmp_gt_f32_e32 vcc, 0, v8
	v_cmp_gt_i32_e64 s[8:9], 0, v8
	v_cndmask_b32_e32 v3, v3, v20, vcc
	v_cndmask_b32_e64 v20, 0, v37, s[8:9]
	v_cmp_eq_f32_e64 s[8:9], 0, v9
	v_cndmask_b32_e64 v3, v3, v20, s[8:9]
	v_cmp_class_f32_e64 s[8:9], v8, s51
	v_cmp_class_f32_e64 s[10:11], v9, s51
	v_cndmask_b32_e32 v20, v38, v39, vcc
	s_and_b64 vcc, s[10:11], s[8:9]
	v_cndmask_b32_e32 v46, v3, v20, vcc
.LBB181_248:                            ;   in Loop: Header=BB181_145 Depth=1
	s_or_b64 exec, exec, s[22:23]
.LBB181_249:                            ;   in Loop: Header=BB181_145 Depth=1
	s_andn2_saveexec_b64 s[8:9], s[20:21]
	s_cbranch_execz .LBB181_255
; %bb.250:                              ;   in Loop: Header=BB181_145 Depth=1
	v_cmp_nlt_f32_e64 s[10:11], |v8|, s57
	v_cmp_nlt_f32_e64 s[20:21], |v9|, s57
	s_or_b64 s[10:11], s[20:21], s[10:11]
                                        ; implicit-def: $vgpr3
	s_and_saveexec_b64 s[20:21], s[10:11]
	s_xor_b64 s[10:11], exec, s[20:21]
; %bb.251:                              ;   in Loop: Header=BB181_145 Depth=1
	v_pk_mul_f32 v[20:21], v[8:9], v[8:9]
	v_add_f32_e32 v3, v21, v20
; %bb.252:                              ;   in Loop: Header=BB181_145 Depth=1
	s_andn2_saveexec_b64 s[10:11], s[10:11]
; %bb.253:                              ;   in Loop: Header=BB181_145 Depth=1
	v_pk_mul_f32 v[20:21], v[8:9], 4.0 op_sel_hi:[1,0]
	v_pk_mul_f32 v[20:21], v[20:21], v[20:21]
	v_add_f32_e32 v3, v21, v20
	v_mul_f32_e32 v3, 0x3d800000, v3
; %bb.254:                              ;   in Loop: Header=BB181_145 Depth=1
	s_or_b64 exec, exec, s[10:11]
	v_cmp_gt_f32_e32 vcc, s53, v3
	v_cndmask_b32_e32 v8, 1.0, v40, vcc
	v_mul_f32_e32 v3, v3, v8
	v_log_f32_e32 v3, v3
	v_cndmask_b32_e32 v8, 0, v41, vcc
	v_mov_b32_e32 v46, 0x7fc00000
	v_mul_f32_e32 v16, 0x3f317217, v3
	v_fma_f32 v20, v3, s54, -v16
	v_fmac_f32_e32 v20, 0x3377d1cf, v3
	v_add_f32_e32 v16, v16, v20
	v_cmp_lt_f32_e64 vcc, |v3|, s49
	v_cndmask_b32_e32 v3, v3, v16, vcc
	v_sub_f32_e32 v16, v3, v8
.LBB181_255:                            ;   in Loop: Header=BB181_145 Depth=1
	s_or_b64 exec, exec, s[8:9]
	v_cmp_o_f32_e32 vcc, v13, v12
                                        ; implicit-def: $vgpr3
                                        ; implicit-def: $vgpr8
	s_and_saveexec_b64 s[8:9], vcc
	s_xor_b64 s[20:21], exec, s[8:9]
	s_cbranch_execnz .LBB181_261
; %bb.256:                              ;   in Loop: Header=BB181_145 Depth=1
	s_andn2_saveexec_b64 s[8:9], s[20:21]
	s_cbranch_execnz .LBB181_288
.LBB181_257:                            ;   in Loop: Header=BB181_145 Depth=1
	s_or_b64 exec, exec, s[8:9]
	s_and_saveexec_b64 s[8:9], s[6:7]
	s_xor_b64 s[6:7], exec, s[8:9]
	s_cbranch_execnz .LBB181_293
.LBB181_258:                            ;   in Loop: Header=BB181_145 Depth=1
	s_or_b64 exec, exec, s[6:7]
	s_and_saveexec_b64 s[6:7], s[4:5]
	s_cbranch_execnz .LBB181_294
.LBB181_259:                            ;   in Loop: Header=BB181_145 Depth=1
	s_or_b64 exec, exec, s[6:7]
	s_and_saveexec_b64 s[4:5], s[2:3]
	s_cbranch_execnz .LBB181_295
.LBB181_260:                            ;   in Loop: Header=BB181_145 Depth=1
	s_or_b64 exec, exec, s[4:5]
	s_and_saveexec_b64 s[2:3], s[0:1]
	s_cbranch_execz .LBB181_144
	s_branch .LBB181_296
.LBB181_261:                            ;   in Loop: Header=BB181_145 Depth=1
	v_cmp_lt_f32_e64 s[8:9], |v12|, |v13|
	v_cndmask_b32_e64 v20, v13, v12, s[8:9]
	v_cmp_ngt_f32_e64 s[10:11], |v20|, s44
                                        ; implicit-def: $vgpr3
                                        ; implicit-def: $vgpr8
	s_and_saveexec_b64 s[22:23], s[10:11]
	s_xor_b64 s[22:23], exec, s[22:23]
	s_cbranch_execz .LBB181_285
; %bb.262:                              ;   in Loop: Header=BB181_145 Depth=1
	v_cndmask_b32_e64 v3, v12, v13, s[8:9]
	v_and_b32_e32 v21, 0x7fffffff, v3
	v_and_b32_e32 v20, 0x7fffffff, v20
	v_cmp_neq_f32_e32 vcc, 1.0, v21
                                        ; implicit-def: $vgpr3
                                        ; implicit-def: $vgpr8
	s_and_saveexec_b64 s[10:11], vcc
	s_xor_b64 s[24:25], exec, s[10:11]
	s_cbranch_execz .LBB181_278
; %bb.263:                              ;   in Loop: Header=BB181_145 Depth=1
	v_max_f32_e32 v3, v20, v20
	v_max_f32_e32 v8, v21, v21
	v_min_f32_e32 v22, v8, v3
	v_max_f32_e32 v3, v8, v3
	v_cmp_ngt_f32_e32 vcc, s45, v22
	v_cmp_nlt_f32_e64 s[10:11], s46, v3
	s_and_b64 s[10:11], s[10:11], vcc
                                        ; implicit-def: $vgpr3
                                        ; implicit-def: $vgpr8
	s_and_saveexec_b64 s[26:27], s[10:11]
	s_xor_b64 s[26:27], exec, s[26:27]
	s_cbranch_execz .LBB181_275
; %bb.264:                              ;   in Loop: Header=BB181_145 Depth=1
	v_cmp_le_f32_e32 vcc, 1.0, v21
                                        ; implicit-def: $vgpr3
                                        ; implicit-def: $vgpr8
	s_and_saveexec_b64 s[10:11], vcc
	s_xor_b64 s[28:29], exec, s[10:11]
	s_cbranch_execz .LBB181_266
; %bb.265:                              ;   in Loop: Header=BB181_145 Depth=1
	v_pk_add_f32 v[22:23], v[20:21], s[18:19] op_sel:[1,0]
	v_mov_b32_e32 v8, v23
	v_pk_mul_f32 v[22:23], v[22:23], v[8:9]
	v_pk_fma_f32 v[20:21], v[20:21], v[20:21], v[22:23]
	v_add_f32_e32 v23, 1.0, v20
	v_add_f32_e32 v21, -1.0, v23
	v_mov_b32_e32 v22, v21
	v_pk_add_f32 v[24:25], v[20:21], v[22:23] neg_lo:[0,1] neg_hi:[0,1]
	v_add_f32_e32 v3, 1.0, v25
	v_add_f32_e32 v3, v24, v3
	v_frexp_mant_f32_e32 v8, v23
	v_cvt_f64_f32_e32 v[24:25], v23
	v_frexp_exp_i32_f64_e32 v21, v[24:25]
	v_cmp_gt_f32_e32 vcc, s47, v8
	v_subbrev_co_u32_e32 v8, vcc, 0, v21, vcc
	v_sub_u32_e32 v21, 0, v8
	v_ldexp_f32 v22, v23, v21
	v_ldexp_f32 v3, v3, v21
	v_add_f32_e32 v21, -1.0, v22
	v_add_f32_e32 v23, 1.0, v21
	v_sub_f32_e32 v23, v22, v23
	v_add_f32_e32 v24, v3, v23
	v_add_f32_e32 v23, 1.0, v22
	v_add_f32_e32 v25, -1.0, v23
	v_sub_f32_e32 v22, v22, v25
	v_add_f32_e32 v3, v3, v22
	v_add_f32_e32 v47, v23, v3
	v_rcp_f32_e32 v52, v47
	v_sub_f32_e32 v22, v47, v23
	v_add_f32_e32 v23, v21, v24
	v_sub_f32_e32 v21, v23, v21
	v_mul_f32_e32 v53, v23, v52
	v_sub_f32_e32 v21, v24, v21
	v_mul_f32_e32 v24, v47, v53
	v_sub_f32_e32 v3, v3, v22
	v_fma_f32 v48, v53, v47, -v24
	v_fmac_f32_e32 v48, v53, v3
	v_add_f32_e32 v22, v24, v48
	v_sub_f32_e32 v25, v23, v22
	v_pk_add_f32 v[50:51], v[22:23], v[24:25] neg_lo:[0,1] neg_hi:[0,1]
	v_mov_b32_e32 v49, v22
	v_pk_add_f32 v[22:23], v[50:51], v[48:49] neg_lo:[0,1] neg_hi:[0,1]
	v_add_f32_e32 v21, v21, v23
	v_add_f32_e32 v21, v22, v21
	;; [unrolled: 1-line block ×3, first 2 shown]
	v_mul_f32_e32 v54, v52, v23
	v_mul_f32_e32 v24, v47, v54
	v_fma_f32 v48, v54, v47, -v24
	v_fmac_f32_e32 v48, v54, v3
	v_add_f32_e32 v22, v24, v48
	v_sub_f32_e32 v3, v25, v23
	v_sub_f32_e32 v25, v23, v22
	v_pk_add_f32 v[50:51], v[22:23], v[24:25] neg_lo:[0,1] neg_hi:[0,1]
	v_mov_b32_e32 v49, v22
	v_add_f32_e32 v3, v21, v3
	v_pk_add_f32 v[22:23], v[50:51], v[48:49] neg_lo:[0,1] neg_hi:[0,1]
	v_add_f32_e32 v3, v3, v23
	v_add_f32_e32 v3, v22, v3
	;; [unrolled: 1-line block ×4, first 2 shown]
	v_sub_f32_e32 v22, v21, v53
	v_mul_f32_e32 v3, v52, v3
	v_sub_f32_e32 v22, v54, v22
	v_add_f32_e32 v23, v22, v3
	v_add_f32_e32 v24, v21, v23
	v_cvt_f32_i32_e32 v22, v8
	v_mul_f32_e32 v47, v24, v24
	v_mov_b32_e32 v3, 0x3ecc95a3
	v_fmac_f32_e32 v3, 0x3e9b6dac, v47
	v_sub_f32_e32 v8, v24, v21
	v_fma_f32 v3, v47, v3, v28
	v_sub_f32_e32 v8, v23, v8
	v_mul_f32_e32 v23, v24, v47
	v_pk_mul_f32 v[48:49], v[22:23], v[2:3]
	v_ldexp_f32 v25, v24, 1
	v_fma_f32 v24, v22, s48, -v48
	v_fmac_f32_e32 v24, 0xb102e308, v22
	v_pk_add_f32 v[22:23], v[48:49], v[24:25]
	v_sub_f32_e32 v3, v23, v25
	v_ldexp_f32 v8, v8, 1
	v_sub_f32_e32 v3, v49, v3
	v_add_f32_e32 v51, v8, v3
	v_mov_b32_e32 v50, v48
	v_pk_add_f32 v[48:49], v[22:23], v[48:49] neg_lo:[0,1] neg_hi:[0,1]
	v_pk_add_f32 v[52:53], v[22:23], v[50:51]
	v_mov_b32_e32 v49, v53
	v_mov_b32_e32 v25, v22
	v_pk_add_f32 v[54:55], v[24:25], v[48:49] neg_lo:[0,1] neg_hi:[0,1]
	v_pk_add_f32 v[24:25], v[24:25], v[48:49]
	v_mov_b32_e32 v8, v25
	v_pk_add_f32 v[48:49], v[8:9], v[22:23] neg_lo:[0,1] neg_hi:[0,1]
	v_mov_b32_e32 v3, v48
	v_pk_add_f32 v[56:57], v[52:53], v[2:3] neg_lo:[0,1] neg_hi:[0,1]
	v_mov_b32_e32 v24, v53
	v_mov_b32_e32 v52, v23
	;; [unrolled: 1-line block ×4, first 2 shown]
	v_pk_add_f32 v[24:25], v[24:25], v[52:53] neg_lo:[0,1] neg_hi:[0,1]
	v_mov_b32_e32 v48, v51
	v_mov_b32_e32 v49, v22
	v_pk_add_f32 v[22:23], v[48:49], v[24:25] neg_lo:[0,1] neg_hi:[0,1]
	v_mov_b32_e32 v56, v54
	v_pk_add_f32 v[24:25], v[56:57], v[22:23]
	v_mov_b32_e32 v48, v25
	v_pk_add_f32 v[48:49], v[24:25], v[48:49]
	v_pk_add_f32 v[50:51], v[8:9], v[48:49]
	v_mov_b32_e32 v25, v50
	v_pk_add_f32 v[52:53], v[24:25], v[54:55] neg_lo:[0,1] neg_hi:[0,1]
	v_mov_b32_e32 v23, v48
	v_sub_f32_e32 v3, v24, v52
	v_pk_add_f32 v[22:23], v[22:23], v[52:53] neg_lo:[0,1] neg_hi:[0,1]
	v_sub_f32_e32 v3, v54, v3
	v_add_f32_e32 v3, v22, v3
	v_add_f32_e32 v3, v3, v23
	;; [unrolled: 1-line block ×3, first 2 shown]
	v_cmp_eq_f32_e32 vcc, s49, v20
	v_cndmask_b32_e32 v3, v3, v20, vcc
	v_cmp_ngt_f32_e32 vcc, -1.0, v20
	v_cndmask_b32_e32 v3, v35, v3, vcc
	v_cmp_neq_f32_e32 vcc, -1.0, v20
	v_cndmask_b32_e32 v3, v36, v3, vcc
	v_cmp_lt_f32_e64 vcc, |v20|, s50
	v_cndmask_b32_e32 v3, v3, v20, vcc
	v_max_f32_e64 v8, |v13|, |v13|
	v_max_f32_e64 v20, |v12|, |v12|
	v_min_f32_e32 v21, v20, v8
	v_max_f32_e32 v8, v20, v8
	v_frexp_mant_f32_e32 v20, v8
	v_rcp_f32_e32 v20, v20
	v_frexp_exp_i32_f32_e32 v8, v8
	v_frexp_exp_i32_f32_e32 v22, v21
	v_frexp_mant_f32_e32 v21, v21
	v_mul_f32_e32 v20, v21, v20
	v_sub_u32_e32 v8, v22, v8
	v_ldexp_f32 v8, v20, v8
	v_mul_f32_e32 v20, v8, v8
	v_mov_b32_e32 v21, 0xbc7a590c
	v_fmac_f32_e32 v21, 0x3b2d2a58, v20
	v_fma_f32 v21, v20, v21, v29
	v_fma_f32 v21, v20, v21, v30
	;; [unrolled: 1-line block ×6, first 2 shown]
	v_mul_f32_e32 v20, v20, v21
	v_fmac_f32_e32 v8, v8, v20
	v_sub_f32_e32 v20, 0x3fc90fdb, v8
	v_cndmask_b32_e64 v8, v8, v20, s[8:9]
	v_sub_f32_e32 v20, 0x40490fdb, v8
	v_cmp_gt_f32_e32 vcc, 0, v12
	v_cmp_gt_i32_e64 s[10:11], 0, v12
	v_cndmask_b32_e32 v8, v8, v20, vcc
	v_cndmask_b32_e64 v20, 0, v37, s[10:11]
	v_cmp_eq_f32_e64 s[10:11], 0, v13
	v_cndmask_b32_e64 v8, v8, v20, s[10:11]
	v_cmp_class_f32_e64 s[10:11], v12, s51
	v_cmp_class_f32_e64 s[30:31], v13, s51
	v_cndmask_b32_e32 v20, v38, v39, vcc
	s_and_b64 vcc, s[30:31], s[10:11]
	v_mul_f32_e32 v3, 0.5, v3
	v_cndmask_b32_e32 v8, v8, v20, vcc
                                        ; implicit-def: $vgpr20_vgpr21
.LBB181_266:                            ;   in Loop: Header=BB181_145 Depth=1
	s_andn2_saveexec_b64 s[28:29], s[28:29]
	s_cbranch_execz .LBB181_274
; %bb.267:                              ;   in Loop: Header=BB181_145 Depth=1
	v_pk_mul_f32 v[22:23], v[20:21], v[20:21]
	v_add_f32_e32 v22, v23, v22
	v_cmp_ge_f32_e32 vcc, s52, v22
                                        ; implicit-def: $vgpr3
                                        ; implicit-def: $vgpr8
	s_and_saveexec_b64 s[10:11], vcc
	s_xor_b64 s[30:31], exec, s[10:11]
	s_cbranch_execz .LBB181_269
; %bb.268:                              ;   in Loop: Header=BB181_145 Depth=1
	v_cmp_gt_f32_e32 vcc, s53, v22
	v_cndmask_b32_e32 v3, 1.0, v40, vcc
	v_mul_f32_e32 v3, v22, v3
	v_log_f32_e32 v3, v3
	v_cndmask_b32_e32 v8, 0, v41, vcc
	v_cmp_gt_i32_e64 s[10:11], 0, v12
	v_cmp_class_f32_e64 s[34:35], v13, s51
	v_mul_f32_e32 v20, 0x3f317217, v3
	v_fma_f32 v21, v3, s54, -v20
	v_fmac_f32_e32 v21, 0x3377d1cf, v3
	v_add_f32_e32 v20, v20, v21
	v_cmp_lt_f32_e64 vcc, |v3|, s49
	v_cndmask_b32_e32 v3, v3, v20, vcc
	v_sub_f32_e32 v3, v3, v8
	v_max_f32_e64 v8, |v13|, |v13|
	v_max_f32_e64 v20, |v12|, |v12|
	v_min_f32_e32 v21, v20, v8
	v_max_f32_e32 v8, v20, v8
	v_frexp_mant_f32_e32 v20, v8
	v_rcp_f32_e32 v20, v20
	v_frexp_exp_i32_f32_e32 v8, v8
	v_frexp_exp_i32_f32_e32 v22, v21
	v_frexp_mant_f32_e32 v21, v21
	v_mul_f32_e32 v20, v21, v20
	v_sub_u32_e32 v8, v22, v8
	v_ldexp_f32 v8, v20, v8
	v_mul_f32_e32 v20, v8, v8
	v_mov_b32_e32 v21, 0xbc7a590c
	v_fmac_f32_e32 v21, 0x3b2d2a58, v20
	v_fma_f32 v21, v20, v21, v29
	v_fma_f32 v21, v20, v21, v30
	;; [unrolled: 1-line block ×6, first 2 shown]
	v_mul_f32_e32 v20, v20, v21
	v_fmac_f32_e32 v8, v8, v20
	v_sub_f32_e32 v20, 0x3fc90fdb, v8
	v_cndmask_b32_e64 v8, v8, v20, s[8:9]
	v_sub_f32_e32 v20, 0x40490fdb, v8
	v_cmp_gt_f32_e32 vcc, 0, v12
	v_cndmask_b32_e32 v8, v8, v20, vcc
	v_cndmask_b32_e64 v20, 0, v37, s[10:11]
	v_cmp_eq_f32_e64 s[10:11], 0, v13
	v_cndmask_b32_e64 v8, v8, v20, s[10:11]
	v_cmp_class_f32_e64 s[10:11], v12, s51
	v_cndmask_b32_e32 v20, v38, v39, vcc
	s_and_b64 vcc, s[34:35], s[10:11]
	v_mul_f32_e32 v3, 0.5, v3
	v_cndmask_b32_e32 v8, v8, v20, vcc
                                        ; implicit-def: $vgpr20_vgpr21
.LBB181_269:                            ;   in Loop: Header=BB181_145 Depth=1
	s_andn2_saveexec_b64 s[30:31], s[30:31]
	s_cbranch_execz .LBB181_273
; %bb.270:                              ;   in Loop: Header=BB181_145 Depth=1
	v_and_b32_e32 v23, 0x7fff0000, v20
	v_and_b32_e32 v22, 0x7fff0000, v21
	v_pk_add_f32 v[20:21], v[20:21], v[22:23] op_sel:[1,0] op_sel_hi:[0,1] neg_lo:[0,1] neg_hi:[0,1]
	v_and_b32_e32 v25, 0xffff0000, v21
	v_and_b32_e32 v24, 0xffff0000, v20
	v_add_f32_e32 v47, v22, v22
	v_pk_add_f32 v[52:53], v[20:21], v[24:25] neg_lo:[0,1] neg_hi:[0,1]
	v_pk_mul_f32 v[20:21], v[22:23], v[22:23]
	v_mul_f32_e32 v8, v47, v24
	v_add_f32_e32 v49, v23, v23
	v_pk_mul_f32 v[22:23], v[24:25], v[24:25]
	v_add_f32_e32 v24, v24, v24
	v_mul_f32_e32 v3, v49, v25
	v_mul_f32_e32 v48, v47, v52
	;; [unrolled: 1-line block ×4, first 2 shown]
	v_add_f32_e32 v24, v25, v25
	v_mul_f32_e32 v50, v24, v53
	v_pk_mul_f32 v[24:25], v[52:53], v[52:53]
	s_mov_b64 s[34:35], 0
.LBB181_271:                            ;   Parent Loop BB181_145 Depth=1
                                        ; =>  This Inner Loop Header: Depth=2
	v_cmp_nlt_f32_e32 vcc, v20, v21
	v_cndmask_b32_e32 v51, v20, v21, vcc
	v_cmp_nlt_f32_e64 s[10:11], v51, v8
	v_cndmask_b32_e64 v52, v51, v8, s[10:11]
	v_cndmask_b32_e32 v20, v21, v20, vcc
	s_and_b64 s[60:61], vcc, s[10:11]
	v_cmp_nlt_f32_e32 vcc, v52, v3
	v_cndmask_b32_e64 v21, v8, v51, s[10:11]
	v_cndmask_b32_e32 v51, v52, v3, vcc
	v_cmp_nlt_f32_e64 s[10:11], v51, v22
	v_cndmask_b32_e32 v8, v3, v52, vcc
	v_cndmask_b32_e64 v52, v51, v22, s[10:11]
	s_and_b64 s[62:63], vcc, s[10:11]
	v_cmp_nlt_f32_e32 vcc, v52, v23
	v_cndmask_b32_e64 v3, v22, v51, s[10:11]
	v_cndmask_b32_e32 v51, v52, v23, vcc
	v_cmp_nlt_f32_e64 s[10:11], v51, v48
	v_cndmask_b32_e32 v22, v23, v52, vcc
	v_cndmask_b32_e64 v52, v51, v48, s[10:11]
	v_cndmask_b32_e64 v23, v48, v51, s[10:11]
	s_and_b64 s[10:11], vcc, s[10:11]
	v_cmp_nlt_f32_e32 vcc, v52, v47
	v_cndmask_b32_e32 v51, v52, v47, vcc
	v_cndmask_b32_e32 v48, v47, v52, vcc
	s_and_b64 s[10:11], s[10:11], vcc
	v_cmp_nlt_f32_e32 vcc, v51, v49
	v_cndmask_b32_e32 v52, v51, v49, vcc
	v_cndmask_b32_e32 v47, v49, v51, vcc
	s_and_b64 s[10:11], s[10:11], vcc
	;; [unrolled: 4-line block ×4, first 2 shown]
	v_cmp_nlt_f32_e32 vcc, v52, v25
	s_and_b64 s[10:11], s[10:11], vcc
	s_and_b64 s[10:11], s[10:11], s[62:63]
	s_and_b64 s[10:11], s[10:11], s[60:61]
	s_and_b64 s[10:11], exec, s[10:11]
	v_cndmask_b32_e32 v24, v25, v52, vcc
	s_or_b64 s[34:35], s[10:11], s[34:35]
	v_cndmask_b32_e32 v25, v52, v25, vcc
	s_andn2_b64 exec, exec, s[34:35]
	s_cbranch_execnz .LBB181_271
; %bb.272:                              ;   in Loop: Header=BB181_145 Depth=1
	s_or_b64 exec, exec, s[34:35]
	v_add_f32_e32 v20, -1.0, v20
	v_add_f32_e32 v20, v20, v21
	v_add_f32_e32 v8, v20, v8
	;; [unrolled: 1-line block ×11, first 2 shown]
	v_add_f32_e32 v23, 1.0, v20
	v_add_f32_e32 v21, -1.0, v23
	v_mov_b32_e32 v22, v21
	v_pk_add_f32 v[24:25], v[20:21], v[22:23] neg_lo:[0,1] neg_hi:[0,1]
	v_add_f32_e32 v3, 1.0, v25
	v_add_f32_e32 v3, v24, v3
	v_frexp_mant_f32_e32 v8, v23
	v_cvt_f64_f32_e32 v[24:25], v23
	v_frexp_exp_i32_f64_e32 v21, v[24:25]
	v_cmp_gt_f32_e32 vcc, s47, v8
	v_subbrev_co_u32_e32 v8, vcc, 0, v21, vcc
	v_sub_u32_e32 v21, 0, v8
	v_ldexp_f32 v22, v23, v21
	v_ldexp_f32 v3, v3, v21
	v_add_f32_e32 v21, -1.0, v22
	v_add_f32_e32 v23, 1.0, v21
	v_sub_f32_e32 v23, v22, v23
	v_add_f32_e32 v24, v3, v23
	v_add_f32_e32 v23, 1.0, v22
	v_add_f32_e32 v25, -1.0, v23
	v_sub_f32_e32 v22, v22, v25
	v_add_f32_e32 v3, v3, v22
	v_add_f32_e32 v47, v23, v3
	v_rcp_f32_e32 v52, v47
	v_sub_f32_e32 v22, v47, v23
	v_add_f32_e32 v23, v21, v24
	v_sub_f32_e32 v21, v23, v21
	v_mul_f32_e32 v53, v23, v52
	v_sub_f32_e32 v21, v24, v21
	v_mul_f32_e32 v24, v47, v53
	v_sub_f32_e32 v3, v3, v22
	v_fma_f32 v48, v53, v47, -v24
	v_fmac_f32_e32 v48, v53, v3
	v_add_f32_e32 v22, v24, v48
	v_sub_f32_e32 v25, v23, v22
	v_pk_add_f32 v[50:51], v[22:23], v[24:25] neg_lo:[0,1] neg_hi:[0,1]
	v_mov_b32_e32 v49, v22
	v_pk_add_f32 v[22:23], v[50:51], v[48:49] neg_lo:[0,1] neg_hi:[0,1]
	v_add_f32_e32 v21, v21, v23
	v_add_f32_e32 v21, v22, v21
	;; [unrolled: 1-line block ×3, first 2 shown]
	v_mul_f32_e32 v54, v52, v23
	v_mul_f32_e32 v24, v47, v54
	v_fma_f32 v48, v54, v47, -v24
	v_fmac_f32_e32 v48, v54, v3
	v_add_f32_e32 v22, v24, v48
	v_sub_f32_e32 v3, v25, v23
	v_sub_f32_e32 v25, v23, v22
	v_pk_add_f32 v[50:51], v[22:23], v[24:25] neg_lo:[0,1] neg_hi:[0,1]
	v_mov_b32_e32 v49, v22
	v_add_f32_e32 v3, v21, v3
	v_pk_add_f32 v[22:23], v[50:51], v[48:49] neg_lo:[0,1] neg_hi:[0,1]
	v_add_f32_e32 v3, v3, v23
	v_add_f32_e32 v3, v22, v3
	;; [unrolled: 1-line block ×4, first 2 shown]
	v_sub_f32_e32 v22, v21, v53
	v_mul_f32_e32 v3, v52, v3
	v_sub_f32_e32 v22, v54, v22
	v_add_f32_e32 v23, v22, v3
	v_add_f32_e32 v24, v21, v23
	v_cvt_f32_i32_e32 v22, v8
	v_mul_f32_e32 v47, v24, v24
	v_mov_b32_e32 v3, 0x3ecc95a3
	v_fmac_f32_e32 v3, 0x3e9b6dac, v47
	v_sub_f32_e32 v8, v24, v21
	v_fma_f32 v3, v47, v3, v28
	v_sub_f32_e32 v8, v23, v8
	v_mul_f32_e32 v23, v24, v47
	v_pk_mul_f32 v[48:49], v[22:23], v[2:3]
	v_ldexp_f32 v25, v24, 1
	v_fma_f32 v24, v22, s48, -v48
	v_fmac_f32_e32 v24, 0xb102e308, v22
	v_pk_add_f32 v[22:23], v[48:49], v[24:25]
	v_sub_f32_e32 v3, v23, v25
	v_ldexp_f32 v8, v8, 1
	v_sub_f32_e32 v3, v49, v3
	v_add_f32_e32 v51, v8, v3
	v_mov_b32_e32 v50, v48
	v_pk_add_f32 v[48:49], v[22:23], v[48:49] neg_lo:[0,1] neg_hi:[0,1]
	v_pk_add_f32 v[52:53], v[22:23], v[50:51]
	v_mov_b32_e32 v49, v53
	v_mov_b32_e32 v25, v22
	v_pk_add_f32 v[54:55], v[24:25], v[48:49] neg_lo:[0,1] neg_hi:[0,1]
	v_pk_add_f32 v[24:25], v[24:25], v[48:49]
	v_mov_b32_e32 v8, v25
	v_pk_add_f32 v[48:49], v[8:9], v[22:23] neg_lo:[0,1] neg_hi:[0,1]
	v_mov_b32_e32 v3, v48
	v_pk_add_f32 v[56:57], v[52:53], v[2:3] neg_lo:[0,1] neg_hi:[0,1]
	v_mov_b32_e32 v24, v53
	v_mov_b32_e32 v52, v23
	;; [unrolled: 1-line block ×4, first 2 shown]
	v_pk_add_f32 v[24:25], v[24:25], v[52:53] neg_lo:[0,1] neg_hi:[0,1]
	v_mov_b32_e32 v48, v51
	v_mov_b32_e32 v49, v22
	v_pk_add_f32 v[22:23], v[48:49], v[24:25] neg_lo:[0,1] neg_hi:[0,1]
	v_mov_b32_e32 v56, v54
	v_pk_add_f32 v[24:25], v[56:57], v[22:23]
	v_mov_b32_e32 v48, v25
	v_pk_add_f32 v[48:49], v[24:25], v[48:49]
	v_pk_add_f32 v[50:51], v[8:9], v[48:49]
	v_mov_b32_e32 v25, v50
	v_pk_add_f32 v[52:53], v[24:25], v[54:55] neg_lo:[0,1] neg_hi:[0,1]
	v_mov_b32_e32 v23, v48
	v_sub_f32_e32 v3, v24, v52
	v_pk_add_f32 v[22:23], v[22:23], v[52:53] neg_lo:[0,1] neg_hi:[0,1]
	v_sub_f32_e32 v3, v54, v3
	v_add_f32_e32 v3, v22, v3
	v_add_f32_e32 v3, v3, v23
	;; [unrolled: 1-line block ×3, first 2 shown]
	v_cmp_eq_f32_e32 vcc, s49, v20
	v_cndmask_b32_e32 v3, v3, v20, vcc
	v_cmp_ngt_f32_e32 vcc, -1.0, v20
	v_cndmask_b32_e32 v3, v35, v3, vcc
	v_cmp_neq_f32_e32 vcc, -1.0, v20
	v_cndmask_b32_e32 v3, v36, v3, vcc
	v_cmp_lt_f32_e64 vcc, |v20|, s50
	v_cndmask_b32_e32 v3, v3, v20, vcc
	v_max_f32_e64 v8, |v13|, |v13|
	v_max_f32_e64 v20, |v12|, |v12|
	v_min_f32_e32 v21, v20, v8
	v_max_f32_e32 v8, v20, v8
	v_frexp_mant_f32_e32 v20, v8
	v_rcp_f32_e32 v20, v20
	v_frexp_exp_i32_f32_e32 v8, v8
	v_frexp_exp_i32_f32_e32 v22, v21
	v_frexp_mant_f32_e32 v21, v21
	v_mul_f32_e32 v20, v21, v20
	v_sub_u32_e32 v8, v22, v8
	v_ldexp_f32 v8, v20, v8
	v_mul_f32_e32 v20, v8, v8
	v_mov_b32_e32 v21, 0xbc7a590c
	v_fmac_f32_e32 v21, 0x3b2d2a58, v20
	v_fma_f32 v21, v20, v21, v29
	v_fma_f32 v21, v20, v21, v30
	;; [unrolled: 1-line block ×6, first 2 shown]
	v_mul_f32_e32 v20, v20, v21
	v_fmac_f32_e32 v8, v8, v20
	v_sub_f32_e32 v20, 0x3fc90fdb, v8
	v_cndmask_b32_e64 v8, v8, v20, s[8:9]
	v_sub_f32_e32 v20, 0x40490fdb, v8
	v_cmp_gt_f32_e32 vcc, 0, v12
	v_cmp_gt_i32_e64 s[10:11], 0, v12
	v_cndmask_b32_e32 v8, v8, v20, vcc
	v_cndmask_b32_e64 v20, 0, v37, s[10:11]
	v_cmp_eq_f32_e64 s[10:11], 0, v13
	v_cndmask_b32_e64 v8, v8, v20, s[10:11]
	v_cmp_class_f32_e64 s[10:11], v12, s51
	v_cmp_class_f32_e64 s[34:35], v13, s51
	v_cndmask_b32_e32 v20, v38, v39, vcc
	s_and_b64 vcc, s[34:35], s[10:11]
	v_mul_f32_e32 v3, 0.5, v3
	v_cndmask_b32_e32 v8, v8, v20, vcc
.LBB181_273:                            ;   in Loop: Header=BB181_145 Depth=1
	s_or_b64 exec, exec, s[30:31]
.LBB181_274:                            ;   in Loop: Header=BB181_145 Depth=1
	s_or_b64 exec, exec, s[28:29]
.LBB181_275:                            ;   in Loop: Header=BB181_145 Depth=1
	s_andn2_saveexec_b64 s[26:27], s[26:27]
	s_cbranch_execz .LBB181_277
; %bb.276:                              ;   in Loop: Header=BB181_145 Depth=1
	v_max_f32_e64 v8, |v13|, |v13|
	v_max_f32_e64 v22, |v12|, |v12|
	v_max_f32_e32 v23, v22, v8
	v_cvt_f64_f32_e32 v[20:21], v23
	v_frexp_exp_i32_f64_e32 v3, v[20:21]
	v_sub_u32_e32 v20, 0, v3
	v_ldexp_f32 v21, |v12|, v20
	v_ldexp_f32 v20, |v13|, v20
	v_mul_f32_e32 v20, v20, v20
	v_fmac_f32_e32 v20, v21, v21
	v_sqrt_f32_e32 v20, v20
	v_cmp_neq_f32_e32 vcc, s49, v23
	v_min_f32_e32 v8, v22, v8
	v_frexp_exp_i32_f32_e32 v22, v8
	v_ldexp_f32 v3, v20, v3
	v_cndmask_b32_e32 v3, v42, v3, vcc
	v_cmp_gt_f32_e32 vcc, s53, v3
	v_cndmask_b32_e32 v20, 1.0, v40, vcc
	v_mul_f32_e32 v3, v3, v20
	v_log_f32_e32 v3, v3
	v_cndmask_b32_e32 v20, 0, v41, vcc
	v_frexp_mant_f32_e32 v8, v8
	v_cmp_gt_i32_e64 s[10:11], 0, v12
	v_mul_f32_e32 v21, 0x3f317217, v3
	v_fma_f32 v24, v3, s54, -v21
	v_fmac_f32_e32 v24, 0x3377d1cf, v3
	v_add_f32_e32 v21, v21, v24
	v_cmp_lt_f32_e64 vcc, |v3|, s49
	v_cndmask_b32_e32 v3, v3, v21, vcc
	v_sub_f32_e32 v3, v3, v20
	v_frexp_mant_f32_e32 v20, v23
	v_rcp_f32_e32 v20, v20
	v_frexp_exp_i32_f32_e32 v21, v23
	v_cmp_gt_f32_e32 vcc, 0, v12
	v_cmp_class_f32_e64 s[28:29], v13, s51
	v_mul_f32_e32 v8, v8, v20
	v_sub_u32_e32 v20, v22, v21
	v_ldexp_f32 v8, v8, v20
	v_mul_f32_e32 v20, v8, v8
	v_mov_b32_e32 v21, 0xbc7a590c
	v_fmac_f32_e32 v21, 0x3b2d2a58, v20
	v_fma_f32 v21, v20, v21, v29
	v_fma_f32 v21, v20, v21, v30
	;; [unrolled: 1-line block ×6, first 2 shown]
	v_mul_f32_e32 v20, v20, v21
	v_fmac_f32_e32 v8, v8, v20
	v_sub_f32_e32 v20, 0x3fc90fdb, v8
	v_cndmask_b32_e64 v8, v8, v20, s[8:9]
	v_sub_f32_e32 v20, 0x40490fdb, v8
	v_cndmask_b32_e32 v8, v8, v20, vcc
	v_cndmask_b32_e64 v20, 0, v37, s[10:11]
	v_cmp_eq_f32_e64 s[10:11], 0, v13
	v_cndmask_b32_e64 v8, v8, v20, s[10:11]
	v_cmp_class_f32_e64 s[10:11], v12, s51
	v_cndmask_b32_e32 v20, v38, v39, vcc
	s_and_b64 vcc, s[28:29], s[10:11]
	v_cndmask_b32_e32 v8, v8, v20, vcc
.LBB181_277:                            ;   in Loop: Header=BB181_145 Depth=1
	s_or_b64 exec, exec, s[26:27]
                                        ; implicit-def: $vgpr20
.LBB181_278:                            ;   in Loop: Header=BB181_145 Depth=1
	s_andn2_saveexec_b64 s[24:25], s[24:25]
	s_cbranch_execz .LBB181_284
; %bb.279:                              ;   in Loop: Header=BB181_145 Depth=1
	v_cmp_ngt_f32_e32 vcc, s55, v20
                                        ; implicit-def: $vgpr3
                                        ; implicit-def: $vgpr8
	s_and_saveexec_b64 s[10:11], vcc
	s_xor_b64 s[26:27], exec, s[10:11]
	s_cbranch_execz .LBB181_281
; %bb.280:                              ;   in Loop: Header=BB181_145 Depth=1
	v_pk_mul_f32 v[20:21], v[20:21], v[20:21]
	v_add_f32_e32 v23, 1.0, v20
	v_add_f32_e32 v21, -1.0, v23
	v_mov_b32_e32 v22, v21
	v_pk_add_f32 v[24:25], v[20:21], v[22:23] neg_lo:[0,1] neg_hi:[0,1]
	v_add_f32_e32 v3, 1.0, v25
	v_add_f32_e32 v3, v24, v3
	v_frexp_mant_f32_e32 v8, v23
	v_cvt_f64_f32_e32 v[24:25], v23
	v_frexp_exp_i32_f64_e32 v21, v[24:25]
	v_cmp_gt_f32_e32 vcc, s47, v8
	v_subbrev_co_u32_e32 v8, vcc, 0, v21, vcc
	v_sub_u32_e32 v21, 0, v8
	v_ldexp_f32 v22, v23, v21
	v_ldexp_f32 v3, v3, v21
	v_add_f32_e32 v21, -1.0, v22
	v_add_f32_e32 v23, 1.0, v21
	v_sub_f32_e32 v23, v22, v23
	v_add_f32_e32 v24, v3, v23
	v_add_f32_e32 v23, 1.0, v22
	v_add_f32_e32 v25, -1.0, v23
	v_sub_f32_e32 v22, v22, v25
	v_add_f32_e32 v3, v3, v22
	v_add_f32_e32 v47, v23, v3
	v_rcp_f32_e32 v52, v47
	v_sub_f32_e32 v22, v23, v47
	v_add_f32_e32 v23, v21, v24
	v_sub_f32_e32 v21, v21, v23
	v_mul_f32_e32 v53, v23, v52
	v_add_f32_e32 v21, v24, v21
	v_mul_f32_e32 v24, v47, v53
	v_add_f32_e32 v3, v3, v22
	v_fma_f32 v48, v53, v47, -v24
	v_fmac_f32_e32 v48, v53, v3
	v_add_f32_e32 v22, v24, v48
	v_sub_f32_e32 v25, v23, v22
	v_pk_add_f32 v[50:51], v[22:23], v[24:25] neg_lo:[0,1] neg_hi:[0,1]
	v_mov_b32_e32 v49, v22
	v_pk_add_f32 v[22:23], v[50:51], v[48:49] neg_lo:[0,1] neg_hi:[0,1]
	v_add_f32_e32 v21, v21, v23
	v_add_f32_e32 v21, v22, v21
	;; [unrolled: 1-line block ×3, first 2 shown]
	v_mul_f32_e32 v54, v52, v23
	v_mul_f32_e32 v24, v47, v54
	v_fma_f32 v48, v54, v47, -v24
	v_fmac_f32_e32 v48, v54, v3
	v_add_f32_e32 v22, v24, v48
	v_sub_f32_e32 v3, v25, v23
	v_sub_f32_e32 v25, v23, v22
	v_pk_add_f32 v[50:51], v[22:23], v[24:25] neg_lo:[0,1] neg_hi:[0,1]
	v_mov_b32_e32 v49, v22
	v_add_f32_e32 v3, v21, v3
	v_pk_add_f32 v[22:23], v[50:51], v[48:49] neg_lo:[0,1] neg_hi:[0,1]
	v_add_f32_e32 v3, v3, v23
	v_add_f32_e32 v3, v22, v3
	;; [unrolled: 1-line block ×4, first 2 shown]
	v_sub_f32_e32 v22, v21, v53
	v_mul_f32_e32 v3, v52, v3
	v_sub_f32_e32 v22, v54, v22
	v_add_f32_e32 v23, v22, v3
	v_add_f32_e32 v24, v21, v23
	v_cvt_f32_i32_e32 v22, v8
	v_mul_f32_e32 v47, v24, v24
	v_mov_b32_e32 v3, 0x3ecc95a3
	v_fmac_f32_e32 v3, 0x3e9b6dac, v47
	v_sub_f32_e32 v8, v24, v21
	v_fma_f32 v3, v47, v3, v28
	v_sub_f32_e32 v8, v23, v8
	v_mul_f32_e32 v23, v24, v47
	v_pk_mul_f32 v[48:49], v[22:23], v[2:3]
	v_ldexp_f32 v25, v24, 1
	v_fma_f32 v24, v22, s48, -v48
	v_fmac_f32_e32 v24, 0xb102e308, v22
	v_pk_add_f32 v[22:23], v[48:49], v[24:25]
	v_sub_f32_e32 v3, v23, v25
	v_ldexp_f32 v8, v8, 1
	v_sub_f32_e32 v3, v49, v3
	v_add_f32_e32 v51, v8, v3
	v_mov_b32_e32 v50, v48
	v_pk_add_f32 v[48:49], v[22:23], v[48:49] neg_lo:[0,1] neg_hi:[0,1]
	v_pk_add_f32 v[52:53], v[22:23], v[50:51]
	v_mov_b32_e32 v49, v53
	v_mov_b32_e32 v25, v22
	v_pk_add_f32 v[54:55], v[24:25], v[48:49] neg_lo:[0,1] neg_hi:[0,1]
	v_pk_add_f32 v[24:25], v[24:25], v[48:49]
	v_mov_b32_e32 v8, v25
	v_pk_add_f32 v[48:49], v[8:9], v[22:23] neg_lo:[0,1] neg_hi:[0,1]
	v_mov_b32_e32 v3, v48
	v_pk_add_f32 v[56:57], v[52:53], v[2:3] neg_lo:[0,1] neg_hi:[0,1]
	v_mov_b32_e32 v24, v53
	v_mov_b32_e32 v52, v23
	;; [unrolled: 1-line block ×4, first 2 shown]
	v_pk_add_f32 v[24:25], v[24:25], v[52:53] neg_lo:[0,1] neg_hi:[0,1]
	v_mov_b32_e32 v48, v51
	v_mov_b32_e32 v49, v22
	v_pk_add_f32 v[22:23], v[48:49], v[24:25] neg_lo:[0,1] neg_hi:[0,1]
	v_mov_b32_e32 v56, v54
	v_pk_add_f32 v[24:25], v[56:57], v[22:23]
	v_mov_b32_e32 v48, v25
	v_pk_add_f32 v[48:49], v[24:25], v[48:49]
	v_pk_add_f32 v[50:51], v[8:9], v[48:49]
	v_mov_b32_e32 v25, v50
	v_pk_add_f32 v[52:53], v[24:25], v[54:55] neg_lo:[0,1] neg_hi:[0,1]
	v_mov_b32_e32 v23, v48
	v_sub_f32_e32 v3, v24, v52
	v_pk_add_f32 v[22:23], v[22:23], v[52:53] neg_lo:[0,1] neg_hi:[0,1]
	v_sub_f32_e32 v3, v54, v3
	v_add_f32_e32 v3, v22, v3
	v_add_f32_e32 v3, v3, v23
	v_cmp_eq_f32_e32 vcc, s49, v20
	v_cmp_lt_f32_e64 s[10:11], |v20|, s50
	v_add_f32_e32 v3, v50, v3
	s_or_b64 vcc, vcc, s[10:11]
	v_cndmask_b32_e32 v3, v3, v20, vcc
	v_max_f32_e64 v8, |v13|, |v13|
	v_max_f32_e64 v20, |v12|, |v12|
	v_min_f32_e32 v21, v20, v8
	v_max_f32_e32 v8, v20, v8
	v_frexp_mant_f32_e32 v20, v8
	v_rcp_f32_e32 v20, v20
	v_frexp_exp_i32_f32_e32 v8, v8
	v_frexp_exp_i32_f32_e32 v22, v21
	v_frexp_mant_f32_e32 v21, v21
	v_mul_f32_e32 v20, v21, v20
	v_sub_u32_e32 v8, v22, v8
	v_ldexp_f32 v8, v20, v8
	v_mul_f32_e32 v20, v8, v8
	v_mov_b32_e32 v21, 0xbc7a590c
	v_fmac_f32_e32 v21, 0x3b2d2a58, v20
	v_fma_f32 v21, v20, v21, v29
	v_fma_f32 v21, v20, v21, v30
	v_fma_f32 v21, v20, v21, v31
	v_fma_f32 v21, v20, v21, v32
	v_fma_f32 v21, v20, v21, v33
	v_fma_f32 v21, v20, v21, v34
	v_mul_f32_e32 v20, v20, v21
	v_fmac_f32_e32 v8, v8, v20
	v_sub_f32_e32 v20, 0x3fc90fdb, v8
	v_cndmask_b32_e64 v8, v8, v20, s[8:9]
	v_sub_f32_e32 v20, 0x40490fdb, v8
	v_cmp_gt_f32_e32 vcc, 0, v12
	v_cmp_gt_i32_e64 s[10:11], 0, v12
	v_cndmask_b32_e32 v8, v8, v20, vcc
	v_cndmask_b32_e64 v20, 0, v37, s[10:11]
	v_cmp_eq_f32_e64 s[10:11], 0, v13
	v_cndmask_b32_e64 v8, v8, v20, s[10:11]
	v_cmp_class_f32_e64 s[10:11], v12, s51
	v_cmp_class_f32_e64 s[28:29], v13, s51
	v_cndmask_b32_e32 v20, v38, v39, vcc
	s_and_b64 vcc, s[28:29], s[10:11]
	v_mul_f32_e32 v3, 0.5, v3
	v_cndmask_b32_e32 v8, v8, v20, vcc
                                        ; implicit-def: $vgpr20
.LBB181_281:                            ;   in Loop: Header=BB181_145 Depth=1
	s_andn2_saveexec_b64 s[26:27], s[26:27]
	s_cbranch_execz .LBB181_283
; %bb.282:                              ;   in Loop: Header=BB181_145 Depth=1
	v_mul_f32_e32 v3, 0.5, v20
	v_mul_f32_e32 v3, v20, v3
	v_max_f32_e64 v8, |v13|, |v13|
	v_max_f32_e64 v20, |v12|, |v12|
	v_min_f32_e32 v21, v20, v8
	v_max_f32_e32 v8, v20, v8
	v_frexp_mant_f32_e32 v20, v8
	v_rcp_f32_e32 v20, v20
	v_frexp_exp_i32_f32_e32 v8, v8
	v_frexp_exp_i32_f32_e32 v22, v21
	v_frexp_mant_f32_e32 v21, v21
	v_mul_f32_e32 v20, v21, v20
	v_sub_u32_e32 v8, v22, v8
	v_ldexp_f32 v8, v20, v8
	v_mul_f32_e32 v20, v8, v8
	v_mov_b32_e32 v21, 0xbc7a590c
	v_fmac_f32_e32 v21, 0x3b2d2a58, v20
	v_fma_f32 v21, v20, v21, v29
	v_fma_f32 v21, v20, v21, v30
	;; [unrolled: 1-line block ×6, first 2 shown]
	v_mul_f32_e32 v20, v20, v21
	v_fmac_f32_e32 v8, v8, v20
	v_sub_f32_e32 v20, 0x3fc90fdb, v8
	v_cndmask_b32_e64 v8, v8, v20, s[8:9]
	v_sub_f32_e32 v20, 0x40490fdb, v8
	v_cmp_gt_f32_e32 vcc, 0, v12
	v_cmp_gt_i32_e64 s[10:11], 0, v12
	v_cndmask_b32_e32 v8, v8, v20, vcc
	v_cndmask_b32_e64 v20, 0, v37, s[10:11]
	v_cmp_eq_f32_e64 s[10:11], 0, v13
	v_cndmask_b32_e64 v8, v8, v20, s[10:11]
	v_cmp_class_f32_e64 s[10:11], v12, s51
	v_cmp_class_f32_e64 s[28:29], v13, s51
	v_cndmask_b32_e32 v20, v38, v39, vcc
	s_and_b64 vcc, s[28:29], s[10:11]
	v_cndmask_b32_e32 v8, v8, v20, vcc
.LBB181_283:                            ;   in Loop: Header=BB181_145 Depth=1
	s_or_b64 exec, exec, s[26:27]
.LBB181_284:                            ;   in Loop: Header=BB181_145 Depth=1
	s_or_b64 exec, exec, s[24:25]
.LBB181_285:                            ;   in Loop: Header=BB181_145 Depth=1
	s_andn2_saveexec_b64 s[22:23], s[22:23]
	s_cbranch_execz .LBB181_287
; %bb.286:                              ;   in Loop: Header=BB181_145 Depth=1
	v_div_scale_f32 v3, s[10:11], s56, s56, v12
	v_rcp_f32_e32 v8, v3
	v_div_scale_f32 v20, vcc, v12, s56, v12
	v_fma_f32 v21, -v3, v8, 1.0
	v_fmac_f32_e32 v8, v21, v8
	v_mul_f32_e32 v21, v20, v8
	v_fma_f32 v22, -v3, v21, v20
	v_fmac_f32_e32 v21, v22, v8
	v_fma_f32 v3, -v3, v21, v20
	v_div_scale_f32 v20, s[10:11], s56, s56, v13
	v_rcp_f32_e32 v22, v20
	v_div_fmas_f32 v3, v3, v8, v21
	v_div_fixup_f32 v3, v3, s56, v12
	v_fma_f32 v8, -v20, v22, 1.0
	v_fmac_f32_e32 v22, v8, v22
	v_div_scale_f32 v8, vcc, v13, s56, v13
	v_mul_f32_e32 v21, v8, v22
	v_fma_f32 v23, -v20, v21, v8
	v_fmac_f32_e32 v21, v23, v22
	v_fma_f32 v8, -v20, v21, v8
	v_div_fmas_f32 v8, v8, v22, v21
	v_div_fixup_f32 v8, v8, s56, v13
	v_max_f32_e64 v22, |v3|, |v8|
	v_cvt_f64_f32_e32 v[20:21], v22
	v_frexp_exp_i32_f64_e32 v20, v[20:21]
	v_sub_u32_e32 v21, 0, v20
	v_ldexp_f32 v8, |v8|, v21
	v_ldexp_f32 v3, |v3|, v21
	v_mul_f32_e32 v8, v8, v8
	v_fmac_f32_e32 v8, v3, v3
	v_sqrt_f32_e32 v3, v8
	v_cmp_neq_f32_e32 vcc, s49, v22
	v_ldexp_f32 v3, v3, v20
	v_cndmask_b32_e32 v3, v42, v3, vcc
	v_cmp_gt_f32_e32 vcc, s53, v3
	v_cndmask_b32_e32 v8, 1.0, v40, vcc
	v_mul_f32_e32 v3, v3, v8
	v_log_f32_e32 v3, v3
	v_mul_f32_e32 v8, 0x3f317217, v3
	v_fma_f32 v20, v3, s54, -v8
	v_fmac_f32_e32 v20, 0x3377d1cf, v3
	v_add_f32_e32 v8, v8, v20
	v_cmp_lt_f32_e64 s[10:11], |v3|, s49
	v_cndmask_b32_e64 v3, v3, v8, s[10:11]
	v_cndmask_b32_e32 v8, 0, v41, vcc
	v_sub_f32_e32 v3, v3, v8
	v_max_f32_e64 v8, |v13|, |v13|
	v_max_f32_e64 v20, |v12|, |v12|
	v_min_f32_e32 v21, v20, v8
	v_max_f32_e32 v8, v20, v8
	v_frexp_mant_f32_e32 v20, v8
	v_rcp_f32_e32 v20, v20
	v_frexp_exp_i32_f32_e32 v8, v8
	v_frexp_exp_i32_f32_e32 v22, v21
	v_frexp_mant_f32_e32 v21, v21
	v_mul_f32_e32 v20, v21, v20
	v_sub_u32_e32 v8, v22, v8
	v_ldexp_f32 v8, v20, v8
	v_mul_f32_e32 v20, v8, v8
	v_mov_b32_e32 v21, 0xbc7a590c
	v_fmac_f32_e32 v21, 0x3b2d2a58, v20
	v_fma_f32 v21, v20, v21, v29
	v_fma_f32 v21, v20, v21, v30
	;; [unrolled: 1-line block ×6, first 2 shown]
	v_mul_f32_e32 v20, v20, v21
	v_fmac_f32_e32 v8, v8, v20
	v_sub_f32_e32 v20, 0x3fc90fdb, v8
	v_cndmask_b32_e64 v8, v8, v20, s[8:9]
	v_sub_f32_e32 v20, 0x40490fdb, v8
	v_cmp_gt_f32_e32 vcc, 0, v12
	v_cmp_gt_i32_e64 s[8:9], 0, v12
	v_cndmask_b32_e32 v8, v8, v20, vcc
	v_cndmask_b32_e64 v20, 0, v37, s[8:9]
	v_cmp_eq_f32_e64 s[8:9], 0, v13
	v_cndmask_b32_e64 v8, v8, v20, s[8:9]
	v_cmp_class_f32_e64 s[8:9], v12, s51
	v_cmp_class_f32_e64 s[10:11], v13, s51
	v_cndmask_b32_e32 v20, v38, v39, vcc
	s_and_b64 vcc, s[10:11], s[8:9]
	v_add_f32_e32 v3, 1.0, v3
	v_cndmask_b32_e32 v8, v8, v20, vcc
.LBB181_287:                            ;   in Loop: Header=BB181_145 Depth=1
	s_or_b64 exec, exec, s[22:23]
	s_andn2_saveexec_b64 s[8:9], s[20:21]
	s_cbranch_execz .LBB181_257
.LBB181_288:                            ;   in Loop: Header=BB181_145 Depth=1
	v_cmp_nlt_f32_e64 s[10:11], |v12|, s57
	v_cmp_nlt_f32_e64 s[20:21], |v13|, s57
	s_or_b64 s[10:11], s[20:21], s[10:11]
                                        ; implicit-def: $vgpr3
	s_and_saveexec_b64 s[20:21], s[10:11]
	s_xor_b64 s[10:11], exec, s[20:21]
; %bb.289:                              ;   in Loop: Header=BB181_145 Depth=1
	v_pk_mul_f32 v[20:21], v[12:13], v[12:13]
	v_add_f32_e32 v3, v21, v20
; %bb.290:                              ;   in Loop: Header=BB181_145 Depth=1
	s_andn2_saveexec_b64 s[10:11], s[10:11]
; %bb.291:                              ;   in Loop: Header=BB181_145 Depth=1
	v_pk_mul_f32 v[20:21], v[12:13], 4.0 op_sel_hi:[1,0]
	v_pk_mul_f32 v[20:21], v[20:21], v[20:21]
	v_add_f32_e32 v3, v21, v20
	v_mul_f32_e32 v3, 0x3d800000, v3
; %bb.292:                              ;   in Loop: Header=BB181_145 Depth=1
	s_or_b64 exec, exec, s[10:11]
	v_cmp_gt_f32_e32 vcc, s53, v3
	v_cndmask_b32_e32 v8, 1.0, v40, vcc
	v_mul_f32_e32 v3, v3, v8
	v_log_f32_e32 v3, v3
	v_cndmask_b32_e32 v8, 0, v41, vcc
	v_mul_f32_e32 v12, 0x3f317217, v3
	v_fma_f32 v20, v3, s54, -v12
	v_fmac_f32_e32 v20, 0x3377d1cf, v3
	v_add_f32_e32 v12, v12, v20
	v_cmp_lt_f32_e64 vcc, |v3|, s49
	v_cndmask_b32_e32 v3, v3, v12, vcc
	v_sub_f32_e32 v3, v3, v8
	v_mov_b32_e32 v8, 0x7fc00000
	s_or_b64 exec, exec, s[8:9]
	s_and_saveexec_b64 s[8:9], s[6:7]
	s_xor_b64 s[6:7], exec, s[8:9]
	s_cbranch_execz .LBB181_258
.LBB181_293:                            ;   in Loop: Header=BB181_145 Depth=1
	v_bfi_b32 v12, s43, v44, v19
	v_div_scale_f32 v19, s[8:9], s58, s58, v12
	v_rcp_f32_e32 v20, v19
	v_div_scale_f32 v21, vcc, v12, s58, v12
	v_lshlrev_b64 v[14:15], 3, v[14:15]
	v_fma_f32 v22, -v19, v20, 1.0
	v_fmac_f32_e32 v20, v22, v20
	v_mul_f32_e32 v22, v21, v20
	v_fma_f32 v23, -v19, v22, v21
	v_fmac_f32_e32 v22, v23, v20
	v_div_scale_f32 v23, s[8:9], s58, s58, v43
	v_rcp_f32_e32 v24, v23
	v_fma_f32 v19, -v19, v22, v21
	v_div_fmas_f32 v19, v19, v20, v22
	v_div_fixup_f32 v21, v19, s58, v12
	v_fma_f32 v12, -v23, v24, 1.0
	v_fmac_f32_e32 v24, v12, v24
	v_div_scale_f32 v12, vcc, v43, s58, v43
	v_mul_f32_e32 v19, v12, v24
	v_fma_f32 v20, -v23, v19, v12
	v_fmac_f32_e32 v19, v20, v24
	v_fma_f32 v12, -v23, v19, v12
	v_div_fmas_f32 v12, v12, v24, v19
	v_div_fixup_f32 v20, v12, s58, v43
	v_mov_b32_e32 v12, s38
	v_add_co_u32_e32 v14, vcc, s37, v14
	v_addc_co_u32_e32 v15, vcc, v12, v15, vcc
	global_store_dwordx2 v[14:15], v[20:21], off
	s_or_b64 exec, exec, s[6:7]
	s_and_saveexec_b64 s[6:7], s[4:5]
	s_cbranch_execz .LBB181_259
.LBB181_294:                            ;   in Loop: Header=BB181_145 Depth=1
	v_bfi_b32 v12, s43, v45, v17
	v_div_scale_f32 v14, s[4:5], s58, s58, v12
	v_rcp_f32_e32 v15, v14
	v_div_scale_f32 v17, vcc, v12, s58, v12
	v_lshlrev_b64 v[10:11], 3, v[10:11]
	v_fma_f32 v19, -v14, v15, 1.0
	v_fmac_f32_e32 v15, v19, v15
	v_mul_f32_e32 v19, v17, v15
	v_fma_f32 v20, -v14, v19, v17
	v_fmac_f32_e32 v19, v20, v15
	v_fma_f32 v14, -v14, v19, v17
	v_div_scale_f32 v17, s[4:5], s58, s58, v18
	v_rcp_f32_e32 v20, v17
	v_div_fmas_f32 v14, v14, v15, v19
	v_div_fixup_f32 v15, v14, s58, v12
	v_fma_f32 v12, -v17, v20, 1.0
	v_fmac_f32_e32 v20, v12, v20
	v_div_scale_f32 v12, vcc, v18, s58, v18
	v_mul_f32_e32 v14, v12, v20
	v_fma_f32 v19, -v17, v14, v12
	v_fmac_f32_e32 v14, v19, v20
	v_fma_f32 v12, -v17, v14, v12
	v_div_fmas_f32 v12, v12, v20, v14
	v_div_fixup_f32 v14, v12, s58, v18
	v_mov_b32_e32 v12, s38
	v_add_co_u32_e32 v10, vcc, s37, v10
	v_addc_co_u32_e32 v11, vcc, v12, v11, vcc
	global_store_dwordx2 v[10:11], v[14:15], off
	s_or_b64 exec, exec, s[6:7]
	s_and_saveexec_b64 s[4:5], s[2:3]
	s_cbranch_execz .LBB181_260
.LBB181_295:                            ;   in Loop: Header=BB181_145 Depth=1
	v_bfi_b32 v9, s43, v46, v9
	v_div_scale_f32 v10, s[2:3], s58, s58, v9
	v_rcp_f32_e32 v11, v10
	v_div_scale_f32 v12, vcc, v9, s58, v9
	v_lshlrev_b64 v[6:7], 3, v[6:7]
	v_fma_f32 v14, -v10, v11, 1.0
	v_fmac_f32_e32 v11, v14, v11
	v_mul_f32_e32 v14, v12, v11
	v_fma_f32 v15, -v10, v14, v12
	v_fmac_f32_e32 v14, v15, v11
	v_fma_f32 v10, -v10, v14, v12
	v_div_scale_f32 v12, s[2:3], s58, s58, v16
	v_rcp_f32_e32 v15, v12
	v_div_fmas_f32 v10, v10, v11, v14
	v_div_fixup_f32 v11, v10, s58, v9
	v_fma_f32 v9, -v12, v15, 1.0
	v_fmac_f32_e32 v15, v9, v15
	v_div_scale_f32 v9, vcc, v16, s58, v16
	v_mul_f32_e32 v10, v9, v15
	v_fma_f32 v14, -v12, v10, v9
	v_fmac_f32_e32 v10, v14, v15
	v_fma_f32 v9, -v12, v10, v9
	v_div_fmas_f32 v9, v9, v15, v10
	v_div_fixup_f32 v10, v9, s58, v16
	v_mov_b32_e32 v9, s38
	v_add_co_u32_e32 v6, vcc, s37, v6
	v_addc_co_u32_e32 v7, vcc, v9, v7, vcc
	global_store_dwordx2 v[6:7], v[10:11], off
	s_or_b64 exec, exec, s[4:5]
	s_and_saveexec_b64 s[2:3], s[0:1]
	s_cbranch_execz .LBB181_144
.LBB181_296:                            ;   in Loop: Header=BB181_145 Depth=1
	v_bfi_b32 v6, s43, v8, v13
	v_div_scale_f32 v7, s[0:1], s58, s58, v6
	v_rcp_f32_e32 v8, v7
	v_div_scale_f32 v9, vcc, v6, s58, v6
	v_lshlrev_b64 v[4:5], 3, v[4:5]
	v_fma_f32 v10, -v7, v8, 1.0
	v_fmac_f32_e32 v8, v10, v8
	v_mul_f32_e32 v10, v9, v8
	v_fma_f32 v11, -v7, v10, v9
	v_fmac_f32_e32 v10, v11, v8
	v_fma_f32 v7, -v7, v10, v9
	v_div_scale_f32 v9, s[0:1], s58, s58, v3
	v_rcp_f32_e32 v11, v9
	v_div_fmas_f32 v7, v7, v8, v10
	v_div_fixup_f32 v7, v7, s58, v6
	v_fma_f32 v6, -v9, v11, 1.0
	v_fmac_f32_e32 v11, v6, v11
	v_div_scale_f32 v6, vcc, v3, s58, v3
	v_mul_f32_e32 v8, v6, v11
	v_fma_f32 v10, -v9, v8, v6
	v_fmac_f32_e32 v8, v10, v11
	v_fma_f32 v6, -v9, v8, v6
	v_div_fmas_f32 v6, v6, v11, v8
	v_div_fixup_f32 v6, v6, s58, v3
	v_mov_b32_e32 v3, s38
	v_add_co_u32_e32 v4, vcc, s37, v4
	v_addc_co_u32_e32 v5, vcc, v3, v5, vcc
	global_store_dwordx2 v[4:5], v[6:7], off
	s_branch .LBB181_144
.LBB181_297:
	s_endpgm
	.section	.rodata,"a",@progbits
	.p2align	6, 0x0
	.amdhsa_kernel _ZN2at6native12_GLOBAL__N_125multi_tensor_apply_kernelINS1_18TensorListMetadataILi2EEENS1_14UnaryOpFunctorIN3c107complexIfEELi2ELi1ELi1EEEJNS0_5Log10IS8_EEEEEvT_T0_DpT1_
		.amdhsa_group_segment_fixed_size 0
		.amdhsa_private_segment_fixed_size 0
		.amdhsa_kernarg_size 3408
		.amdhsa_user_sgpr_count 6
		.amdhsa_user_sgpr_private_segment_buffer 1
		.amdhsa_user_sgpr_dispatch_ptr 0
		.amdhsa_user_sgpr_queue_ptr 0
		.amdhsa_user_sgpr_kernarg_segment_ptr 1
		.amdhsa_user_sgpr_dispatch_id 0
		.amdhsa_user_sgpr_flat_scratch_init 0
		.amdhsa_user_sgpr_kernarg_preload_length 0
		.amdhsa_user_sgpr_kernarg_preload_offset 0
		.amdhsa_user_sgpr_private_segment_size 0
		.amdhsa_uses_dynamic_stack 0
		.amdhsa_system_sgpr_private_segment_wavefront_offset 0
		.amdhsa_system_sgpr_workgroup_id_x 1
		.amdhsa_system_sgpr_workgroup_id_y 0
		.amdhsa_system_sgpr_workgroup_id_z 0
		.amdhsa_system_sgpr_workgroup_info 0
		.amdhsa_system_vgpr_workitem_id 0
		.amdhsa_next_free_vgpr 58
		.amdhsa_next_free_sgpr 64
		.amdhsa_accum_offset 60
		.amdhsa_reserve_vcc 1
		.amdhsa_reserve_flat_scratch 0
		.amdhsa_float_round_mode_32 0
		.amdhsa_float_round_mode_16_64 0
		.amdhsa_float_denorm_mode_32 3
		.amdhsa_float_denorm_mode_16_64 3
		.amdhsa_dx10_clamp 1
		.amdhsa_ieee_mode 1
		.amdhsa_fp16_overflow 0
		.amdhsa_tg_split 0
		.amdhsa_exception_fp_ieee_invalid_op 0
		.amdhsa_exception_fp_denorm_src 0
		.amdhsa_exception_fp_ieee_div_zero 0
		.amdhsa_exception_fp_ieee_overflow 0
		.amdhsa_exception_fp_ieee_underflow 0
		.amdhsa_exception_fp_ieee_inexact 0
		.amdhsa_exception_int_div_zero 0
	.end_amdhsa_kernel
	.section	.text._ZN2at6native12_GLOBAL__N_125multi_tensor_apply_kernelINS1_18TensorListMetadataILi2EEENS1_14UnaryOpFunctorIN3c107complexIfEELi2ELi1ELi1EEEJNS0_5Log10IS8_EEEEEvT_T0_DpT1_,"axG",@progbits,_ZN2at6native12_GLOBAL__N_125multi_tensor_apply_kernelINS1_18TensorListMetadataILi2EEENS1_14UnaryOpFunctorIN3c107complexIfEELi2ELi1ELi1EEEJNS0_5Log10IS8_EEEEEvT_T0_DpT1_,comdat
.Lfunc_end181:
	.size	_ZN2at6native12_GLOBAL__N_125multi_tensor_apply_kernelINS1_18TensorListMetadataILi2EEENS1_14UnaryOpFunctorIN3c107complexIfEELi2ELi1ELi1EEEJNS0_5Log10IS8_EEEEEvT_T0_DpT1_, .Lfunc_end181-_ZN2at6native12_GLOBAL__N_125multi_tensor_apply_kernelINS1_18TensorListMetadataILi2EEENS1_14UnaryOpFunctorIN3c107complexIfEELi2ELi1ELi1EEEJNS0_5Log10IS8_EEEEEvT_T0_DpT1_
                                        ; -- End function
	.section	.AMDGPU.csdata,"",@progbits
; Kernel info:
; codeLenInByte = 40652
; NumSgprs: 68
; NumVgprs: 58
; NumAgprs: 0
; TotalNumVgprs: 58
; ScratchSize: 0
; MemoryBound: 1
; FloatMode: 240
; IeeeMode: 1
; LDSByteSize: 0 bytes/workgroup (compile time only)
; SGPRBlocks: 8
; VGPRBlocks: 7
; NumSGPRsForWavesPerEU: 68
; NumVGPRsForWavesPerEU: 58
; AccumOffset: 60
; Occupancy: 8
; WaveLimiterHint : 0
; COMPUTE_PGM_RSRC2:SCRATCH_EN: 0
; COMPUTE_PGM_RSRC2:USER_SGPR: 6
; COMPUTE_PGM_RSRC2:TRAP_HANDLER: 0
; COMPUTE_PGM_RSRC2:TGID_X_EN: 1
; COMPUTE_PGM_RSRC2:TGID_Y_EN: 0
; COMPUTE_PGM_RSRC2:TGID_Z_EN: 0
; COMPUTE_PGM_RSRC2:TIDIG_COMP_CNT: 0
; COMPUTE_PGM_RSRC3_GFX90A:ACCUM_OFFSET: 14
; COMPUTE_PGM_RSRC3_GFX90A:TG_SPLIT: 0
	.section	.text._ZN2at6native12_GLOBAL__N_125multi_tensor_apply_kernelINS1_18TensorListMetadataILi2EEENS1_14UnaryOpFunctorIN3c104HalfELi2ELi1ELi1EEEJNS0_5Log10IfEEEEEvT_T0_DpT1_,"axG",@progbits,_ZN2at6native12_GLOBAL__N_125multi_tensor_apply_kernelINS1_18TensorListMetadataILi2EEENS1_14UnaryOpFunctorIN3c104HalfELi2ELi1ELi1EEEJNS0_5Log10IfEEEEEvT_T0_DpT1_,comdat
	.globl	_ZN2at6native12_GLOBAL__N_125multi_tensor_apply_kernelINS1_18TensorListMetadataILi2EEENS1_14UnaryOpFunctorIN3c104HalfELi2ELi1ELi1EEEJNS0_5Log10IfEEEEEvT_T0_DpT1_ ; -- Begin function _ZN2at6native12_GLOBAL__N_125multi_tensor_apply_kernelINS1_18TensorListMetadataILi2EEENS1_14UnaryOpFunctorIN3c104HalfELi2ELi1ELi1EEEJNS0_5Log10IfEEEEEvT_T0_DpT1_
	.p2align	8
	.type	_ZN2at6native12_GLOBAL__N_125multi_tensor_apply_kernelINS1_18TensorListMetadataILi2EEENS1_14UnaryOpFunctorIN3c104HalfELi2ELi1ELi1EEEJNS0_5Log10IfEEEEEvT_T0_DpT1_,@function
_ZN2at6native12_GLOBAL__N_125multi_tensor_apply_kernelINS1_18TensorListMetadataILi2EEENS1_14UnaryOpFunctorIN3c104HalfELi2ELi1ELi1EEEJNS0_5Log10IfEEEEEvT_T0_DpT1_: ; @_ZN2at6native12_GLOBAL__N_125multi_tensor_apply_kernelINS1_18TensorListMetadataILi2EEENS1_14UnaryOpFunctorIN3c104HalfELi2ELi1ELi1EEEJNS0_5Log10IfEEEEEvT_T0_DpT1_
; %bb.0:
	v_mov_b32_e32 v1, s6
	global_load_ubyte v1, v1, s[4:5] offset:1536
	s_add_u32 s0, s4, s6
	s_mul_hi_u32 s2, s6, 3
	s_mul_i32 s6, s6, 3
	s_addc_u32 s9, s5, 0
	s_add_u32 s8, s0, s6
	s_addc_u32 s9, s9, s2
	s_load_dword s10, s[8:9], 0x740
	s_mov_b32 s1, 0
	s_mov_b32 s7, s1
	;; [unrolled: 1-line block ×3, first 2 shown]
	s_waitcnt lgkmcnt(0)
	s_ashr_i32 s11, s10, 31
	s_lshl_b64 s[8:9], s[10:11], 17
	s_waitcnt vmcnt(0)
	v_readfirstlane_b32 s0, v1
	s_lshl_b32 s0, s0, 3
	s_load_dwordx2 s[16:17], s[4:5], s0 offset:0x0
	s_load_dwordx2 s[12:13], s[4:5], s0 offset:0x400
	;; [unrolled: 1-line block ×3, first 2 shown]
	s_waitcnt lgkmcnt(0)
	s_add_u32 s22, s16, s8
	s_addc_u32 s23, s17, s9
	s_and_b32 s0, s22, 7
	s_add_u32 s24, s14, s8
	s_addc_u32 s25, s15, s9
	s_and_b32 s6, s12, 3
	s_and_b32 s2, s24, 7
	s_or_b64 s[6:7], s[0:1], s[6:7]
	s_or_b64 s[2:3], s[2:3], s[6:7]
	s_lshl_b64 s[6:7], s[10:11], 16
	s_sub_u32 s10, s12, s6
	s_subb_u32 s11, s13, s7
	s_cmp_eq_u64 s[2:3], 0
	s_mov_b64 s[2:3], -1
	s_cbranch_scc0 .LBB182_5
; %bb.1:
	v_mov_b32_e32 v3, 0
	v_lshlrev_b32_e32 v2, 2, v0
	v_cmp_gt_i64_e32 vcc, s[10:11], v[2:3]
	s_and_saveexec_b64 s[12:13], vcc
	s_cbranch_execz .LBB182_4
; %bb.2:
	s_load_dword s0, s[4:5], 0xc5c
	v_lshlrev_b32_e32 v4, 3, v0
	s_mov_b64 s[18:19], 0
	s_mov_b32 s28, 0x3e9a209a
	s_mov_b32 s29, 0x7f800000
	s_waitcnt lgkmcnt(0)
	s_and_b32 s0, s0, 0xffff
	v_add_lshl_u32 v2, v0, s0, 2
	s_lshl_b32 s26, s0, 2
	s_lshl_b32 s27, s0, 3
	s_mov_b64 s[20:21], 0xffff
	v_mov_b32_e32 v1, s1
.LBB182_3:                              ; =>This Inner Loop Header: Depth=1
	v_mov_b32_e32 v5, s23
	v_add_co_u32_e32 v6, vcc, s22, v4
	v_addc_co_u32_e32 v7, vcc, 0, v5, vcc
	global_load_dwordx2 v[6:7], v[6:7], off
	v_cmp_le_i64_e32 vcc, s[10:11], v[2:3]
	v_cmp_lt_u64_e64 s[0:1], s[20:21], v[2:3]
	v_add_co_u32_e64 v2, s[2:3], s26, v2
	v_addc_co_u32_e64 v3, s[2:3], v3, v1, s[2:3]
	v_mov_b32_e32 v5, s25
	v_add_co_u32_e64 v8, s[2:3], s24, v4
	v_addc_co_u32_e64 v9, s[2:3], 0, v5, s[2:3]
	s_or_b64 s[30:31], vcc, s[0:1]
	s_add_u32 s22, s22, s27
	s_addc_u32 s23, s23, 0
	s_add_u32 s24, s24, s27
	s_addc_u32 s25, s25, 0
	s_waitcnt vmcnt(0)
	v_cvt_f32_f16_e32 v5, v6
	v_cvt_f32_f16_sdwa v6, v6 dst_sel:DWORD dst_unused:UNUSED_PAD src0_sel:WORD_1
	v_cvt_f32_f16_e32 v10, v7
	v_cvt_f32_f16_sdwa v7, v7 dst_sel:DWORD dst_unused:UNUSED_PAD src0_sel:WORD_1
	v_log_f32_e32 v5, v5
	v_log_f32_e32 v6, v6
	;; [unrolled: 1-line block ×4, first 2 shown]
	v_mul_f32_e32 v11, 0x3e9a209a, v5
	v_mul_f32_e32 v12, 0x3e9a209a, v6
	;; [unrolled: 1-line block ×4, first 2 shown]
	v_fma_f32 v11, v5, s28, -v11
	v_fma_f32 v12, v6, s28, -v12
	;; [unrolled: 1-line block ×4, first 2 shown]
	v_fmac_f32_e32 v11, 0x3284fbcf, v5
	v_fmac_f32_e32 v12, 0x3284fbcf, v6
	;; [unrolled: 1-line block ×6, first 2 shown]
	v_cmp_lt_f32_e64 vcc, |v6|, s29
	v_fmac_f32_e32 v13, 0x3e9a209a, v10
	v_cmp_lt_f32_e64 s[0:1], |v10|, s29
	v_fmac_f32_e32 v14, 0x3e9a209a, v7
	v_cmp_lt_f32_e64 s[2:3], |v7|, s29
	v_cmp_lt_f32_e64 s[6:7], |v5|, s29
	v_cndmask_b32_e64 v5, v5, v11, s[6:7]
	v_cndmask_b32_e32 v6, v6, v12, vcc
	v_cndmask_b32_e64 v10, v10, v13, s[0:1]
	v_cndmask_b32_e64 v7, v7, v14, s[2:3]
	v_cvt_f16_f32_e32 v5, v5
	v_cvt_f16_f32_e32 v10, v10
	;; [unrolled: 1-line block ×4, first 2 shown]
	s_and_b64 s[0:1], exec, s[30:31]
	s_or_b64 s[18:19], s[0:1], s[18:19]
	v_pack_b32_f16 v7, v10, v7
	v_pack_b32_f16 v6, v5, v6
	global_store_dwordx2 v[8:9], v[6:7], off
	s_andn2_b64 exec, exec, s[18:19]
	s_cbranch_execnz .LBB182_3
.LBB182_4:
	s_or_b64 exec, exec, s[12:13]
	s_mov_b64 s[2:3], 0
.LBB182_5:
	s_andn2_b64 vcc, exec, s[2:3]
	s_cbranch_vccnz .LBB182_25
; %bb.6:
	v_cmp_lt_i64_e64 s[0:1], s[10:11], 1
	s_and_b64 vcc, exec, s[0:1]
	s_cbranch_vccnz .LBB182_25
; %bb.7:
	s_load_dword s0, s[4:5], 0xc5c
	v_mov_b32_e32 v2, 0x10000
	v_mov_b32_e32 v3, 0
	v_cmp_lt_u64_e32 vcc, s[10:11], v[2:3]
	v_lshlrev_b32_e32 v10, 1, v0
	s_waitcnt lgkmcnt(0)
	s_and_b32 s2, s0, 0xffff
	s_and_b64 s[0:1], vcc, exec
	v_mov_b32_e32 v13, s17
	v_add_co_u32_e32 v2, vcc, s16, v10
	v_addc_co_u32_e32 v1, vcc, 0, v13, vcc
	v_mov_b32_e32 v11, 0
	v_mov_b32_e32 v15, s15
	v_add_co_u32_e32 v4, vcc, s14, v10
	v_addc_co_u32_e32 v3, vcc, 0, v15, vcc
	v_mad_u64_u32 v[8:9], s[0:1], s2, 6, v[10:11]
	v_add_co_u32_e32 v6, vcc, s16, v8
	v_addc_co_u32_e32 v5, vcc, v13, v9, vcc
	v_add_co_u32_e32 v8, vcc, s14, v8
	s_mul_i32 s4, s2, 3
	v_addc_co_u32_e32 v7, vcc, v15, v9, vcc
	s_cselect_b32 s13, s11, 0
	s_cselect_b32 s12, s10, 0x10000
	s_lshl_b32 s19, s2, 2
	v_add_co_u32_e32 v17, vcc, s4, v0
	v_addc_co_u32_e64 v18, s[0:1], 0, 0, vcc
	v_add_co_u32_e32 v11, vcc, s19, v10
	v_addc_co_u32_e64 v14, s[0:1], 0, 0, vcc
	v_add_co_u32_e32 v10, vcc, s16, v11
	v_addc_co_u32_e32 v9, vcc, v13, v14, vcc
	v_add_co_u32_e32 v12, vcc, s14, v11
	s_lshl_b32 s3, s2, 1
	v_addc_co_u32_e32 v11, vcc, v15, v14, vcc
	v_add_co_u32_e32 v19, vcc, s3, v0
	v_addc_co_u32_e64 v20, s[0:1], 0, 0, vcc
	v_add_co_u32_e32 v21, vcc, s2, v0
	v_lshlrev_b32_e32 v16, 1, v21
	v_addc_co_u32_e64 v22, s[0:1], 0, 0, vcc
	v_add_co_u32_e32 v14, vcc, s16, v16
	v_addc_co_u32_e32 v13, vcc, 0, v13, vcc
	v_add_co_u32_e32 v16, vcc, s14, v16
	s_mov_b32 s18, 0
	s_lshl_b32 s20, s2, 3
	v_addc_co_u32_e32 v15, vcc, 0, v15, vcc
	s_mov_b64 s[14:15], 0
	s_mov_b32 s21, 0x3e9a209a
	s_mov_b32 s22, 0x7f800000
	s_branch .LBB182_9
.LBB182_8:                              ;   in Loop: Header=BB182_9 Depth=1
	s_or_b64 exec, exec, s[0:1]
	s_add_u32 s14, s14, s19
	s_addc_u32 s15, s15, 0
	s_waitcnt vmcnt(0)
	v_pk_mov_b32 v[24:25], s[10:11], s[10:11] op_sel:[0,1]
	v_cmp_ge_i64_e32 vcc, s[14:15], v[24:25]
	v_mov_b32_e32 v24, 0xffff
	v_mov_b32_e32 v25, 0
	v_cmp_gt_u64_e64 s[0:1], s[14:15], v[24:25]
	s_or_b64 s[0:1], vcc, s[0:1]
	v_mov_b32_e32 v23, s18
	v_add_co_u32_e32 v2, vcc, s20, v2
	v_addc_co_u32_e32 v1, vcc, v1, v23, vcc
	v_add_co_u32_e32 v4, vcc, s20, v4
	v_addc_co_u32_e32 v3, vcc, v3, v23, vcc
	;; [unrolled: 2-line block ×8, first 2 shown]
	s_and_b64 vcc, exec, s[0:1]
	s_cbranch_vccnz .LBB182_25
.LBB182_9:                              ; =>This Inner Loop Header: Depth=1
	v_mov_b32_e32 v23, s15
	v_add_co_u32_e32 v24, vcc, s14, v0
	v_addc_co_u32_e32 v25, vcc, 0, v23, vcc
	v_cmp_gt_u64_e64 s[4:5], s[12:13], v[24:25]
	v_mov_b32_e32 v25, 0
	s_and_saveexec_b64 s[0:1], s[4:5]
	s_cbranch_execz .LBB182_11
; %bb.10:                               ;   in Loop: Header=BB182_9 Depth=1
	v_mov_b32_e32 v23, s9
	v_add_co_u32_e32 v24, vcc, s8, v2
	v_addc_co_u32_e32 v25, vcc, v1, v23, vcc
	global_load_ushort v25, v[24:25], off
.LBB182_11:                             ;   in Loop: Header=BB182_9 Depth=1
	s_or_b64 exec, exec, s[0:1]
	v_mov_b32_e32 v23, s15
	v_add_co_u32_e32 v26, vcc, s14, v21
	v_addc_co_u32_e32 v27, vcc, v22, v23, vcc
	v_cmp_gt_u64_e64 s[2:3], s[12:13], v[26:27]
	v_mov_b32_e32 v26, 0
	s_and_saveexec_b64 s[0:1], s[2:3]
	s_cbranch_execz .LBB182_13
; %bb.12:                               ;   in Loop: Header=BB182_9 Depth=1
	v_mov_b32_e32 v23, s9
	v_add_co_u32_e32 v26, vcc, s8, v14
	v_addc_co_u32_e32 v27, vcc, v13, v23, vcc
	global_load_ushort v26, v[26:27], off
.LBB182_13:                             ;   in Loop: Header=BB182_9 Depth=1
	s_or_b64 exec, exec, s[0:1]
	v_mov_b32_e32 v23, s15
	v_add_co_u32_e32 v28, vcc, s14, v19
	v_addc_co_u32_e32 v29, vcc, v20, v23, vcc
	v_cmp_gt_u64_e64 s[0:1], s[12:13], v[28:29]
	v_mov_b32_e32 v23, 0
	v_mov_b32_e32 v24, 0
	s_and_saveexec_b64 s[6:7], s[0:1]
	s_cbranch_execz .LBB182_15
; %bb.14:                               ;   in Loop: Header=BB182_9 Depth=1
	v_mov_b32_e32 v24, s9
	v_add_co_u32_e32 v28, vcc, s8, v10
	v_addc_co_u32_e32 v29, vcc, v9, v24, vcc
	global_load_ushort v24, v[28:29], off
.LBB182_15:                             ;   in Loop: Header=BB182_9 Depth=1
	s_or_b64 exec, exec, s[6:7]
	v_mov_b32_e32 v27, s15
	v_add_co_u32_e32 v28, vcc, s14, v17
	v_addc_co_u32_e32 v29, vcc, v18, v27, vcc
	v_cmp_gt_u64_e32 vcc, s[12:13], v[28:29]
	s_and_saveexec_b64 s[16:17], vcc
	s_cbranch_execnz .LBB182_20
; %bb.16:                               ;   in Loop: Header=BB182_9 Depth=1
	s_or_b64 exec, exec, s[16:17]
	s_and_saveexec_b64 s[6:7], s[4:5]
	s_cbranch_execnz .LBB182_21
.LBB182_17:                             ;   in Loop: Header=BB182_9 Depth=1
	s_or_b64 exec, exec, s[6:7]
	s_and_saveexec_b64 s[4:5], s[2:3]
	s_cbranch_execnz .LBB182_22
.LBB182_18:                             ;   in Loop: Header=BB182_9 Depth=1
	s_or_b64 exec, exec, s[4:5]
	s_and_saveexec_b64 s[2:3], s[0:1]
	s_cbranch_execnz .LBB182_23
.LBB182_19:                             ;   in Loop: Header=BB182_9 Depth=1
	s_or_b64 exec, exec, s[2:3]
	s_and_saveexec_b64 s[0:1], vcc
	s_cbranch_execz .LBB182_8
	s_branch .LBB182_24
.LBB182_20:                             ;   in Loop: Header=BB182_9 Depth=1
	v_mov_b32_e32 v23, s9
	v_add_co_u32_e64 v28, s[6:7], s8, v6
	v_addc_co_u32_e64 v29, s[6:7], v5, v23, s[6:7]
	global_load_ushort v23, v[28:29], off
	s_or_b64 exec, exec, s[16:17]
	s_and_saveexec_b64 s[6:7], s[4:5]
	s_cbranch_execz .LBB182_17
.LBB182_21:                             ;   in Loop: Header=BB182_9 Depth=1
	s_waitcnt vmcnt(0)
	v_cvt_f32_f16_e32 v25, v25
	v_mov_b32_e32 v27, s9
	v_log_f32_e32 v25, v25
	v_mul_f32_e32 v28, 0x3e9a209a, v25
	v_fma_f32 v28, v25, s21, -v28
	v_fmac_f32_e32 v28, 0x3284fbcf, v25
	v_fmac_f32_e32 v28, 0x3e9a209a, v25
	v_cmp_lt_f32_e64 s[4:5], |v25|, s22
	v_cndmask_b32_e64 v25, v25, v28, s[4:5]
	v_cvt_f16_f32_e32 v25, v25
	v_add_co_u32_e64 v28, s[4:5], s8, v4
	v_addc_co_u32_e64 v29, s[4:5], v3, v27, s[4:5]
	global_store_short v[28:29], v25, off
	s_or_b64 exec, exec, s[6:7]
	s_and_saveexec_b64 s[4:5], s[2:3]
	s_cbranch_execz .LBB182_18
.LBB182_22:                             ;   in Loop: Header=BB182_9 Depth=1
	s_waitcnt vmcnt(0)
	v_cvt_f32_f16_e32 v25, v26
	v_mov_b32_e32 v27, s9
	v_log_f32_e32 v25, v25
	v_mul_f32_e32 v26, 0x3e9a209a, v25
	v_fma_f32 v26, v25, s21, -v26
	v_fmac_f32_e32 v26, 0x3284fbcf, v25
	v_fmac_f32_e32 v26, 0x3e9a209a, v25
	v_cmp_lt_f32_e64 s[2:3], |v25|, s22
	v_cndmask_b32_e64 v25, v25, v26, s[2:3]
	v_cvt_f16_f32_e32 v25, v25
	v_add_co_u32_e64 v26, s[2:3], s8, v16
	v_addc_co_u32_e64 v27, s[2:3], v15, v27, s[2:3]
	global_store_short v[26:27], v25, off
	s_or_b64 exec, exec, s[4:5]
	s_and_saveexec_b64 s[2:3], s[0:1]
	s_cbranch_execz .LBB182_19
.LBB182_23:                             ;   in Loop: Header=BB182_9 Depth=1
	s_waitcnt vmcnt(0)
	v_cvt_f32_f16_e32 v24, v24
	v_mov_b32_e32 v25, s9
	v_log_f32_e32 v24, v24
	v_mul_f32_e32 v26, 0x3e9a209a, v24
	v_fma_f32 v26, v24, s21, -v26
	v_fmac_f32_e32 v26, 0x3284fbcf, v24
	v_fmac_f32_e32 v26, 0x3e9a209a, v24
	v_cmp_lt_f32_e64 s[0:1], |v24|, s22
	v_cndmask_b32_e64 v24, v24, v26, s[0:1]
	v_cvt_f16_f32_e32 v26, v24
	v_add_co_u32_e64 v24, s[0:1], s8, v12
	v_addc_co_u32_e64 v25, s[0:1], v11, v25, s[0:1]
	global_store_short v[24:25], v26, off
	s_or_b64 exec, exec, s[2:3]
	s_and_saveexec_b64 s[0:1], vcc
	s_cbranch_execz .LBB182_8
.LBB182_24:                             ;   in Loop: Header=BB182_9 Depth=1
	s_waitcnt vmcnt(0)
	v_cvt_f32_f16_e32 v23, v23
	v_mov_b32_e32 v25, s9
	v_log_f32_e32 v23, v23
	v_mul_f32_e32 v24, 0x3e9a209a, v23
	v_fma_f32 v24, v23, s21, -v24
	v_fmac_f32_e32 v24, 0x3284fbcf, v23
	v_fmac_f32_e32 v24, 0x3e9a209a, v23
	v_cmp_lt_f32_e64 vcc, |v23|, s22
	v_cndmask_b32_e32 v23, v23, v24, vcc
	v_cvt_f16_f32_e32 v23, v23
	v_add_co_u32_e32 v24, vcc, s8, v8
	v_addc_co_u32_e32 v25, vcc, v7, v25, vcc
	global_store_short v[24:25], v23, off
	s_branch .LBB182_8
.LBB182_25:
	s_endpgm
	.section	.rodata,"a",@progbits
	.p2align	6, 0x0
	.amdhsa_kernel _ZN2at6native12_GLOBAL__N_125multi_tensor_apply_kernelINS1_18TensorListMetadataILi2EEENS1_14UnaryOpFunctorIN3c104HalfELi2ELi1ELi1EEEJNS0_5Log10IfEEEEEvT_T0_DpT1_
		.amdhsa_group_segment_fixed_size 0
		.amdhsa_private_segment_fixed_size 0
		.amdhsa_kernarg_size 3408
		.amdhsa_user_sgpr_count 6
		.amdhsa_user_sgpr_private_segment_buffer 1
		.amdhsa_user_sgpr_dispatch_ptr 0
		.amdhsa_user_sgpr_queue_ptr 0
		.amdhsa_user_sgpr_kernarg_segment_ptr 1
		.amdhsa_user_sgpr_dispatch_id 0
		.amdhsa_user_sgpr_flat_scratch_init 0
		.amdhsa_user_sgpr_kernarg_preload_length 0
		.amdhsa_user_sgpr_kernarg_preload_offset 0
		.amdhsa_user_sgpr_private_segment_size 0
		.amdhsa_uses_dynamic_stack 0
		.amdhsa_system_sgpr_private_segment_wavefront_offset 0
		.amdhsa_system_sgpr_workgroup_id_x 1
		.amdhsa_system_sgpr_workgroup_id_y 0
		.amdhsa_system_sgpr_workgroup_id_z 0
		.amdhsa_system_sgpr_workgroup_info 0
		.amdhsa_system_vgpr_workitem_id 0
		.amdhsa_next_free_vgpr 30
		.amdhsa_next_free_sgpr 32
		.amdhsa_accum_offset 32
		.amdhsa_reserve_vcc 1
		.amdhsa_reserve_flat_scratch 0
		.amdhsa_float_round_mode_32 0
		.amdhsa_float_round_mode_16_64 0
		.amdhsa_float_denorm_mode_32 3
		.amdhsa_float_denorm_mode_16_64 3
		.amdhsa_dx10_clamp 1
		.amdhsa_ieee_mode 1
		.amdhsa_fp16_overflow 0
		.amdhsa_tg_split 0
		.amdhsa_exception_fp_ieee_invalid_op 0
		.amdhsa_exception_fp_denorm_src 0
		.amdhsa_exception_fp_ieee_div_zero 0
		.amdhsa_exception_fp_ieee_overflow 0
		.amdhsa_exception_fp_ieee_underflow 0
		.amdhsa_exception_fp_ieee_inexact 0
		.amdhsa_exception_int_div_zero 0
	.end_amdhsa_kernel
	.section	.text._ZN2at6native12_GLOBAL__N_125multi_tensor_apply_kernelINS1_18TensorListMetadataILi2EEENS1_14UnaryOpFunctorIN3c104HalfELi2ELi1ELi1EEEJNS0_5Log10IfEEEEEvT_T0_DpT1_,"axG",@progbits,_ZN2at6native12_GLOBAL__N_125multi_tensor_apply_kernelINS1_18TensorListMetadataILi2EEENS1_14UnaryOpFunctorIN3c104HalfELi2ELi1ELi1EEEJNS0_5Log10IfEEEEEvT_T0_DpT1_,comdat
.Lfunc_end182:
	.size	_ZN2at6native12_GLOBAL__N_125multi_tensor_apply_kernelINS1_18TensorListMetadataILi2EEENS1_14UnaryOpFunctorIN3c104HalfELi2ELi1ELi1EEEJNS0_5Log10IfEEEEEvT_T0_DpT1_, .Lfunc_end182-_ZN2at6native12_GLOBAL__N_125multi_tensor_apply_kernelINS1_18TensorListMetadataILi2EEENS1_14UnaryOpFunctorIN3c104HalfELi2ELi1ELi1EEEJNS0_5Log10IfEEEEEvT_T0_DpT1_
                                        ; -- End function
	.section	.AMDGPU.csdata,"",@progbits
; Kernel info:
; codeLenInByte = 1720
; NumSgprs: 36
; NumVgprs: 30
; NumAgprs: 0
; TotalNumVgprs: 30
; ScratchSize: 0
; MemoryBound: 0
; FloatMode: 240
; IeeeMode: 1
; LDSByteSize: 0 bytes/workgroup (compile time only)
; SGPRBlocks: 4
; VGPRBlocks: 3
; NumSGPRsForWavesPerEU: 36
; NumVGPRsForWavesPerEU: 30
; AccumOffset: 32
; Occupancy: 8
; WaveLimiterHint : 0
; COMPUTE_PGM_RSRC2:SCRATCH_EN: 0
; COMPUTE_PGM_RSRC2:USER_SGPR: 6
; COMPUTE_PGM_RSRC2:TRAP_HANDLER: 0
; COMPUTE_PGM_RSRC2:TGID_X_EN: 1
; COMPUTE_PGM_RSRC2:TGID_Y_EN: 0
; COMPUTE_PGM_RSRC2:TGID_Z_EN: 0
; COMPUTE_PGM_RSRC2:TIDIG_COMP_CNT: 0
; COMPUTE_PGM_RSRC3_GFX90A:ACCUM_OFFSET: 7
; COMPUTE_PGM_RSRC3_GFX90A:TG_SPLIT: 0
	.section	.text._ZN2at6native12_GLOBAL__N_125multi_tensor_apply_kernelINS1_18TensorListMetadataILi2EEENS1_14UnaryOpFunctorIN3c108BFloat16ELi2ELi1ELi1EEEJNS0_5Log10IfEEEEEvT_T0_DpT1_,"axG",@progbits,_ZN2at6native12_GLOBAL__N_125multi_tensor_apply_kernelINS1_18TensorListMetadataILi2EEENS1_14UnaryOpFunctorIN3c108BFloat16ELi2ELi1ELi1EEEJNS0_5Log10IfEEEEEvT_T0_DpT1_,comdat
	.globl	_ZN2at6native12_GLOBAL__N_125multi_tensor_apply_kernelINS1_18TensorListMetadataILi2EEENS1_14UnaryOpFunctorIN3c108BFloat16ELi2ELi1ELi1EEEJNS0_5Log10IfEEEEEvT_T0_DpT1_ ; -- Begin function _ZN2at6native12_GLOBAL__N_125multi_tensor_apply_kernelINS1_18TensorListMetadataILi2EEENS1_14UnaryOpFunctorIN3c108BFloat16ELi2ELi1ELi1EEEJNS0_5Log10IfEEEEEvT_T0_DpT1_
	.p2align	8
	.type	_ZN2at6native12_GLOBAL__N_125multi_tensor_apply_kernelINS1_18TensorListMetadataILi2EEENS1_14UnaryOpFunctorIN3c108BFloat16ELi2ELi1ELi1EEEJNS0_5Log10IfEEEEEvT_T0_DpT1_,@function
_ZN2at6native12_GLOBAL__N_125multi_tensor_apply_kernelINS1_18TensorListMetadataILi2EEENS1_14UnaryOpFunctorIN3c108BFloat16ELi2ELi1ELi1EEEJNS0_5Log10IfEEEEEvT_T0_DpT1_: ; @_ZN2at6native12_GLOBAL__N_125multi_tensor_apply_kernelINS1_18TensorListMetadataILi2EEENS1_14UnaryOpFunctorIN3c108BFloat16ELi2ELi1ELi1EEEJNS0_5Log10IfEEEEEvT_T0_DpT1_
; %bb.0:
	v_mov_b32_e32 v1, s6
	global_load_ubyte v1, v1, s[4:5] offset:1536
	s_add_u32 s0, s4, s6
	s_mul_hi_u32 s2, s6, 3
	s_mul_i32 s6, s6, 3
	s_addc_u32 s7, s5, 0
	s_add_u32 s8, s0, s6
	s_addc_u32 s9, s7, s2
	s_mov_b32 s1, 0
	s_mov_b32 s17, s1
	;; [unrolled: 1-line block ×3, first 2 shown]
	s_waitcnt vmcnt(0)
	v_readfirstlane_b32 s0, v1
	s_lshl_b32 s0, s0, 3
	s_load_dword s10, s[8:9], 0x740
	s_load_dwordx2 s[14:15], s[4:5], s0 offset:0x0
	s_load_dwordx2 s[12:13], s[4:5], s0 offset:0x400
	;; [unrolled: 1-line block ×3, first 2 shown]
	s_waitcnt lgkmcnt(0)
	s_ashr_i32 s11, s10, 31
	s_and_b32 s0, s14, 7
	s_and_b32 s16, s12, 3
	;; [unrolled: 1-line block ×3, first 2 shown]
	s_or_b64 s[16:17], s[0:1], s[16:17]
	s_lshl_b64 s[8:9], s[10:11], 17
	s_or_b64 s[2:3], s[2:3], s[16:17]
	s_lshl_b64 s[10:11], s[10:11], 16
	s_sub_u32 s10, s12, s10
	s_subb_u32 s11, s13, s11
	s_cmp_eq_u64 s[2:3], 0
	s_mov_b64 s[2:3], -1
	s_cbranch_scc0 .LBB183_5
; %bb.1:
	v_mov_b32_e32 v3, 0
	v_lshlrev_b32_e32 v2, 2, v0
	v_cmp_gt_i64_e32 vcc, s[10:11], v[2:3]
	s_and_saveexec_b64 s[12:13], vcc
	s_cbranch_execz .LBB183_4
; %bb.2:
	s_load_dword s0, s[4:5], 0xc5c
	v_lshlrev_b32_e32 v1, 3, v0
	v_mov_b32_e32 v2, s9
	v_add_co_u32_e32 v4, vcc, s8, v1
	s_waitcnt lgkmcnt(0)
	s_and_b32 s0, s0, 0xffff
	v_addc_co_u32_e32 v1, vcc, 0, v2, vcc
	s_lshl_b32 s20, s0, 3
	v_add_lshl_u32 v2, v0, s0, 2
	s_lshl_b32 s21, s0, 2
	s_mov_b64 s[16:17], 0
	v_mov_b32_e32 v5, s15
	s_mov_b32 s22, 0x800000
	v_mov_b32_e32 v6, 0x4f800000
	s_mov_b32 s23, 0x3e9a209a
	s_mov_b32 s24, 0x7f800000
	v_mov_b32_e32 v7, 0x411a209b
	s_movk_i32 s25, 0x7fff
	v_mov_b32_e32 v8, s7
	v_mov_b32_e32 v9, 0x7fc00000
	v_mov_b32_e32 v10, 0x7fc0
	s_mov_b64 s[18:19], 0xffff
	v_mov_b32_e32 v11, s1
	v_mov_b32_e32 v12, s1
.LBB183_3:                              ; =>This Inner Loop Header: Depth=1
	v_add_co_u32_e32 v14, vcc, s14, v4
	v_addc_co_u32_e32 v15, vcc, v5, v1, vcc
	global_load_dwordx2 v[14:15], v[14:15], off
	v_add_co_u32_e32 v16, vcc, s6, v4
	v_addc_co_u32_e32 v17, vcc, v8, v1, vcc
	v_cmp_le_i64_e32 vcc, s[10:11], v[2:3]
	v_cmp_lt_u64_e64 s[0:1], s[18:19], v[2:3]
	v_add_co_u32_e64 v4, s[2:3], s20, v4
	v_addc_co_u32_e64 v1, s[2:3], v1, v11, s[2:3]
	s_or_b64 s[0:1], vcc, s[0:1]
	v_add_co_u32_e64 v2, s[2:3], s21, v2
	s_and_b64 s[0:1], exec, s[0:1]
	v_addc_co_u32_e64 v3, s[2:3], v3, v12, s[2:3]
	s_or_b64 s[16:17], s[0:1], s[16:17]
	s_waitcnt vmcnt(0)
	v_lshlrev_b32_e32 v18, 16, v14
	v_and_b32_e32 v13, 0xffff0000, v14
	v_alignbit_b32 v14, v15, v14, 16
	v_cmp_gt_f32_e32 vcc, s22, v18
	v_and_b32_e32 v15, 0xffff0000, v15
	v_cndmask_b32_e32 v19, 1.0, v6, vcc
	v_cmp_gt_f32_e64 s[0:1], s22, v13
	v_and_b32_e32 v14, 0xffff0000, v14
	v_cndmask_b32_e64 v20, 1.0, v6, s[0:1]
	v_cmp_gt_f32_e64 s[2:3], s22, v15
	v_mul_f32_e32 v18, v18, v19
	v_cndmask_b32_e32 v19, 0, v7, vcc
	v_cmp_gt_f32_e32 vcc, s22, v14
	v_cndmask_b32_e64 v21, 1.0, v6, s[2:3]
	v_mul_f32_e32 v13, v13, v20
	v_cndmask_b32_e32 v22, 1.0, v6, vcc
	v_mul_f32_e32 v15, v15, v21
	v_log_f32_e32 v18, v18
	v_log_f32_e32 v13, v13
	v_mul_f32_e32 v14, v14, v22
	v_log_f32_e32 v15, v15
	v_log_f32_e32 v14, v14
	v_mul_f32_e32 v23, 0x3e9a209a, v18
	v_mul_f32_e32 v24, 0x3e9a209a, v13
	;; [unrolled: 1-line block ×3, first 2 shown]
	v_fma_f32 v23, v18, s23, -v23
	v_fma_f32 v24, v13, s23, -v24
	v_mul_f32_e32 v26, 0x3e9a209a, v14
	v_fma_f32 v25, v15, s23, -v25
	v_fmac_f32_e32 v23, 0x3284fbcf, v18
	v_fmac_f32_e32 v24, 0x3284fbcf, v13
	v_fma_f32 v26, v14, s23, -v26
	v_cndmask_b32_e64 v21, 0, v7, s[2:3]
	v_cndmask_b32_e32 v22, 0, v7, vcc
	v_fmac_f32_e32 v25, 0x3284fbcf, v15
	v_fmac_f32_e32 v23, 0x3e9a209a, v18
	;; [unrolled: 1-line block ×3, first 2 shown]
	v_cmp_lt_f32_e64 vcc, |v13|, s24
	v_fmac_f32_e32 v26, 0x3284fbcf, v14
	v_cmp_lt_f32_e64 s[2:3], |v18|, s24
	v_cndmask_b32_e64 v20, 0, v7, s[0:1]
	v_fmac_f32_e32 v25, 0x3e9a209a, v15
	v_cmp_lt_f32_e64 s[0:1], |v15|, s24
	v_cndmask_b32_e64 v18, v18, v23, s[2:3]
	v_cndmask_b32_e32 v13, v13, v24, vcc
	v_fmac_f32_e32 v26, 0x3e9a209a, v14
	v_cmp_lt_f32_e64 vcc, |v14|, s24
	v_cndmask_b32_e64 v15, v15, v25, s[0:1]
	v_sub_f32_e32 v18, v18, v19
	v_sub_f32_e32 v13, v13, v20
	v_cndmask_b32_e32 v14, v14, v26, vcc
	v_sub_f32_e32 v15, v15, v21
	v_bfe_u32 v19, v18, 16, 1
	v_bfe_u32 v20, v13, 16, 1
	v_sub_f32_e32 v14, v14, v22
	v_bfe_u32 v21, v15, 16, 1
	v_add3_u32 v19, v18, v19, s25
	v_add3_u32 v20, v13, v20, s25
	v_bfe_u32 v22, v14, 16, 1
	v_add3_u32 v21, v15, v21, s25
	v_lshrrev_b32_e32 v19, 16, v19
	v_and_b32_e32 v20, 0xffff0000, v20
	v_add3_u32 v22, v14, v22, s25
	v_cmp_o_f32_e32 vcc, v13, v13
	v_cmp_o_f32_e64 s[0:1], v18, v18
	v_and_b32_e32 v21, 0xffff0000, v21
	v_cmp_o_f32_e64 s[2:3], v15, v15
	v_lshrrev_b32_e32 v13, 16, v22
	v_cndmask_b32_e32 v18, v9, v20, vcc
	v_cndmask_b32_e64 v19, v10, v19, s[0:1]
	v_cmp_o_f32_e32 vcc, v14, v14
	v_cndmask_b32_e64 v15, v9, v21, s[2:3]
	v_cndmask_b32_e32 v13, v10, v13, vcc
	v_or_b32_e32 v14, v19, v18
	v_or3_b32 v15, 0, v13, v15
	v_or3_b32 v14, v14, 0, 0
	global_store_dwordx2 v[16:17], v[14:15], off
	s_andn2_b64 exec, exec, s[16:17]
	s_cbranch_execnz .LBB183_3
.LBB183_4:
	s_or_b64 exec, exec, s[12:13]
	s_mov_b64 s[2:3], 0
.LBB183_5:
	s_andn2_b64 vcc, exec, s[2:3]
	s_cbranch_vccnz .LBB183_25
; %bb.6:
	v_cmp_lt_i64_e64 s[0:1], s[10:11], 1
	s_and_b64 vcc, exec, s[0:1]
	s_cbranch_vccnz .LBB183_25
; %bb.7:
	s_load_dword s0, s[4:5], 0xc5c
	v_mov_b32_e32 v2, 0x10000
	v_mov_b32_e32 v3, 0
	v_cmp_lt_u64_e32 vcc, s[10:11], v[2:3]
	v_lshlrev_b32_e32 v10, 1, v0
	s_waitcnt lgkmcnt(0)
	s_and_b32 s2, s0, 0xffff
	s_and_b64 s[0:1], vcc, exec
	v_mov_b32_e32 v13, s15
	v_add_co_u32_e32 v2, vcc, s14, v10
	v_addc_co_u32_e32 v1, vcc, 0, v13, vcc
	v_mov_b32_e32 v11, 0
	v_mov_b32_e32 v15, s7
	v_add_co_u32_e32 v4, vcc, s6, v10
	v_addc_co_u32_e32 v3, vcc, 0, v15, vcc
	v_mad_u64_u32 v[8:9], s[0:1], s2, 6, v[10:11]
	v_add_co_u32_e32 v6, vcc, s14, v8
	v_addc_co_u32_e32 v5, vcc, v13, v9, vcc
	v_add_co_u32_e32 v8, vcc, s6, v8
	s_mul_i32 s4, s2, 3
	v_addc_co_u32_e32 v7, vcc, v15, v9, vcc
	s_cselect_b32 s13, s11, 0
	s_cselect_b32 s12, s10, 0x10000
	s_lshl_b32 s19, s2, 2
	v_add_co_u32_e32 v17, vcc, s4, v0
	v_addc_co_u32_e64 v18, s[0:1], 0, 0, vcc
	v_add_co_u32_e32 v11, vcc, s19, v10
	v_addc_co_u32_e64 v14, s[0:1], 0, 0, vcc
	v_add_co_u32_e32 v10, vcc, s14, v11
	v_addc_co_u32_e32 v9, vcc, v13, v14, vcc
	v_add_co_u32_e32 v12, vcc, s6, v11
	s_lshl_b32 s3, s2, 1
	v_addc_co_u32_e32 v11, vcc, v15, v14, vcc
	v_add_co_u32_e32 v19, vcc, s3, v0
	v_addc_co_u32_e64 v20, s[0:1], 0, 0, vcc
	v_add_co_u32_e32 v21, vcc, s2, v0
	v_lshlrev_b32_e32 v16, 1, v21
	v_addc_co_u32_e64 v22, s[0:1], 0, 0, vcc
	v_add_co_u32_e32 v14, vcc, s14, v16
	v_addc_co_u32_e32 v13, vcc, 0, v13, vcc
	v_add_co_u32_e32 v16, vcc, s6, v16
	s_mov_b32 s18, 0
	s_lshl_b32 s20, s2, 3
	v_addc_co_u32_e32 v15, vcc, 0, v15, vcc
	s_mov_b64 s[14:15], 0
	s_mov_b32 s21, 0x800000
	s_mov_b32 s22, 0x3e9a209a
	;; [unrolled: 1-line block ×3, first 2 shown]
	s_movk_i32 s24, 0x7fff
	v_mov_b32_e32 v23, 0x4f800000
	v_mov_b32_e32 v24, 0x411a209b
	;; [unrolled: 1-line block ×3, first 2 shown]
	s_branch .LBB183_9
.LBB183_8:                              ;   in Loop: Header=BB183_9 Depth=1
	s_or_b64 exec, exec, s[0:1]
	s_add_u32 s14, s14, s19
	s_addc_u32 s15, s15, 0
	s_waitcnt vmcnt(0)
	v_pk_mov_b32 v[26:27], s[10:11], s[10:11] op_sel:[0,1]
	v_cmp_ge_i64_e32 vcc, s[14:15], v[26:27]
	v_mov_b32_e32 v26, 0xffff
	v_mov_b32_e32 v27, 0
	v_cmp_gt_u64_e64 s[0:1], s[14:15], v[26:27]
	s_or_b64 s[0:1], vcc, s[0:1]
	v_mov_b32_e32 v26, s18
	v_add_co_u32_e32 v2, vcc, s20, v2
	v_addc_co_u32_e32 v1, vcc, v1, v26, vcc
	v_add_co_u32_e32 v4, vcc, s20, v4
	v_addc_co_u32_e32 v3, vcc, v3, v26, vcc
	;; [unrolled: 2-line block ×8, first 2 shown]
	s_and_b64 vcc, exec, s[0:1]
	s_cbranch_vccnz .LBB183_25
.LBB183_9:                              ; =>This Inner Loop Header: Depth=1
	v_mov_b32_e32 v27, s15
	v_add_co_u32_e32 v26, vcc, s14, v0
	v_addc_co_u32_e32 v27, vcc, 0, v27, vcc
	v_cmp_gt_u64_e64 s[4:5], s[12:13], v[26:27]
	v_mov_b32_e32 v29, 0
	s_and_saveexec_b64 s[0:1], s[4:5]
	s_cbranch_execz .LBB183_11
; %bb.10:                               ;   in Loop: Header=BB183_9 Depth=1
	v_mov_b32_e32 v27, s9
	v_add_co_u32_e32 v26, vcc, s8, v2
	v_addc_co_u32_e32 v27, vcc, v1, v27, vcc
	global_load_ushort v29, v[26:27], off
.LBB183_11:                             ;   in Loop: Header=BB183_9 Depth=1
	s_or_b64 exec, exec, s[0:1]
	v_mov_b32_e32 v27, s15
	v_add_co_u32_e32 v26, vcc, s14, v21
	v_addc_co_u32_e32 v27, vcc, v22, v27, vcc
	v_cmp_gt_u64_e64 s[2:3], s[12:13], v[26:27]
	v_mov_b32_e32 v28, 0
	s_and_saveexec_b64 s[0:1], s[2:3]
	s_cbranch_execz .LBB183_13
; %bb.12:                               ;   in Loop: Header=BB183_9 Depth=1
	v_mov_b32_e32 v27, s9
	v_add_co_u32_e32 v26, vcc, s8, v14
	v_addc_co_u32_e32 v27, vcc, v13, v27, vcc
	global_load_ushort v28, v[26:27], off
.LBB183_13:                             ;   in Loop: Header=BB183_9 Depth=1
	s_or_b64 exec, exec, s[0:1]
	v_mov_b32_e32 v27, s15
	v_add_co_u32_e32 v26, vcc, s14, v19
	v_addc_co_u32_e32 v27, vcc, v20, v27, vcc
	v_cmp_gt_u64_e64 s[0:1], s[12:13], v[26:27]
	v_mov_b32_e32 v26, 0
	v_mov_b32_e32 v27, 0
	s_and_saveexec_b64 s[6:7], s[0:1]
	s_cbranch_execz .LBB183_15
; %bb.14:                               ;   in Loop: Header=BB183_9 Depth=1
	v_mov_b32_e32 v27, s9
	v_add_co_u32_e32 v30, vcc, s8, v10
	v_addc_co_u32_e32 v31, vcc, v9, v27, vcc
	global_load_ushort v27, v[30:31], off
.LBB183_15:                             ;   in Loop: Header=BB183_9 Depth=1
	s_or_b64 exec, exec, s[6:7]
	v_mov_b32_e32 v31, s15
	v_add_co_u32_e32 v30, vcc, s14, v17
	v_addc_co_u32_e32 v31, vcc, v18, v31, vcc
	v_cmp_gt_u64_e32 vcc, s[12:13], v[30:31]
	s_and_saveexec_b64 s[16:17], vcc
	s_cbranch_execnz .LBB183_20
; %bb.16:                               ;   in Loop: Header=BB183_9 Depth=1
	s_or_b64 exec, exec, s[16:17]
	s_and_saveexec_b64 s[6:7], s[4:5]
	s_cbranch_execnz .LBB183_21
.LBB183_17:                             ;   in Loop: Header=BB183_9 Depth=1
	s_or_b64 exec, exec, s[6:7]
	s_and_saveexec_b64 s[4:5], s[2:3]
	s_cbranch_execnz .LBB183_22
.LBB183_18:                             ;   in Loop: Header=BB183_9 Depth=1
	s_or_b64 exec, exec, s[4:5]
	s_and_saveexec_b64 s[2:3], s[0:1]
	s_cbranch_execnz .LBB183_23
.LBB183_19:                             ;   in Loop: Header=BB183_9 Depth=1
	s_or_b64 exec, exec, s[2:3]
	s_and_saveexec_b64 s[0:1], vcc
	s_cbranch_execz .LBB183_8
	s_branch .LBB183_24
.LBB183_20:                             ;   in Loop: Header=BB183_9 Depth=1
	v_mov_b32_e32 v26, s9
	v_add_co_u32_e64 v30, s[6:7], s8, v6
	v_addc_co_u32_e64 v31, s[6:7], v5, v26, s[6:7]
	global_load_ushort v26, v[30:31], off
	s_or_b64 exec, exec, s[16:17]
	s_and_saveexec_b64 s[6:7], s[4:5]
	s_cbranch_execz .LBB183_17
.LBB183_21:                             ;   in Loop: Header=BB183_9 Depth=1
	s_waitcnt vmcnt(0)
	v_lshlrev_b32_e32 v29, 16, v29
	v_cmp_gt_f32_e64 s[4:5], s21, v29
	v_cndmask_b32_e64 v30, 1.0, v23, s[4:5]
	v_mul_f32_e32 v29, v29, v30
	v_log_f32_e32 v29, v29
	v_cndmask_b32_e64 v30, 0, v24, s[4:5]
	v_mul_f32_e32 v31, 0x3e9a209a, v29
	v_fma_f32 v31, v29, s22, -v31
	v_fmac_f32_e32 v31, 0x3284fbcf, v29
	v_fmac_f32_e32 v31, 0x3e9a209a, v29
	v_cmp_lt_f32_e64 s[4:5], |v29|, s23
	v_cndmask_b32_e64 v29, v29, v31, s[4:5]
	v_sub_f32_e32 v29, v29, v30
	v_bfe_u32 v30, v29, 16, 1
	v_add3_u32 v30, v29, v30, s24
	v_lshrrev_b32_e32 v30, 16, v30
	v_cmp_o_f32_e64 s[4:5], v29, v29
	v_cndmask_b32_e64 v29, v25, v30, s[4:5]
	v_mov_b32_e32 v31, s9
	v_add_co_u32_e64 v30, s[4:5], s8, v4
	v_addc_co_u32_e64 v31, s[4:5], v3, v31, s[4:5]
	global_store_short v[30:31], v29, off
	s_or_b64 exec, exec, s[6:7]
	s_and_saveexec_b64 s[4:5], s[2:3]
	s_cbranch_execz .LBB183_18
.LBB183_22:                             ;   in Loop: Header=BB183_9 Depth=1
	s_waitcnt vmcnt(0)
	v_lshlrev_b32_e32 v28, 16, v28
	v_cmp_gt_f32_e64 s[2:3], s21, v28
	v_cndmask_b32_e64 v29, 1.0, v23, s[2:3]
	v_mul_f32_e32 v28, v28, v29
	v_log_f32_e32 v28, v28
	v_cndmask_b32_e64 v29, 0, v24, s[2:3]
	v_mul_f32_e32 v30, 0x3e9a209a, v28
	v_fma_f32 v30, v28, s22, -v30
	v_fmac_f32_e32 v30, 0x3284fbcf, v28
	v_fmac_f32_e32 v30, 0x3e9a209a, v28
	v_cmp_lt_f32_e64 s[2:3], |v28|, s23
	v_cndmask_b32_e64 v28, v28, v30, s[2:3]
	v_sub_f32_e32 v28, v28, v29
	v_bfe_u32 v29, v28, 16, 1
	v_add3_u32 v29, v28, v29, s24
	v_lshrrev_b32_e32 v29, 16, v29
	v_cmp_o_f32_e64 s[2:3], v28, v28
	v_cndmask_b32_e64 v30, v25, v29, s[2:3]
	v_mov_b32_e32 v29, s9
	v_add_co_u32_e64 v28, s[2:3], s8, v16
	v_addc_co_u32_e64 v29, s[2:3], v15, v29, s[2:3]
	global_store_short v[28:29], v30, off
	s_or_b64 exec, exec, s[4:5]
	s_and_saveexec_b64 s[2:3], s[0:1]
	s_cbranch_execz .LBB183_19
.LBB183_23:                             ;   in Loop: Header=BB183_9 Depth=1
	s_waitcnt vmcnt(0)
	v_lshlrev_b32_e32 v27, 16, v27
	v_cmp_gt_f32_e64 s[0:1], s21, v27
	v_cndmask_b32_e64 v28, 1.0, v23, s[0:1]
	v_mul_f32_e32 v27, v27, v28
	v_log_f32_e32 v27, v27
	v_cndmask_b32_e64 v28, 0, v24, s[0:1]
	v_mul_f32_e32 v29, 0x3e9a209a, v27
	v_fma_f32 v29, v27, s22, -v29
	v_fmac_f32_e32 v29, 0x3284fbcf, v27
	v_fmac_f32_e32 v29, 0x3e9a209a, v27
	v_cmp_lt_f32_e64 s[0:1], |v27|, s23
	v_cndmask_b32_e64 v27, v27, v29, s[0:1]
	v_sub_f32_e32 v27, v27, v28
	v_bfe_u32 v28, v27, 16, 1
	v_add3_u32 v28, v27, v28, s24
	v_lshrrev_b32_e32 v28, 16, v28
	v_cmp_o_f32_e64 s[0:1], v27, v27
	v_cndmask_b32_e64 v27, v25, v28, s[0:1]
	v_mov_b32_e32 v29, s9
	v_add_co_u32_e64 v28, s[0:1], s8, v12
	v_addc_co_u32_e64 v29, s[0:1], v11, v29, s[0:1]
	global_store_short v[28:29], v27, off
	s_or_b64 exec, exec, s[2:3]
	s_and_saveexec_b64 s[0:1], vcc
	s_cbranch_execz .LBB183_8
.LBB183_24:                             ;   in Loop: Header=BB183_9 Depth=1
	s_waitcnt vmcnt(0)
	v_lshlrev_b32_e32 v26, 16, v26
	v_cmp_gt_f32_e32 vcc, s21, v26
	v_cndmask_b32_e32 v27, 1.0, v23, vcc
	v_mul_f32_e32 v26, v26, v27
	v_log_f32_e32 v26, v26
	v_cndmask_b32_e32 v27, 0, v24, vcc
	v_mul_f32_e32 v28, 0x3e9a209a, v26
	v_fma_f32 v28, v26, s22, -v28
	v_fmac_f32_e32 v28, 0x3284fbcf, v26
	v_fmac_f32_e32 v28, 0x3e9a209a, v26
	v_cmp_lt_f32_e64 vcc, |v26|, s23
	v_cndmask_b32_e32 v26, v26, v28, vcc
	v_sub_f32_e32 v26, v26, v27
	v_bfe_u32 v27, v26, 16, 1
	v_add3_u32 v27, v26, v27, s24
	v_lshrrev_b32_e32 v27, 16, v27
	v_cmp_o_f32_e32 vcc, v26, v26
	v_cndmask_b32_e32 v28, v25, v27, vcc
	v_mov_b32_e32 v27, s9
	v_add_co_u32_e32 v26, vcc, s8, v8
	v_addc_co_u32_e32 v27, vcc, v7, v27, vcc
	global_store_short v[26:27], v28, off
	s_branch .LBB183_8
.LBB183_25:
	s_endpgm
	.section	.rodata,"a",@progbits
	.p2align	6, 0x0
	.amdhsa_kernel _ZN2at6native12_GLOBAL__N_125multi_tensor_apply_kernelINS1_18TensorListMetadataILi2EEENS1_14UnaryOpFunctorIN3c108BFloat16ELi2ELi1ELi1EEEJNS0_5Log10IfEEEEEvT_T0_DpT1_
		.amdhsa_group_segment_fixed_size 0
		.amdhsa_private_segment_fixed_size 0
		.amdhsa_kernarg_size 3408
		.amdhsa_user_sgpr_count 6
		.amdhsa_user_sgpr_private_segment_buffer 1
		.amdhsa_user_sgpr_dispatch_ptr 0
		.amdhsa_user_sgpr_queue_ptr 0
		.amdhsa_user_sgpr_kernarg_segment_ptr 1
		.amdhsa_user_sgpr_dispatch_id 0
		.amdhsa_user_sgpr_flat_scratch_init 0
		.amdhsa_user_sgpr_kernarg_preload_length 0
		.amdhsa_user_sgpr_kernarg_preload_offset 0
		.amdhsa_user_sgpr_private_segment_size 0
		.amdhsa_uses_dynamic_stack 0
		.amdhsa_system_sgpr_private_segment_wavefront_offset 0
		.amdhsa_system_sgpr_workgroup_id_x 1
		.amdhsa_system_sgpr_workgroup_id_y 0
		.amdhsa_system_sgpr_workgroup_id_z 0
		.amdhsa_system_sgpr_workgroup_info 0
		.amdhsa_system_vgpr_workitem_id 0
		.amdhsa_next_free_vgpr 32
		.amdhsa_next_free_sgpr 26
		.amdhsa_accum_offset 32
		.amdhsa_reserve_vcc 1
		.amdhsa_reserve_flat_scratch 0
		.amdhsa_float_round_mode_32 0
		.amdhsa_float_round_mode_16_64 0
		.amdhsa_float_denorm_mode_32 3
		.amdhsa_float_denorm_mode_16_64 3
		.amdhsa_dx10_clamp 1
		.amdhsa_ieee_mode 1
		.amdhsa_fp16_overflow 0
		.amdhsa_tg_split 0
		.amdhsa_exception_fp_ieee_invalid_op 0
		.amdhsa_exception_fp_denorm_src 0
		.amdhsa_exception_fp_ieee_div_zero 0
		.amdhsa_exception_fp_ieee_overflow 0
		.amdhsa_exception_fp_ieee_underflow 0
		.amdhsa_exception_fp_ieee_inexact 0
		.amdhsa_exception_int_div_zero 0
	.end_amdhsa_kernel
	.section	.text._ZN2at6native12_GLOBAL__N_125multi_tensor_apply_kernelINS1_18TensorListMetadataILi2EEENS1_14UnaryOpFunctorIN3c108BFloat16ELi2ELi1ELi1EEEJNS0_5Log10IfEEEEEvT_T0_DpT1_,"axG",@progbits,_ZN2at6native12_GLOBAL__N_125multi_tensor_apply_kernelINS1_18TensorListMetadataILi2EEENS1_14UnaryOpFunctorIN3c108BFloat16ELi2ELi1ELi1EEEJNS0_5Log10IfEEEEEvT_T0_DpT1_,comdat
.Lfunc_end183:
	.size	_ZN2at6native12_GLOBAL__N_125multi_tensor_apply_kernelINS1_18TensorListMetadataILi2EEENS1_14UnaryOpFunctorIN3c108BFloat16ELi2ELi1ELi1EEEJNS0_5Log10IfEEEEEvT_T0_DpT1_, .Lfunc_end183-_ZN2at6native12_GLOBAL__N_125multi_tensor_apply_kernelINS1_18TensorListMetadataILi2EEENS1_14UnaryOpFunctorIN3c108BFloat16ELi2ELi1ELi1EEEJNS0_5Log10IfEEEEEvT_T0_DpT1_
                                        ; -- End function
	.section	.AMDGPU.csdata,"",@progbits
; Kernel info:
; codeLenInByte = 2260
; NumSgprs: 30
; NumVgprs: 32
; NumAgprs: 0
; TotalNumVgprs: 32
; ScratchSize: 0
; MemoryBound: 0
; FloatMode: 240
; IeeeMode: 1
; LDSByteSize: 0 bytes/workgroup (compile time only)
; SGPRBlocks: 3
; VGPRBlocks: 3
; NumSGPRsForWavesPerEU: 30
; NumVGPRsForWavesPerEU: 32
; AccumOffset: 32
; Occupancy: 8
; WaveLimiterHint : 0
; COMPUTE_PGM_RSRC2:SCRATCH_EN: 0
; COMPUTE_PGM_RSRC2:USER_SGPR: 6
; COMPUTE_PGM_RSRC2:TRAP_HANDLER: 0
; COMPUTE_PGM_RSRC2:TGID_X_EN: 1
; COMPUTE_PGM_RSRC2:TGID_Y_EN: 0
; COMPUTE_PGM_RSRC2:TGID_Z_EN: 0
; COMPUTE_PGM_RSRC2:TIDIG_COMP_CNT: 0
; COMPUTE_PGM_RSRC3_GFX90A:ACCUM_OFFSET: 7
; COMPUTE_PGM_RSRC3_GFX90A:TG_SPLIT: 0
	.section	.text._ZN2at6native12_GLOBAL__N_125multi_tensor_apply_kernelINS1_18TensorListMetadataILi1EEENS1_14UnaryOpFunctorIdLi1ELi1ELi0EEEJNS0_5Log10IdEEEEEvT_T0_DpT1_,"axG",@progbits,_ZN2at6native12_GLOBAL__N_125multi_tensor_apply_kernelINS1_18TensorListMetadataILi1EEENS1_14UnaryOpFunctorIdLi1ELi1ELi0EEEJNS0_5Log10IdEEEEEvT_T0_DpT1_,comdat
	.globl	_ZN2at6native12_GLOBAL__N_125multi_tensor_apply_kernelINS1_18TensorListMetadataILi1EEENS1_14UnaryOpFunctorIdLi1ELi1ELi0EEEJNS0_5Log10IdEEEEEvT_T0_DpT1_ ; -- Begin function _ZN2at6native12_GLOBAL__N_125multi_tensor_apply_kernelINS1_18TensorListMetadataILi1EEENS1_14UnaryOpFunctorIdLi1ELi1ELi0EEEJNS0_5Log10IdEEEEEvT_T0_DpT1_
	.p2align	8
	.type	_ZN2at6native12_GLOBAL__N_125multi_tensor_apply_kernelINS1_18TensorListMetadataILi1EEENS1_14UnaryOpFunctorIdLi1ELi1ELi0EEEJNS0_5Log10IdEEEEEvT_T0_DpT1_,@function
_ZN2at6native12_GLOBAL__N_125multi_tensor_apply_kernelINS1_18TensorListMetadataILi1EEENS1_14UnaryOpFunctorIdLi1ELi1ELi0EEEJNS0_5Log10IdEEEEEvT_T0_DpT1_: ; @_ZN2at6native12_GLOBAL__N_125multi_tensor_apply_kernelINS1_18TensorListMetadataILi1EEENS1_14UnaryOpFunctorIdLi1ELi1ELi0EEEJNS0_5Log10IdEEEEEvT_T0_DpT1_
; %bb.0:
	v_mov_b32_e32 v1, s6
	global_load_ubyte v1, v1, s[4:5] offset:1760
	s_add_u32 s0, s4, s6
	s_mul_hi_u32 s1, s6, 3
	s_mul_i32 s6, s6, 3
	s_addc_u32 s2, s5, 0
	s_add_u32 s0, s0, s6
	s_addc_u32 s1, s2, s1
	s_load_dword s0, s[0:1], 0x820
	s_mov_b32 s7, 0
	s_waitcnt vmcnt(0)
	v_readfirstlane_b32 s2, v1
	s_lshl_b32 s1, s2, 3
	s_load_dwordx2 s[2:3], s[4:5], s1 offset:0x370
	s_load_dwordx2 s[12:13], s[4:5], s1 offset:0x0
	s_waitcnt lgkmcnt(0)
	s_ashr_i32 s1, s0, 31
	s_lshl_b64 s[14:15], s[0:1], 19
	s_lshl_b64 s[0:1], s[0:1], 16
	s_and_b32 s6, s12, 31
	s_sub_u32 s10, s2, s0
	s_subb_u32 s11, s3, s1
	s_and_b32 s0, s2, 3
	s_mov_b32 s1, s7
	s_or_b64 s[0:1], s[6:7], s[0:1]
	s_cmp_eq_u64 s[0:1], 0
	s_cbranch_scc1 .LBB184_21
; %bb.1:
	v_cmp_lt_i64_e64 s[0:1], s[10:11], 1
	s_and_b64 vcc, exec, s[0:1]
	s_cbranch_vccnz .LBB184_20
; %bb.2:
	s_load_dword s0, s[4:5], 0xd3c
	v_mov_b32_e32 v4, 0x10000
	v_mov_b32_e32 v5, 0
	v_cmp_lt_u64_e32 vcc, s[10:11], v[4:5]
	v_lshlrev_b32_e32 v1, 3, v0
	s_waitcnt lgkmcnt(0)
	s_and_b32 s2, s0, 0xffff
	s_and_b64 s[0:1], vcc, exec
	s_cselect_b32 s17, s11, 0
	s_cselect_b32 s16, s10, 0x10000
	s_lshl_b32 s3, s2, 1
	s_lshl_b32 s36, s2, 2
	s_add_u32 s6, s12, s14
	s_addc_u32 s7, s13, s15
	v_mov_b32_e32 v3, s7
	v_add_co_u32_e32 v4, vcc, s6, v1
	s_mul_i32 s0, s2, 3
	v_addc_co_u32_e32 v5, vcc, 0, v3, vcc
	v_add_co_u32_e32 v1, vcc, s0, v0
	v_addc_co_u32_e64 v28, s[0:1], 0, 0, vcc
	v_add_co_u32_e32 v29, vcc, s3, v0
	v_addc_co_u32_e64 v30, s[0:1], 0, 0, vcc
	v_add_co_u32_e32 v31, vcc, s2, v0
	v_lshlrev_b32_e32 v3, 3, v31
	s_mov_b32 s33, 0
	v_addc_co_u32_e64 v32, s[0:1], 0, 0, vcc
	v_mov_b32_e32 v7, s7
	v_add_co_u32_e32 v6, vcc, s6, v3
	s_mov_b32 s20, 0x55555555
	s_mov_b32 s22, 0x509f79ff
	;; [unrolled: 1-line block ×6, first 2 shown]
	v_mov_b32_e32 v2, 0
	s_lshl_b32 s37, s2, 5
	s_mul_i32 s38, s2, 24
	s_mov_b32 s39, s33
	s_lshl_b32 s40, s2, 4
	s_mov_b32 s41, s33
	v_addc_co_u32_e32 v7, vcc, 0, v7, vcc
	s_mov_b64 s[18:19], 0
	s_movk_i32 s42, 0x204
	s_mov_b32 s21, 0x3fe55555
	s_mov_b32 s23, 0x3fd34413
	;; [unrolled: 1-line block ×6, first 2 shown]
	v_mov_b32_e32 v33, 0x3ff00000
	v_mov_b32_e32 v8, 0x6b47b09a
	;; [unrolled: 1-line block ×15, first 2 shown]
	s_branch .LBB184_4
.LBB184_3:                              ;   in Loop: Header=BB184_4 Depth=1
	s_or_b64 exec, exec, s[0:1]
	s_add_u32 s18, s18, s36
	s_addc_u32 s19, s19, 0
	s_waitcnt vmcnt(0)
	v_pk_mov_b32 v[20:21], s[10:11], s[10:11] op_sel:[0,1]
	v_cmp_lt_i64_e32 vcc, s[18:19], v[20:21]
	v_mov_b32_e32 v20, 0x10000
	v_mov_b32_e32 v21, 0
	v_cmp_lt_u64_e64 s[0:1], s[18:19], v[20:21]
	s_and_b64 s[0:1], vcc, s[0:1]
	v_mov_b32_e32 v3, s33
	v_add_co_u32_e32 v4, vcc, s37, v4
	v_addc_co_u32_e32 v5, vcc, v5, v3, vcc
	v_add_co_u32_e32 v6, vcc, s37, v6
	v_addc_co_u32_e32 v7, vcc, v7, v3, vcc
	s_and_b64 vcc, exec, s[0:1]
	s_cbranch_vccz .LBB184_20
.LBB184_4:                              ; =>This Inner Loop Header: Depth=1
	v_mov_b32_e32 v3, s19
	v_add_co_u32_e32 v20, vcc, s18, v0
	v_addc_co_u32_e32 v21, vcc, 0, v3, vcc
	v_pk_mov_b32 v[24:25], 0, 0
	v_cmp_gt_u64_e64 s[6:7], s[16:17], v[20:21]
	v_pk_mov_b32 v[26:27], v[24:25], v[24:25] op_sel:[0,1]
	s_and_saveexec_b64 s[0:1], s[6:7]
	s_cbranch_execz .LBB184_6
; %bb.5:                                ;   in Loop: Header=BB184_4 Depth=1
	global_load_dwordx2 v[26:27], v[4:5], off
.LBB184_6:                              ;   in Loop: Header=BB184_4 Depth=1
	s_or_b64 exec, exec, s[0:1]
	v_mov_b32_e32 v3, s19
	v_add_co_u32_e32 v20, vcc, s18, v31
	v_addc_co_u32_e32 v21, vcc, v32, v3, vcc
	v_cmp_gt_u64_e64 s[2:3], s[16:17], v[20:21]
	s_and_saveexec_b64 s[0:1], s[2:3]
	s_cbranch_execz .LBB184_8
; %bb.7:                                ;   in Loop: Header=BB184_4 Depth=1
	global_load_dwordx2 v[24:25], v[6:7], off
.LBB184_8:                              ;   in Loop: Header=BB184_4 Depth=1
	s_or_b64 exec, exec, s[0:1]
	v_mov_b32_e32 v3, s19
	v_add_co_u32_e32 v20, vcc, s18, v29
	v_addc_co_u32_e32 v21, vcc, v30, v3, vcc
	v_cmp_gt_u64_e64 s[0:1], s[16:17], v[20:21]
	v_pk_mov_b32 v[20:21], 0, 0
	v_pk_mov_b32 v[22:23], v[20:21], v[20:21] op_sel:[0,1]
	s_and_saveexec_b64 s[8:9], s[0:1]
	s_cbranch_execz .LBB184_10
; %bb.9:                                ;   in Loop: Header=BB184_4 Depth=1
	v_mov_b32_e32 v3, s41
	v_add_co_u32_e32 v22, vcc, s40, v4
	v_addc_co_u32_e32 v23, vcc, v5, v3, vcc
	global_load_dwordx2 v[22:23], v[22:23], off
.LBB184_10:                             ;   in Loop: Header=BB184_4 Depth=1
	s_or_b64 exec, exec, s[8:9]
	v_mov_b32_e32 v3, s19
	v_add_co_u32_e32 v36, vcc, s18, v1
	v_addc_co_u32_e32 v37, vcc, v28, v3, vcc
	v_cmp_gt_u64_e32 vcc, s[16:17], v[36:37]
	s_and_saveexec_b64 s[34:35], vcc
	s_cbranch_execnz .LBB184_15
; %bb.11:                               ;   in Loop: Header=BB184_4 Depth=1
	s_or_b64 exec, exec, s[34:35]
	s_and_saveexec_b64 s[34:35], s[6:7]
	s_cbranch_execnz .LBB184_16
.LBB184_12:                             ;   in Loop: Header=BB184_4 Depth=1
	s_or_b64 exec, exec, s[34:35]
	s_and_saveexec_b64 s[6:7], s[2:3]
	s_cbranch_execnz .LBB184_17
.LBB184_13:                             ;   in Loop: Header=BB184_4 Depth=1
	s_or_b64 exec, exec, s[6:7]
	s_and_saveexec_b64 s[2:3], s[0:1]
	s_cbranch_execnz .LBB184_18
.LBB184_14:                             ;   in Loop: Header=BB184_4 Depth=1
	s_or_b64 exec, exec, s[2:3]
	s_and_saveexec_b64 s[0:1], vcc
	s_cbranch_execz .LBB184_3
	s_branch .LBB184_19
.LBB184_15:                             ;   in Loop: Header=BB184_4 Depth=1
	v_mov_b32_e32 v3, s39
	v_add_co_u32_e64 v20, s[8:9], s38, v4
	v_addc_co_u32_e64 v21, s[8:9], v5, v3, s[8:9]
	global_load_dwordx2 v[20:21], v[20:21], off
	s_or_b64 exec, exec, s[34:35]
	s_and_saveexec_b64 s[34:35], s[6:7]
	s_cbranch_execz .LBB184_12
.LBB184_16:                             ;   in Loop: Header=BB184_4 Depth=1
	s_waitcnt vmcnt(0)
	v_frexp_mant_f64_e32 v[36:37], v[26:27]
	v_frexp_exp_i32_f64_e32 v3, v[26:27]
	v_cmp_gt_f64_e64 s[6:7], s[20:21], v[36:37]
	v_subbrev_co_u32_e64 v3, s[8:9], 0, v3, s[6:7]
	v_cvt_f64_i32_e32 v[38:39], v3
	v_cndmask_b32_e64 v3, v33, 2.0, s[6:7]
	v_mul_f64 v[36:37], v[36:37], v[2:3]
	v_add_f64 v[44:45], v[36:37], 1.0
	v_rcp_f64_e32 v[46:47], v[44:45]
	v_add_f64 v[48:49], v[36:37], -1.0
	v_add_f64 v[54:55], v[44:45], -1.0
	v_add_f64 v[36:37], v[36:37], -v[54:55]
	v_fma_f64 v[50:51], -v[44:45], v[46:47], 1.0
	v_fmac_f64_e32 v[46:47], v[50:51], v[46:47]
	v_fma_f64 v[50:51], -v[44:45], v[46:47], 1.0
	v_fmac_f64_e32 v[46:47], v[50:51], v[46:47]
	v_mul_f64 v[50:51], v[48:49], v[46:47]
	v_mul_f64 v[52:53], v[44:45], v[50:51]
	v_fma_f64 v[44:45], v[50:51], v[44:45], -v[52:53]
	v_fmac_f64_e32 v[44:45], v[50:51], v[36:37]
	v_add_f64 v[36:37], v[52:53], v[44:45]
	v_add_f64 v[54:55], v[48:49], -v[36:37]
	v_add_f64 v[52:53], v[36:37], -v[52:53]
	v_add_f64 v[48:49], v[48:49], -v[54:55]
	v_add_f64 v[44:45], v[52:53], -v[44:45]
	v_add_f64 v[36:37], v[48:49], -v[36:37]
	v_add_f64 v[36:37], v[44:45], v[36:37]
	v_add_f64 v[36:37], v[54:55], v[36:37]
	v_mul_f64 v[36:37], v[46:47], v[36:37]
	v_add_f64 v[44:45], v[50:51], v[36:37]
	v_mul_f64 v[48:49], v[44:45], v[44:45]
	v_pk_mov_b32 v[54:55], v[8:9], v[8:9] op_sel:[0,1]
	v_fmac_f64_e32 v[54:55], s[26:27], v[48:49]
	v_pk_mov_b32 v[56:57], v[10:11], v[10:11] op_sel:[0,1]
	v_fmac_f64_e32 v[56:57], v[48:49], v[54:55]
	;; [unrolled: 2-line block ×5, first 2 shown]
	v_pk_mov_b32 v[56:57], v[18:19], v[18:19] op_sel:[0,1]
	v_mul_f64 v[52:53], v[44:45], v[48:49]
	v_fmac_f64_e32 v[56:57], v[48:49], v[54:55]
	v_ldexp_f64 v[46:47], v[44:45], 1
	v_mul_f64 v[48:49], v[52:53], v[56:57]
	v_add_f64 v[52:53], v[46:47], v[48:49]
	v_add_f64 v[44:45], v[44:45], -v[50:51]
	v_add_f64 v[36:37], v[36:37], -v[44:45]
	;; [unrolled: 1-line block ×3, first 2 shown]
	v_ldexp_f64 v[36:37], v[36:37], 1
	v_add_f64 v[44:45], v[48:49], -v[44:45]
	v_add_f64 v[36:37], v[36:37], v[44:45]
	v_add_f64 v[44:45], v[52:53], v[36:37]
	v_mul_f64 v[40:41], v[38:39], s[22:23]
	v_mul_f64 v[46:47], v[44:45], s[28:29]
	v_add_f64 v[48:49], v[44:45], -v[52:53]
	v_fma_f64 v[42:43], v[38:39], s[22:23], -v[40:41]
	v_add_f64 v[36:37], v[36:37], -v[48:49]
	v_fma_f64 v[48:49], v[44:45], s[28:29], -v[46:47]
	v_fmac_f64_e32 v[42:43], s[24:25], v[38:39]
	v_fmac_f64_e32 v[48:49], s[28:29], v[36:37]
	v_add_f64 v[38:39], v[40:41], v[42:43]
	v_fmac_f64_e32 v[48:49], s[30:31], v[44:45]
	v_add_f64 v[36:37], v[46:47], v[48:49]
	v_add_f64 v[40:41], v[38:39], -v[40:41]
	v_add_f64 v[44:45], v[38:39], v[36:37]
	v_add_f64 v[40:41], v[42:43], -v[40:41]
	v_add_f64 v[42:43], v[36:37], -v[46:47]
	;; [unrolled: 1-line block ×6, first 2 shown]
	v_add_f64 v[46:47], v[40:41], v[42:43]
	v_add_f64 v[38:39], v[38:39], -v[48:49]
	v_add_f64 v[36:37], v[36:37], v[38:39]
	v_add_f64 v[48:49], v[46:47], -v[40:41]
	;; [unrolled: 2-line block ×4, first 2 shown]
	v_add_f64 v[40:41], v[40:41], -v[46:47]
	v_add_f64 v[40:41], v[42:43], v[40:41]
	v_add_f64 v[42:43], v[38:39], -v[44:45]
	v_add_f64 v[36:37], v[36:37], -v[42:43]
	v_add_f64 v[36:37], v[40:41], v[36:37]
	v_add_f64 v[36:37], v[38:39], v[36:37]
	v_cmp_class_f64_e64 s[6:7], v[26:27], s42
	v_cndmask_b32_e64 v3, v36, v26, s[6:7]
	v_cndmask_b32_e64 v36, v37, v27, s[6:7]
	v_cmp_ngt_f64_e64 s[6:7], 0, v[26:27]
	v_cndmask_b32_e64 v37, v34, v36, s[6:7]
	v_cmp_nge_f64_e64 s[6:7], 0, v[26:27]
	v_cndmask_b32_e64 v36, 0, v3, s[6:7]
	v_cmp_neq_f64_e64 s[6:7], 0, v[26:27]
	v_cndmask_b32_e64 v37, v35, v37, s[6:7]
	global_store_dwordx2 v[4:5], v[36:37], off
	s_or_b64 exec, exec, s[34:35]
	s_and_saveexec_b64 s[6:7], s[2:3]
	s_cbranch_execz .LBB184_13
.LBB184_17:                             ;   in Loop: Header=BB184_4 Depth=1
	s_waitcnt vmcnt(0)
	v_frexp_mant_f64_e32 v[26:27], v[24:25]
	v_cmp_gt_f64_e64 s[2:3], s[20:21], v[26:27]
	v_cndmask_b32_e64 v3, v33, 2.0, s[2:3]
	v_frexp_exp_i32_f64_e32 v36, v[24:25]
	v_mul_f64 v[26:27], v[26:27], v[2:3]
	v_subbrev_co_u32_e64 v3, s[2:3], 0, v36, s[2:3]
	v_add_f64 v[36:37], v[26:27], 1.0
	v_rcp_f64_e32 v[38:39], v[36:37]
	v_add_f64 v[42:43], v[36:37], -1.0
	v_add_f64 v[40:41], v[26:27], -1.0
	v_add_f64 v[26:27], v[26:27], -v[42:43]
	v_fma_f64 v[42:43], -v[36:37], v[38:39], 1.0
	v_fmac_f64_e32 v[38:39], v[42:43], v[38:39]
	v_fma_f64 v[42:43], -v[36:37], v[38:39], 1.0
	v_fmac_f64_e32 v[38:39], v[42:43], v[38:39]
	v_mul_f64 v[42:43], v[40:41], v[38:39]
	v_mul_f64 v[44:45], v[36:37], v[42:43]
	v_fma_f64 v[36:37], v[42:43], v[36:37], -v[44:45]
	v_fmac_f64_e32 v[36:37], v[42:43], v[26:27]
	v_add_f64 v[26:27], v[44:45], v[36:37]
	v_add_f64 v[46:47], v[40:41], -v[26:27]
	v_add_f64 v[44:45], v[26:27], -v[44:45]
	;; [unrolled: 1-line block ×5, first 2 shown]
	v_add_f64 v[26:27], v[36:37], v[26:27]
	v_add_f64 v[26:27], v[46:47], v[26:27]
	v_mul_f64 v[26:27], v[38:39], v[26:27]
	v_add_f64 v[36:37], v[42:43], v[26:27]
	v_add_f64 v[38:39], v[36:37], -v[42:43]
	v_add_f64 v[26:27], v[26:27], -v[38:39]
	v_mul_f64 v[38:39], v[36:37], v[36:37]
	v_pk_mov_b32 v[40:41], v[8:9], v[8:9] op_sel:[0,1]
	v_fmac_f64_e32 v[40:41], s[26:27], v[38:39]
	v_pk_mov_b32 v[42:43], v[10:11], v[10:11] op_sel:[0,1]
	v_fmac_f64_e32 v[42:43], v[38:39], v[40:41]
	;; [unrolled: 2-line block ×6, first 2 shown]
	v_ldexp_f64 v[40:41], v[36:37], 1
	v_mul_f64 v[36:37], v[36:37], v[38:39]
	v_mul_f64 v[36:37], v[36:37], v[42:43]
	v_add_f64 v[38:39], v[40:41], v[36:37]
	v_add_f64 v[40:41], v[38:39], -v[40:41]
	v_ldexp_f64 v[26:27], v[26:27], 1
	v_add_f64 v[36:37], v[36:37], -v[40:41]
	v_add_f64 v[26:27], v[26:27], v[36:37]
	v_add_f64 v[36:37], v[38:39], v[26:27]
	v_add_f64 v[38:39], v[36:37], -v[38:39]
	v_add_f64 v[26:27], v[26:27], -v[38:39]
	v_cvt_f64_i32_e32 v[38:39], v3
	v_mul_f64 v[40:41], v[38:39], s[22:23]
	v_fma_f64 v[42:43], v[38:39], s[22:23], -v[40:41]
	v_fmac_f64_e32 v[42:43], s[24:25], v[38:39]
	v_add_f64 v[38:39], v[40:41], v[42:43]
	v_add_f64 v[40:41], v[38:39], -v[40:41]
	v_add_f64 v[40:41], v[42:43], -v[40:41]
	v_mul_f64 v[42:43], v[36:37], s[28:29]
	v_fma_f64 v[44:45], v[36:37], s[28:29], -v[42:43]
	v_fmac_f64_e32 v[44:45], s[28:29], v[26:27]
	v_fmac_f64_e32 v[44:45], s[30:31], v[36:37]
	v_add_f64 v[26:27], v[42:43], v[44:45]
	v_add_f64 v[36:37], v[26:27], -v[42:43]
	v_add_f64 v[42:43], v[38:39], v[26:27]
	v_add_f64 v[36:37], v[44:45], -v[36:37]
	v_add_f64 v[44:45], v[42:43], -v[38:39]
	;; [unrolled: 1-line block ×5, first 2 shown]
	v_add_f64 v[26:27], v[26:27], v[38:39]
	v_add_f64 v[38:39], v[40:41], v[36:37]
	v_add_f64 v[44:45], v[38:39], -v[40:41]
	v_add_f64 v[46:47], v[38:39], -v[44:45]
	v_add_f64 v[26:27], v[38:39], v[26:27]
	v_add_f64 v[40:41], v[40:41], -v[46:47]
	v_add_f64 v[36:37], v[36:37], -v[44:45]
	v_add_f64 v[38:39], v[42:43], v[26:27]
	v_add_f64 v[36:37], v[36:37], v[40:41]
	v_add_f64 v[40:41], v[38:39], -v[42:43]
	v_add_f64 v[26:27], v[26:27], -v[40:41]
	v_add_f64 v[26:27], v[36:37], v[26:27]
	v_add_f64 v[26:27], v[38:39], v[26:27]
	v_cmp_class_f64_e64 s[2:3], v[24:25], s42
	v_cndmask_b32_e64 v3, v26, v24, s[2:3]
	v_cndmask_b32_e64 v26, v27, v25, s[2:3]
	v_cmp_ngt_f64_e64 s[2:3], 0, v[24:25]
	v_cndmask_b32_e64 v27, v34, v26, s[2:3]
	v_cmp_nge_f64_e64 s[2:3], 0, v[24:25]
	v_cndmask_b32_e64 v26, 0, v3, s[2:3]
	v_cmp_neq_f64_e64 s[2:3], 0, v[24:25]
	v_cndmask_b32_e64 v27, v35, v27, s[2:3]
	global_store_dwordx2 v[6:7], v[26:27], off
	s_or_b64 exec, exec, s[6:7]
	s_and_saveexec_b64 s[2:3], s[0:1]
	s_cbranch_execz .LBB184_14
.LBB184_18:                             ;   in Loop: Header=BB184_4 Depth=1
	s_waitcnt vmcnt(0)
	v_frexp_mant_f64_e32 v[24:25], v[22:23]
	v_cmp_gt_f64_e64 s[0:1], s[20:21], v[24:25]
	v_cndmask_b32_e64 v3, v33, 2.0, s[0:1]
	v_frexp_exp_i32_f64_e32 v26, v[22:23]
	v_mul_f64 v[24:25], v[24:25], v[2:3]
	v_subbrev_co_u32_e64 v3, s[0:1], 0, v26, s[0:1]
	v_add_f64 v[26:27], v[24:25], 1.0
	v_rcp_f64_e32 v[36:37], v[26:27]
	v_add_f64 v[40:41], v[26:27], -1.0
	v_add_f64 v[38:39], v[24:25], -1.0
	v_add_f64 v[24:25], v[24:25], -v[40:41]
	v_fma_f64 v[40:41], -v[26:27], v[36:37], 1.0
	v_fmac_f64_e32 v[36:37], v[40:41], v[36:37]
	v_fma_f64 v[40:41], -v[26:27], v[36:37], 1.0
	v_fmac_f64_e32 v[36:37], v[40:41], v[36:37]
	v_mul_f64 v[40:41], v[38:39], v[36:37]
	v_mul_f64 v[42:43], v[26:27], v[40:41]
	v_fma_f64 v[26:27], v[40:41], v[26:27], -v[42:43]
	v_fmac_f64_e32 v[26:27], v[40:41], v[24:25]
	v_add_f64 v[24:25], v[42:43], v[26:27]
	v_add_f64 v[44:45], v[38:39], -v[24:25]
	v_add_f64 v[42:43], v[24:25], -v[42:43]
	;; [unrolled: 1-line block ×5, first 2 shown]
	v_add_f64 v[24:25], v[26:27], v[24:25]
	v_add_f64 v[24:25], v[44:45], v[24:25]
	v_mul_f64 v[24:25], v[36:37], v[24:25]
	v_add_f64 v[26:27], v[40:41], v[24:25]
	v_add_f64 v[36:37], v[26:27], -v[40:41]
	v_add_f64 v[24:25], v[24:25], -v[36:37]
	v_mul_f64 v[36:37], v[26:27], v[26:27]
	v_pk_mov_b32 v[38:39], v[8:9], v[8:9] op_sel:[0,1]
	v_fmac_f64_e32 v[38:39], s[26:27], v[36:37]
	v_pk_mov_b32 v[40:41], v[10:11], v[10:11] op_sel:[0,1]
	v_fmac_f64_e32 v[40:41], v[36:37], v[38:39]
	;; [unrolled: 2-line block ×6, first 2 shown]
	v_ldexp_f64 v[38:39], v[26:27], 1
	v_mul_f64 v[26:27], v[26:27], v[36:37]
	v_mul_f64 v[26:27], v[26:27], v[40:41]
	v_add_f64 v[36:37], v[38:39], v[26:27]
	v_add_f64 v[38:39], v[36:37], -v[38:39]
	v_ldexp_f64 v[24:25], v[24:25], 1
	v_add_f64 v[26:27], v[26:27], -v[38:39]
	v_add_f64 v[24:25], v[24:25], v[26:27]
	v_add_f64 v[26:27], v[36:37], v[24:25]
	v_add_f64 v[36:37], v[26:27], -v[36:37]
	v_add_f64 v[24:25], v[24:25], -v[36:37]
	v_cvt_f64_i32_e32 v[36:37], v3
	v_mul_f64 v[38:39], v[36:37], s[22:23]
	v_fma_f64 v[40:41], v[36:37], s[22:23], -v[38:39]
	v_fmac_f64_e32 v[40:41], s[24:25], v[36:37]
	v_add_f64 v[36:37], v[38:39], v[40:41]
	v_add_f64 v[38:39], v[36:37], -v[38:39]
	v_add_f64 v[38:39], v[40:41], -v[38:39]
	v_mul_f64 v[40:41], v[26:27], s[28:29]
	v_fma_f64 v[42:43], v[26:27], s[28:29], -v[40:41]
	v_fmac_f64_e32 v[42:43], s[28:29], v[24:25]
	v_fmac_f64_e32 v[42:43], s[30:31], v[26:27]
	v_add_f64 v[24:25], v[40:41], v[42:43]
	v_add_f64 v[26:27], v[24:25], -v[40:41]
	v_add_f64 v[40:41], v[36:37], v[24:25]
	v_add_f64 v[26:27], v[42:43], -v[26:27]
	v_add_f64 v[42:43], v[40:41], -v[36:37]
	;; [unrolled: 1-line block ×5, first 2 shown]
	v_add_f64 v[24:25], v[24:25], v[36:37]
	v_add_f64 v[36:37], v[38:39], v[26:27]
	v_add_f64 v[42:43], v[36:37], -v[38:39]
	v_add_f64 v[44:45], v[36:37], -v[42:43]
	v_add_f64 v[24:25], v[36:37], v[24:25]
	v_add_f64 v[38:39], v[38:39], -v[44:45]
	v_add_f64 v[26:27], v[26:27], -v[42:43]
	v_add_f64 v[36:37], v[40:41], v[24:25]
	v_add_f64 v[26:27], v[26:27], v[38:39]
	v_add_f64 v[38:39], v[36:37], -v[40:41]
	v_add_f64 v[24:25], v[24:25], -v[38:39]
	v_add_f64 v[24:25], v[26:27], v[24:25]
	v_add_f64 v[24:25], v[36:37], v[24:25]
	v_cmp_class_f64_e64 s[0:1], v[22:23], s42
	v_cndmask_b32_e64 v3, v24, v22, s[0:1]
	v_cndmask_b32_e64 v24, v25, v23, s[0:1]
	v_cmp_ngt_f64_e64 s[0:1], 0, v[22:23]
	v_cndmask_b32_e64 v25, v34, v24, s[0:1]
	v_cmp_nge_f64_e64 s[0:1], 0, v[22:23]
	v_cndmask_b32_e64 v24, 0, v3, s[0:1]
	v_cmp_neq_f64_e64 s[0:1], 0, v[22:23]
	v_cndmask_b32_e64 v25, v35, v25, s[0:1]
	v_mov_b32_e32 v3, s41
	v_add_co_u32_e64 v22, s[0:1], s40, v4
	v_addc_co_u32_e64 v23, s[0:1], v5, v3, s[0:1]
	global_store_dwordx2 v[22:23], v[24:25], off
	s_or_b64 exec, exec, s[2:3]
	s_and_saveexec_b64 s[0:1], vcc
	s_cbranch_execz .LBB184_3
.LBB184_19:                             ;   in Loop: Header=BB184_4 Depth=1
	s_waitcnt vmcnt(0)
	v_frexp_mant_f64_e32 v[22:23], v[20:21]
	v_cmp_gt_f64_e32 vcc, s[20:21], v[22:23]
	v_cndmask_b32_e64 v3, v33, 2.0, vcc
	v_frexp_exp_i32_f64_e32 v24, v[20:21]
	v_mul_f64 v[22:23], v[22:23], v[2:3]
	v_subbrev_co_u32_e32 v3, vcc, 0, v24, vcc
	v_add_f64 v[24:25], v[22:23], 1.0
	v_rcp_f64_e32 v[26:27], v[24:25]
	v_add_f64 v[38:39], v[24:25], -1.0
	v_add_f64 v[36:37], v[22:23], -1.0
	v_add_f64 v[22:23], v[22:23], -v[38:39]
	v_fma_f64 v[38:39], -v[24:25], v[26:27], 1.0
	v_fmac_f64_e32 v[26:27], v[38:39], v[26:27]
	v_fma_f64 v[38:39], -v[24:25], v[26:27], 1.0
	v_fmac_f64_e32 v[26:27], v[38:39], v[26:27]
	v_mul_f64 v[38:39], v[36:37], v[26:27]
	v_mul_f64 v[40:41], v[24:25], v[38:39]
	v_fma_f64 v[24:25], v[38:39], v[24:25], -v[40:41]
	v_fmac_f64_e32 v[24:25], v[38:39], v[22:23]
	v_add_f64 v[22:23], v[40:41], v[24:25]
	v_add_f64 v[42:43], v[36:37], -v[22:23]
	v_add_f64 v[40:41], v[22:23], -v[40:41]
	;; [unrolled: 1-line block ×5, first 2 shown]
	v_add_f64 v[22:23], v[24:25], v[22:23]
	v_add_f64 v[22:23], v[42:43], v[22:23]
	v_mul_f64 v[22:23], v[26:27], v[22:23]
	v_add_f64 v[24:25], v[38:39], v[22:23]
	v_add_f64 v[26:27], v[24:25], -v[38:39]
	v_add_f64 v[22:23], v[22:23], -v[26:27]
	v_mul_f64 v[26:27], v[24:25], v[24:25]
	v_pk_mov_b32 v[36:37], v[8:9], v[8:9] op_sel:[0,1]
	v_fmac_f64_e32 v[36:37], s[26:27], v[26:27]
	v_pk_mov_b32 v[38:39], v[10:11], v[10:11] op_sel:[0,1]
	v_fmac_f64_e32 v[38:39], v[26:27], v[36:37]
	;; [unrolled: 2-line block ×6, first 2 shown]
	v_ldexp_f64 v[36:37], v[24:25], 1
	v_mul_f64 v[24:25], v[24:25], v[26:27]
	v_mul_f64 v[24:25], v[24:25], v[38:39]
	v_add_f64 v[26:27], v[36:37], v[24:25]
	v_add_f64 v[36:37], v[26:27], -v[36:37]
	v_ldexp_f64 v[22:23], v[22:23], 1
	v_add_f64 v[24:25], v[24:25], -v[36:37]
	v_add_f64 v[22:23], v[22:23], v[24:25]
	v_add_f64 v[24:25], v[26:27], v[22:23]
	v_add_f64 v[26:27], v[24:25], -v[26:27]
	v_add_f64 v[22:23], v[22:23], -v[26:27]
	v_cvt_f64_i32_e32 v[26:27], v3
	v_mul_f64 v[36:37], v[26:27], s[22:23]
	v_fma_f64 v[38:39], v[26:27], s[22:23], -v[36:37]
	v_fmac_f64_e32 v[38:39], s[24:25], v[26:27]
	v_add_f64 v[26:27], v[36:37], v[38:39]
	v_add_f64 v[36:37], v[26:27], -v[36:37]
	v_add_f64 v[36:37], v[38:39], -v[36:37]
	v_mul_f64 v[38:39], v[24:25], s[28:29]
	v_fma_f64 v[40:41], v[24:25], s[28:29], -v[38:39]
	v_fmac_f64_e32 v[40:41], s[28:29], v[22:23]
	v_fmac_f64_e32 v[40:41], s[30:31], v[24:25]
	v_add_f64 v[22:23], v[38:39], v[40:41]
	v_add_f64 v[24:25], v[22:23], -v[38:39]
	v_add_f64 v[38:39], v[26:27], v[22:23]
	v_add_f64 v[24:25], v[40:41], -v[24:25]
	v_add_f64 v[40:41], v[38:39], -v[26:27]
	;; [unrolled: 1-line block ×5, first 2 shown]
	v_add_f64 v[22:23], v[22:23], v[26:27]
	v_add_f64 v[26:27], v[36:37], v[24:25]
	v_add_f64 v[40:41], v[26:27], -v[36:37]
	v_add_f64 v[42:43], v[26:27], -v[40:41]
	v_add_f64 v[22:23], v[26:27], v[22:23]
	v_add_f64 v[36:37], v[36:37], -v[42:43]
	v_add_f64 v[24:25], v[24:25], -v[40:41]
	v_add_f64 v[26:27], v[38:39], v[22:23]
	v_add_f64 v[24:25], v[24:25], v[36:37]
	v_add_f64 v[36:37], v[26:27], -v[38:39]
	v_add_f64 v[22:23], v[22:23], -v[36:37]
	v_add_f64 v[22:23], v[24:25], v[22:23]
	v_add_f64 v[22:23], v[26:27], v[22:23]
	v_cmp_class_f64_e64 vcc, v[20:21], s42
	v_cndmask_b32_e32 v3, v22, v20, vcc
	v_cndmask_b32_e32 v22, v23, v21, vcc
	v_cmp_ngt_f64_e32 vcc, 0, v[20:21]
	v_cndmask_b32_e32 v23, v34, v22, vcc
	v_cmp_nge_f64_e32 vcc, 0, v[20:21]
	v_cndmask_b32_e32 v22, 0, v3, vcc
	v_cmp_neq_f64_e32 vcc, 0, v[20:21]
	v_cndmask_b32_e32 v23, v35, v23, vcc
	v_mov_b32_e32 v3, s39
	v_add_co_u32_e32 v20, vcc, s38, v4
	v_addc_co_u32_e32 v21, vcc, v5, v3, vcc
	global_store_dwordx2 v[20:21], v[22:23], off
	s_branch .LBB184_3
.LBB184_20:
	s_cbranch_execz .LBB184_22
	s_branch .LBB184_25
.LBB184_21:
.LBB184_22:
	v_mov_b32_e32 v12, 0
	v_lshlrev_b32_e32 v2, 2, v0
	v_mov_b32_e32 v3, v12
	s_mov_b32 s0, 0
	v_cmp_gt_i64_e32 vcc, s[10:11], v[2:3]
	s_and_saveexec_b64 s[2:3], vcc
	s_cbranch_execz .LBB184_25
; %bb.23:
	s_load_dword s1, s[4:5], 0xd3c
	v_lshlrev_b32_e32 v1, 5, v0
	s_mov_b32 s8, 0x6b47b09a
	s_mov_b32 s4, 0x55555555
	;; [unrolled: 1-line block ×3, first 2 shown]
	s_waitcnt lgkmcnt(0)
	s_and_b32 s1, s1, 0xffff
	s_lshl_b32 s30, s1, 2
	s_add_u32 s2, s12, s14
	s_addc_u32 s3, s13, s15
	v_add_lshl_u32 v14, v0, s1, 2
	v_mov_b32_e32 v0, s3
	v_add_co_u32_e32 v1, vcc, s2, v1
	v_addc_co_u32_e32 v0, vcc, 0, v0, vcc
	v_add_co_u32_e32 v16, vcc, 16, v1
	s_mov_b32 s5, 0x3fe55555
	s_mov_b32 s6, 0xbf559e2b
	v_pk_mov_b32 v[18:19], s[8:9], s[8:9] op_sel:[0,1]
	s_mov_b32 s8, 0xd7f4df2e
	s_mov_b32 s12, 0x16291751
	;; [unrolled: 1-line block ×8, first 2 shown]
	v_mov_b32_e32 v15, v12
	v_addc_co_u32_e32 v17, vcc, 0, v0, vcc
	s_lshl_b32 s31, s1, 5
	s_mov_b64 s[2:3], 0
	v_mov_b32_e32 v20, 0x3ff00000
	s_mov_b32 s7, 0x3fc3ab76
	s_mov_b32 s9, 0x3fc7474d
	;; [unrolled: 1-line block ×11, first 2 shown]
	s_movk_i32 s33, 0x204
	v_mov_b32_e32 v21, 0x7ff80000
	v_mov_b32_e32 v22, 0xfff00000
	s_mov_b64 s[28:29], 0xffff
	v_mov_b32_e32 v23, s0
	v_mov_b32_e32 v24, s0
.LBB184_24:                             ; =>This Inner Loop Header: Depth=1
	global_load_dwordx4 v[4:7], v[16:17], off offset:-16
	global_load_dwordx4 v[0:3], v[16:17], off
	v_cmp_lt_u64_e64 s[0:1], s[28:29], v[14:15]
	s_waitcnt vmcnt(1)
	v_frexp_mant_f64_e32 v[8:9], v[4:5]
	v_frexp_exp_i32_f64_e32 v25, v[4:5]
	v_cmp_gt_f64_e32 vcc, s[4:5], v[8:9]
	v_frexp_mant_f64_e32 v[10:11], v[6:7]
	v_cndmask_b32_e64 v13, v20, 2.0, vcc
	v_subbrev_co_u32_e32 v25, vcc, 0, v25, vcc
	v_mul_f64 v[8:9], v[8:9], v[12:13]
	v_cmp_gt_f64_e32 vcc, s[4:5], v[10:11]
	v_cndmask_b32_e64 v13, v20, 2.0, vcc
	v_add_f64 v[28:29], v[8:9], 1.0
	v_cvt_f64_i32_e32 v[30:31], v25
	v_mul_f64 v[10:11], v[10:11], v[12:13]
	v_rcp_f64_e32 v[34:35], v[28:29]
	v_frexp_exp_i32_f64_e32 v26, v[6:7]
	v_add_f64 v[32:33], v[28:29], -1.0
	v_mul_f64 v[36:37], v[30:31], s[20:21]
	v_add_f64 v[40:41], v[10:11], 1.0
	v_subbrev_co_u32_e32 v52, vcc, 0, v26, vcc
	v_add_f64 v[26:27], v[8:9], -1.0
	v_add_f64 v[8:9], v[8:9], -v[32:33]
	v_fma_f64 v[32:33], v[30:31], s[20:21], -v[36:37]
	v_rcp_f64_e32 v[44:45], v[40:41]
	v_add_f64 v[42:43], v[40:41], -1.0
	v_fmac_f64_e32 v[32:33], s[22:23], v[30:31]
	v_add_f64 v[38:39], v[10:11], -1.0
	v_add_f64 v[10:11], v[10:11], -v[42:43]
	v_add_f64 v[30:31], v[36:37], v[32:33]
	v_fma_f64 v[42:43], -v[28:29], v[34:35], 1.0
	v_add_f64 v[36:37], v[30:31], -v[36:37]
	v_fmac_f64_e32 v[34:35], v[42:43], v[34:35]
	v_add_f64 v[32:33], v[32:33], -v[36:37]
	v_fma_f64 v[36:37], -v[40:41], v[44:45], 1.0
	v_fma_f64 v[42:43], -v[28:29], v[34:35], 1.0
	v_fmac_f64_e32 v[44:45], v[36:37], v[44:45]
	v_fmac_f64_e32 v[34:35], v[42:43], v[34:35]
	v_fma_f64 v[36:37], -v[40:41], v[44:45], 1.0
	v_mul_f64 v[42:43], v[26:27], v[34:35]
	v_fmac_f64_e32 v[44:45], v[36:37], v[44:45]
	v_mul_f64 v[36:37], v[28:29], v[42:43]
	v_mul_f64 v[46:47], v[38:39], v[44:45]
	v_fma_f64 v[28:29], v[42:43], v[28:29], -v[36:37]
	v_mul_f64 v[48:49], v[40:41], v[46:47]
	v_fmac_f64_e32 v[28:29], v[42:43], v[8:9]
	v_fma_f64 v[8:9], v[46:47], v[40:41], -v[48:49]
	v_add_f64 v[40:41], v[36:37], v[28:29]
	v_fmac_f64_e32 v[8:9], v[46:47], v[10:11]
	v_add_f64 v[10:11], v[40:41], -v[36:37]
	v_add_f64 v[36:37], v[26:27], -v[40:41]
	v_add_f64 v[50:51], v[48:49], v[8:9]
	v_add_f64 v[26:27], v[26:27], -v[36:37]
	v_add_f64 v[10:11], v[10:11], -v[28:29]
	;; [unrolled: 1-line block ×6, first 2 shown]
	v_add_f64 v[10:11], v[10:11], v[26:27]
	v_add_f64 v[8:9], v[28:29], -v[8:9]
	v_add_f64 v[26:27], v[38:39], -v[50:51]
	v_add_f64 v[10:11], v[36:37], v[10:11]
	v_add_f64 v[8:9], v[8:9], v[26:27]
	v_mul_f64 v[10:11], v[34:35], v[10:11]
	v_add_f64 v[8:9], v[48:49], v[8:9]
	v_add_f64 v[26:27], v[42:43], v[10:11]
	v_mul_f64 v[8:9], v[44:45], v[8:9]
	v_add_f64 v[28:29], v[26:27], -v[42:43]
	v_mul_f64 v[34:35], v[26:27], v[26:27]
	v_add_f64 v[38:39], v[46:47], v[8:9]
	v_add_f64 v[10:11], v[10:11], -v[28:29]
	v_fma_f64 v[28:29], s[6:7], v[34:35], v[18:19]
	v_add_f64 v[40:41], v[38:39], -v[46:47]
	v_mul_f64 v[42:43], v[38:39], v[38:39]
	v_fma_f64 v[28:29], v[34:35], v[28:29], s[8:9]
	v_add_f64 v[8:9], v[8:9], -v[40:41]
	v_fma_f64 v[40:41], s[6:7], v[42:43], v[18:19]
	v_fma_f64 v[28:29], v[34:35], v[28:29], s[12:13]
	;; [unrolled: 1-line block ×3, first 2 shown]
	v_ldexp_f64 v[46:47], v[8:9], 1
	v_fma_f64 v[8:9], v[34:35], v[28:29], s[14:15]
	v_fma_f64 v[28:29], v[42:43], v[40:41], s[12:13]
	;; [unrolled: 1-line block ×3, first 2 shown]
	v_ldexp_f64 v[36:37], v[26:27], 1
	v_mul_f64 v[26:27], v[26:27], v[34:35]
	v_fma_f64 v[28:29], v[42:43], v[28:29], s[14:15]
	v_fma_f64 v[8:9], v[34:35], v[8:9], s[18:19]
	;; [unrolled: 1-line block ×3, first 2 shown]
	v_mul_f64 v[8:9], v[26:27], v[8:9]
	v_fma_f64 v[26:27], v[42:43], v[28:29], s[18:19]
	v_add_f64 v[28:29], v[36:37], v[8:9]
	v_add_f64 v[34:35], v[28:29], -v[36:37]
	v_ldexp_f64 v[10:11], v[10:11], 1
	v_add_f64 v[8:9], v[8:9], -v[34:35]
	v_add_f64 v[8:9], v[10:11], v[8:9]
	v_add_f64 v[10:11], v[28:29], v[8:9]
	v_add_f64 v[28:29], v[10:11], -v[28:29]
	v_mul_f64 v[34:35], v[10:11], s[24:25]
	v_add_f64 v[8:9], v[8:9], -v[28:29]
	v_fma_f64 v[28:29], v[10:11], s[24:25], -v[34:35]
	v_fmac_f64_e32 v[28:29], s[24:25], v[8:9]
	v_fmac_f64_e32 v[28:29], s[26:27], v[10:11]
	v_add_f64 v[8:9], v[34:35], v[28:29]
	v_add_f64 v[10:11], v[8:9], -v[34:35]
	v_add_f64 v[34:35], v[30:31], v[8:9]
	v_add_f64 v[10:11], v[28:29], -v[10:11]
	v_add_f64 v[28:29], v[34:35], -v[30:31]
	;; [unrolled: 1-line block ×4, first 2 shown]
	v_add_f64 v[28:29], v[32:33], v[10:11]
	v_add_f64 v[30:31], v[30:31], -v[36:37]
	v_add_f64 v[36:37], v[28:29], -v[32:33]
	v_add_f64 v[8:9], v[8:9], v[30:31]
	v_add_f64 v[30:31], v[28:29], -v[36:37]
	v_add_f64 v[8:9], v[28:29], v[8:9]
	v_add_f64 v[10:11], v[10:11], -v[36:37]
	v_add_f64 v[30:31], v[32:33], -v[30:31]
	v_add_f64 v[28:29], v[34:35], v[8:9]
	v_add_f64 v[10:11], v[10:11], v[30:31]
	v_add_f64 v[30:31], v[28:29], -v[34:35]
	v_add_f64 v[8:9], v[8:9], -v[30:31]
	v_add_f64 v[8:9], v[10:11], v[8:9]
	v_add_f64 v[8:9], v[28:29], v[8:9]
	v_cmp_class_f64_e64 vcc, v[4:5], s33
	v_ldexp_f64 v[44:45], v[38:39], 1
	v_mul_f64 v[38:39], v[38:39], v[42:43]
	v_cndmask_b32_e32 v8, v8, v4, vcc
	v_cndmask_b32_e32 v9, v9, v5, vcc
	v_cmp_ngt_f64_e32 vcc, 0, v[4:5]
	v_mul_f64 v[26:27], v[38:39], v[26:27]
	v_cndmask_b32_e32 v9, v21, v9, vcc
	v_cmp_nge_f64_e32 vcc, 0, v[4:5]
	v_cndmask_b32_e32 v8, 0, v8, vcc
	v_cmp_neq_f64_e32 vcc, 0, v[4:5]
	v_add_f64 v[4:5], v[44:45], v[26:27]
	v_add_f64 v[10:11], v[4:5], -v[44:45]
	v_add_f64 v[10:11], v[26:27], -v[10:11]
	v_add_f64 v[10:11], v[46:47], v[10:11]
	v_add_f64 v[26:27], v[4:5], v[10:11]
	v_add_f64 v[4:5], v[26:27], -v[4:5]
	v_add_f64 v[4:5], v[10:11], -v[4:5]
	v_cvt_f64_i32_e32 v[10:11], v52
	v_mul_f64 v[28:29], v[10:11], s[20:21]
	v_fma_f64 v[30:31], v[10:11], s[20:21], -v[28:29]
	v_fmac_f64_e32 v[30:31], s[22:23], v[10:11]
	v_add_f64 v[10:11], v[28:29], v[30:31]
	v_add_f64 v[28:29], v[10:11], -v[28:29]
	v_add_f64 v[28:29], v[30:31], -v[28:29]
	v_mul_f64 v[30:31], v[26:27], s[24:25]
	v_fma_f64 v[32:33], v[26:27], s[24:25], -v[30:31]
	v_fmac_f64_e32 v[32:33], s[24:25], v[4:5]
	v_fmac_f64_e32 v[32:33], s[26:27], v[26:27]
	v_add_f64 v[4:5], v[30:31], v[32:33]
	v_add_f64 v[26:27], v[4:5], -v[30:31]
	v_add_f64 v[30:31], v[10:11], v[4:5]
	v_add_f64 v[26:27], v[32:33], -v[26:27]
	v_add_f64 v[32:33], v[30:31], -v[10:11]
	;; [unrolled: 1-line block ×5, first 2 shown]
	v_add_f64 v[4:5], v[4:5], v[10:11]
	v_add_f64 v[10:11], v[28:29], v[26:27]
	v_add_f64 v[32:33], v[10:11], -v[28:29]
	v_add_f64 v[34:35], v[10:11], -v[32:33]
	v_add_f64 v[4:5], v[10:11], v[4:5]
	v_add_f64 v[28:29], v[28:29], -v[34:35]
	v_add_f64 v[26:27], v[26:27], -v[32:33]
	v_add_f64 v[10:11], v[30:31], v[4:5]
	v_add_f64 v[26:27], v[26:27], v[28:29]
	v_add_f64 v[28:29], v[10:11], -v[30:31]
	v_add_f64 v[4:5], v[4:5], -v[28:29]
	v_add_f64 v[4:5], v[26:27], v[4:5]
	v_cndmask_b32_e32 v9, v22, v9, vcc
	v_add_f64 v[4:5], v[10:11], v[4:5]
	v_cmp_class_f64_e64 vcc, v[6:7], s33
	v_cndmask_b32_e32 v4, v4, v6, vcc
	v_cndmask_b32_e32 v5, v5, v7, vcc
	v_cmp_ngt_f64_e32 vcc, 0, v[6:7]
	v_cndmask_b32_e32 v5, v21, v5, vcc
	v_cmp_nge_f64_e32 vcc, 0, v[6:7]
	v_cndmask_b32_e32 v10, 0, v4, vcc
	v_cmp_neq_f64_e32 vcc, 0, v[6:7]
	v_cndmask_b32_e32 v11, v22, v5, vcc
	s_waitcnt vmcnt(0)
	v_frexp_mant_f64_e32 v[4:5], v[0:1]
	v_cmp_gt_f64_e32 vcc, s[4:5], v[4:5]
	v_cndmask_b32_e64 v13, v20, 2.0, vcc
	v_frexp_exp_i32_f64_e32 v6, v[0:1]
	v_mul_f64 v[4:5], v[4:5], v[12:13]
	v_subbrev_co_u32_e32 v13, vcc, 0, v6, vcc
	v_add_f64 v[6:7], v[4:5], 1.0
	v_rcp_f64_e32 v[26:27], v[6:7]
	v_add_f64 v[30:31], v[6:7], -1.0
	v_add_f64 v[28:29], v[4:5], -1.0
	v_add_f64 v[4:5], v[4:5], -v[30:31]
	v_fma_f64 v[30:31], -v[6:7], v[26:27], 1.0
	v_fmac_f64_e32 v[26:27], v[30:31], v[26:27]
	v_fma_f64 v[30:31], -v[6:7], v[26:27], 1.0
	v_fmac_f64_e32 v[26:27], v[30:31], v[26:27]
	v_mul_f64 v[30:31], v[28:29], v[26:27]
	v_mul_f64 v[32:33], v[6:7], v[30:31]
	v_fma_f64 v[6:7], v[30:31], v[6:7], -v[32:33]
	v_fmac_f64_e32 v[6:7], v[30:31], v[4:5]
	v_add_f64 v[4:5], v[32:33], v[6:7]
	v_add_f64 v[34:35], v[28:29], -v[4:5]
	v_add_f64 v[32:33], v[4:5], -v[32:33]
	;; [unrolled: 1-line block ×5, first 2 shown]
	v_add_f64 v[4:5], v[6:7], v[4:5]
	v_add_f64 v[4:5], v[34:35], v[4:5]
	v_mul_f64 v[4:5], v[26:27], v[4:5]
	v_add_f64 v[6:7], v[30:31], v[4:5]
	v_add_f64 v[26:27], v[6:7], -v[30:31]
	v_add_f64 v[4:5], v[4:5], -v[26:27]
	v_mul_f64 v[26:27], v[6:7], v[6:7]
	v_fma_f64 v[28:29], s[6:7], v[26:27], v[18:19]
	v_fma_f64 v[28:29], v[26:27], v[28:29], s[8:9]
	;; [unrolled: 1-line block ×6, first 2 shown]
	v_ldexp_f64 v[30:31], v[6:7], 1
	v_mul_f64 v[6:7], v[6:7], v[26:27]
	v_mul_f64 v[6:7], v[6:7], v[28:29]
	v_add_f64 v[26:27], v[30:31], v[6:7]
	v_add_f64 v[28:29], v[26:27], -v[30:31]
	v_ldexp_f64 v[4:5], v[4:5], 1
	v_add_f64 v[6:7], v[6:7], -v[28:29]
	v_add_f64 v[4:5], v[4:5], v[6:7]
	v_add_f64 v[6:7], v[26:27], v[4:5]
	v_add_f64 v[26:27], v[6:7], -v[26:27]
	v_add_f64 v[4:5], v[4:5], -v[26:27]
	v_cvt_f64_i32_e32 v[26:27], v13
	v_mul_f64 v[28:29], v[26:27], s[20:21]
	v_fma_f64 v[30:31], v[26:27], s[20:21], -v[28:29]
	v_fmac_f64_e32 v[30:31], s[22:23], v[26:27]
	v_add_f64 v[26:27], v[28:29], v[30:31]
	v_add_f64 v[28:29], v[26:27], -v[28:29]
	v_add_f64 v[28:29], v[30:31], -v[28:29]
	v_mul_f64 v[30:31], v[6:7], s[24:25]
	v_fma_f64 v[32:33], v[6:7], s[24:25], -v[30:31]
	v_fmac_f64_e32 v[32:33], s[24:25], v[4:5]
	v_fmac_f64_e32 v[32:33], s[26:27], v[6:7]
	v_add_f64 v[4:5], v[30:31], v[32:33]
	v_add_f64 v[6:7], v[4:5], -v[30:31]
	v_add_f64 v[30:31], v[26:27], v[4:5]
	v_add_f64 v[6:7], v[32:33], -v[6:7]
	v_add_f64 v[32:33], v[30:31], -v[26:27]
	;; [unrolled: 1-line block ×5, first 2 shown]
	v_add_f64 v[4:5], v[4:5], v[26:27]
	v_add_f64 v[26:27], v[28:29], v[6:7]
	v_add_f64 v[32:33], v[26:27], -v[28:29]
	v_add_f64 v[34:35], v[26:27], -v[32:33]
	v_add_f64 v[4:5], v[26:27], v[4:5]
	v_add_f64 v[28:29], v[28:29], -v[34:35]
	v_add_f64 v[6:7], v[6:7], -v[32:33]
	v_add_f64 v[26:27], v[30:31], v[4:5]
	v_add_f64 v[6:7], v[6:7], v[28:29]
	v_add_f64 v[28:29], v[26:27], -v[30:31]
	v_add_f64 v[4:5], v[4:5], -v[28:29]
	v_add_f64 v[4:5], v[6:7], v[4:5]
	v_add_f64 v[4:5], v[26:27], v[4:5]
	v_cmp_class_f64_e64 vcc, v[0:1], s33
	v_cndmask_b32_e32 v4, v4, v0, vcc
	v_cndmask_b32_e32 v5, v5, v1, vcc
	v_cmp_ngt_f64_e32 vcc, 0, v[0:1]
	v_cndmask_b32_e32 v5, v21, v5, vcc
	v_cmp_nge_f64_e32 vcc, 0, v[0:1]
	v_cndmask_b32_e32 v4, 0, v4, vcc
	v_cmp_neq_f64_e32 vcc, 0, v[0:1]
	v_frexp_mant_f64_e32 v[0:1], v[2:3]
	v_cndmask_b32_e32 v5, v22, v5, vcc
	v_cmp_gt_f64_e32 vcc, s[4:5], v[0:1]
	v_cndmask_b32_e64 v13, v20, 2.0, vcc
	v_frexp_exp_i32_f64_e32 v6, v[2:3]
	v_mul_f64 v[0:1], v[0:1], v[12:13]
	v_subbrev_co_u32_e32 v13, vcc, 0, v6, vcc
	v_add_f64 v[6:7], v[0:1], 1.0
	v_rcp_f64_e32 v[26:27], v[6:7]
	v_add_f64 v[30:31], v[6:7], -1.0
	v_add_f64 v[28:29], v[0:1], -1.0
	v_add_f64 v[0:1], v[0:1], -v[30:31]
	v_fma_f64 v[30:31], -v[6:7], v[26:27], 1.0
	v_fmac_f64_e32 v[26:27], v[30:31], v[26:27]
	v_fma_f64 v[30:31], -v[6:7], v[26:27], 1.0
	v_fmac_f64_e32 v[26:27], v[30:31], v[26:27]
	v_mul_f64 v[30:31], v[28:29], v[26:27]
	v_mul_f64 v[32:33], v[6:7], v[30:31]
	v_fma_f64 v[6:7], v[30:31], v[6:7], -v[32:33]
	v_fmac_f64_e32 v[6:7], v[30:31], v[0:1]
	v_add_f64 v[0:1], v[32:33], v[6:7]
	v_add_f64 v[34:35], v[28:29], -v[0:1]
	v_add_f64 v[32:33], v[0:1], -v[32:33]
	;; [unrolled: 1-line block ×5, first 2 shown]
	v_add_f64 v[0:1], v[6:7], v[0:1]
	v_add_f64 v[0:1], v[34:35], v[0:1]
	v_mul_f64 v[0:1], v[26:27], v[0:1]
	v_add_f64 v[6:7], v[30:31], v[0:1]
	v_add_f64 v[26:27], v[6:7], -v[30:31]
	v_add_f64 v[0:1], v[0:1], -v[26:27]
	v_mul_f64 v[26:27], v[6:7], v[6:7]
	v_fma_f64 v[28:29], s[6:7], v[26:27], v[18:19]
	v_fma_f64 v[28:29], v[26:27], v[28:29], s[8:9]
	;; [unrolled: 1-line block ×6, first 2 shown]
	v_ldexp_f64 v[30:31], v[6:7], 1
	v_mul_f64 v[6:7], v[6:7], v[26:27]
	v_mul_f64 v[6:7], v[6:7], v[28:29]
	v_add_f64 v[26:27], v[30:31], v[6:7]
	v_add_f64 v[28:29], v[26:27], -v[30:31]
	v_ldexp_f64 v[0:1], v[0:1], 1
	v_add_f64 v[6:7], v[6:7], -v[28:29]
	v_add_f64 v[0:1], v[0:1], v[6:7]
	v_add_f64 v[6:7], v[26:27], v[0:1]
	v_add_f64 v[26:27], v[6:7], -v[26:27]
	v_add_f64 v[0:1], v[0:1], -v[26:27]
	v_cvt_f64_i32_e32 v[26:27], v13
	v_mul_f64 v[28:29], v[26:27], s[20:21]
	v_fma_f64 v[30:31], v[26:27], s[20:21], -v[28:29]
	v_fmac_f64_e32 v[30:31], s[22:23], v[26:27]
	v_add_f64 v[26:27], v[28:29], v[30:31]
	v_add_f64 v[28:29], v[26:27], -v[28:29]
	v_add_f64 v[28:29], v[30:31], -v[28:29]
	v_mul_f64 v[30:31], v[6:7], s[24:25]
	v_fma_f64 v[32:33], v[6:7], s[24:25], -v[30:31]
	v_fmac_f64_e32 v[32:33], s[24:25], v[0:1]
	v_fmac_f64_e32 v[32:33], s[26:27], v[6:7]
	v_add_f64 v[0:1], v[30:31], v[32:33]
	v_add_f64 v[6:7], v[0:1], -v[30:31]
	v_add_f64 v[30:31], v[26:27], v[0:1]
	v_add_f64 v[6:7], v[32:33], -v[6:7]
	v_add_f64 v[32:33], v[30:31], -v[26:27]
	;; [unrolled: 1-line block ×5, first 2 shown]
	v_add_f64 v[0:1], v[0:1], v[26:27]
	v_add_f64 v[26:27], v[28:29], v[6:7]
	v_add_f64 v[32:33], v[26:27], -v[28:29]
	v_add_f64 v[34:35], v[26:27], -v[32:33]
	v_add_f64 v[0:1], v[26:27], v[0:1]
	v_add_f64 v[28:29], v[28:29], -v[34:35]
	v_add_f64 v[6:7], v[6:7], -v[32:33]
	v_add_f64 v[26:27], v[30:31], v[0:1]
	v_add_f64 v[6:7], v[6:7], v[28:29]
	v_add_f64 v[28:29], v[26:27], -v[30:31]
	v_add_f64 v[0:1], v[0:1], -v[28:29]
	v_add_f64 v[0:1], v[6:7], v[0:1]
	v_add_f64 v[0:1], v[26:27], v[0:1]
	v_cmp_class_f64_e64 vcc, v[2:3], s33
	v_cndmask_b32_e32 v0, v0, v2, vcc
	v_cndmask_b32_e32 v1, v1, v3, vcc
	v_cmp_ngt_f64_e32 vcc, 0, v[2:3]
	v_cndmask_b32_e32 v1, v21, v1, vcc
	v_cmp_nge_f64_e32 vcc, 0, v[2:3]
	v_cndmask_b32_e32 v6, 0, v0, vcc
	v_cmp_neq_f64_e32 vcc, 0, v[2:3]
	v_cndmask_b32_e32 v7, v22, v1, vcc
	v_cmp_le_i64_e32 vcc, s[10:11], v[14:15]
	s_or_b64 s[0:1], vcc, s[0:1]
	v_add_co_u32_e32 v14, vcc, s30, v14
	v_addc_co_u32_e32 v15, vcc, v15, v23, vcc
	global_store_dwordx4 v[16:17], v[8:11], off offset:-16
	global_store_dwordx4 v[16:17], v[4:7], off
	s_and_b64 s[0:1], exec, s[0:1]
	v_add_co_u32_e32 v16, vcc, s31, v16
	s_or_b64 s[2:3], s[0:1], s[2:3]
	v_addc_co_u32_e32 v17, vcc, v17, v24, vcc
	s_andn2_b64 exec, exec, s[2:3]
	s_cbranch_execnz .LBB184_24
.LBB184_25:
	s_endpgm
	.section	.rodata,"a",@progbits
	.p2align	6, 0x0
	.amdhsa_kernel _ZN2at6native12_GLOBAL__N_125multi_tensor_apply_kernelINS1_18TensorListMetadataILi1EEENS1_14UnaryOpFunctorIdLi1ELi1ELi0EEEJNS0_5Log10IdEEEEEvT_T0_DpT1_
		.amdhsa_group_segment_fixed_size 0
		.amdhsa_private_segment_fixed_size 0
		.amdhsa_kernarg_size 3632
		.amdhsa_user_sgpr_count 6
		.amdhsa_user_sgpr_private_segment_buffer 1
		.amdhsa_user_sgpr_dispatch_ptr 0
		.amdhsa_user_sgpr_queue_ptr 0
		.amdhsa_user_sgpr_kernarg_segment_ptr 1
		.amdhsa_user_sgpr_dispatch_id 0
		.amdhsa_user_sgpr_flat_scratch_init 0
		.amdhsa_user_sgpr_kernarg_preload_length 0
		.amdhsa_user_sgpr_kernarg_preload_offset 0
		.amdhsa_user_sgpr_private_segment_size 0
		.amdhsa_uses_dynamic_stack 0
		.amdhsa_system_sgpr_private_segment_wavefront_offset 0
		.amdhsa_system_sgpr_workgroup_id_x 1
		.amdhsa_system_sgpr_workgroup_id_y 0
		.amdhsa_system_sgpr_workgroup_id_z 0
		.amdhsa_system_sgpr_workgroup_info 0
		.amdhsa_system_vgpr_workitem_id 0
		.amdhsa_next_free_vgpr 58
		.amdhsa_next_free_sgpr 43
		.amdhsa_accum_offset 60
		.amdhsa_reserve_vcc 1
		.amdhsa_reserve_flat_scratch 0
		.amdhsa_float_round_mode_32 0
		.amdhsa_float_round_mode_16_64 0
		.amdhsa_float_denorm_mode_32 3
		.amdhsa_float_denorm_mode_16_64 3
		.amdhsa_dx10_clamp 1
		.amdhsa_ieee_mode 1
		.amdhsa_fp16_overflow 0
		.amdhsa_tg_split 0
		.amdhsa_exception_fp_ieee_invalid_op 0
		.amdhsa_exception_fp_denorm_src 0
		.amdhsa_exception_fp_ieee_div_zero 0
		.amdhsa_exception_fp_ieee_overflow 0
		.amdhsa_exception_fp_ieee_underflow 0
		.amdhsa_exception_fp_ieee_inexact 0
		.amdhsa_exception_int_div_zero 0
	.end_amdhsa_kernel
	.section	.text._ZN2at6native12_GLOBAL__N_125multi_tensor_apply_kernelINS1_18TensorListMetadataILi1EEENS1_14UnaryOpFunctorIdLi1ELi1ELi0EEEJNS0_5Log10IdEEEEEvT_T0_DpT1_,"axG",@progbits,_ZN2at6native12_GLOBAL__N_125multi_tensor_apply_kernelINS1_18TensorListMetadataILi1EEENS1_14UnaryOpFunctorIdLi1ELi1ELi0EEEJNS0_5Log10IdEEEEEvT_T0_DpT1_,comdat
.Lfunc_end184:
	.size	_ZN2at6native12_GLOBAL__N_125multi_tensor_apply_kernelINS1_18TensorListMetadataILi1EEENS1_14UnaryOpFunctorIdLi1ELi1ELi0EEEJNS0_5Log10IdEEEEEvT_T0_DpT1_, .Lfunc_end184-_ZN2at6native12_GLOBAL__N_125multi_tensor_apply_kernelINS1_18TensorListMetadataILi1EEENS1_14UnaryOpFunctorIdLi1ELi1ELi0EEEJNS0_5Log10IdEEEEEvT_T0_DpT1_
                                        ; -- End function
	.section	.AMDGPU.csdata,"",@progbits
; Kernel info:
; codeLenInByte = 6796
; NumSgprs: 47
; NumVgprs: 58
; NumAgprs: 0
; TotalNumVgprs: 58
; ScratchSize: 0
; MemoryBound: 0
; FloatMode: 240
; IeeeMode: 1
; LDSByteSize: 0 bytes/workgroup (compile time only)
; SGPRBlocks: 5
; VGPRBlocks: 7
; NumSGPRsForWavesPerEU: 47
; NumVGPRsForWavesPerEU: 58
; AccumOffset: 60
; Occupancy: 8
; WaveLimiterHint : 0
; COMPUTE_PGM_RSRC2:SCRATCH_EN: 0
; COMPUTE_PGM_RSRC2:USER_SGPR: 6
; COMPUTE_PGM_RSRC2:TRAP_HANDLER: 0
; COMPUTE_PGM_RSRC2:TGID_X_EN: 1
; COMPUTE_PGM_RSRC2:TGID_Y_EN: 0
; COMPUTE_PGM_RSRC2:TGID_Z_EN: 0
; COMPUTE_PGM_RSRC2:TIDIG_COMP_CNT: 0
; COMPUTE_PGM_RSRC3_GFX90A:ACCUM_OFFSET: 14
; COMPUTE_PGM_RSRC3_GFX90A:TG_SPLIT: 0
	.section	.text._ZN2at6native12_GLOBAL__N_125multi_tensor_apply_kernelINS1_18TensorListMetadataILi1EEENS1_14UnaryOpFunctorIfLi1ELi1ELi0EEEJNS0_5Log10IfEEEEEvT_T0_DpT1_,"axG",@progbits,_ZN2at6native12_GLOBAL__N_125multi_tensor_apply_kernelINS1_18TensorListMetadataILi1EEENS1_14UnaryOpFunctorIfLi1ELi1ELi0EEEJNS0_5Log10IfEEEEEvT_T0_DpT1_,comdat
	.globl	_ZN2at6native12_GLOBAL__N_125multi_tensor_apply_kernelINS1_18TensorListMetadataILi1EEENS1_14UnaryOpFunctorIfLi1ELi1ELi0EEEJNS0_5Log10IfEEEEEvT_T0_DpT1_ ; -- Begin function _ZN2at6native12_GLOBAL__N_125multi_tensor_apply_kernelINS1_18TensorListMetadataILi1EEENS1_14UnaryOpFunctorIfLi1ELi1ELi0EEEJNS0_5Log10IfEEEEEvT_T0_DpT1_
	.p2align	8
	.type	_ZN2at6native12_GLOBAL__N_125multi_tensor_apply_kernelINS1_18TensorListMetadataILi1EEENS1_14UnaryOpFunctorIfLi1ELi1ELi0EEEJNS0_5Log10IfEEEEEvT_T0_DpT1_,@function
_ZN2at6native12_GLOBAL__N_125multi_tensor_apply_kernelINS1_18TensorListMetadataILi1EEENS1_14UnaryOpFunctorIfLi1ELi1ELi0EEEJNS0_5Log10IfEEEEEvT_T0_DpT1_: ; @_ZN2at6native12_GLOBAL__N_125multi_tensor_apply_kernelINS1_18TensorListMetadataILi1EEENS1_14UnaryOpFunctorIfLi1ELi1ELi0EEEJNS0_5Log10IfEEEEEvT_T0_DpT1_
; %bb.0:
	v_mov_b32_e32 v1, s6
	global_load_ubyte v1, v1, s[4:5] offset:1760
	s_add_u32 s0, s4, s6
	s_mul_hi_u32 s1, s6, 3
	s_mul_i32 s6, s6, 3
	s_addc_u32 s2, s5, 0
	s_add_u32 s0, s0, s6
	s_addc_u32 s1, s2, s1
	s_load_dword s0, s[0:1], 0x820
	s_mov_b32 s7, 0
	s_waitcnt vmcnt(0)
	v_readfirstlane_b32 s2, v1
	s_lshl_b32 s1, s2, 3
	s_load_dwordx2 s[2:3], s[4:5], s1 offset:0x370
	s_load_dwordx2 s[12:13], s[4:5], s1 offset:0x0
	s_waitcnt lgkmcnt(0)
	s_ashr_i32 s1, s0, 31
	s_lshl_b64 s[14:15], s[0:1], 18
	s_lshl_b64 s[0:1], s[0:1], 16
	s_and_b32 s6, s12, 15
	s_sub_u32 s10, s2, s0
	s_subb_u32 s11, s3, s1
	s_and_b32 s0, s2, 3
	s_mov_b32 s1, s7
	s_or_b64 s[0:1], s[6:7], s[0:1]
	s_cmp_eq_u64 s[0:1], 0
	s_cbranch_scc1 .LBB185_21
; %bb.1:
	v_cmp_lt_i64_e64 s[0:1], s[10:11], 1
	s_and_b64 vcc, exec, s[0:1]
	s_cbranch_vccnz .LBB185_20
; %bb.2:
	s_load_dword s0, s[4:5], 0xd3c
	v_mov_b32_e32 v2, 0x10000
	v_mov_b32_e32 v3, 0
	v_cmp_lt_u64_e32 vcc, s[10:11], v[2:3]
	v_lshlrev_b32_e32 v1, 2, v0
	s_waitcnt lgkmcnt(0)
	s_and_b32 s3, s0, 0xffff
	s_and_b64 s[0:1], vcc, exec
	s_cselect_b32 s17, s11, 0
	s_cselect_b32 s16, s10, 0x10000
	s_lshl_b32 s6, s3, 1
	s_lshl_b32 s22, s3, 2
	s_add_u32 s7, s12, s14
	s_addc_u32 s8, s13, s15
	v_mov_b32_e32 v5, s8
	v_add_co_u32_e32 v4, vcc, s7, v1
	s_mul_i32 s0, s3, 3
	v_addc_co_u32_e32 v5, vcc, 0, v5, vcc
	v_add_co_u32_e32 v1, vcc, s0, v0
	v_addc_co_u32_e64 v10, s[0:1], 0, 0, vcc
	v_add_co_u32_e32 v11, vcc, s6, v0
	v_addc_co_u32_e64 v12, s[0:1], 0, 0, vcc
	v_add_co_u32_e32 v13, vcc, s3, v0
	v_lshlrev_b32_e32 v6, 2, v13
	s_mov_b32 s2, 0
	v_addc_co_u32_e64 v14, s[0:1], 0, 0, vcc
	v_mov_b32_e32 v7, s8
	v_add_co_u32_e32 v6, vcc, s7, v6
	s_lshl_b32 s23, s3, 4
	s_mul_i32 s24, s3, 12
	s_mov_b32 s25, s2
	s_lshl_b32 s26, s3, 3
	s_mov_b32 s27, s2
	v_addc_co_u32_e32 v7, vcc, 0, v7, vcc
	s_mov_b64 s[18:19], 0
	s_mov_b32 s28, 0x800000
	s_mov_b32 s29, 0x3e9a209a
	;; [unrolled: 1-line block ×3, first 2 shown]
	v_pk_mov_b32 v[8:9], s[10:11], s[10:11] op_sel:[0,1]
	v_mov_b32_e32 v15, s2
	v_mov_b32_e32 v16, 0x4f800000
	v_mov_b32_e32 v17, 0x411a209b
	s_branch .LBB185_4
.LBB185_3:                              ;   in Loop: Header=BB185_4 Depth=1
	s_or_b64 exec, exec, s[0:1]
	s_add_u32 s18, s18, s22
	s_addc_u32 s19, s19, 0
	v_cmp_lt_i64_e32 vcc, s[18:19], v[8:9]
	v_cmp_lt_u64_e64 s[0:1], s[18:19], v[2:3]
	s_and_b64 s[0:1], vcc, s[0:1]
	v_add_co_u32_e32 v4, vcc, s23, v4
	v_addc_co_u32_e32 v5, vcc, v5, v15, vcc
	v_add_co_u32_e32 v6, vcc, s23, v6
	v_addc_co_u32_e32 v7, vcc, v7, v15, vcc
	s_and_b64 vcc, exec, s[0:1]
	s_cbranch_vccz .LBB185_20
.LBB185_4:                              ; =>This Inner Loop Header: Depth=1
	s_waitcnt vmcnt(0)
	v_mov_b32_e32 v19, s19
	v_add_co_u32_e32 v18, vcc, s18, v0
	v_addc_co_u32_e32 v19, vcc, 0, v19, vcc
	v_cmp_gt_u64_e64 s[6:7], s[16:17], v[18:19]
	v_mov_b32_e32 v21, 0
	s_and_saveexec_b64 s[0:1], s[6:7]
	s_cbranch_execz .LBB185_6
; %bb.5:                                ;   in Loop: Header=BB185_4 Depth=1
	global_load_dword v21, v[4:5], off
.LBB185_6:                              ;   in Loop: Header=BB185_4 Depth=1
	s_or_b64 exec, exec, s[0:1]
	v_mov_b32_e32 v19, s19
	v_add_co_u32_e32 v18, vcc, s18, v13
	v_addc_co_u32_e32 v19, vcc, v14, v19, vcc
	v_cmp_gt_u64_e64 s[2:3], s[16:17], v[18:19]
	v_mov_b32_e32 v19, 0
	s_and_saveexec_b64 s[0:1], s[2:3]
	s_cbranch_execz .LBB185_8
; %bb.7:                                ;   in Loop: Header=BB185_4 Depth=1
	global_load_dword v19, v[6:7], off
.LBB185_8:                              ;   in Loop: Header=BB185_4 Depth=1
	s_or_b64 exec, exec, s[0:1]
	v_mov_b32_e32 v18, s19
	v_add_co_u32_e32 v22, vcc, s18, v11
	v_addc_co_u32_e32 v23, vcc, v12, v18, vcc
	v_cmp_gt_u64_e64 s[0:1], s[16:17], v[22:23]
	v_mov_b32_e32 v18, 0
	v_mov_b32_e32 v20, 0
	s_and_saveexec_b64 s[8:9], s[0:1]
	s_cbranch_execz .LBB185_10
; %bb.9:                                ;   in Loop: Header=BB185_4 Depth=1
	v_mov_b32_e32 v20, s27
	v_add_co_u32_e32 v22, vcc, s26, v4
	v_addc_co_u32_e32 v23, vcc, v5, v20, vcc
	global_load_dword v20, v[22:23], off
.LBB185_10:                             ;   in Loop: Header=BB185_4 Depth=1
	s_or_b64 exec, exec, s[8:9]
	v_mov_b32_e32 v23, s19
	v_add_co_u32_e32 v22, vcc, s18, v1
	v_addc_co_u32_e32 v23, vcc, v10, v23, vcc
	v_cmp_gt_u64_e32 vcc, s[16:17], v[22:23]
	s_and_saveexec_b64 s[20:21], vcc
	s_cbranch_execnz .LBB185_15
; %bb.11:                               ;   in Loop: Header=BB185_4 Depth=1
	s_or_b64 exec, exec, s[20:21]
	s_and_saveexec_b64 s[20:21], s[6:7]
	s_cbranch_execnz .LBB185_16
.LBB185_12:                             ;   in Loop: Header=BB185_4 Depth=1
	s_or_b64 exec, exec, s[20:21]
	s_and_saveexec_b64 s[8:9], s[2:3]
	s_cbranch_execnz .LBB185_17
.LBB185_13:                             ;   in Loop: Header=BB185_4 Depth=1
	s_or_b64 exec, exec, s[8:9]
	s_and_saveexec_b64 s[2:3], s[0:1]
	s_cbranch_execnz .LBB185_18
.LBB185_14:                             ;   in Loop: Header=BB185_4 Depth=1
	s_or_b64 exec, exec, s[2:3]
	s_and_saveexec_b64 s[0:1], vcc
	s_cbranch_execz .LBB185_3
	s_branch .LBB185_19
.LBB185_15:                             ;   in Loop: Header=BB185_4 Depth=1
	v_mov_b32_e32 v18, s25
	v_add_co_u32_e64 v22, s[8:9], s24, v4
	v_addc_co_u32_e64 v23, s[8:9], v5, v18, s[8:9]
	global_load_dword v18, v[22:23], off
	s_or_b64 exec, exec, s[20:21]
	s_and_saveexec_b64 s[20:21], s[6:7]
	s_cbranch_execz .LBB185_12
.LBB185_16:                             ;   in Loop: Header=BB185_4 Depth=1
	s_waitcnt vmcnt(0)
	v_cmp_gt_f32_e64 s[6:7], s28, v21
	v_cndmask_b32_e64 v22, 1.0, v16, s[6:7]
	v_mul_f32_e32 v21, v21, v22
	v_log_f32_e32 v21, v21
	v_mul_f32_e32 v22, 0x3e9a209a, v21
	v_fma_f32 v22, v21, s29, -v22
	v_fmac_f32_e32 v22, 0x3284fbcf, v21
	v_fmac_f32_e32 v22, 0x3e9a209a, v21
	v_cmp_lt_f32_e64 s[8:9], |v21|, s30
	v_cndmask_b32_e64 v21, v21, v22, s[8:9]
	v_cndmask_b32_e64 v22, 0, v17, s[6:7]
	v_sub_f32_e32 v21, v21, v22
	global_store_dword v[4:5], v21, off
	s_or_b64 exec, exec, s[20:21]
	s_and_saveexec_b64 s[8:9], s[2:3]
	s_cbranch_execz .LBB185_13
.LBB185_17:                             ;   in Loop: Header=BB185_4 Depth=1
	s_waitcnt vmcnt(0)
	v_cmp_gt_f32_e64 s[2:3], s28, v19
	v_cndmask_b32_e64 v21, 1.0, v16, s[2:3]
	v_mul_f32_e32 v19, v19, v21
	v_log_f32_e32 v19, v19
	v_mul_f32_e32 v21, 0x3e9a209a, v19
	v_fma_f32 v21, v19, s29, -v21
	v_fmac_f32_e32 v21, 0x3284fbcf, v19
	v_fmac_f32_e32 v21, 0x3e9a209a, v19
	v_cmp_lt_f32_e64 s[6:7], |v19|, s30
	v_cndmask_b32_e64 v19, v19, v21, s[6:7]
	v_cndmask_b32_e64 v21, 0, v17, s[2:3]
	v_sub_f32_e32 v19, v19, v21
	global_store_dword v[6:7], v19, off
	s_or_b64 exec, exec, s[8:9]
	s_and_saveexec_b64 s[2:3], s[0:1]
	s_cbranch_execz .LBB185_14
.LBB185_18:                             ;   in Loop: Header=BB185_4 Depth=1
	s_waitcnt vmcnt(0)
	v_cmp_gt_f32_e64 s[0:1], s28, v20
	v_cndmask_b32_e64 v19, 1.0, v16, s[0:1]
	v_mul_f32_e32 v19, v20, v19
	v_log_f32_e32 v19, v19
	v_cndmask_b32_e64 v20, 0, v17, s[0:1]
	v_mul_f32_e32 v21, 0x3e9a209a, v19
	v_fma_f32 v21, v19, s29, -v21
	v_fmac_f32_e32 v21, 0x3284fbcf, v19
	v_fmac_f32_e32 v21, 0x3e9a209a, v19
	v_cmp_lt_f32_e64 s[0:1], |v19|, s30
	v_cndmask_b32_e64 v19, v19, v21, s[0:1]
	v_sub_f32_e32 v19, v19, v20
	v_mov_b32_e32 v21, s27
	v_add_co_u32_e64 v20, s[0:1], s26, v4
	v_addc_co_u32_e64 v21, s[0:1], v5, v21, s[0:1]
	global_store_dword v[20:21], v19, off
	s_or_b64 exec, exec, s[2:3]
	s_and_saveexec_b64 s[0:1], vcc
	s_cbranch_execz .LBB185_3
.LBB185_19:                             ;   in Loop: Header=BB185_4 Depth=1
	s_waitcnt vmcnt(0)
	v_cmp_gt_f32_e32 vcc, s28, v18
	v_cndmask_b32_e32 v19, 1.0, v16, vcc
	v_mul_f32_e32 v18, v18, v19
	v_log_f32_e32 v18, v18
	v_cndmask_b32_e32 v19, 0, v17, vcc
	v_mul_f32_e32 v20, 0x3e9a209a, v18
	v_fma_f32 v20, v18, s29, -v20
	v_fmac_f32_e32 v20, 0x3284fbcf, v18
	v_fmac_f32_e32 v20, 0x3e9a209a, v18
	v_cmp_lt_f32_e64 vcc, |v18|, s30
	v_cndmask_b32_e32 v18, v18, v20, vcc
	v_sub_f32_e32 v20, v18, v19
	v_mov_b32_e32 v19, s25
	v_add_co_u32_e32 v18, vcc, s24, v4
	v_addc_co_u32_e32 v19, vcc, v5, v19, vcc
	global_store_dword v[18:19], v20, off
	s_branch .LBB185_3
.LBB185_20:
	s_cbranch_execz .LBB185_22
	s_branch .LBB185_25
.LBB185_21:
.LBB185_22:
	v_mov_b32_e32 v3, 0
	v_lshlrev_b32_e32 v2, 2, v0
	s_mov_b32 s0, 0
	v_cmp_gt_i64_e32 vcc, s[10:11], v[2:3]
	s_and_saveexec_b64 s[2:3], vcc
	s_cbranch_execz .LBB185_25
; %bb.23:
	s_load_dword s1, s[4:5], 0xd3c
	v_lshlrev_b32_e32 v1, 4, v0
	s_mov_b64 s[6:7], 0
	s_mov_b32 s16, 0x7f800000
	s_mov_b64 s[8:9], 0xffff
	s_waitcnt lgkmcnt(0)
	s_and_b32 s1, s1, 0xffff
	s_add_u32 s2, s12, s14
	s_addc_u32 s3, s13, s15
	v_mov_b32_e32 v2, s3
	v_add_co_u32_e32 v1, vcc, s2, v1
	v_addc_co_u32_e32 v2, vcc, 0, v2, vcc
	v_add_co_u32_e32 v4, vcc, 8, v1
	v_addc_co_u32_e32 v5, vcc, 0, v2, vcc
	s_lshl_b32 s12, s1, 4
	v_add_lshl_u32 v2, v0, s1, 2
	s_lshl_b32 s13, s1, 2
	s_mov_b32 s14, 0x800000
	v_mov_b32_e32 v0, 0x4f800000
	s_mov_b32 s15, 0x3e9a209a
	v_mov_b32_e32 v1, 0x411a209b
	v_mov_b32_e32 v6, s0
	v_mov_b32_e32 v7, s0
.LBB185_24:                             ; =>This Inner Loop Header: Depth=1
	global_load_dwordx4 v[8:11], v[4:5], off offset:-8
	v_cmp_le_i64_e32 vcc, s[10:11], v[2:3]
	v_cmp_lt_u64_e64 s[0:1], s[8:9], v[2:3]
	s_or_b64 s[0:1], vcc, s[0:1]
	s_and_b64 s[0:1], exec, s[0:1]
	s_or_b64 s[6:7], s[0:1], s[6:7]
	s_waitcnt vmcnt(0)
	v_cmp_gt_f32_e32 vcc, s14, v9
	v_cndmask_b32_e32 v12, 1.0, v0, vcc
	v_cmp_gt_f32_e64 s[0:1], s14, v8
	v_cndmask_b32_e64 v13, 1.0, v0, s[0:1]
	v_cmp_gt_f32_e64 s[2:3], s14, v11
	v_mul_f32_e32 v9, v9, v12
	v_cndmask_b32_e64 v14, 1.0, v0, s[2:3]
	v_cmp_gt_f32_e64 s[4:5], s14, v10
	v_mul_f32_e32 v8, v8, v13
	v_log_f32_e32 v9, v9
	v_cndmask_b32_e64 v15, 1.0, v0, s[4:5]
	v_mul_f32_e32 v11, v11, v14
	v_log_f32_e32 v8, v8
	v_mul_f32_e32 v10, v10, v15
	v_log_f32_e32 v11, v11
	v_log_f32_e32 v10, v10
	v_mul_f32_e32 v16, 0x3e9a209a, v9
	v_mul_f32_e32 v17, 0x3e9a209a, v8
	v_fma_f32 v16, v9, s15, -v16
	v_mul_f32_e32 v18, 0x3e9a209a, v11
	v_fma_f32 v17, v8, s15, -v17
	v_fmac_f32_e32 v16, 0x3284fbcf, v9
	v_cndmask_b32_e32 v12, 0, v1, vcc
	v_mul_f32_e32 v19, 0x3e9a209a, v10
	v_fma_f32 v18, v11, s15, -v18
	v_fmac_f32_e32 v17, 0x3284fbcf, v8
	v_fmac_f32_e32 v16, 0x3e9a209a, v9
	v_cmp_lt_f32_e64 vcc, |v9|, s16
	v_fma_f32 v19, v10, s15, -v19
	v_fmac_f32_e32 v18, 0x3284fbcf, v11
	v_fmac_f32_e32 v17, 0x3e9a209a, v8
	v_cndmask_b32_e32 v9, v9, v16, vcc
	v_cmp_lt_f32_e64 vcc, |v8|, s16
	v_fmac_f32_e32 v19, 0x3284fbcf, v10
	v_fmac_f32_e32 v18, 0x3e9a209a, v11
	v_cndmask_b32_e32 v8, v8, v17, vcc
	v_cmp_lt_f32_e64 vcc, |v11|, s16
	v_fmac_f32_e32 v19, 0x3e9a209a, v10
	v_cndmask_b32_e32 v11, v11, v18, vcc
	v_cmp_lt_f32_e64 vcc, |v10|, s16
	v_cndmask_b32_e64 v13, 0, v1, s[0:1]
	v_cndmask_b32_e64 v14, 0, v1, s[2:3]
	;; [unrolled: 1-line block ×3, first 2 shown]
	v_cndmask_b32_e32 v10, v10, v19, vcc
	v_sub_f32_e32 v9, v9, v12
	v_sub_f32_e32 v8, v8, v13
	;; [unrolled: 1-line block ×4, first 2 shown]
	global_store_dwordx4 v[4:5], v[8:11], off offset:-8
	v_add_co_u32_e32 v4, vcc, s12, v4
	v_addc_co_u32_e32 v5, vcc, v5, v6, vcc
	v_add_co_u32_e32 v2, vcc, s13, v2
	v_addc_co_u32_e32 v3, vcc, v3, v7, vcc
	s_andn2_b64 exec, exec, s[6:7]
	s_cbranch_execnz .LBB185_24
.LBB185_25:
	s_endpgm
	.section	.rodata,"a",@progbits
	.p2align	6, 0x0
	.amdhsa_kernel _ZN2at6native12_GLOBAL__N_125multi_tensor_apply_kernelINS1_18TensorListMetadataILi1EEENS1_14UnaryOpFunctorIfLi1ELi1ELi0EEEJNS0_5Log10IfEEEEEvT_T0_DpT1_
		.amdhsa_group_segment_fixed_size 0
		.amdhsa_private_segment_fixed_size 0
		.amdhsa_kernarg_size 3632
		.amdhsa_user_sgpr_count 6
		.amdhsa_user_sgpr_private_segment_buffer 1
		.amdhsa_user_sgpr_dispatch_ptr 0
		.amdhsa_user_sgpr_queue_ptr 0
		.amdhsa_user_sgpr_kernarg_segment_ptr 1
		.amdhsa_user_sgpr_dispatch_id 0
		.amdhsa_user_sgpr_flat_scratch_init 0
		.amdhsa_user_sgpr_kernarg_preload_length 0
		.amdhsa_user_sgpr_kernarg_preload_offset 0
		.amdhsa_user_sgpr_private_segment_size 0
		.amdhsa_uses_dynamic_stack 0
		.amdhsa_system_sgpr_private_segment_wavefront_offset 0
		.amdhsa_system_sgpr_workgroup_id_x 1
		.amdhsa_system_sgpr_workgroup_id_y 0
		.amdhsa_system_sgpr_workgroup_id_z 0
		.amdhsa_system_sgpr_workgroup_info 0
		.amdhsa_system_vgpr_workitem_id 0
		.amdhsa_next_free_vgpr 24
		.amdhsa_next_free_sgpr 31
		.amdhsa_accum_offset 24
		.amdhsa_reserve_vcc 1
		.amdhsa_reserve_flat_scratch 0
		.amdhsa_float_round_mode_32 0
		.amdhsa_float_round_mode_16_64 0
		.amdhsa_float_denorm_mode_32 3
		.amdhsa_float_denorm_mode_16_64 3
		.amdhsa_dx10_clamp 1
		.amdhsa_ieee_mode 1
		.amdhsa_fp16_overflow 0
		.amdhsa_tg_split 0
		.amdhsa_exception_fp_ieee_invalid_op 0
		.amdhsa_exception_fp_denorm_src 0
		.amdhsa_exception_fp_ieee_div_zero 0
		.amdhsa_exception_fp_ieee_overflow 0
		.amdhsa_exception_fp_ieee_underflow 0
		.amdhsa_exception_fp_ieee_inexact 0
		.amdhsa_exception_int_div_zero 0
	.end_amdhsa_kernel
	.section	.text._ZN2at6native12_GLOBAL__N_125multi_tensor_apply_kernelINS1_18TensorListMetadataILi1EEENS1_14UnaryOpFunctorIfLi1ELi1ELi0EEEJNS0_5Log10IfEEEEEvT_T0_DpT1_,"axG",@progbits,_ZN2at6native12_GLOBAL__N_125multi_tensor_apply_kernelINS1_18TensorListMetadataILi1EEENS1_14UnaryOpFunctorIfLi1ELi1ELi0EEEJNS0_5Log10IfEEEEEvT_T0_DpT1_,comdat
.Lfunc_end185:
	.size	_ZN2at6native12_GLOBAL__N_125multi_tensor_apply_kernelINS1_18TensorListMetadataILi1EEENS1_14UnaryOpFunctorIfLi1ELi1ELi0EEEJNS0_5Log10IfEEEEEvT_T0_DpT1_, .Lfunc_end185-_ZN2at6native12_GLOBAL__N_125multi_tensor_apply_kernelINS1_18TensorListMetadataILi1EEENS1_14UnaryOpFunctorIfLi1ELi1ELi0EEEJNS0_5Log10IfEEEEEvT_T0_DpT1_
                                        ; -- End function
	.section	.AMDGPU.csdata,"",@progbits
; Kernel info:
; codeLenInByte = 1664
; NumSgprs: 35
; NumVgprs: 24
; NumAgprs: 0
; TotalNumVgprs: 24
; ScratchSize: 0
; MemoryBound: 0
; FloatMode: 240
; IeeeMode: 1
; LDSByteSize: 0 bytes/workgroup (compile time only)
; SGPRBlocks: 4
; VGPRBlocks: 2
; NumSGPRsForWavesPerEU: 35
; NumVGPRsForWavesPerEU: 24
; AccumOffset: 24
; Occupancy: 8
; WaveLimiterHint : 0
; COMPUTE_PGM_RSRC2:SCRATCH_EN: 0
; COMPUTE_PGM_RSRC2:USER_SGPR: 6
; COMPUTE_PGM_RSRC2:TRAP_HANDLER: 0
; COMPUTE_PGM_RSRC2:TGID_X_EN: 1
; COMPUTE_PGM_RSRC2:TGID_Y_EN: 0
; COMPUTE_PGM_RSRC2:TGID_Z_EN: 0
; COMPUTE_PGM_RSRC2:TIDIG_COMP_CNT: 0
; COMPUTE_PGM_RSRC3_GFX90A:ACCUM_OFFSET: 5
; COMPUTE_PGM_RSRC3_GFX90A:TG_SPLIT: 0
	.section	.text._ZN2at6native12_GLOBAL__N_125multi_tensor_apply_kernelINS1_18TensorListMetadataILi1EEENS1_14UnaryOpFunctorIN3c107complexIdEELi1ELi1ELi0EEEJNS0_5Log10IS8_EEEEEvT_T0_DpT1_,"axG",@progbits,_ZN2at6native12_GLOBAL__N_125multi_tensor_apply_kernelINS1_18TensorListMetadataILi1EEENS1_14UnaryOpFunctorIN3c107complexIdEELi1ELi1ELi0EEEJNS0_5Log10IS8_EEEEEvT_T0_DpT1_,comdat
	.globl	_ZN2at6native12_GLOBAL__N_125multi_tensor_apply_kernelINS1_18TensorListMetadataILi1EEENS1_14UnaryOpFunctorIN3c107complexIdEELi1ELi1ELi0EEEJNS0_5Log10IS8_EEEEEvT_T0_DpT1_ ; -- Begin function _ZN2at6native12_GLOBAL__N_125multi_tensor_apply_kernelINS1_18TensorListMetadataILi1EEENS1_14UnaryOpFunctorIN3c107complexIdEELi1ELi1ELi0EEEJNS0_5Log10IS8_EEEEEvT_T0_DpT1_
	.p2align	8
	.type	_ZN2at6native12_GLOBAL__N_125multi_tensor_apply_kernelINS1_18TensorListMetadataILi1EEENS1_14UnaryOpFunctorIN3c107complexIdEELi1ELi1ELi0EEEJNS0_5Log10IS8_EEEEEvT_T0_DpT1_,@function
_ZN2at6native12_GLOBAL__N_125multi_tensor_apply_kernelINS1_18TensorListMetadataILi1EEENS1_14UnaryOpFunctorIN3c107complexIdEELi1ELi1ELi0EEEJNS0_5Log10IS8_EEEEEvT_T0_DpT1_: ; @_ZN2at6native12_GLOBAL__N_125multi_tensor_apply_kernelINS1_18TensorListMetadataILi1EEENS1_14UnaryOpFunctorIN3c107complexIdEELi1ELi1ELi0EEEJNS0_5Log10IS8_EEEEEvT_T0_DpT1_
; %bb.0:
	v_mov_b32_e32 v1, s6
	global_load_ubyte v1, v1, s[4:5] offset:1760
	s_add_u32 s0, s4, s6
	s_mul_hi_u32 s1, s6, 3
	s_mul_i32 s6, s6, 3
	s_addc_u32 s2, s5, 0
	s_add_u32 s0, s0, s6
	s_addc_u32 s1, s2, s1
	s_load_dword s0, s[0:1], 0x820
	s_mov_b32 s9, 0
	s_waitcnt vmcnt(0)
	v_readfirstlane_b32 s1, v1
	s_lshl_b32 s1, s1, 3
	s_load_dwordx2 s[2:3], s[4:5], s1 offset:0x0
	s_load_dwordx2 s[6:7], s[4:5], s1 offset:0x370
	s_waitcnt lgkmcnt(0)
	s_ashr_i32 s1, s0, 31
	s_lshl_b64 s[10:11], s[0:1], 20
	s_add_u32 s33, s2, s10
	s_addc_u32 s70, s3, s11
	s_lshl_b64 s[0:1], s[0:1], 16
	s_and_b32 s8, s33, 63
	s_sub_u32 s16, s6, s0
	s_subb_u32 s17, s7, s1
	s_and_b32 s0, s6, 3
	s_mov_b32 s1, s9
	s_or_b64 s[0:1], s[8:9], s[0:1]
	s_cmp_eq_u64 s[0:1], 0
	s_cbranch_scc1 .LBB186_157
; %bb.1:
	v_cmp_lt_i64_e64 s[0:1], s[16:17], 1
	s_and_b64 vcc, exec, s[0:1]
	s_cbranch_vccnz .LBB186_156
; %bb.2:
	s_load_dword s0, s[4:5], 0xd3c
	v_mov_b32_e32 v2, 0x10000
	v_mov_b32_e32 v3, 0
	v_cmp_lt_u64_e32 vcc, s[16:17], v[2:3]
	s_mov_b32 s2, 0
	s_waitcnt lgkmcnt(0)
	s_and_b32 s71, s0, 0xffff
	s_and_b64 s[0:1], vcc, exec
	s_mov_b32 s22, 0x85ebc8a0
	s_mov_b32 s24, 0x4ad4b81f
	;; [unrolled: 1-line block ×15, first 2 shown]
	s_cselect_b32 s19, s17, 0
	s_cselect_b32 s18, s16, 0x10000
	s_lshl_b32 s72, s71, 1
	s_mul_i32 s73, s71, 3
	s_mov_b32 s74, s2
	s_lshl_b32 s75, s71, 2
	s_mov_b64 s[20:21], 0
	v_mov_b32_e32 v110, s2
	v_mov_b32_e32 v111, s2
	s_brev_b32 s76, -2
	s_mov_b32 s23, 0x7fd1ccf3
	s_mov_b32 s25, 0x358dee7a
	;; [unrolled: 1-line block ×9, first 2 shown]
	s_movk_i32 s77, 0x204
	s_mov_b32 s43, 0x3ff921fb
	s_mov_b32 s45, 0x400921fb
	;; [unrolled: 1-line block ×5, first 2 shown]
	s_brev_b32 s53, 4
	s_mov_b32 s55, 0x40026bb1
	v_mov_b32_e32 v18, 0x6b47b09a
	v_mov_b32_e32 v19, 0x3fc38538
	;; [unrolled: 1-line block ×59, first 2 shown]
	s_branch .LBB186_4
.LBB186_3:                              ;   in Loop: Header=BB186_4 Depth=1
	s_or_b64 exec, exec, s[2:3]
	s_add_u32 s20, s20, s75
	s_addc_u32 s21, s21, 0
	v_pk_mov_b32 v[2:3], s[16:17], s[16:17] op_sel:[0,1]
	v_cmp_ge_i64_e32 vcc, s[20:21], v[2:3]
	v_mov_b32_e32 v2, 0xffff
	v_mov_b32_e32 v3, 0
	v_cmp_gt_u64_e64 s[0:1], s[20:21], v[2:3]
	s_or_b64 s[0:1], vcc, s[0:1]
	s_and_b64 vcc, exec, s[0:1]
	s_cbranch_vccnz .LBB186_156
.LBB186_4:                              ; =>This Loop Header: Depth=1
                                        ;     Child Loop BB186_23 Depth 2
                                        ;     Child Loop BB186_57 Depth 2
	;; [unrolled: 1-line block ×4, first 2 shown]
	v_mov_b32_e32 v1, s21
	v_add_co_u32_e32 v2, vcc, s20, v0
	v_addc_co_u32_e32 v3, vcc, 0, v1, vcc
	v_pk_mov_b32 v[8:9], 0, 0
	v_cmp_gt_u64_e64 s[8:9], s[18:19], v[2:3]
	v_lshlrev_b64 v[76:77], 4, v[2:3]
	v_pk_mov_b32 v[16:17], v[8:9], v[8:9] op_sel:[0,1]
	v_pk_mov_b32 v[14:15], v[8:9], v[8:9] op_sel:[0,1]
	s_and_saveexec_b64 s[0:1], s[8:9]
	s_cbranch_execz .LBB186_6
; %bb.5:                                ;   in Loop: Header=BB186_4 Depth=1
	v_mov_b32_e32 v1, s70
	v_add_co_u32_e32 v4, vcc, s33, v76
	v_addc_co_u32_e32 v5, vcc, v1, v77, vcc
	global_load_dwordx4 v[14:17], v[4:5], off
.LBB186_6:                              ;   in Loop: Header=BB186_4 Depth=1
	s_or_b64 exec, exec, s[0:1]
	v_add_co_u32_e32 v4, vcc, s71, v2
	v_addc_co_u32_e32 v5, vcc, v3, v110, vcc
	v_cmp_gt_u64_e64 s[6:7], s[18:19], v[4:5]
	v_lshlrev_b64 v[74:75], 4, v[4:5]
	v_pk_mov_b32 v[6:7], v[8:9], v[8:9] op_sel:[0,1]
	s_and_saveexec_b64 s[0:1], s[6:7]
	s_cbranch_execz .LBB186_8
; %bb.7:                                ;   in Loop: Header=BB186_4 Depth=1
	v_mov_b32_e32 v1, s70
	v_add_co_u32_e32 v4, vcc, s33, v74
	v_addc_co_u32_e32 v5, vcc, v1, v75, vcc
	global_load_dwordx4 v[6:9], v[4:5], off
.LBB186_8:                              ;   in Loop: Header=BB186_4 Depth=1
	s_or_b64 exec, exec, s[0:1]
	v_add_co_u32_e32 v10, vcc, s72, v2
	v_addc_co_u32_e32 v11, vcc, v3, v111, vcc
	v_pk_mov_b32 v[4:5], 0, 0
	v_cmp_gt_u64_e64 s[2:3], s[18:19], v[10:11]
	v_lshlrev_b64 v[72:73], 4, v[10:11]
	v_pk_mov_b32 v[12:13], v[4:5], v[4:5] op_sel:[0,1]
	v_pk_mov_b32 v[10:11], v[4:5], v[4:5] op_sel:[0,1]
	s_and_saveexec_b64 s[0:1], s[2:3]
	s_cbranch_execz .LBB186_10
; %bb.9:                                ;   in Loop: Header=BB186_4 Depth=1
	v_mov_b32_e32 v1, s70
	v_add_co_u32_e32 v10, vcc, s33, v72
	v_addc_co_u32_e32 v11, vcc, v1, v73, vcc
	global_load_dwordx4 v[10:13], v[10:11], off
.LBB186_10:                             ;   in Loop: Header=BB186_4 Depth=1
	s_or_b64 exec, exec, s[0:1]
	v_mov_b32_e32 v1, s74
	v_add_co_u32_e32 v2, vcc, s73, v2
	v_addc_co_u32_e32 v3, vcc, v3, v1, vcc
	v_cmp_gt_u64_e64 s[0:1], s[18:19], v[2:3]
	v_lshlrev_b64 v[70:71], 4, v[2:3]
	v_pk_mov_b32 v[2:3], v[4:5], v[4:5] op_sel:[0,1]
	s_and_saveexec_b64 s[10:11], s[0:1]
	s_cbranch_execz .LBB186_12
; %bb.11:                               ;   in Loop: Header=BB186_4 Depth=1
	v_mov_b32_e32 v1, s70
	v_add_co_u32_e32 v2, vcc, s33, v70
	v_addc_co_u32_e32 v3, vcc, v1, v71, vcc
	global_load_dwordx4 v[2:5], v[2:3], off
.LBB186_12:                             ;   in Loop: Header=BB186_4 Depth=1
	s_or_b64 exec, exec, s[10:11]
	s_waitcnt vmcnt(0)
	v_cmp_o_f64_e32 vcc, v[14:15], v[16:17]
                                        ; implicit-def: $vgpr78_vgpr79
                                        ; implicit-def: $vgpr80_vgpr81
	s_and_saveexec_b64 s[10:11], vcc
	s_xor_b64 s[56:57], exec, s[10:11]
	s_cbranch_execz .LBB186_40
; %bb.13:                               ;   in Loop: Header=BB186_4 Depth=1
	v_and_b32_e32 v69, 0x7fffffff, v15
	v_and_b32_e32 v1, 0x7fffffff, v17
	v_mov_b32_e32 v84, v16
	v_cmp_lt_f64_e64 s[10:11], |v[14:15]|, |v[16:17]|
	v_cndmask_b32_e64 v83, v1, v69, s[10:11]
	v_cndmask_b32_e64 v82, v84, v14, s[10:11]
	v_cmp_nlt_f64_e32 vcc, s[22:23], v[82:83]
                                        ; implicit-def: $vgpr78_vgpr79
                                        ; implicit-def: $vgpr80_vgpr81
	s_and_saveexec_b64 s[12:13], vcc
	s_xor_b64 s[14:15], exec, s[12:13]
	s_cbranch_execz .LBB186_37
; %bb.14:                               ;   in Loop: Header=BB186_4 Depth=1
	v_cndmask_b32_e64 v87, v69, v1, s[10:11]
	v_cndmask_b32_e64 v86, v14, v84, s[10:11]
	v_cmp_neq_f64_e32 vcc, 1.0, v[86:87]
                                        ; implicit-def: $vgpr78_vgpr79
                                        ; implicit-def: $vgpr80_vgpr81
	s_and_saveexec_b64 s[12:13], vcc
	s_xor_b64 s[58:59], exec, s[12:13]
	s_cbranch_execz .LBB186_30
; %bb.15:                               ;   in Loop: Header=BB186_4 Depth=1
	v_max_f64 v[78:79], v[82:83], v[82:83]
	v_max_f64 v[80:81], v[86:87], v[86:87]
	v_min_f64 v[84:85], v[80:81], v[78:79]
	v_max_f64 v[78:79], v[80:81], v[78:79]
	v_cmp_ngt_f64_e32 vcc, s[24:25], v[84:85]
	v_cmp_nlt_f64_e64 s[12:13], s[26:27], v[78:79]
	s_and_b64 s[12:13], s[12:13], vcc
                                        ; implicit-def: $vgpr78_vgpr79
                                        ; implicit-def: $vgpr80_vgpr81
	s_and_saveexec_b64 s[60:61], s[12:13]
	s_xor_b64 s[60:61], exec, s[60:61]
	s_cbranch_execz .LBB186_27
; %bb.16:                               ;   in Loop: Header=BB186_4 Depth=1
	v_cmp_le_f64_e32 vcc, 1.0, v[86:87]
                                        ; implicit-def: $vgpr78_vgpr79
                                        ; implicit-def: $vgpr80_vgpr81
	s_and_saveexec_b64 s[12:13], vcc
	s_xor_b64 s[12:13], exec, s[12:13]
	s_cbranch_execz .LBB186_18
; %bb.17:                               ;   in Loop: Header=BB186_4 Depth=1
	v_add_f64 v[78:79], v[86:87], -1.0
	v_add_f64 v[80:81], v[86:87], 1.0
	v_mul_f64 v[80:81], v[78:79], v[80:81]
	v_fmac_f64_e32 v[80:81], v[82:83], v[82:83]
	v_add_f64 v[78:79], v[80:81], 1.0
	v_add_f64 v[82:83], v[78:79], -1.0
	v_add_f64 v[84:85], v[82:83], -v[78:79]
	v_add_f64 v[84:85], v[84:85], 1.0
	v_add_f64 v[82:83], v[80:81], -v[82:83]
	v_add_f64 v[82:83], v[82:83], v[84:85]
	v_frexp_mant_f64_e32 v[84:85], v[78:79]
	v_frexp_exp_i32_f64_e32 v1, v[78:79]
	v_cmp_gt_f64_e32 vcc, s[28:29], v[84:85]
	v_subbrev_co_u32_e32 v1, vcc, 0, v1, vcc
	v_sub_u32_e32 v69, 0, v1
	v_ldexp_f64 v[78:79], v[78:79], v69
	v_add_f64 v[84:85], v[78:79], -1.0
	v_add_f64 v[90:91], v[78:79], 1.0
	v_add_f64 v[86:87], v[84:85], 1.0
	v_add_f64 v[92:93], v[90:91], -1.0
	v_ldexp_f64 v[82:83], v[82:83], v69
	v_add_f64 v[86:87], v[78:79], -v[86:87]
	v_add_f64 v[78:79], v[78:79], -v[92:93]
	v_add_f64 v[78:79], v[82:83], v[78:79]
	v_add_f64 v[86:87], v[82:83], v[86:87]
	v_add_f64 v[82:83], v[90:91], v[78:79]
	v_rcp_f64_e32 v[92:93], v[82:83]
	v_add_f64 v[88:89], v[84:85], v[86:87]
	v_add_f64 v[84:85], v[88:89], -v[84:85]
	v_add_f64 v[84:85], v[86:87], -v[84:85]
	v_add_f64 v[86:87], v[82:83], -v[90:91]
	v_add_f64 v[78:79], v[78:79], -v[86:87]
	v_fma_f64 v[86:87], -v[82:83], v[92:93], 1.0
	v_fmac_f64_e32 v[92:93], v[86:87], v[92:93]
	v_fma_f64 v[86:87], -v[82:83], v[92:93], 1.0
	v_fmac_f64_e32 v[92:93], v[86:87], v[92:93]
	v_mul_f64 v[86:87], v[88:89], v[92:93]
	v_mul_f64 v[90:91], v[82:83], v[86:87]
	v_fma_f64 v[94:95], v[86:87], v[82:83], -v[90:91]
	v_fmac_f64_e32 v[94:95], v[86:87], v[78:79]
	v_add_f64 v[96:97], v[90:91], v[94:95]
	v_add_f64 v[98:99], v[88:89], -v[96:97]
	v_add_f64 v[88:89], v[88:89], -v[98:99]
	;; [unrolled: 1-line block ×4, first 2 shown]
	v_add_f64 v[84:85], v[84:85], v[88:89]
	v_add_f64 v[88:89], v[90:91], -v[94:95]
	v_add_f64 v[84:85], v[88:89], v[84:85]
	v_add_f64 v[88:89], v[98:99], v[84:85]
	v_add_f64 v[90:91], v[98:99], -v[88:89]
	v_add_f64 v[84:85], v[84:85], v[90:91]
	v_mul_f64 v[90:91], v[92:93], v[88:89]
	v_mul_f64 v[94:95], v[82:83], v[90:91]
	v_fma_f64 v[82:83], v[90:91], v[82:83], -v[94:95]
	v_fmac_f64_e32 v[82:83], v[90:91], v[78:79]
	v_add_f64 v[78:79], v[94:95], v[82:83]
	v_add_f64 v[96:97], v[88:89], -v[78:79]
	v_add_f64 v[88:89], v[88:89], -v[96:97]
	;; [unrolled: 1-line block ×4, first 2 shown]
	v_add_f64 v[78:79], v[84:85], v[78:79]
	v_add_f64 v[82:83], v[94:95], -v[82:83]
	v_add_f64 v[78:79], v[82:83], v[78:79]
	v_add_f64 v[82:83], v[86:87], v[90:91]
	;; [unrolled: 1-line block ×3, first 2 shown]
	v_add_f64 v[84:85], v[82:83], -v[86:87]
	v_mul_f64 v[78:79], v[92:93], v[78:79]
	v_add_f64 v[84:85], v[90:91], -v[84:85]
	v_add_f64 v[78:79], v[84:85], v[78:79]
	v_add_f64 v[84:85], v[82:83], v[78:79]
	v_add_f64 v[82:83], v[84:85], -v[82:83]
	v_add_f64 v[78:79], v[78:79], -v[82:83]
	v_mul_f64 v[82:83], v[84:85], v[84:85]
	v_pk_mov_b32 v[86:87], v[18:19], v[18:19] op_sel:[0,1]
	v_fmac_f64_e32 v[86:87], s[30:31], v[82:83]
	v_pk_mov_b32 v[88:89], v[20:21], v[20:21] op_sel:[0,1]
	v_fmac_f64_e32 v[88:89], v[82:83], v[86:87]
	;; [unrolled: 2-line block ×6, first 2 shown]
	v_cvt_f64_i32_e32 v[86:87], v1
	v_mul_f64 v[90:91], v[86:87], s[34:35]
	v_fma_f64 v[92:93], v[86:87], s[34:35], -v[90:91]
	v_fmac_f64_e32 v[92:93], s[36:37], v[86:87]
	v_add_f64 v[86:87], v[90:91], v[92:93]
	v_add_f64 v[90:91], v[86:87], -v[90:91]
	v_mul_f64 v[82:83], v[84:85], v[82:83]
	v_add_f64 v[90:91], v[92:93], -v[90:91]
	v_ldexp_f64 v[92:93], v[84:85], 1
	v_mul_f64 v[82:83], v[82:83], v[88:89]
	v_add_f64 v[84:85], v[92:93], v[82:83]
	v_add_f64 v[88:89], v[84:85], -v[92:93]
	v_ldexp_f64 v[78:79], v[78:79], 1
	v_add_f64 v[82:83], v[82:83], -v[88:89]
	v_add_f64 v[78:79], v[78:79], v[82:83]
	v_add_f64 v[82:83], v[84:85], v[78:79]
	v_add_f64 v[84:85], v[82:83], -v[84:85]
	v_add_f64 v[78:79], v[78:79], -v[84:85]
	v_add_f64 v[84:85], v[86:87], v[82:83]
	v_add_f64 v[88:89], v[84:85], -v[86:87]
	v_add_f64 v[92:93], v[84:85], -v[88:89]
	;; [unrolled: 1-line block ×4, first 2 shown]
	v_add_f64 v[82:83], v[82:83], v[86:87]
	v_add_f64 v[86:87], v[90:91], v[78:79]
	v_add_f64 v[88:89], v[86:87], -v[90:91]
	v_add_f64 v[82:83], v[86:87], v[82:83]
	v_add_f64 v[92:93], v[86:87], -v[88:89]
	;; [unrolled: 2-line block ×3, first 2 shown]
	v_add_f64 v[78:79], v[78:79], -v[88:89]
	v_add_f64 v[84:85], v[86:87], -v[84:85]
	v_add_f64 v[78:79], v[78:79], v[90:91]
	v_add_f64 v[82:83], v[82:83], -v[84:85]
	v_add_f64 v[78:79], v[78:79], v[82:83]
	v_max_f64 v[82:83], |v[16:17]|, |v[16:17]|
	v_max_f64 v[84:85], |v[14:15]|, |v[14:15]|
	v_add_f64 v[78:79], v[86:87], v[78:79]
	v_max_f64 v[86:87], v[84:85], v[82:83]
	v_min_f64 v[82:83], v[84:85], v[82:83]
	v_div_scale_f64 v[84:85], s[62:63], v[86:87], v[86:87], v[82:83]
	v_cmp_eq_f64_e32 vcc, s[38:39], v[80:81]
	v_rcp_f64_e32 v[88:89], v[84:85]
	v_cndmask_b32_e32 v79, v79, v81, vcc
	v_cndmask_b32_e32 v78, v78, v80, vcc
	v_mul_f64 v[78:79], v[78:79], 0.5
	v_cmp_ngt_f64_e32 vcc, -1.0, v[80:81]
	v_cndmask_b32_e32 v1, v112, v79, vcc
	v_cmp_nge_f64_e32 vcc, -1.0, v[80:81]
	v_cndmask_b32_e32 v78, 0, v78, vcc
	v_cmp_neq_f64_e32 vcc, -1.0, v[80:81]
	v_fma_f64 v[80:81], -v[84:85], v[88:89], 1.0
	v_fmac_f64_e32 v[88:89], v[88:89], v[80:81]
	v_fma_f64 v[80:81], -v[84:85], v[88:89], 1.0
	v_cndmask_b32_e32 v79, v113, v1, vcc
	v_fmac_f64_e32 v[88:89], v[88:89], v[80:81]
	v_div_scale_f64 v[80:81], vcc, v[82:83], v[86:87], v[82:83]
	v_mul_f64 v[90:91], v[80:81], v[88:89]
	v_fma_f64 v[80:81], -v[84:85], v[90:91], v[80:81]
	v_pk_mov_b32 v[84:85], v[30:31], v[30:31] op_sel:[0,1]
	s_nop 0
	v_div_fmas_f64 v[80:81], v[80:81], v[88:89], v[90:91]
	v_div_fixup_f64 v[80:81], v[80:81], v[86:87], v[82:83]
	v_mul_f64 v[82:83], v[80:81], v[80:81]
	v_fmac_f64_e32 v[84:85], s[40:41], v[82:83]
	v_pk_mov_b32 v[86:87], v[32:33], v[32:33] op_sel:[0,1]
	v_fmac_f64_e32 v[86:87], v[82:83], v[84:85]
	v_pk_mov_b32 v[84:85], v[34:35], v[34:35] op_sel:[0,1]
	;; [unrolled: 2-line block ×18, first 2 shown]
	v_fmac_f64_e32 v[84:85], v[82:83], v[86:87]
	v_cmp_gt_i32_e32 vcc, 0, v15
	v_mul_f64 v[82:83], v[82:83], v[84:85]
	v_cmp_class_f64_e64 s[64:65], v[14:15], s77
	v_cndmask_b32_e32 v14, v116, v117, vcc
	v_fmac_f64_e32 v[80:81], v[80:81], v[82:83]
	v_bfi_b32 v69, s76, v14, v17
	v_ashrrev_i32_e32 v14, 31, v15
	v_and_b32_e32 v82, 0x400921fb, v14
	v_and_b32_e32 v83, 0x54442d18, v14
	v_add_f64 v[14:15], -v[80:81], s[42:43]
	v_cndmask_b32_e64 v15, v81, v15, s[10:11]
	v_cndmask_b32_e64 v14, v80, v14, s[10:11]
	s_mov_b32 s44, s42
	v_add_f64 v[80:81], -v[14:15], s[44:45]
	v_cmp_class_f64_e64 s[62:63], v[16:17], s77
	v_cndmask_b32_e32 v1, v114, v115, vcc
	v_cndmask_b32_e32 v15, v15, v81, vcc
	;; [unrolled: 1-line block ×3, first 2 shown]
	v_cmp_eq_f64_e32 vcc, 0, v[16:17]
	v_cndmask_b32_e32 v14, v14, v83, vcc
	v_cndmask_b32_e32 v15, v15, v82, vcc
	s_and_b64 vcc, s[62:63], s[64:65]
	v_cndmask_b32_e32 v81, v15, v69, vcc
	v_cndmask_b32_e32 v80, v14, v1, vcc
                                        ; implicit-def: $vgpr82_vgpr83
                                        ; implicit-def: $vgpr86_vgpr87
.LBB186_18:                             ;   in Loop: Header=BB186_4 Depth=1
	s_andn2_saveexec_b64 s[62:63], s[12:13]
	s_cbranch_execz .LBB186_26
; %bb.19:                               ;   in Loop: Header=BB186_4 Depth=1
	v_mul_f64 v[84:85], v[82:83], v[82:83]
	v_fmac_f64_e32 v[84:85], v[86:87], v[86:87]
	v_cmp_ge_f64_e32 vcc, s[46:47], v[84:85]
                                        ; implicit-def: $vgpr78_vgpr79
                                        ; implicit-def: $vgpr80_vgpr81
	s_and_saveexec_b64 s[12:13], vcc
	s_xor_b64 s[12:13], exec, s[12:13]
	s_cbranch_execz .LBB186_21
; %bb.20:                               ;   in Loop: Header=BB186_4 Depth=1
	v_frexp_mant_f64_e32 v[78:79], v[84:85]
	v_cmp_gt_f64_e32 vcc, s[28:29], v[78:79]
	v_cndmask_b32_e64 v69, v118, 2.0, vcc
	v_mul_f64 v[78:79], v[78:79], v[68:69]
	v_add_f64 v[80:81], v[78:79], 1.0
	v_rcp_f64_e32 v[82:83], v[80:81]
	v_add_f64 v[88:89], v[80:81], -1.0
	v_add_f64 v[86:87], v[78:79], -1.0
	v_add_f64 v[78:79], v[78:79], -v[88:89]
	v_fma_f64 v[88:89], -v[80:81], v[82:83], 1.0
	v_fmac_f64_e32 v[82:83], v[88:89], v[82:83]
	v_fma_f64 v[88:89], -v[80:81], v[82:83], 1.0
	v_fmac_f64_e32 v[82:83], v[88:89], v[82:83]
	v_mul_f64 v[88:89], v[86:87], v[82:83]
	v_mul_f64 v[90:91], v[80:81], v[88:89]
	v_fma_f64 v[80:81], v[88:89], v[80:81], -v[90:91]
	v_fmac_f64_e32 v[80:81], v[88:89], v[78:79]
	v_add_f64 v[78:79], v[90:91], v[80:81]
	v_add_f64 v[92:93], v[86:87], -v[78:79]
	v_add_f64 v[90:91], v[78:79], -v[90:91]
	;; [unrolled: 1-line block ×5, first 2 shown]
	v_add_f64 v[78:79], v[80:81], v[78:79]
	v_add_f64 v[78:79], v[92:93], v[78:79]
	v_mul_f64 v[78:79], v[82:83], v[78:79]
	v_add_f64 v[80:81], v[88:89], v[78:79]
	v_add_f64 v[82:83], v[80:81], -v[88:89]
	v_add_f64 v[78:79], v[78:79], -v[82:83]
	v_mul_f64 v[82:83], v[80:81], v[80:81]
	v_pk_mov_b32 v[86:87], v[18:19], v[18:19] op_sel:[0,1]
	v_fmac_f64_e32 v[86:87], s[30:31], v[82:83]
	v_pk_mov_b32 v[88:89], v[20:21], v[20:21] op_sel:[0,1]
	v_fmac_f64_e32 v[88:89], v[82:83], v[86:87]
	;; [unrolled: 2-line block ×6, first 2 shown]
	v_ldexp_f64 v[86:87], v[80:81], 1
	v_mul_f64 v[80:81], v[80:81], v[82:83]
	v_mul_f64 v[80:81], v[80:81], v[88:89]
	v_add_f64 v[82:83], v[86:87], v[80:81]
	v_add_f64 v[86:87], v[82:83], -v[86:87]
	v_ldexp_f64 v[78:79], v[78:79], 1
	v_add_f64 v[80:81], v[80:81], -v[86:87]
	v_add_f64 v[78:79], v[78:79], v[80:81]
	v_frexp_exp_i32_f64_e32 v1, v[84:85]
	v_add_f64 v[80:81], v[82:83], v[78:79]
	v_subbrev_co_u32_e32 v1, vcc, 0, v1, vcc
	v_add_f64 v[82:83], v[80:81], -v[82:83]
	v_add_f64 v[78:79], v[78:79], -v[82:83]
	v_cvt_f64_i32_e32 v[82:83], v1
	v_mul_f64 v[86:87], v[82:83], s[34:35]
	v_fma_f64 v[88:89], v[82:83], s[34:35], -v[86:87]
	v_fmac_f64_e32 v[88:89], s[36:37], v[82:83]
	v_add_f64 v[82:83], v[86:87], v[88:89]
	v_add_f64 v[86:87], v[82:83], -v[86:87]
	v_add_f64 v[86:87], v[88:89], -v[86:87]
	v_add_f64 v[88:89], v[82:83], v[80:81]
	v_add_f64 v[90:91], v[88:89], -v[82:83]
	v_add_f64 v[92:93], v[88:89], -v[90:91]
	;; [unrolled: 1-line block ×4, first 2 shown]
	v_add_f64 v[80:81], v[80:81], v[82:83]
	v_add_f64 v[82:83], v[86:87], v[78:79]
	v_add_f64 v[90:91], v[82:83], -v[86:87]
	v_add_f64 v[92:93], v[82:83], -v[90:91]
	v_add_f64 v[80:81], v[82:83], v[80:81]
	v_add_f64 v[86:87], v[86:87], -v[92:93]
	v_add_f64 v[78:79], v[78:79], -v[90:91]
	v_add_f64 v[82:83], v[88:89], v[80:81]
	v_add_f64 v[78:79], v[78:79], v[86:87]
	v_add_f64 v[86:87], v[82:83], -v[88:89]
	v_add_f64 v[80:81], v[80:81], -v[86:87]
	v_add_f64 v[78:79], v[78:79], v[80:81]
	v_add_f64 v[78:79], v[82:83], v[78:79]
	v_max_f64 v[80:81], |v[16:17]|, |v[16:17]|
	v_max_f64 v[82:83], |v[14:15]|, |v[14:15]|
	v_max_f64 v[86:87], v[82:83], v[80:81]
	v_min_f64 v[80:81], v[82:83], v[80:81]
	v_div_scale_f64 v[82:83], s[64:65], v[86:87], v[86:87], v[80:81]
	v_rcp_f64_e32 v[88:89], v[82:83]
	v_cmp_neq_f64_e32 vcc, 0, v[84:85]
	v_mul_f64 v[78:79], v[78:79], 0.5
	v_cndmask_b32_e32 v79, v113, v79, vcc
	v_fma_f64 v[84:85], -v[82:83], v[88:89], 1.0
	v_fmac_f64_e32 v[88:89], v[88:89], v[84:85]
	v_fma_f64 v[84:85], -v[82:83], v[88:89], 1.0
	v_cndmask_b32_e32 v78, 0, v78, vcc
	v_fmac_f64_e32 v[88:89], v[88:89], v[84:85]
	v_div_scale_f64 v[84:85], vcc, v[80:81], v[86:87], v[80:81]
	v_mul_f64 v[90:91], v[84:85], v[88:89]
	v_fma_f64 v[82:83], -v[82:83], v[90:91], v[84:85]
	v_pk_mov_b32 v[84:85], v[30:31], v[30:31] op_sel:[0,1]
	s_nop 0
	v_div_fmas_f64 v[82:83], v[82:83], v[88:89], v[90:91]
	v_div_fixup_f64 v[80:81], v[82:83], v[86:87], v[80:81]
	v_mul_f64 v[82:83], v[80:81], v[80:81]
	v_fmac_f64_e32 v[84:85], s[40:41], v[82:83]
	v_pk_mov_b32 v[86:87], v[32:33], v[32:33] op_sel:[0,1]
	v_fmac_f64_e32 v[86:87], v[82:83], v[84:85]
	v_pk_mov_b32 v[84:85], v[34:35], v[34:35] op_sel:[0,1]
	;; [unrolled: 2-line block ×18, first 2 shown]
	v_fmac_f64_e32 v[84:85], v[82:83], v[86:87]
	v_cmp_gt_i32_e32 vcc, 0, v15
	v_mul_f64 v[82:83], v[82:83], v[84:85]
	v_cmp_class_f64_e64 s[66:67], v[14:15], s77
	v_cndmask_b32_e32 v14, v116, v117, vcc
	v_fmac_f64_e32 v[80:81], v[80:81], v[82:83]
	v_bfi_b32 v69, s76, v14, v17
	v_ashrrev_i32_e32 v14, 31, v15
	v_and_b32_e32 v82, 0x400921fb, v14
	v_and_b32_e32 v83, 0x54442d18, v14
	v_add_f64 v[14:15], -v[80:81], s[42:43]
	v_cndmask_b32_e64 v15, v81, v15, s[10:11]
	v_cndmask_b32_e64 v14, v80, v14, s[10:11]
	s_mov_b32 s44, s42
	v_add_f64 v[80:81], -v[14:15], s[44:45]
	v_cmp_class_f64_e64 s[64:65], v[16:17], s77
	v_cndmask_b32_e32 v1, v114, v115, vcc
	v_cndmask_b32_e32 v15, v15, v81, vcc
	;; [unrolled: 1-line block ×3, first 2 shown]
	v_cmp_eq_f64_e32 vcc, 0, v[16:17]
	v_cndmask_b32_e32 v14, v14, v83, vcc
	v_cndmask_b32_e32 v15, v15, v82, vcc
	s_and_b64 vcc, s[64:65], s[66:67]
	v_cndmask_b32_e32 v81, v15, v69, vcc
	v_cndmask_b32_e32 v80, v14, v1, vcc
                                        ; implicit-def: $vgpr86_vgpr87
                                        ; implicit-def: $vgpr82_vgpr83
.LBB186_21:                             ;   in Loop: Header=BB186_4 Depth=1
	s_andn2_saveexec_b64 s[64:65], s[12:13]
	s_cbranch_execz .LBB186_25
; %bb.22:                               ;   in Loop: Header=BB186_4 Depth=1
	v_and_b32_e32 v69, 0x7ffffff8, v87
	v_add_f64 v[78:79], v[86:87], -v[68:69]
	v_and_b32_e32 v95, -8, v79
	v_mov_b32_e32 v94, v68
	v_and_b32_e32 v85, 0x7ffffff8, v83
	v_mov_b32_e32 v84, v68
	v_add_f64 v[98:99], v[78:79], -v[94:95]
	v_add_f64 v[78:79], v[82:83], -v[84:85]
	v_and_b32_e32 v97, -8, v79
	v_mov_b32_e32 v96, v68
	v_add_f64 v[88:89], v[68:69], v[68:69]
	v_add_f64 v[102:103], v[84:85], v[84:85]
	v_add_f64 v[100:101], v[78:79], -v[96:97]
	v_mul_f64 v[80:81], v[84:85], v[84:85]
	v_mul_f64 v[86:87], v[88:89], v[94:95]
	;; [unrolled: 1-line block ×5, first 2 shown]
	v_add_f64 v[94:95], v[94:95], v[94:95]
	v_add_f64 v[96:97], v[96:97], v[96:97]
	v_mul_f64 v[78:79], v[68:69], v[68:69]
	v_mul_f64 v[90:91], v[88:89], v[98:99]
	;; [unrolled: 1-line block ×7, first 2 shown]
	s_mov_b64 s[66:67], 0
.LBB186_23:                             ;   Parent Loop BB186_4 Depth=1
                                        ; =>  This Inner Loop Header: Depth=2
	v_cmp_nlt_f64_e32 vcc, v[78:79], v[80:81]
	v_cndmask_b32_e32 v103, v79, v81, vcc
	v_cndmask_b32_e32 v102, v78, v80, vcc
	v_cmp_nlt_f64_e64 s[12:13], v[102:103], v[86:87]
	v_cndmask_b32_e64 v105, v103, v87, s[12:13]
	v_cndmask_b32_e64 v104, v102, v86, s[12:13]
	v_cndmask_b32_e32 v79, v81, v79, vcc
	v_cndmask_b32_e32 v78, v80, v78, vcc
	s_and_b64 s[68:69], vcc, s[12:13]
	v_cmp_nlt_f64_e32 vcc, v[104:105], v[84:85]
	v_cndmask_b32_e64 v81, v87, v103, s[12:13]
	v_cndmask_b32_e64 v80, v86, v102, s[12:13]
	v_cndmask_b32_e32 v103, v105, v85, vcc
	v_cndmask_b32_e32 v102, v104, v84, vcc
	v_cmp_nlt_f64_e64 s[12:13], v[102:103], v[92:93]
	v_cndmask_b32_e32 v87, v85, v105, vcc
	v_cndmask_b32_e32 v86, v84, v104, vcc
	v_cndmask_b32_e64 v105, v103, v93, s[12:13]
	v_cndmask_b32_e64 v104, v102, v92, s[12:13]
	s_and_b64 s[78:79], vcc, s[12:13]
	v_cmp_nlt_f64_e32 vcc, v[104:105], v[82:83]
	v_cndmask_b32_e64 v85, v93, v103, s[12:13]
	v_cndmask_b32_e64 v84, v92, v102, s[12:13]
	v_cndmask_b32_e32 v103, v105, v83, vcc
	v_cndmask_b32_e32 v102, v104, v82, vcc
	v_cmp_nlt_f64_e64 s[12:13], v[102:103], v[90:91]
	v_cndmask_b32_e32 v93, v83, v105, vcc
	v_cndmask_b32_e32 v92, v82, v104, vcc
	v_cndmask_b32_e64 v105, v103, v91, s[12:13]
	v_cndmask_b32_e64 v104, v102, v90, s[12:13]
	;; [unrolled: 1-line block ×4, first 2 shown]
	s_and_b64 s[12:13], vcc, s[12:13]
	v_cmp_nlt_f64_e32 vcc, v[104:105], v[88:89]
	v_cndmask_b32_e32 v103, v105, v89, vcc
	v_cndmask_b32_e32 v102, v104, v88, vcc
	v_cndmask_b32_e32 v91, v89, v105, vcc
	v_cndmask_b32_e32 v90, v88, v104, vcc
	s_and_b64 s[12:13], s[12:13], vcc
	v_cmp_nlt_f64_e32 vcc, v[102:103], v[94:95]
	v_cndmask_b32_e32 v105, v103, v95, vcc
	v_cndmask_b32_e32 v104, v102, v94, vcc
	v_cndmask_b32_e32 v89, v95, v103, vcc
	v_cndmask_b32_e32 v88, v94, v102, vcc
	s_and_b64 s[12:13], s[12:13], vcc
	;; [unrolled: 6-line block ×4, first 2 shown]
	v_cmp_nlt_f64_e32 vcc, v[104:105], v[100:101]
	s_and_b64 s[12:13], s[12:13], vcc
	s_and_b64 s[12:13], s[12:13], s[78:79]
	s_and_b64 s[12:13], s[12:13], s[68:69]
	v_cndmask_b32_e32 v103, v105, v101, vcc
	v_cndmask_b32_e32 v102, v104, v100, vcc
	s_and_b64 s[12:13], exec, s[12:13]
	v_cndmask_b32_e32 v99, v101, v105, vcc
	v_cndmask_b32_e32 v98, v100, v104, vcc
	s_or_b64 s[66:67], s[12:13], s[66:67]
	v_pk_mov_b32 v[100:101], v[102:103], v[102:103] op_sel:[0,1]
	s_andn2_b64 exec, exec, s[66:67]
	s_cbranch_execnz .LBB186_23
; %bb.24:                               ;   in Loop: Header=BB186_4 Depth=1
	s_or_b64 exec, exec, s[66:67]
	v_add_f64 v[78:79], v[78:79], -1.0
	v_add_f64 v[78:79], v[78:79], v[80:81]
	v_add_f64 v[78:79], v[78:79], v[86:87]
	;; [unrolled: 1-line block ×11, first 2 shown]
	v_add_f64 v[78:79], v[80:81], 1.0
	v_add_f64 v[82:83], v[78:79], -1.0
	v_add_f64 v[84:85], v[82:83], -v[78:79]
	v_add_f64 v[84:85], v[84:85], 1.0
	v_add_f64 v[82:83], v[80:81], -v[82:83]
	v_add_f64 v[82:83], v[82:83], v[84:85]
	v_frexp_mant_f64_e32 v[84:85], v[78:79]
	v_frexp_exp_i32_f64_e32 v1, v[78:79]
	v_cmp_gt_f64_e32 vcc, s[28:29], v[84:85]
	v_subbrev_co_u32_e32 v1, vcc, 0, v1, vcc
	v_sub_u32_e32 v69, 0, v1
	v_ldexp_f64 v[78:79], v[78:79], v69
	v_add_f64 v[84:85], v[78:79], -1.0
	v_add_f64 v[90:91], v[78:79], 1.0
	v_add_f64 v[86:87], v[84:85], 1.0
	v_add_f64 v[92:93], v[90:91], -1.0
	v_ldexp_f64 v[82:83], v[82:83], v69
	v_add_f64 v[86:87], v[78:79], -v[86:87]
	v_add_f64 v[78:79], v[78:79], -v[92:93]
	v_add_f64 v[78:79], v[82:83], v[78:79]
	v_add_f64 v[86:87], v[82:83], v[86:87]
	;; [unrolled: 1-line block ×3, first 2 shown]
	v_rcp_f64_e32 v[92:93], v[82:83]
	v_add_f64 v[88:89], v[84:85], v[86:87]
	v_add_f64 v[84:85], v[88:89], -v[84:85]
	v_add_f64 v[84:85], v[86:87], -v[84:85]
	;; [unrolled: 1-line block ×4, first 2 shown]
	v_fma_f64 v[86:87], -v[82:83], v[92:93], 1.0
	v_fmac_f64_e32 v[92:93], v[86:87], v[92:93]
	v_fma_f64 v[86:87], -v[82:83], v[92:93], 1.0
	v_fmac_f64_e32 v[92:93], v[86:87], v[92:93]
	v_mul_f64 v[86:87], v[88:89], v[92:93]
	v_mul_f64 v[90:91], v[82:83], v[86:87]
	v_fma_f64 v[94:95], v[86:87], v[82:83], -v[90:91]
	v_fmac_f64_e32 v[94:95], v[86:87], v[78:79]
	v_add_f64 v[96:97], v[90:91], v[94:95]
	v_add_f64 v[98:99], v[88:89], -v[96:97]
	v_add_f64 v[88:89], v[88:89], -v[98:99]
	;; [unrolled: 1-line block ×4, first 2 shown]
	v_add_f64 v[84:85], v[84:85], v[88:89]
	v_add_f64 v[88:89], v[90:91], -v[94:95]
	v_add_f64 v[84:85], v[88:89], v[84:85]
	v_add_f64 v[88:89], v[98:99], v[84:85]
	v_add_f64 v[90:91], v[98:99], -v[88:89]
	v_add_f64 v[84:85], v[84:85], v[90:91]
	v_mul_f64 v[90:91], v[92:93], v[88:89]
	v_mul_f64 v[94:95], v[82:83], v[90:91]
	v_fma_f64 v[82:83], v[90:91], v[82:83], -v[94:95]
	v_fmac_f64_e32 v[82:83], v[90:91], v[78:79]
	v_add_f64 v[78:79], v[94:95], v[82:83]
	v_add_f64 v[96:97], v[88:89], -v[78:79]
	v_add_f64 v[88:89], v[88:89], -v[96:97]
	;; [unrolled: 1-line block ×4, first 2 shown]
	v_add_f64 v[78:79], v[84:85], v[78:79]
	v_add_f64 v[82:83], v[94:95], -v[82:83]
	v_add_f64 v[78:79], v[82:83], v[78:79]
	v_add_f64 v[82:83], v[86:87], v[90:91]
	;; [unrolled: 1-line block ×3, first 2 shown]
	v_add_f64 v[84:85], v[82:83], -v[86:87]
	v_mul_f64 v[78:79], v[92:93], v[78:79]
	v_add_f64 v[84:85], v[90:91], -v[84:85]
	v_add_f64 v[78:79], v[84:85], v[78:79]
	v_add_f64 v[84:85], v[82:83], v[78:79]
	v_add_f64 v[82:83], v[84:85], -v[82:83]
	v_add_f64 v[78:79], v[78:79], -v[82:83]
	v_mul_f64 v[82:83], v[84:85], v[84:85]
	v_pk_mov_b32 v[86:87], v[18:19], v[18:19] op_sel:[0,1]
	v_fmac_f64_e32 v[86:87], s[30:31], v[82:83]
	v_pk_mov_b32 v[88:89], v[20:21], v[20:21] op_sel:[0,1]
	v_fmac_f64_e32 v[88:89], v[82:83], v[86:87]
	;; [unrolled: 2-line block ×6, first 2 shown]
	v_cvt_f64_i32_e32 v[86:87], v1
	v_mul_f64 v[90:91], v[86:87], s[34:35]
	v_fma_f64 v[92:93], v[86:87], s[34:35], -v[90:91]
	v_fmac_f64_e32 v[92:93], s[36:37], v[86:87]
	v_add_f64 v[86:87], v[90:91], v[92:93]
	v_add_f64 v[90:91], v[86:87], -v[90:91]
	v_mul_f64 v[82:83], v[84:85], v[82:83]
	v_add_f64 v[90:91], v[92:93], -v[90:91]
	v_ldexp_f64 v[92:93], v[84:85], 1
	v_mul_f64 v[82:83], v[82:83], v[88:89]
	v_add_f64 v[84:85], v[92:93], v[82:83]
	v_add_f64 v[88:89], v[84:85], -v[92:93]
	v_ldexp_f64 v[78:79], v[78:79], 1
	v_add_f64 v[82:83], v[82:83], -v[88:89]
	v_add_f64 v[78:79], v[78:79], v[82:83]
	v_add_f64 v[82:83], v[84:85], v[78:79]
	v_add_f64 v[84:85], v[82:83], -v[84:85]
	v_add_f64 v[78:79], v[78:79], -v[84:85]
	v_add_f64 v[84:85], v[86:87], v[82:83]
	v_add_f64 v[88:89], v[84:85], -v[86:87]
	v_add_f64 v[92:93], v[84:85], -v[88:89]
	;; [unrolled: 1-line block ×4, first 2 shown]
	v_add_f64 v[82:83], v[82:83], v[86:87]
	v_add_f64 v[86:87], v[90:91], v[78:79]
	v_add_f64 v[88:89], v[86:87], -v[90:91]
	v_add_f64 v[82:83], v[86:87], v[82:83]
	v_add_f64 v[92:93], v[86:87], -v[88:89]
	;; [unrolled: 2-line block ×3, first 2 shown]
	v_add_f64 v[78:79], v[78:79], -v[88:89]
	v_add_f64 v[84:85], v[86:87], -v[84:85]
	v_add_f64 v[78:79], v[78:79], v[90:91]
	v_add_f64 v[82:83], v[82:83], -v[84:85]
	v_add_f64 v[78:79], v[78:79], v[82:83]
	v_max_f64 v[82:83], |v[16:17]|, |v[16:17]|
	v_max_f64 v[84:85], |v[14:15]|, |v[14:15]|
	v_add_f64 v[78:79], v[86:87], v[78:79]
	v_max_f64 v[86:87], v[84:85], v[82:83]
	v_min_f64 v[82:83], v[84:85], v[82:83]
	v_div_scale_f64 v[84:85], s[12:13], v[86:87], v[86:87], v[82:83]
	v_cmp_eq_f64_e32 vcc, s[38:39], v[80:81]
	v_rcp_f64_e32 v[88:89], v[84:85]
	v_cndmask_b32_e32 v79, v79, v81, vcc
	v_cndmask_b32_e32 v78, v78, v80, vcc
	v_mul_f64 v[78:79], v[78:79], 0.5
	v_cmp_ngt_f64_e32 vcc, -1.0, v[80:81]
	v_cndmask_b32_e32 v1, v112, v79, vcc
	v_cmp_nge_f64_e32 vcc, -1.0, v[80:81]
	v_cndmask_b32_e32 v78, 0, v78, vcc
	v_cmp_neq_f64_e32 vcc, -1.0, v[80:81]
	v_fma_f64 v[80:81], -v[84:85], v[88:89], 1.0
	v_fmac_f64_e32 v[88:89], v[88:89], v[80:81]
	v_fma_f64 v[80:81], -v[84:85], v[88:89], 1.0
	v_cndmask_b32_e32 v79, v113, v1, vcc
	v_fmac_f64_e32 v[88:89], v[88:89], v[80:81]
	v_div_scale_f64 v[80:81], vcc, v[82:83], v[86:87], v[82:83]
	v_mul_f64 v[90:91], v[80:81], v[88:89]
	v_fma_f64 v[80:81], -v[84:85], v[90:91], v[80:81]
	v_pk_mov_b32 v[84:85], v[30:31], v[30:31] op_sel:[0,1]
	s_nop 0
	v_div_fmas_f64 v[80:81], v[80:81], v[88:89], v[90:91]
	v_div_fixup_f64 v[80:81], v[80:81], v[86:87], v[82:83]
	v_mul_f64 v[82:83], v[80:81], v[80:81]
	v_fmac_f64_e32 v[84:85], s[40:41], v[82:83]
	v_pk_mov_b32 v[86:87], v[32:33], v[32:33] op_sel:[0,1]
	v_fmac_f64_e32 v[86:87], v[82:83], v[84:85]
	v_pk_mov_b32 v[84:85], v[34:35], v[34:35] op_sel:[0,1]
	;; [unrolled: 2-line block ×18, first 2 shown]
	v_fmac_f64_e32 v[84:85], v[82:83], v[86:87]
	v_cmp_gt_i32_e32 vcc, 0, v15
	v_mul_f64 v[82:83], v[82:83], v[84:85]
	v_cmp_class_f64_e64 s[66:67], v[14:15], s77
	v_cndmask_b32_e32 v14, v116, v117, vcc
	v_fmac_f64_e32 v[80:81], v[80:81], v[82:83]
	v_bfi_b32 v69, s76, v14, v17
	v_ashrrev_i32_e32 v14, 31, v15
	v_and_b32_e32 v82, 0x400921fb, v14
	v_and_b32_e32 v83, 0x54442d18, v14
	v_add_f64 v[14:15], -v[80:81], s[42:43]
	v_cndmask_b32_e64 v15, v81, v15, s[10:11]
	v_cndmask_b32_e64 v14, v80, v14, s[10:11]
	s_mov_b32 s44, s42
	v_add_f64 v[80:81], -v[14:15], s[44:45]
	v_cmp_class_f64_e64 s[12:13], v[16:17], s77
	v_cndmask_b32_e32 v1, v114, v115, vcc
	v_cndmask_b32_e32 v15, v15, v81, vcc
	;; [unrolled: 1-line block ×3, first 2 shown]
	v_cmp_eq_f64_e32 vcc, 0, v[16:17]
	v_cndmask_b32_e32 v14, v14, v83, vcc
	v_cndmask_b32_e32 v15, v15, v82, vcc
	s_and_b64 vcc, s[12:13], s[66:67]
	v_cndmask_b32_e32 v81, v15, v69, vcc
	v_cndmask_b32_e32 v80, v14, v1, vcc
.LBB186_25:                             ;   in Loop: Header=BB186_4 Depth=1
	s_or_b64 exec, exec, s[64:65]
.LBB186_26:                             ;   in Loop: Header=BB186_4 Depth=1
	s_or_b64 exec, exec, s[62:63]
.LBB186_27:                             ;   in Loop: Header=BB186_4 Depth=1
	s_andn2_saveexec_b64 s[60:61], s[60:61]
	s_cbranch_execz .LBB186_29
; %bb.28:                               ;   in Loop: Header=BB186_4 Depth=1
	v_max_f64 v[78:79], |v[16:17]|, |v[16:17]|
	v_max_f64 v[80:81], |v[14:15]|, |v[14:15]|
	v_max_f64 v[82:83], v[80:81], v[78:79]
	v_frexp_exp_i32_f64_e32 v1, v[82:83]
	v_sub_u32_e32 v69, 0, v1
	v_ldexp_f64 v[86:87], |v[16:17]|, v69
	v_ldexp_f64 v[84:85], |v[14:15]|, v69
	v_mul_f64 v[86:87], v[86:87], v[86:87]
	v_fmac_f64_e32 v[86:87], v[84:85], v[84:85]
	v_rsq_f64_e32 v[84:85], v[86:87]
	v_cmp_eq_f64_e32 vcc, 0, v[86:87]
	v_cmp_class_f64_e64 s[62:63], v[14:15], s77
	v_cmp_class_f64_e64 s[64:65], v[16:17], s77
	v_mul_f64 v[88:89], v[86:87], v[84:85]
	v_mul_f64 v[84:85], v[84:85], 0.5
	v_fma_f64 v[90:91], -v[84:85], v[88:89], 0.5
	v_fmac_f64_e32 v[88:89], v[88:89], v[90:91]
	v_fmac_f64_e32 v[84:85], v[84:85], v[90:91]
	v_fma_f64 v[90:91], -v[88:89], v[88:89], v[86:87]
	v_fmac_f64_e32 v[88:89], v[90:91], v[84:85]
	v_cndmask_b32_e32 v85, v89, v87, vcc
	v_cndmask_b32_e32 v84, v88, v86, vcc
	v_ldexp_f64 v[84:85], v[84:85], v1
	s_or_b64 vcc, s[64:65], s[62:63]
	v_cndmask_b32_e32 v87, v85, v119, vcc
	v_cndmask_b32_e64 v86, v84, 0, vcc
	v_frexp_mant_f64_e32 v[88:89], v[86:87]
	v_cmp_gt_f64_e64 s[12:13], s[28:29], v[88:89]
	v_cndmask_b32_e64 v69, v118, 2.0, s[12:13]
	v_mul_f64 v[88:89], v[88:89], v[68:69]
	v_add_f64 v[90:91], v[88:89], 1.0
	v_rcp_f64_e32 v[92:93], v[90:91]
	v_add_f64 v[96:97], v[90:91], -1.0
	v_add_f64 v[94:95], v[88:89], -1.0
	v_add_f64 v[88:89], v[88:89], -v[96:97]
	v_fma_f64 v[96:97], -v[90:91], v[92:93], 1.0
	v_fmac_f64_e32 v[92:93], v[96:97], v[92:93]
	v_fma_f64 v[96:97], -v[90:91], v[92:93], 1.0
	v_fmac_f64_e32 v[92:93], v[96:97], v[92:93]
	v_mul_f64 v[96:97], v[94:95], v[92:93]
	v_mul_f64 v[98:99], v[90:91], v[96:97]
	v_fma_f64 v[90:91], v[96:97], v[90:91], -v[98:99]
	v_fmac_f64_e32 v[90:91], v[96:97], v[88:89]
	v_add_f64 v[88:89], v[98:99], v[90:91]
	v_add_f64 v[100:101], v[94:95], -v[88:89]
	v_add_f64 v[98:99], v[88:89], -v[98:99]
	;; [unrolled: 1-line block ×5, first 2 shown]
	v_add_f64 v[88:89], v[90:91], v[88:89]
	v_add_f64 v[88:89], v[100:101], v[88:89]
	v_mul_f64 v[88:89], v[92:93], v[88:89]
	v_add_f64 v[90:91], v[96:97], v[88:89]
	v_add_f64 v[92:93], v[90:91], -v[96:97]
	v_add_f64 v[88:89], v[88:89], -v[92:93]
	v_mul_f64 v[92:93], v[90:91], v[90:91]
	v_pk_mov_b32 v[94:95], v[18:19], v[18:19] op_sel:[0,1]
	v_fmac_f64_e32 v[94:95], s[30:31], v[92:93]
	v_pk_mov_b32 v[96:97], v[20:21], v[20:21] op_sel:[0,1]
	v_fmac_f64_e32 v[96:97], v[92:93], v[94:95]
	;; [unrolled: 2-line block ×6, first 2 shown]
	v_ldexp_f64 v[94:95], v[90:91], 1
	v_mul_f64 v[90:91], v[90:91], v[92:93]
	v_mul_f64 v[90:91], v[90:91], v[96:97]
	v_add_f64 v[92:93], v[94:95], v[90:91]
	v_add_f64 v[94:95], v[92:93], -v[94:95]
	v_ldexp_f64 v[88:89], v[88:89], 1
	v_add_f64 v[90:91], v[90:91], -v[94:95]
	v_add_f64 v[88:89], v[88:89], v[90:91]
	v_frexp_exp_i32_f64_e32 v1, v[86:87]
	v_add_f64 v[90:91], v[92:93], v[88:89]
	v_subbrev_co_u32_e64 v1, s[12:13], 0, v1, s[12:13]
	v_add_f64 v[92:93], v[90:91], -v[92:93]
	v_add_f64 v[88:89], v[88:89], -v[92:93]
	v_cvt_f64_i32_e32 v[92:93], v1
	v_mul_f64 v[94:95], v[92:93], s[34:35]
	v_fma_f64 v[96:97], v[92:93], s[34:35], -v[94:95]
	v_fmac_f64_e32 v[96:97], s[36:37], v[92:93]
	v_add_f64 v[92:93], v[94:95], v[96:97]
	v_add_f64 v[94:95], v[92:93], -v[94:95]
	v_add_f64 v[94:95], v[96:97], -v[94:95]
	v_add_f64 v[96:97], v[92:93], v[90:91]
	v_add_f64 v[98:99], v[96:97], -v[92:93]
	v_add_f64 v[100:101], v[96:97], -v[98:99]
	;; [unrolled: 1-line block ×4, first 2 shown]
	v_add_f64 v[90:91], v[90:91], v[92:93]
	v_add_f64 v[92:93], v[94:95], v[88:89]
	v_add_f64 v[98:99], v[92:93], -v[94:95]
	v_add_f64 v[100:101], v[92:93], -v[98:99]
	v_add_f64 v[90:91], v[92:93], v[90:91]
	v_add_f64 v[94:95], v[94:95], -v[100:101]
	v_add_f64 v[88:89], v[88:89], -v[98:99]
	v_add_f64 v[92:93], v[96:97], v[90:91]
	v_add_f64 v[88:89], v[88:89], v[94:95]
	v_add_f64 v[94:95], v[92:93], -v[96:97]
	v_add_f64 v[90:91], v[90:91], -v[94:95]
	v_add_f64 v[88:89], v[88:89], v[90:91]
	v_add_f64 v[88:89], v[92:93], v[88:89]
	v_cmp_class_f64_e64 s[12:13], v[84:85], s77
	v_min_f64 v[80:81], v[80:81], v[78:79]
	v_cndmask_b32_e64 v1, v89, v85, s[12:13]
	v_cndmask_b32_e64 v14, v88, v84, s[12:13]
	v_div_scale_f64 v[84:85], s[12:13], v[82:83], v[82:83], v[80:81]
	v_rcp_f64_e32 v[88:89], v[84:85]
	v_cndmask_b32_e64 v14, v14, 0, vcc
	v_cndmask_b32_e32 v1, v1, v119, vcc
	v_cmp_ngt_f64_e32 vcc, 0, v[86:87]
	v_cndmask_b32_e32 v1, v112, v1, vcc
	v_cmp_nge_f64_e32 vcc, 0, v[86:87]
	v_cndmask_b32_e32 v78, 0, v14, vcc
	v_cmp_neq_f64_e32 vcc, 0, v[86:87]
	v_fma_f64 v[86:87], -v[84:85], v[88:89], 1.0
	v_fmac_f64_e32 v[88:89], v[88:89], v[86:87]
	v_fma_f64 v[86:87], -v[84:85], v[88:89], 1.0
	v_cndmask_b32_e32 v79, v113, v1, vcc
	v_fmac_f64_e32 v[88:89], v[88:89], v[86:87]
	v_div_scale_f64 v[86:87], vcc, v[80:81], v[82:83], v[80:81]
	v_mul_f64 v[90:91], v[86:87], v[88:89]
	v_fma_f64 v[84:85], -v[84:85], v[90:91], v[86:87]
	v_pk_mov_b32 v[86:87], v[32:33], v[32:33] op_sel:[0,1]
	s_nop 0
	v_div_fmas_f64 v[84:85], v[84:85], v[88:89], v[90:91]
	v_div_fixup_f64 v[80:81], v[84:85], v[82:83], v[80:81]
	v_mul_f64 v[82:83], v[80:81], v[80:81]
	v_pk_mov_b32 v[84:85], v[30:31], v[30:31] op_sel:[0,1]
	v_fmac_f64_e32 v[84:85], s[40:41], v[82:83]
	v_fmac_f64_e32 v[86:87], v[82:83], v[84:85]
	v_pk_mov_b32 v[84:85], v[34:35], v[34:35] op_sel:[0,1]
	v_fmac_f64_e32 v[84:85], v[82:83], v[86:87]
	v_pk_mov_b32 v[86:87], v[36:37], v[36:37] op_sel:[0,1]
	;; [unrolled: 2-line block ×17, first 2 shown]
	v_fmac_f64_e32 v[84:85], v[82:83], v[86:87]
	v_cmp_gt_i32_e32 vcc, 0, v15
	v_mul_f64 v[82:83], v[82:83], v[84:85]
	v_cndmask_b32_e32 v14, v116, v117, vcc
	v_fmac_f64_e32 v[80:81], v[80:81], v[82:83]
	v_bfi_b32 v69, s76, v14, v17
	v_ashrrev_i32_e32 v14, 31, v15
	v_and_b32_e32 v82, 0x400921fb, v14
	v_and_b32_e32 v83, 0x54442d18, v14
	v_add_f64 v[14:15], -v[80:81], s[42:43]
	v_cndmask_b32_e64 v15, v81, v15, s[10:11]
	v_cndmask_b32_e64 v14, v80, v14, s[10:11]
	s_mov_b32 s44, s42
	v_add_f64 v[80:81], -v[14:15], s[44:45]
	v_cndmask_b32_e32 v1, v114, v115, vcc
	v_cndmask_b32_e32 v15, v15, v81, vcc
	;; [unrolled: 1-line block ×3, first 2 shown]
	v_cmp_eq_f64_e32 vcc, 0, v[16:17]
	v_cndmask_b32_e32 v14, v14, v83, vcc
	v_cndmask_b32_e32 v15, v15, v82, vcc
	s_and_b64 vcc, s[64:65], s[62:63]
	v_cndmask_b32_e32 v81, v15, v69, vcc
	v_cndmask_b32_e32 v80, v14, v1, vcc
.LBB186_29:                             ;   in Loop: Header=BB186_4 Depth=1
	s_or_b64 exec, exec, s[60:61]
                                        ; implicit-def: $vgpr82_vgpr83
.LBB186_30:                             ;   in Loop: Header=BB186_4 Depth=1
	s_andn2_saveexec_b64 s[12:13], s[58:59]
	s_cbranch_execz .LBB186_36
; %bb.31:                               ;   in Loop: Header=BB186_4 Depth=1
	v_cmp_ngt_f64_e32 vcc, s[48:49], v[82:83]
                                        ; implicit-def: $vgpr78_vgpr79
                                        ; implicit-def: $vgpr80_vgpr81
	s_and_saveexec_b64 s[58:59], vcc
	s_xor_b64 s[58:59], exec, s[58:59]
	s_cbranch_execz .LBB186_33
; %bb.32:                               ;   in Loop: Header=BB186_4 Depth=1
	v_mul_f64 v[78:79], v[82:83], v[82:83]
	v_add_f64 v[80:81], v[78:79], 1.0
	v_add_f64 v[82:83], v[80:81], -1.0
	v_add_f64 v[84:85], v[82:83], -v[80:81]
	v_add_f64 v[84:85], v[84:85], 1.0
	v_add_f64 v[82:83], v[78:79], -v[82:83]
	v_add_f64 v[82:83], v[82:83], v[84:85]
	v_frexp_mant_f64_e32 v[84:85], v[80:81]
	v_frexp_exp_i32_f64_e32 v1, v[80:81]
	v_cmp_gt_f64_e32 vcc, s[28:29], v[84:85]
	v_subbrev_co_u32_e32 v1, vcc, 0, v1, vcc
	v_sub_u32_e32 v69, 0, v1
	v_ldexp_f64 v[80:81], v[80:81], v69
	v_add_f64 v[84:85], v[80:81], -1.0
	v_add_f64 v[90:91], v[80:81], 1.0
	v_add_f64 v[86:87], v[84:85], 1.0
	v_add_f64 v[92:93], v[90:91], -1.0
	v_ldexp_f64 v[82:83], v[82:83], v69
	v_add_f64 v[86:87], v[80:81], -v[86:87]
	v_add_f64 v[80:81], v[80:81], -v[92:93]
	v_add_f64 v[80:81], v[82:83], v[80:81]
	v_add_f64 v[86:87], v[82:83], v[86:87]
	;; [unrolled: 1-line block ×3, first 2 shown]
	v_rcp_f64_e32 v[92:93], v[82:83]
	v_add_f64 v[88:89], v[84:85], v[86:87]
	v_add_f64 v[84:85], v[84:85], -v[88:89]
	v_add_f64 v[84:85], v[86:87], v[84:85]
	v_add_f64 v[86:87], v[90:91], -v[82:83]
	v_add_f64 v[80:81], v[80:81], v[86:87]
	v_fma_f64 v[86:87], -v[82:83], v[92:93], 1.0
	v_fmac_f64_e32 v[92:93], v[86:87], v[92:93]
	v_fma_f64 v[86:87], -v[82:83], v[92:93], 1.0
	v_fmac_f64_e32 v[92:93], v[86:87], v[92:93]
	v_mul_f64 v[86:87], v[88:89], v[92:93]
	v_mul_f64 v[90:91], v[82:83], v[86:87]
	v_fma_f64 v[94:95], v[86:87], v[82:83], -v[90:91]
	v_fmac_f64_e32 v[94:95], v[86:87], v[80:81]
	v_add_f64 v[96:97], v[90:91], v[94:95]
	v_add_f64 v[98:99], v[88:89], -v[96:97]
	v_add_f64 v[88:89], v[88:89], -v[98:99]
	;; [unrolled: 1-line block ×4, first 2 shown]
	v_add_f64 v[84:85], v[84:85], v[88:89]
	v_add_f64 v[88:89], v[90:91], -v[94:95]
	v_add_f64 v[84:85], v[88:89], v[84:85]
	v_add_f64 v[88:89], v[98:99], v[84:85]
	v_add_f64 v[90:91], v[98:99], -v[88:89]
	v_add_f64 v[84:85], v[84:85], v[90:91]
	v_mul_f64 v[90:91], v[92:93], v[88:89]
	v_mul_f64 v[94:95], v[82:83], v[90:91]
	v_fma_f64 v[82:83], v[90:91], v[82:83], -v[94:95]
	v_fmac_f64_e32 v[82:83], v[90:91], v[80:81]
	v_add_f64 v[80:81], v[94:95], v[82:83]
	v_add_f64 v[96:97], v[88:89], -v[80:81]
	v_add_f64 v[88:89], v[88:89], -v[96:97]
	;; [unrolled: 1-line block ×4, first 2 shown]
	v_add_f64 v[80:81], v[84:85], v[80:81]
	v_add_f64 v[82:83], v[94:95], -v[82:83]
	v_add_f64 v[80:81], v[82:83], v[80:81]
	v_add_f64 v[82:83], v[86:87], v[90:91]
	;; [unrolled: 1-line block ×3, first 2 shown]
	v_add_f64 v[84:85], v[82:83], -v[86:87]
	v_mul_f64 v[80:81], v[92:93], v[80:81]
	v_add_f64 v[84:85], v[90:91], -v[84:85]
	v_add_f64 v[80:81], v[84:85], v[80:81]
	v_add_f64 v[84:85], v[82:83], v[80:81]
	v_add_f64 v[82:83], v[84:85], -v[82:83]
	v_add_f64 v[80:81], v[80:81], -v[82:83]
	v_mul_f64 v[82:83], v[84:85], v[84:85]
	v_pk_mov_b32 v[86:87], v[18:19], v[18:19] op_sel:[0,1]
	v_fmac_f64_e32 v[86:87], s[30:31], v[82:83]
	v_pk_mov_b32 v[88:89], v[20:21], v[20:21] op_sel:[0,1]
	v_fmac_f64_e32 v[88:89], v[82:83], v[86:87]
	;; [unrolled: 2-line block ×6, first 2 shown]
	v_cvt_f64_i32_e32 v[86:87], v1
	v_mul_f64 v[90:91], v[86:87], s[34:35]
	v_fma_f64 v[92:93], v[86:87], s[34:35], -v[90:91]
	v_fmac_f64_e32 v[92:93], s[36:37], v[86:87]
	v_add_f64 v[86:87], v[90:91], v[92:93]
	v_add_f64 v[90:91], v[86:87], -v[90:91]
	v_mul_f64 v[82:83], v[84:85], v[82:83]
	v_add_f64 v[90:91], v[92:93], -v[90:91]
	v_ldexp_f64 v[92:93], v[84:85], 1
	v_mul_f64 v[82:83], v[82:83], v[88:89]
	v_add_f64 v[84:85], v[92:93], v[82:83]
	v_add_f64 v[88:89], v[84:85], -v[92:93]
	v_ldexp_f64 v[80:81], v[80:81], 1
	v_add_f64 v[82:83], v[82:83], -v[88:89]
	v_add_f64 v[80:81], v[80:81], v[82:83]
	v_add_f64 v[82:83], v[84:85], v[80:81]
	v_add_f64 v[84:85], v[82:83], -v[84:85]
	v_add_f64 v[80:81], v[80:81], -v[84:85]
	v_add_f64 v[84:85], v[86:87], v[82:83]
	v_add_f64 v[88:89], v[84:85], -v[86:87]
	v_add_f64 v[92:93], v[84:85], -v[88:89]
	;; [unrolled: 1-line block ×4, first 2 shown]
	v_add_f64 v[82:83], v[82:83], v[86:87]
	v_add_f64 v[86:87], v[90:91], v[80:81]
	v_add_f64 v[88:89], v[86:87], -v[90:91]
	v_add_f64 v[82:83], v[86:87], v[82:83]
	v_add_f64 v[92:93], v[86:87], -v[88:89]
	;; [unrolled: 2-line block ×3, first 2 shown]
	v_add_f64 v[80:81], v[80:81], -v[88:89]
	v_add_f64 v[84:85], v[86:87], -v[84:85]
	v_add_f64 v[80:81], v[80:81], v[90:91]
	v_add_f64 v[82:83], v[82:83], -v[84:85]
	v_add_f64 v[80:81], v[80:81], v[82:83]
	v_max_f64 v[82:83], |v[16:17]|, |v[16:17]|
	v_max_f64 v[84:85], |v[14:15]|, |v[14:15]|
	v_add_f64 v[80:81], v[86:87], v[80:81]
	v_max_f64 v[86:87], v[84:85], v[82:83]
	v_min_f64 v[82:83], v[84:85], v[82:83]
	v_div_scale_f64 v[84:85], s[60:61], v[86:87], v[86:87], v[82:83]
	v_rcp_f64_e32 v[88:89], v[84:85]
	v_cmp_eq_f64_e32 vcc, s[38:39], v[78:79]
	v_cndmask_b32_e32 v79, v81, v79, vcc
	v_cndmask_b32_e32 v78, v80, v78, vcc
	v_fma_f64 v[80:81], -v[84:85], v[88:89], 1.0
	v_fmac_f64_e32 v[88:89], v[88:89], v[80:81]
	v_fma_f64 v[80:81], -v[84:85], v[88:89], 1.0
	v_fmac_f64_e32 v[88:89], v[88:89], v[80:81]
	v_div_scale_f64 v[80:81], vcc, v[82:83], v[86:87], v[82:83]
	v_mul_f64 v[90:91], v[80:81], v[88:89]
	v_fma_f64 v[80:81], -v[84:85], v[90:91], v[80:81]
	v_pk_mov_b32 v[84:85], v[30:31], v[30:31] op_sel:[0,1]
	s_nop 0
	v_div_fmas_f64 v[80:81], v[80:81], v[88:89], v[90:91]
	v_div_fixup_f64 v[80:81], v[80:81], v[86:87], v[82:83]
	v_mul_f64 v[82:83], v[80:81], v[80:81]
	v_fmac_f64_e32 v[84:85], s[40:41], v[82:83]
	v_pk_mov_b32 v[86:87], v[32:33], v[32:33] op_sel:[0,1]
	v_fmac_f64_e32 v[86:87], v[82:83], v[84:85]
	v_pk_mov_b32 v[84:85], v[34:35], v[34:35] op_sel:[0,1]
	;; [unrolled: 2-line block ×18, first 2 shown]
	v_fmac_f64_e32 v[84:85], v[82:83], v[86:87]
	v_cmp_gt_i32_e32 vcc, 0, v15
	v_mul_f64 v[82:83], v[82:83], v[84:85]
	v_cmp_class_f64_e64 s[62:63], v[14:15], s77
	v_cndmask_b32_e32 v14, v116, v117, vcc
	v_fmac_f64_e32 v[80:81], v[80:81], v[82:83]
	v_bfi_b32 v69, s76, v14, v17
	v_ashrrev_i32_e32 v14, 31, v15
	v_and_b32_e32 v82, 0x400921fb, v14
	v_and_b32_e32 v83, 0x54442d18, v14
	v_add_f64 v[14:15], -v[80:81], s[42:43]
	v_cndmask_b32_e64 v15, v81, v15, s[10:11]
	v_cndmask_b32_e64 v14, v80, v14, s[10:11]
	s_mov_b32 s44, s42
	v_add_f64 v[80:81], -v[14:15], s[44:45]
	v_cmp_class_f64_e64 s[60:61], v[16:17], s77
	v_cndmask_b32_e32 v1, v114, v115, vcc
	v_cndmask_b32_e32 v15, v15, v81, vcc
	;; [unrolled: 1-line block ×3, first 2 shown]
	v_cmp_eq_f64_e32 vcc, 0, v[16:17]
	v_cndmask_b32_e32 v14, v14, v83, vcc
	v_cndmask_b32_e32 v15, v15, v82, vcc
	s_and_b64 vcc, s[60:61], s[62:63]
	v_mul_f64 v[78:79], v[78:79], 0.5
	v_cndmask_b32_e32 v81, v15, v69, vcc
	v_cndmask_b32_e32 v80, v14, v1, vcc
                                        ; implicit-def: $vgpr82_vgpr83
.LBB186_33:                             ;   in Loop: Header=BB186_4 Depth=1
	s_andn2_saveexec_b64 s[58:59], s[58:59]
	s_cbranch_execz .LBB186_35
; %bb.34:                               ;   in Loop: Header=BB186_4 Depth=1
	v_max_f64 v[78:79], |v[16:17]|, |v[16:17]|
	v_max_f64 v[80:81], |v[14:15]|, |v[14:15]|
	v_max_f64 v[84:85], v[80:81], v[78:79]
	v_min_f64 v[80:81], v[80:81], v[78:79]
	v_div_scale_f64 v[86:87], s[60:61], v[84:85], v[84:85], v[80:81]
	v_rcp_f64_e32 v[88:89], v[86:87]
	v_mul_f64 v[78:79], v[82:83], 0.5
	v_mul_f64 v[78:79], v[82:83], v[78:79]
	v_cmp_class_f64_e64 s[62:63], v[14:15], s77
	v_fma_f64 v[82:83], -v[86:87], v[88:89], 1.0
	v_fmac_f64_e32 v[88:89], v[88:89], v[82:83]
	v_fma_f64 v[82:83], -v[86:87], v[88:89], 1.0
	v_fmac_f64_e32 v[88:89], v[88:89], v[82:83]
	v_div_scale_f64 v[82:83], vcc, v[80:81], v[84:85], v[80:81]
	v_mul_f64 v[90:91], v[82:83], v[88:89]
	v_fma_f64 v[82:83], -v[86:87], v[90:91], v[82:83]
	v_pk_mov_b32 v[86:87], v[32:33], v[32:33] op_sel:[0,1]
	s_nop 0
	v_div_fmas_f64 v[82:83], v[82:83], v[88:89], v[90:91]
	v_div_fixup_f64 v[80:81], v[82:83], v[84:85], v[80:81]
	v_mul_f64 v[82:83], v[80:81], v[80:81]
	v_pk_mov_b32 v[84:85], v[30:31], v[30:31] op_sel:[0,1]
	v_fmac_f64_e32 v[84:85], s[40:41], v[82:83]
	v_fmac_f64_e32 v[86:87], v[82:83], v[84:85]
	v_pk_mov_b32 v[84:85], v[34:35], v[34:35] op_sel:[0,1]
	v_fmac_f64_e32 v[84:85], v[82:83], v[86:87]
	v_pk_mov_b32 v[86:87], v[36:37], v[36:37] op_sel:[0,1]
	;; [unrolled: 2-line block ×17, first 2 shown]
	v_fmac_f64_e32 v[84:85], v[82:83], v[86:87]
	v_cmp_gt_i32_e32 vcc, 0, v15
	v_mul_f64 v[82:83], v[82:83], v[84:85]
	v_cndmask_b32_e32 v14, v116, v117, vcc
	v_fmac_f64_e32 v[80:81], v[80:81], v[82:83]
	v_bfi_b32 v69, s76, v14, v17
	v_ashrrev_i32_e32 v14, 31, v15
	v_and_b32_e32 v82, 0x400921fb, v14
	v_and_b32_e32 v83, 0x54442d18, v14
	v_add_f64 v[14:15], -v[80:81], s[42:43]
	v_cndmask_b32_e64 v15, v81, v15, s[10:11]
	v_cndmask_b32_e64 v14, v80, v14, s[10:11]
	s_mov_b32 s44, s42
	v_add_f64 v[80:81], -v[14:15], s[44:45]
	v_cmp_class_f64_e64 s[60:61], v[16:17], s77
	v_cndmask_b32_e32 v1, v114, v115, vcc
	v_cndmask_b32_e32 v15, v15, v81, vcc
	;; [unrolled: 1-line block ×3, first 2 shown]
	v_cmp_eq_f64_e32 vcc, 0, v[16:17]
	v_cndmask_b32_e32 v14, v14, v83, vcc
	v_cndmask_b32_e32 v15, v15, v82, vcc
	s_and_b64 vcc, s[60:61], s[62:63]
	v_cndmask_b32_e32 v81, v15, v69, vcc
	v_cndmask_b32_e32 v80, v14, v1, vcc
.LBB186_35:                             ;   in Loop: Header=BB186_4 Depth=1
	s_or_b64 exec, exec, s[58:59]
.LBB186_36:                             ;   in Loop: Header=BB186_4 Depth=1
	s_or_b64 exec, exec, s[12:13]
.LBB186_37:                             ;   in Loop: Header=BB186_4 Depth=1
	s_andn2_saveexec_b64 s[58:59], s[14:15]
	s_cbranch_execz .LBB186_39
; %bb.38:                               ;   in Loop: Header=BB186_4 Depth=1
	v_div_scale_f64 v[78:79], s[12:13], s[50:51], s[50:51], v[14:15]
	v_rcp_f64_e32 v[80:81], v[78:79]
	v_div_scale_f64 v[82:83], vcc, v[14:15], s[50:51], v[14:15]
	s_mov_b32 s44, s42
	v_fma_f64 v[84:85], -v[78:79], v[80:81], 1.0
	v_fmac_f64_e32 v[80:81], v[80:81], v[84:85]
	v_fma_f64 v[84:85], -v[78:79], v[80:81], 1.0
	v_fmac_f64_e32 v[80:81], v[80:81], v[84:85]
	v_mul_f64 v[84:85], v[82:83], v[80:81]
	v_fma_f64 v[78:79], -v[78:79], v[84:85], v[82:83]
	v_div_scale_f64 v[82:83], s[12:13], s[50:51], s[50:51], v[16:17]
	v_rcp_f64_e32 v[86:87], v[82:83]
	v_div_fmas_f64 v[78:79], v[78:79], v[80:81], v[84:85]
	v_div_fixup_f64 v[78:79], v[78:79], s[50:51], v[14:15]
	v_cmp_class_f64_e64 s[14:15], v[78:79], s77
	v_fma_f64 v[80:81], -v[82:83], v[86:87], 1.0
	v_fmac_f64_e32 v[86:87], v[86:87], v[80:81]
	v_fma_f64 v[80:81], -v[82:83], v[86:87], 1.0
	v_fmac_f64_e32 v[86:87], v[86:87], v[80:81]
	v_div_scale_f64 v[80:81], vcc, v[16:17], s[50:51], v[16:17]
	v_mul_f64 v[84:85], v[80:81], v[86:87]
	v_fma_f64 v[80:81], -v[82:83], v[84:85], v[80:81]
	s_nop 1
	v_div_fmas_f64 v[80:81], v[80:81], v[86:87], v[84:85]
	v_div_fixup_f64 v[80:81], v[80:81], s[50:51], v[16:17]
	v_max_f64 v[82:83], |v[78:79]|, |v[80:81]|
	v_frexp_exp_i32_f64_e32 v1, v[82:83]
	v_sub_u32_e32 v69, 0, v1
	v_ldexp_f64 v[84:85], |v[80:81]|, v69
	v_ldexp_f64 v[82:83], |v[78:79]|, v69
	v_mul_f64 v[84:85], v[84:85], v[84:85]
	v_fmac_f64_e32 v[84:85], v[82:83], v[82:83]
	v_rsq_f64_e32 v[82:83], v[84:85]
	v_cmp_eq_f64_e32 vcc, 0, v[84:85]
	v_cmp_o_f64_e64 s[12:13], v[78:79], v[80:81]
	v_cmp_class_f64_e64 s[60:61], v[80:81], s77
	v_mul_f64 v[86:87], v[84:85], v[82:83]
	v_mul_f64 v[82:83], v[82:83], 0.5
	v_fma_f64 v[88:89], -v[82:83], v[86:87], 0.5
	v_fmac_f64_e32 v[86:87], v[86:87], v[88:89]
	v_fmac_f64_e32 v[82:83], v[82:83], v[88:89]
	v_fma_f64 v[88:89], -v[86:87], v[86:87], v[84:85]
	v_fmac_f64_e32 v[86:87], v[88:89], v[82:83]
	v_cndmask_b32_e32 v83, v87, v85, vcc
	v_cndmask_b32_e32 v82, v86, v84, vcc
	v_ldexp_f64 v[82:83], v[82:83], v1
	v_cndmask_b32_e64 v1, 0, v82, s[12:13]
	v_cndmask_b32_e64 v96, v112, v83, s[12:13]
	s_or_b64 vcc, s[60:61], s[14:15]
	v_cndmask_b32_e32 v81, v96, v119, vcc
	v_cndmask_b32_e64 v80, v1, 0, vcc
	v_frexp_mant_f64_e32 v[78:79], v[80:81]
	v_cmp_gt_f64_e64 s[14:15], s[28:29], v[78:79]
	v_cndmask_b32_e64 v69, v118, 2.0, s[14:15]
	v_frexp_exp_i32_f64_e32 v84, v[80:81]
	v_mul_f64 v[78:79], v[78:79], v[68:69]
	v_subbrev_co_u32_e64 v69, s[14:15], 0, v84, s[14:15]
	v_add_f64 v[84:85], v[78:79], 1.0
	v_rcp_f64_e32 v[86:87], v[84:85]
	v_add_f64 v[90:91], v[84:85], -1.0
	v_add_f64 v[88:89], v[78:79], -1.0
	v_add_f64 v[78:79], v[78:79], -v[90:91]
	v_fma_f64 v[90:91], -v[84:85], v[86:87], 1.0
	v_fmac_f64_e32 v[86:87], v[90:91], v[86:87]
	v_fma_f64 v[90:91], -v[84:85], v[86:87], 1.0
	v_fmac_f64_e32 v[86:87], v[90:91], v[86:87]
	v_mul_f64 v[90:91], v[88:89], v[86:87]
	v_mul_f64 v[92:93], v[84:85], v[90:91]
	v_fma_f64 v[84:85], v[90:91], v[84:85], -v[92:93]
	v_fmac_f64_e32 v[84:85], v[90:91], v[78:79]
	v_add_f64 v[78:79], v[92:93], v[84:85]
	v_add_f64 v[94:95], v[88:89], -v[78:79]
	v_add_f64 v[92:93], v[78:79], -v[92:93]
	;; [unrolled: 1-line block ×5, first 2 shown]
	v_add_f64 v[78:79], v[84:85], v[78:79]
	v_add_f64 v[78:79], v[94:95], v[78:79]
	v_mul_f64 v[78:79], v[86:87], v[78:79]
	v_add_f64 v[84:85], v[90:91], v[78:79]
	v_add_f64 v[86:87], v[84:85], -v[90:91]
	v_add_f64 v[78:79], v[78:79], -v[86:87]
	v_mul_f64 v[86:87], v[84:85], v[84:85]
	v_pk_mov_b32 v[88:89], v[18:19], v[18:19] op_sel:[0,1]
	v_fmac_f64_e32 v[88:89], s[30:31], v[86:87]
	v_pk_mov_b32 v[90:91], v[20:21], v[20:21] op_sel:[0,1]
	v_fmac_f64_e32 v[90:91], v[86:87], v[88:89]
	;; [unrolled: 2-line block ×6, first 2 shown]
	v_ldexp_f64 v[88:89], v[84:85], 1
	v_mul_f64 v[84:85], v[84:85], v[86:87]
	v_mul_f64 v[84:85], v[84:85], v[90:91]
	v_add_f64 v[86:87], v[88:89], v[84:85]
	v_add_f64 v[88:89], v[86:87], -v[88:89]
	v_ldexp_f64 v[78:79], v[78:79], 1
	v_add_f64 v[84:85], v[84:85], -v[88:89]
	v_add_f64 v[78:79], v[78:79], v[84:85]
	v_add_f64 v[84:85], v[86:87], v[78:79]
	v_add_f64 v[86:87], v[84:85], -v[86:87]
	v_add_f64 v[78:79], v[78:79], -v[86:87]
	v_cvt_f64_i32_e32 v[86:87], v69
	v_mul_f64 v[88:89], v[86:87], s[34:35]
	v_fma_f64 v[90:91], v[86:87], s[34:35], -v[88:89]
	v_fmac_f64_e32 v[90:91], s[36:37], v[86:87]
	v_add_f64 v[86:87], v[88:89], v[90:91]
	v_add_f64 v[88:89], v[86:87], -v[88:89]
	v_add_f64 v[88:89], v[90:91], -v[88:89]
	v_add_f64 v[90:91], v[86:87], v[84:85]
	v_add_f64 v[92:93], v[90:91], -v[86:87]
	v_add_f64 v[94:95], v[90:91], -v[92:93]
	;; [unrolled: 1-line block ×4, first 2 shown]
	v_add_f64 v[84:85], v[84:85], v[86:87]
	v_add_f64 v[86:87], v[88:89], v[78:79]
	v_add_f64 v[92:93], v[86:87], -v[88:89]
	v_add_f64 v[94:95], v[86:87], -v[92:93]
	v_add_f64 v[84:85], v[86:87], v[84:85]
	v_add_f64 v[88:89], v[88:89], -v[94:95]
	v_add_f64 v[78:79], v[78:79], -v[92:93]
	v_add_f64 v[86:87], v[90:91], v[84:85]
	v_add_f64 v[78:79], v[78:79], v[88:89]
	v_add_f64 v[88:89], v[86:87], -v[90:91]
	v_add_f64 v[84:85], v[84:85], -v[88:89]
	v_and_b32_e32 v83, 0x7fffffff, v83
	v_add_f64 v[78:79], v[78:79], v[84:85]
	v_cmp_eq_f64_e64 s[14:15], s[38:39], v[82:83]
	v_add_f64 v[78:79], v[86:87], v[78:79]
	s_and_b64 s[12:13], s[12:13], s[14:15]
	v_cndmask_b32_e64 v79, v79, v96, s[12:13]
	v_cndmask_b32_e64 v78, v78, v1, s[12:13]
	v_add_f64 v[78:79], v[78:79], 1.0
	v_cndmask_b32_e64 v1, v78, 0, vcc
	v_cndmask_b32_e32 v69, v79, v119, vcc
	v_max_f64 v[78:79], |v[16:17]|, |v[16:17]|
	v_max_f64 v[82:83], |v[14:15]|, |v[14:15]|
	v_max_f64 v[84:85], v[82:83], v[78:79]
	v_min_f64 v[82:83], v[82:83], v[78:79]
	v_div_scale_f64 v[86:87], s[12:13], v[84:85], v[84:85], v[82:83]
	v_rcp_f64_e32 v[88:89], v[86:87]
	v_cmp_ngt_f64_e32 vcc, 0, v[80:81]
	v_cndmask_b32_e32 v69, v112, v69, vcc
	v_cmp_nge_f64_e32 vcc, 0, v[80:81]
	v_cndmask_b32_e32 v78, 0, v1, vcc
	v_cmp_neq_f64_e32 vcc, 0, v[80:81]
	v_fma_f64 v[80:81], -v[86:87], v[88:89], 1.0
	v_fmac_f64_e32 v[88:89], v[88:89], v[80:81]
	v_fma_f64 v[80:81], -v[86:87], v[88:89], 1.0
	v_cndmask_b32_e32 v79, v113, v69, vcc
	v_fmac_f64_e32 v[88:89], v[88:89], v[80:81]
	v_div_scale_f64 v[80:81], vcc, v[82:83], v[84:85], v[82:83]
	v_mul_f64 v[90:91], v[80:81], v[88:89]
	v_fma_f64 v[80:81], -v[86:87], v[90:91], v[80:81]
	v_pk_mov_b32 v[86:87], v[32:33], v[32:33] op_sel:[0,1]
	s_nop 0
	v_div_fmas_f64 v[80:81], v[80:81], v[88:89], v[90:91]
	v_div_fixup_f64 v[80:81], v[80:81], v[84:85], v[82:83]
	v_mul_f64 v[82:83], v[80:81], v[80:81]
	v_pk_mov_b32 v[84:85], v[30:31], v[30:31] op_sel:[0,1]
	v_fmac_f64_e32 v[84:85], s[40:41], v[82:83]
	v_fmac_f64_e32 v[86:87], v[82:83], v[84:85]
	v_pk_mov_b32 v[84:85], v[34:35], v[34:35] op_sel:[0,1]
	v_fmac_f64_e32 v[84:85], v[82:83], v[86:87]
	v_pk_mov_b32 v[86:87], v[36:37], v[36:37] op_sel:[0,1]
	;; [unrolled: 2-line block ×17, first 2 shown]
	v_fmac_f64_e32 v[84:85], v[82:83], v[86:87]
	v_cmp_gt_i32_e32 vcc, 0, v15
	v_mul_f64 v[82:83], v[82:83], v[84:85]
	v_cmp_class_f64_e64 s[14:15], v[14:15], s77
	v_cndmask_b32_e32 v14, v116, v117, vcc
	v_fmac_f64_e32 v[80:81], v[80:81], v[82:83]
	v_bfi_b32 v69, s76, v14, v17
	v_ashrrev_i32_e32 v14, 31, v15
	v_and_b32_e32 v82, 0x400921fb, v14
	v_and_b32_e32 v83, 0x54442d18, v14
	v_add_f64 v[14:15], -v[80:81], s[42:43]
	v_cndmask_b32_e64 v15, v81, v15, s[10:11]
	v_cndmask_b32_e64 v14, v80, v14, s[10:11]
	v_add_f64 v[80:81], -v[14:15], s[44:45]
	v_cmp_class_f64_e64 s[12:13], v[16:17], s77
	v_cndmask_b32_e32 v1, v114, v115, vcc
	v_cndmask_b32_e32 v15, v15, v81, vcc
	;; [unrolled: 1-line block ×3, first 2 shown]
	v_cmp_eq_f64_e32 vcc, 0, v[16:17]
	v_cndmask_b32_e32 v14, v14, v83, vcc
	v_cndmask_b32_e32 v15, v15, v82, vcc
	s_and_b64 vcc, s[12:13], s[14:15]
	v_cndmask_b32_e32 v81, v15, v69, vcc
	v_cndmask_b32_e32 v80, v14, v1, vcc
.LBB186_39:                             ;   in Loop: Header=BB186_4 Depth=1
	s_or_b64 exec, exec, s[58:59]
.LBB186_40:                             ;   in Loop: Header=BB186_4 Depth=1
	s_andn2_saveexec_b64 s[10:11], s[56:57]
	s_cbranch_execz .LBB186_46
; %bb.41:                               ;   in Loop: Header=BB186_4 Depth=1
	v_cmp_nlt_f64_e64 s[12:13], |v[14:15]|, s[52:53]
	v_cmp_nlt_f64_e64 s[14:15], |v[16:17]|, s[52:53]
	s_or_b64 s[12:13], s[14:15], s[12:13]
                                        ; implicit-def: $vgpr80_vgpr81
	s_and_saveexec_b64 s[14:15], s[12:13]
	s_xor_b64 s[12:13], exec, s[14:15]
; %bb.42:                               ;   in Loop: Header=BB186_4 Depth=1
	v_mul_f64 v[80:81], v[14:15], v[14:15]
	v_fmac_f64_e32 v[80:81], v[16:17], v[16:17]
; %bb.43:                               ;   in Loop: Header=BB186_4 Depth=1
	s_andn2_saveexec_b64 s[12:13], s[12:13]
; %bb.44:                               ;   in Loop: Header=BB186_4 Depth=1
	v_mul_f64 v[14:15], v[14:15], 4.0
	v_mul_f64 v[78:79], v[16:17], 4.0
	v_mul_f64 v[14:15], v[14:15], v[14:15]
	v_fmac_f64_e32 v[14:15], v[78:79], v[78:79]
	v_ldexp_f64 v[80:81], v[14:15], -4
; %bb.45:                               ;   in Loop: Header=BB186_4 Depth=1
	s_or_b64 exec, exec, s[12:13]
	v_frexp_mant_f64_e32 v[14:15], v[80:81]
	v_cmp_gt_f64_e32 vcc, s[28:29], v[14:15]
	v_cndmask_b32_e64 v69, v118, 2.0, vcc
	v_mul_f64 v[14:15], v[14:15], v[68:69]
	v_add_f64 v[78:79], v[14:15], 1.0
	v_rcp_f64_e32 v[82:83], v[78:79]
	v_add_f64 v[86:87], v[78:79], -1.0
	v_add_f64 v[84:85], v[14:15], -1.0
	v_add_f64 v[14:15], v[14:15], -v[86:87]
	v_fma_f64 v[86:87], -v[78:79], v[82:83], 1.0
	v_fmac_f64_e32 v[82:83], v[86:87], v[82:83]
	v_fma_f64 v[86:87], -v[78:79], v[82:83], 1.0
	v_fmac_f64_e32 v[82:83], v[86:87], v[82:83]
	v_mul_f64 v[86:87], v[84:85], v[82:83]
	v_mul_f64 v[88:89], v[78:79], v[86:87]
	v_fma_f64 v[78:79], v[86:87], v[78:79], -v[88:89]
	v_fmac_f64_e32 v[78:79], v[86:87], v[14:15]
	v_add_f64 v[14:15], v[88:89], v[78:79]
	v_add_f64 v[90:91], v[84:85], -v[14:15]
	v_add_f64 v[88:89], v[14:15], -v[88:89]
	;; [unrolled: 1-line block ×5, first 2 shown]
	v_add_f64 v[14:15], v[78:79], v[14:15]
	v_add_f64 v[14:15], v[90:91], v[14:15]
	v_mul_f64 v[14:15], v[82:83], v[14:15]
	v_add_f64 v[78:79], v[86:87], v[14:15]
	v_add_f64 v[82:83], v[78:79], -v[86:87]
	v_add_f64 v[14:15], v[14:15], -v[82:83]
	v_mul_f64 v[82:83], v[78:79], v[78:79]
	v_pk_mov_b32 v[84:85], v[18:19], v[18:19] op_sel:[0,1]
	v_fmac_f64_e32 v[84:85], s[30:31], v[82:83]
	v_pk_mov_b32 v[86:87], v[20:21], v[20:21] op_sel:[0,1]
	v_fmac_f64_e32 v[86:87], v[82:83], v[84:85]
	;; [unrolled: 2-line block ×6, first 2 shown]
	v_ldexp_f64 v[84:85], v[78:79], 1
	v_mul_f64 v[78:79], v[78:79], v[82:83]
	v_mul_f64 v[78:79], v[78:79], v[86:87]
	v_add_f64 v[82:83], v[84:85], v[78:79]
	v_add_f64 v[84:85], v[82:83], -v[84:85]
	v_ldexp_f64 v[14:15], v[14:15], 1
	v_add_f64 v[78:79], v[78:79], -v[84:85]
	v_add_f64 v[14:15], v[14:15], v[78:79]
	v_frexp_exp_i32_f64_e32 v1, v[80:81]
	v_add_f64 v[78:79], v[82:83], v[14:15]
	v_subbrev_co_u32_e32 v1, vcc, 0, v1, vcc
	v_add_f64 v[82:83], v[78:79], -v[82:83]
	v_add_f64 v[14:15], v[14:15], -v[82:83]
	v_cvt_f64_i32_e32 v[82:83], v1
	v_mul_f64 v[84:85], v[82:83], s[34:35]
	v_fma_f64 v[86:87], v[82:83], s[34:35], -v[84:85]
	v_fmac_f64_e32 v[86:87], s[36:37], v[82:83]
	v_add_f64 v[82:83], v[84:85], v[86:87]
	v_add_f64 v[84:85], v[82:83], -v[84:85]
	v_add_f64 v[84:85], v[86:87], -v[84:85]
	v_add_f64 v[86:87], v[82:83], v[78:79]
	v_add_f64 v[88:89], v[86:87], -v[82:83]
	v_add_f64 v[90:91], v[86:87], -v[88:89]
	;; [unrolled: 1-line block ×4, first 2 shown]
	v_add_f64 v[78:79], v[78:79], v[82:83]
	v_add_f64 v[82:83], v[84:85], v[14:15]
	v_add_f64 v[88:89], v[82:83], -v[84:85]
	v_add_f64 v[90:91], v[82:83], -v[88:89]
	v_add_f64 v[78:79], v[82:83], v[78:79]
	v_add_f64 v[84:85], v[84:85], -v[90:91]
	v_add_f64 v[14:15], v[14:15], -v[88:89]
	v_add_f64 v[82:83], v[86:87], v[78:79]
	v_add_f64 v[14:15], v[14:15], v[84:85]
	v_add_f64 v[84:85], v[82:83], -v[86:87]
	v_add_f64 v[78:79], v[78:79], -v[84:85]
	v_add_f64 v[14:15], v[14:15], v[78:79]
	v_add_f64 v[14:15], v[82:83], v[14:15]
	v_cmp_class_f64_e64 vcc, v[80:81], s77
	v_cndmask_b32_e32 v1, v14, v80, vcc
	v_cndmask_b32_e32 v14, v15, v81, vcc
	v_cmp_ngt_f64_e32 vcc, 0, v[80:81]
	v_cndmask_b32_e32 v14, v112, v14, vcc
	v_cmp_nge_f64_e32 vcc, 0, v[80:81]
	v_cndmask_b32_e32 v78, 0, v1, vcc
	v_cmp_neq_f64_e32 vcc, 0, v[80:81]
	v_mov_b32_e32 v80, 0
	v_cndmask_b32_e32 v79, v113, v14, vcc
	v_mov_b32_e32 v81, 0x7ff80000
.LBB186_46:                             ;   in Loop: Header=BB186_4 Depth=1
	s_or_b64 exec, exec, s[10:11]
	v_cmp_o_f64_e32 vcc, v[6:7], v[8:9]
                                        ; implicit-def: $vgpr14_vgpr15
                                        ; implicit-def: $vgpr82_vgpr83
	s_and_saveexec_b64 s[10:11], vcc
	s_xor_b64 s[56:57], exec, s[10:11]
	s_cbranch_execz .LBB186_74
; %bb.47:                               ;   in Loop: Header=BB186_4 Depth=1
	v_and_b32_e32 v69, 0x7fffffff, v7
	v_and_b32_e32 v1, 0x7fffffff, v9
	v_mov_b32_e32 v16, v8
	v_cmp_lt_f64_e64 s[10:11], |v[6:7]|, |v[8:9]|
	v_cndmask_b32_e64 v85, v1, v69, s[10:11]
	v_cndmask_b32_e64 v84, v16, v6, s[10:11]
	v_cmp_nlt_f64_e32 vcc, s[22:23], v[84:85]
                                        ; implicit-def: $vgpr14_vgpr15
                                        ; implicit-def: $vgpr82_vgpr83
	s_and_saveexec_b64 s[12:13], vcc
	s_xor_b64 s[14:15], exec, s[12:13]
	s_cbranch_execz .LBB186_71
; %bb.48:                               ;   in Loop: Header=BB186_4 Depth=1
	v_cndmask_b32_e64 v89, v69, v1, s[10:11]
	v_cndmask_b32_e64 v88, v6, v16, s[10:11]
	v_cmp_neq_f64_e32 vcc, 1.0, v[88:89]
                                        ; implicit-def: $vgpr14_vgpr15
                                        ; implicit-def: $vgpr82_vgpr83
	s_and_saveexec_b64 s[12:13], vcc
	s_xor_b64 s[58:59], exec, s[12:13]
	s_cbranch_execz .LBB186_64
; %bb.49:                               ;   in Loop: Header=BB186_4 Depth=1
	v_max_f64 v[14:15], v[84:85], v[84:85]
	v_max_f64 v[82:83], v[88:89], v[88:89]
	v_min_f64 v[86:87], v[82:83], v[14:15]
	v_max_f64 v[14:15], v[82:83], v[14:15]
	v_cmp_ngt_f64_e32 vcc, s[24:25], v[86:87]
	v_cmp_nlt_f64_e64 s[12:13], s[26:27], v[14:15]
	s_and_b64 s[12:13], s[12:13], vcc
                                        ; implicit-def: $vgpr14_vgpr15
                                        ; implicit-def: $vgpr82_vgpr83
	s_and_saveexec_b64 s[60:61], s[12:13]
	s_xor_b64 s[60:61], exec, s[60:61]
	s_cbranch_execz .LBB186_61
; %bb.50:                               ;   in Loop: Header=BB186_4 Depth=1
	v_cmp_le_f64_e32 vcc, 1.0, v[88:89]
                                        ; implicit-def: $vgpr14_vgpr15
                                        ; implicit-def: $vgpr82_vgpr83
	s_and_saveexec_b64 s[12:13], vcc
	s_xor_b64 s[12:13], exec, s[12:13]
	s_cbranch_execz .LBB186_52
; %bb.51:                               ;   in Loop: Header=BB186_4 Depth=1
	v_add_f64 v[14:15], v[88:89], -1.0
	v_add_f64 v[82:83], v[88:89], 1.0
	v_mul_f64 v[82:83], v[14:15], v[82:83]
	v_fmac_f64_e32 v[82:83], v[84:85], v[84:85]
	v_add_f64 v[14:15], v[82:83], 1.0
	v_add_f64 v[84:85], v[14:15], -1.0
	v_add_f64 v[86:87], v[84:85], -v[14:15]
	v_add_f64 v[86:87], v[86:87], 1.0
	v_add_f64 v[84:85], v[82:83], -v[84:85]
	v_add_f64 v[84:85], v[84:85], v[86:87]
	v_frexp_mant_f64_e32 v[86:87], v[14:15]
	v_frexp_exp_i32_f64_e32 v1, v[14:15]
	v_cmp_gt_f64_e32 vcc, s[28:29], v[86:87]
	v_subbrev_co_u32_e32 v1, vcc, 0, v1, vcc
	v_sub_u32_e32 v16, 0, v1
	v_ldexp_f64 v[14:15], v[14:15], v16
	v_add_f64 v[86:87], v[14:15], -1.0
	v_add_f64 v[92:93], v[14:15], 1.0
	v_add_f64 v[88:89], v[86:87], 1.0
	v_add_f64 v[94:95], v[92:93], -1.0
	v_ldexp_f64 v[84:85], v[84:85], v16
	v_add_f64 v[88:89], v[14:15], -v[88:89]
	v_add_f64 v[14:15], v[14:15], -v[94:95]
	v_add_f64 v[14:15], v[84:85], v[14:15]
	v_add_f64 v[88:89], v[84:85], v[88:89]
	;; [unrolled: 1-line block ×3, first 2 shown]
	v_rcp_f64_e32 v[94:95], v[84:85]
	v_add_f64 v[90:91], v[86:87], v[88:89]
	v_add_f64 v[86:87], v[90:91], -v[86:87]
	v_add_f64 v[86:87], v[88:89], -v[86:87]
	;; [unrolled: 1-line block ×4, first 2 shown]
	v_fma_f64 v[88:89], -v[84:85], v[94:95], 1.0
	v_fmac_f64_e32 v[94:95], v[88:89], v[94:95]
	v_fma_f64 v[88:89], -v[84:85], v[94:95], 1.0
	v_fmac_f64_e32 v[94:95], v[88:89], v[94:95]
	v_mul_f64 v[88:89], v[90:91], v[94:95]
	v_mul_f64 v[92:93], v[84:85], v[88:89]
	v_fma_f64 v[96:97], v[88:89], v[84:85], -v[92:93]
	v_fmac_f64_e32 v[96:97], v[88:89], v[14:15]
	v_add_f64 v[98:99], v[92:93], v[96:97]
	v_add_f64 v[100:101], v[90:91], -v[98:99]
	v_add_f64 v[90:91], v[90:91], -v[100:101]
	;; [unrolled: 1-line block ×4, first 2 shown]
	v_add_f64 v[86:87], v[86:87], v[90:91]
	v_add_f64 v[90:91], v[92:93], -v[96:97]
	v_add_f64 v[86:87], v[90:91], v[86:87]
	v_add_f64 v[90:91], v[100:101], v[86:87]
	v_add_f64 v[92:93], v[100:101], -v[90:91]
	v_add_f64 v[86:87], v[86:87], v[92:93]
	v_mul_f64 v[92:93], v[94:95], v[90:91]
	v_mul_f64 v[96:97], v[84:85], v[92:93]
	v_fma_f64 v[84:85], v[92:93], v[84:85], -v[96:97]
	v_fmac_f64_e32 v[84:85], v[92:93], v[14:15]
	v_add_f64 v[14:15], v[96:97], v[84:85]
	v_add_f64 v[98:99], v[90:91], -v[14:15]
	v_add_f64 v[90:91], v[90:91], -v[98:99]
	;; [unrolled: 1-line block ×4, first 2 shown]
	v_add_f64 v[14:15], v[86:87], v[14:15]
	v_add_f64 v[84:85], v[96:97], -v[84:85]
	v_add_f64 v[14:15], v[84:85], v[14:15]
	v_add_f64 v[84:85], v[88:89], v[92:93]
	;; [unrolled: 1-line block ×3, first 2 shown]
	v_add_f64 v[86:87], v[84:85], -v[88:89]
	v_mul_f64 v[14:15], v[94:95], v[14:15]
	v_add_f64 v[86:87], v[92:93], -v[86:87]
	v_add_f64 v[14:15], v[86:87], v[14:15]
	v_add_f64 v[86:87], v[84:85], v[14:15]
	v_add_f64 v[84:85], v[86:87], -v[84:85]
	v_add_f64 v[14:15], v[14:15], -v[84:85]
	v_mul_f64 v[84:85], v[86:87], v[86:87]
	v_pk_mov_b32 v[88:89], v[18:19], v[18:19] op_sel:[0,1]
	v_fmac_f64_e32 v[88:89], s[30:31], v[84:85]
	v_pk_mov_b32 v[90:91], v[20:21], v[20:21] op_sel:[0,1]
	v_fmac_f64_e32 v[90:91], v[84:85], v[88:89]
	;; [unrolled: 2-line block ×6, first 2 shown]
	v_cvt_f64_i32_e32 v[88:89], v1
	v_mul_f64 v[92:93], v[88:89], s[34:35]
	v_fma_f64 v[94:95], v[88:89], s[34:35], -v[92:93]
	v_fmac_f64_e32 v[94:95], s[36:37], v[88:89]
	v_add_f64 v[88:89], v[92:93], v[94:95]
	v_add_f64 v[92:93], v[88:89], -v[92:93]
	v_mul_f64 v[84:85], v[86:87], v[84:85]
	v_add_f64 v[92:93], v[94:95], -v[92:93]
	v_ldexp_f64 v[94:95], v[86:87], 1
	v_mul_f64 v[84:85], v[84:85], v[90:91]
	v_add_f64 v[86:87], v[94:95], v[84:85]
	v_add_f64 v[90:91], v[86:87], -v[94:95]
	v_ldexp_f64 v[14:15], v[14:15], 1
	v_add_f64 v[84:85], v[84:85], -v[90:91]
	v_add_f64 v[14:15], v[14:15], v[84:85]
	v_add_f64 v[84:85], v[86:87], v[14:15]
	v_add_f64 v[86:87], v[84:85], -v[86:87]
	v_add_f64 v[14:15], v[14:15], -v[86:87]
	v_add_f64 v[86:87], v[88:89], v[84:85]
	v_add_f64 v[90:91], v[86:87], -v[88:89]
	v_add_f64 v[94:95], v[86:87], -v[90:91]
	;; [unrolled: 1-line block ×4, first 2 shown]
	v_add_f64 v[84:85], v[84:85], v[88:89]
	v_add_f64 v[88:89], v[92:93], v[14:15]
	v_add_f64 v[90:91], v[88:89], -v[92:93]
	v_add_f64 v[84:85], v[88:89], v[84:85]
	v_add_f64 v[94:95], v[88:89], -v[90:91]
	v_add_f64 v[88:89], v[86:87], v[84:85]
	v_add_f64 v[92:93], v[92:93], -v[94:95]
	v_add_f64 v[14:15], v[14:15], -v[90:91]
	v_add_f64 v[86:87], v[88:89], -v[86:87]
	v_add_f64 v[14:15], v[14:15], v[92:93]
	v_add_f64 v[84:85], v[84:85], -v[86:87]
	v_add_f64 v[14:15], v[14:15], v[84:85]
	v_max_f64 v[84:85], |v[8:9]|, |v[8:9]|
	v_max_f64 v[86:87], |v[6:7]|, |v[6:7]|
	v_add_f64 v[14:15], v[88:89], v[14:15]
	v_max_f64 v[88:89], v[86:87], v[84:85]
	v_min_f64 v[84:85], v[86:87], v[84:85]
	v_div_scale_f64 v[86:87], s[62:63], v[88:89], v[88:89], v[84:85]
	v_cmp_eq_f64_e32 vcc, s[38:39], v[82:83]
	v_rcp_f64_e32 v[90:91], v[86:87]
	v_cndmask_b32_e32 v15, v15, v83, vcc
	v_cndmask_b32_e32 v14, v14, v82, vcc
	v_mul_f64 v[14:15], v[14:15], 0.5
	v_cmp_ngt_f64_e32 vcc, -1.0, v[82:83]
	v_cndmask_b32_e32 v1, v112, v15, vcc
	v_cmp_nge_f64_e32 vcc, -1.0, v[82:83]
	v_cndmask_b32_e32 v14, 0, v14, vcc
	v_cmp_neq_f64_e32 vcc, -1.0, v[82:83]
	v_fma_f64 v[82:83], -v[86:87], v[90:91], 1.0
	v_fmac_f64_e32 v[90:91], v[90:91], v[82:83]
	v_fma_f64 v[82:83], -v[86:87], v[90:91], 1.0
	v_cndmask_b32_e32 v15, v113, v1, vcc
	v_fmac_f64_e32 v[90:91], v[90:91], v[82:83]
	v_div_scale_f64 v[82:83], vcc, v[84:85], v[88:89], v[84:85]
	v_mul_f64 v[92:93], v[82:83], v[90:91]
	v_fma_f64 v[82:83], -v[86:87], v[92:93], v[82:83]
	v_pk_mov_b32 v[86:87], v[30:31], v[30:31] op_sel:[0,1]
	s_nop 0
	v_div_fmas_f64 v[82:83], v[82:83], v[90:91], v[92:93]
	v_div_fixup_f64 v[82:83], v[82:83], v[88:89], v[84:85]
	v_mul_f64 v[84:85], v[82:83], v[82:83]
	v_fmac_f64_e32 v[86:87], s[40:41], v[84:85]
	v_pk_mov_b32 v[88:89], v[32:33], v[32:33] op_sel:[0,1]
	v_fmac_f64_e32 v[88:89], v[84:85], v[86:87]
	v_pk_mov_b32 v[86:87], v[34:35], v[34:35] op_sel:[0,1]
	;; [unrolled: 2-line block ×18, first 2 shown]
	v_fmac_f64_e32 v[86:87], v[84:85], v[88:89]
	v_cmp_gt_i32_e32 vcc, 0, v7
	v_mul_f64 v[84:85], v[84:85], v[86:87]
	v_cmp_class_f64_e64 s[64:65], v[6:7], s77
	v_cndmask_b32_e32 v6, v116, v117, vcc
	v_fmac_f64_e32 v[82:83], v[82:83], v[84:85]
	v_bfi_b32 v16, s76, v6, v9
	v_ashrrev_i32_e32 v6, 31, v7
	v_and_b32_e32 v69, 0x400921fb, v6
	v_and_b32_e32 v84, 0x54442d18, v6
	v_add_f64 v[6:7], -v[82:83], s[42:43]
	v_cndmask_b32_e64 v7, v83, v7, s[10:11]
	v_cndmask_b32_e64 v6, v82, v6, s[10:11]
	s_mov_b32 s44, s42
	v_add_f64 v[82:83], -v[6:7], s[44:45]
	v_cmp_class_f64_e64 s[62:63], v[8:9], s77
	v_cndmask_b32_e32 v1, v114, v115, vcc
	v_cndmask_b32_e32 v7, v7, v83, vcc
	;; [unrolled: 1-line block ×3, first 2 shown]
	v_cmp_eq_f64_e32 vcc, 0, v[8:9]
	v_cndmask_b32_e32 v6, v6, v84, vcc
	v_cndmask_b32_e32 v7, v7, v69, vcc
	s_and_b64 vcc, s[62:63], s[64:65]
	v_cndmask_b32_e32 v83, v7, v16, vcc
	v_cndmask_b32_e32 v82, v6, v1, vcc
                                        ; implicit-def: $vgpr84_vgpr85
                                        ; implicit-def: $vgpr88_vgpr89
.LBB186_52:                             ;   in Loop: Header=BB186_4 Depth=1
	s_andn2_saveexec_b64 s[62:63], s[12:13]
	s_cbranch_execz .LBB186_60
; %bb.53:                               ;   in Loop: Header=BB186_4 Depth=1
	v_mul_f64 v[86:87], v[84:85], v[84:85]
	v_fmac_f64_e32 v[86:87], v[88:89], v[88:89]
	v_cmp_ge_f64_e32 vcc, s[46:47], v[86:87]
                                        ; implicit-def: $vgpr14_vgpr15
                                        ; implicit-def: $vgpr82_vgpr83
	s_and_saveexec_b64 s[12:13], vcc
	s_xor_b64 s[12:13], exec, s[12:13]
	s_cbranch_execz .LBB186_55
; %bb.54:                               ;   in Loop: Header=BB186_4 Depth=1
	v_frexp_mant_f64_e32 v[14:15], v[86:87]
	v_cmp_gt_f64_e32 vcc, s[28:29], v[14:15]
	v_cndmask_b32_e64 v69, v118, 2.0, vcc
	v_mul_f64 v[14:15], v[14:15], v[68:69]
	v_add_f64 v[82:83], v[14:15], 1.0
	v_rcp_f64_e32 v[84:85], v[82:83]
	v_add_f64 v[90:91], v[82:83], -1.0
	v_add_f64 v[88:89], v[14:15], -1.0
	v_add_f64 v[14:15], v[14:15], -v[90:91]
	v_fma_f64 v[90:91], -v[82:83], v[84:85], 1.0
	v_fmac_f64_e32 v[84:85], v[90:91], v[84:85]
	v_fma_f64 v[90:91], -v[82:83], v[84:85], 1.0
	v_fmac_f64_e32 v[84:85], v[90:91], v[84:85]
	v_mul_f64 v[90:91], v[88:89], v[84:85]
	v_mul_f64 v[92:93], v[82:83], v[90:91]
	v_fma_f64 v[82:83], v[90:91], v[82:83], -v[92:93]
	v_fmac_f64_e32 v[82:83], v[90:91], v[14:15]
	v_add_f64 v[14:15], v[92:93], v[82:83]
	v_add_f64 v[94:95], v[88:89], -v[14:15]
	v_add_f64 v[92:93], v[14:15], -v[92:93]
	;; [unrolled: 1-line block ×5, first 2 shown]
	v_add_f64 v[14:15], v[82:83], v[14:15]
	v_add_f64 v[14:15], v[94:95], v[14:15]
	v_mul_f64 v[14:15], v[84:85], v[14:15]
	v_add_f64 v[82:83], v[90:91], v[14:15]
	v_add_f64 v[84:85], v[82:83], -v[90:91]
	v_add_f64 v[14:15], v[14:15], -v[84:85]
	v_mul_f64 v[84:85], v[82:83], v[82:83]
	v_pk_mov_b32 v[88:89], v[18:19], v[18:19] op_sel:[0,1]
	v_fmac_f64_e32 v[88:89], s[30:31], v[84:85]
	v_pk_mov_b32 v[90:91], v[20:21], v[20:21] op_sel:[0,1]
	v_fmac_f64_e32 v[90:91], v[84:85], v[88:89]
	;; [unrolled: 2-line block ×6, first 2 shown]
	v_ldexp_f64 v[88:89], v[82:83], 1
	v_mul_f64 v[82:83], v[82:83], v[84:85]
	v_mul_f64 v[82:83], v[82:83], v[90:91]
	v_add_f64 v[84:85], v[88:89], v[82:83]
	v_add_f64 v[88:89], v[84:85], -v[88:89]
	v_ldexp_f64 v[14:15], v[14:15], 1
	v_add_f64 v[82:83], v[82:83], -v[88:89]
	v_add_f64 v[14:15], v[14:15], v[82:83]
	v_frexp_exp_i32_f64_e32 v1, v[86:87]
	v_add_f64 v[82:83], v[84:85], v[14:15]
	v_subbrev_co_u32_e32 v1, vcc, 0, v1, vcc
	v_add_f64 v[84:85], v[82:83], -v[84:85]
	v_add_f64 v[14:15], v[14:15], -v[84:85]
	v_cvt_f64_i32_e32 v[84:85], v1
	v_mul_f64 v[88:89], v[84:85], s[34:35]
	v_fma_f64 v[90:91], v[84:85], s[34:35], -v[88:89]
	v_fmac_f64_e32 v[90:91], s[36:37], v[84:85]
	v_add_f64 v[84:85], v[88:89], v[90:91]
	v_add_f64 v[88:89], v[84:85], -v[88:89]
	v_add_f64 v[88:89], v[90:91], -v[88:89]
	v_add_f64 v[90:91], v[84:85], v[82:83]
	v_add_f64 v[92:93], v[90:91], -v[84:85]
	v_add_f64 v[94:95], v[90:91], -v[92:93]
	;; [unrolled: 1-line block ×4, first 2 shown]
	v_add_f64 v[82:83], v[82:83], v[84:85]
	v_add_f64 v[84:85], v[88:89], v[14:15]
	v_add_f64 v[92:93], v[84:85], -v[88:89]
	v_add_f64 v[94:95], v[84:85], -v[92:93]
	v_add_f64 v[82:83], v[84:85], v[82:83]
	v_add_f64 v[88:89], v[88:89], -v[94:95]
	v_add_f64 v[14:15], v[14:15], -v[92:93]
	v_add_f64 v[84:85], v[90:91], v[82:83]
	v_add_f64 v[14:15], v[14:15], v[88:89]
	v_add_f64 v[88:89], v[84:85], -v[90:91]
	v_add_f64 v[82:83], v[82:83], -v[88:89]
	v_add_f64 v[14:15], v[14:15], v[82:83]
	v_add_f64 v[14:15], v[84:85], v[14:15]
	v_max_f64 v[82:83], |v[8:9]|, |v[8:9]|
	v_max_f64 v[84:85], |v[6:7]|, |v[6:7]|
	v_max_f64 v[88:89], v[84:85], v[82:83]
	v_min_f64 v[82:83], v[84:85], v[82:83]
	v_div_scale_f64 v[84:85], s[64:65], v[88:89], v[88:89], v[82:83]
	v_rcp_f64_e32 v[90:91], v[84:85]
	v_cmp_neq_f64_e32 vcc, 0, v[86:87]
	v_mul_f64 v[14:15], v[14:15], 0.5
	v_cndmask_b32_e32 v15, v113, v15, vcc
	v_fma_f64 v[86:87], -v[84:85], v[90:91], 1.0
	v_fmac_f64_e32 v[90:91], v[90:91], v[86:87]
	v_fma_f64 v[86:87], -v[84:85], v[90:91], 1.0
	v_cndmask_b32_e32 v14, 0, v14, vcc
	v_fmac_f64_e32 v[90:91], v[90:91], v[86:87]
	v_div_scale_f64 v[86:87], vcc, v[82:83], v[88:89], v[82:83]
	v_mul_f64 v[92:93], v[86:87], v[90:91]
	v_fma_f64 v[84:85], -v[84:85], v[92:93], v[86:87]
	v_pk_mov_b32 v[86:87], v[30:31], v[30:31] op_sel:[0,1]
	s_nop 0
	v_div_fmas_f64 v[84:85], v[84:85], v[90:91], v[92:93]
	v_div_fixup_f64 v[82:83], v[84:85], v[88:89], v[82:83]
	v_mul_f64 v[84:85], v[82:83], v[82:83]
	v_fmac_f64_e32 v[86:87], s[40:41], v[84:85]
	v_pk_mov_b32 v[88:89], v[32:33], v[32:33] op_sel:[0,1]
	v_fmac_f64_e32 v[88:89], v[84:85], v[86:87]
	v_pk_mov_b32 v[86:87], v[34:35], v[34:35] op_sel:[0,1]
	;; [unrolled: 2-line block ×18, first 2 shown]
	v_fmac_f64_e32 v[86:87], v[84:85], v[88:89]
	v_cmp_gt_i32_e32 vcc, 0, v7
	v_mul_f64 v[84:85], v[84:85], v[86:87]
	v_cmp_class_f64_e64 s[66:67], v[6:7], s77
	v_cndmask_b32_e32 v6, v116, v117, vcc
	v_fmac_f64_e32 v[82:83], v[82:83], v[84:85]
	v_bfi_b32 v16, s76, v6, v9
	v_ashrrev_i32_e32 v6, 31, v7
	v_and_b32_e32 v69, 0x400921fb, v6
	v_and_b32_e32 v84, 0x54442d18, v6
	v_add_f64 v[6:7], -v[82:83], s[42:43]
	v_cndmask_b32_e64 v7, v83, v7, s[10:11]
	v_cndmask_b32_e64 v6, v82, v6, s[10:11]
	s_mov_b32 s44, s42
	v_add_f64 v[82:83], -v[6:7], s[44:45]
	v_cmp_class_f64_e64 s[64:65], v[8:9], s77
	v_cndmask_b32_e32 v1, v114, v115, vcc
	v_cndmask_b32_e32 v7, v7, v83, vcc
	;; [unrolled: 1-line block ×3, first 2 shown]
	v_cmp_eq_f64_e32 vcc, 0, v[8:9]
	v_cndmask_b32_e32 v6, v6, v84, vcc
	v_cndmask_b32_e32 v7, v7, v69, vcc
	s_and_b64 vcc, s[64:65], s[66:67]
	v_cndmask_b32_e32 v83, v7, v16, vcc
	v_cndmask_b32_e32 v82, v6, v1, vcc
                                        ; implicit-def: $vgpr88_vgpr89
                                        ; implicit-def: $vgpr84_vgpr85
.LBB186_55:                             ;   in Loop: Header=BB186_4 Depth=1
	s_andn2_saveexec_b64 s[64:65], s[12:13]
	s_cbranch_execz .LBB186_59
; %bb.56:                               ;   in Loop: Header=BB186_4 Depth=1
	v_and_b32_e32 v69, 0x7ffffff8, v89
	v_add_f64 v[14:15], v[88:89], -v[68:69]
	v_and_b32_e32 v97, -8, v15
	v_mov_b32_e32 v96, v68
	v_and_b32_e32 v87, 0x7ffffff8, v85
	v_mov_b32_e32 v86, v68
	v_add_f64 v[100:101], v[14:15], -v[96:97]
	v_add_f64 v[14:15], v[84:85], -v[86:87]
	v_and_b32_e32 v99, -8, v15
	v_mov_b32_e32 v98, v68
	v_add_f64 v[90:91], v[68:69], v[68:69]
	v_add_f64 v[104:105], v[86:87], v[86:87]
	v_add_f64 v[102:103], v[14:15], -v[98:99]
	v_mul_f64 v[82:83], v[86:87], v[86:87]
	v_mul_f64 v[88:89], v[90:91], v[96:97]
	;; [unrolled: 1-line block ×5, first 2 shown]
	v_add_f64 v[96:97], v[96:97], v[96:97]
	v_add_f64 v[98:99], v[98:99], v[98:99]
	v_mul_f64 v[14:15], v[68:69], v[68:69]
	v_mul_f64 v[92:93], v[90:91], v[100:101]
	;; [unrolled: 1-line block ×7, first 2 shown]
	s_mov_b64 s[66:67], 0
.LBB186_57:                             ;   Parent Loop BB186_4 Depth=1
                                        ; =>  This Inner Loop Header: Depth=2
	v_cmp_nlt_f64_e32 vcc, v[14:15], v[82:83]
	v_cndmask_b32_e32 v105, v15, v83, vcc
	v_cndmask_b32_e32 v104, v14, v82, vcc
	v_cmp_nlt_f64_e64 s[12:13], v[104:105], v[88:89]
	v_cndmask_b32_e64 v107, v105, v89, s[12:13]
	v_cndmask_b32_e64 v106, v104, v88, s[12:13]
	v_cndmask_b32_e32 v15, v83, v15, vcc
	v_cndmask_b32_e32 v14, v82, v14, vcc
	s_and_b64 s[68:69], vcc, s[12:13]
	v_cmp_nlt_f64_e32 vcc, v[106:107], v[86:87]
	v_cndmask_b32_e64 v83, v89, v105, s[12:13]
	v_cndmask_b32_e64 v82, v88, v104, s[12:13]
	v_cndmask_b32_e32 v105, v107, v87, vcc
	v_cndmask_b32_e32 v104, v106, v86, vcc
	v_cmp_nlt_f64_e64 s[12:13], v[104:105], v[94:95]
	v_cndmask_b32_e32 v89, v87, v107, vcc
	v_cndmask_b32_e32 v88, v86, v106, vcc
	v_cndmask_b32_e64 v107, v105, v95, s[12:13]
	v_cndmask_b32_e64 v106, v104, v94, s[12:13]
	s_and_b64 s[78:79], vcc, s[12:13]
	v_cmp_nlt_f64_e32 vcc, v[106:107], v[84:85]
	v_cndmask_b32_e64 v87, v95, v105, s[12:13]
	v_cndmask_b32_e64 v86, v94, v104, s[12:13]
	v_cndmask_b32_e32 v105, v107, v85, vcc
	v_cndmask_b32_e32 v104, v106, v84, vcc
	v_cmp_nlt_f64_e64 s[12:13], v[104:105], v[92:93]
	v_cndmask_b32_e32 v95, v85, v107, vcc
	v_cndmask_b32_e32 v94, v84, v106, vcc
	v_cndmask_b32_e64 v107, v105, v93, s[12:13]
	v_cndmask_b32_e64 v106, v104, v92, s[12:13]
	;; [unrolled: 1-line block ×4, first 2 shown]
	s_and_b64 s[12:13], vcc, s[12:13]
	v_cmp_nlt_f64_e32 vcc, v[106:107], v[90:91]
	v_cndmask_b32_e32 v105, v107, v91, vcc
	v_cndmask_b32_e32 v104, v106, v90, vcc
	v_cndmask_b32_e32 v93, v91, v107, vcc
	v_cndmask_b32_e32 v92, v90, v106, vcc
	s_and_b64 s[12:13], s[12:13], vcc
	v_cmp_nlt_f64_e32 vcc, v[104:105], v[96:97]
	v_cndmask_b32_e32 v107, v105, v97, vcc
	v_cndmask_b32_e32 v106, v104, v96, vcc
	v_cndmask_b32_e32 v91, v97, v105, vcc
	v_cndmask_b32_e32 v90, v96, v104, vcc
	s_and_b64 s[12:13], s[12:13], vcc
	v_cmp_nlt_f64_e32 vcc, v[106:107], v[98:99]
	v_cndmask_b32_e32 v105, v107, v99, vcc
	v_cndmask_b32_e32 v104, v106, v98, vcc
	v_cndmask_b32_e32 v97, v99, v107, vcc
	v_cndmask_b32_e32 v96, v98, v106, vcc
	s_and_b64 s[12:13], s[12:13], vcc
	v_cmp_nlt_f64_e32 vcc, v[104:105], v[100:101]
	v_cndmask_b32_e32 v107, v105, v101, vcc
	v_cndmask_b32_e32 v106, v104, v100, vcc
	v_cndmask_b32_e32 v99, v101, v105, vcc
	v_cndmask_b32_e32 v98, v100, v104, vcc
	s_and_b64 s[12:13], s[12:13], vcc
	v_cmp_nlt_f64_e32 vcc, v[106:107], v[102:103]
	s_and_b64 s[12:13], s[12:13], vcc
	s_and_b64 s[12:13], s[12:13], s[78:79]
	s_and_b64 s[12:13], s[12:13], s[68:69]
	v_cndmask_b32_e32 v105, v107, v103, vcc
	v_cndmask_b32_e32 v104, v106, v102, vcc
	s_and_b64 s[12:13], exec, s[12:13]
	v_cndmask_b32_e32 v101, v103, v107, vcc
	v_cndmask_b32_e32 v100, v102, v106, vcc
	s_or_b64 s[66:67], s[12:13], s[66:67]
	v_pk_mov_b32 v[102:103], v[104:105], v[104:105] op_sel:[0,1]
	s_andn2_b64 exec, exec, s[66:67]
	s_cbranch_execnz .LBB186_57
; %bb.58:                               ;   in Loop: Header=BB186_4 Depth=1
	s_or_b64 exec, exec, s[66:67]
	v_add_f64 v[14:15], v[14:15], -1.0
	v_add_f64 v[14:15], v[14:15], v[82:83]
	v_add_f64 v[14:15], v[14:15], v[88:89]
	;; [unrolled: 1-line block ×11, first 2 shown]
	v_add_f64 v[14:15], v[82:83], 1.0
	v_add_f64 v[84:85], v[14:15], -1.0
	v_add_f64 v[86:87], v[84:85], -v[14:15]
	v_add_f64 v[86:87], v[86:87], 1.0
	v_add_f64 v[84:85], v[82:83], -v[84:85]
	v_add_f64 v[84:85], v[84:85], v[86:87]
	v_frexp_mant_f64_e32 v[86:87], v[14:15]
	v_frexp_exp_i32_f64_e32 v1, v[14:15]
	v_cmp_gt_f64_e32 vcc, s[28:29], v[86:87]
	v_subbrev_co_u32_e32 v1, vcc, 0, v1, vcc
	v_sub_u32_e32 v16, 0, v1
	v_ldexp_f64 v[14:15], v[14:15], v16
	v_add_f64 v[86:87], v[14:15], -1.0
	v_add_f64 v[92:93], v[14:15], 1.0
	v_add_f64 v[88:89], v[86:87], 1.0
	v_add_f64 v[94:95], v[92:93], -1.0
	v_ldexp_f64 v[84:85], v[84:85], v16
	v_add_f64 v[88:89], v[14:15], -v[88:89]
	v_add_f64 v[14:15], v[14:15], -v[94:95]
	v_add_f64 v[14:15], v[84:85], v[14:15]
	v_add_f64 v[88:89], v[84:85], v[88:89]
	;; [unrolled: 1-line block ×3, first 2 shown]
	v_rcp_f64_e32 v[94:95], v[84:85]
	v_add_f64 v[90:91], v[86:87], v[88:89]
	v_add_f64 v[86:87], v[90:91], -v[86:87]
	v_add_f64 v[86:87], v[88:89], -v[86:87]
	;; [unrolled: 1-line block ×4, first 2 shown]
	v_fma_f64 v[88:89], -v[84:85], v[94:95], 1.0
	v_fmac_f64_e32 v[94:95], v[88:89], v[94:95]
	v_fma_f64 v[88:89], -v[84:85], v[94:95], 1.0
	v_fmac_f64_e32 v[94:95], v[88:89], v[94:95]
	v_mul_f64 v[88:89], v[90:91], v[94:95]
	v_mul_f64 v[92:93], v[84:85], v[88:89]
	v_fma_f64 v[96:97], v[88:89], v[84:85], -v[92:93]
	v_fmac_f64_e32 v[96:97], v[88:89], v[14:15]
	v_add_f64 v[98:99], v[92:93], v[96:97]
	v_add_f64 v[100:101], v[90:91], -v[98:99]
	v_add_f64 v[90:91], v[90:91], -v[100:101]
	;; [unrolled: 1-line block ×4, first 2 shown]
	v_add_f64 v[86:87], v[86:87], v[90:91]
	v_add_f64 v[90:91], v[92:93], -v[96:97]
	v_add_f64 v[86:87], v[90:91], v[86:87]
	v_add_f64 v[90:91], v[100:101], v[86:87]
	v_add_f64 v[92:93], v[100:101], -v[90:91]
	v_add_f64 v[86:87], v[86:87], v[92:93]
	v_mul_f64 v[92:93], v[94:95], v[90:91]
	v_mul_f64 v[96:97], v[84:85], v[92:93]
	v_fma_f64 v[84:85], v[92:93], v[84:85], -v[96:97]
	v_fmac_f64_e32 v[84:85], v[92:93], v[14:15]
	v_add_f64 v[14:15], v[96:97], v[84:85]
	v_add_f64 v[98:99], v[90:91], -v[14:15]
	v_add_f64 v[90:91], v[90:91], -v[98:99]
	;; [unrolled: 1-line block ×4, first 2 shown]
	v_add_f64 v[14:15], v[86:87], v[14:15]
	v_add_f64 v[84:85], v[96:97], -v[84:85]
	v_add_f64 v[14:15], v[84:85], v[14:15]
	v_add_f64 v[84:85], v[88:89], v[92:93]
	;; [unrolled: 1-line block ×3, first 2 shown]
	v_add_f64 v[86:87], v[84:85], -v[88:89]
	v_mul_f64 v[14:15], v[94:95], v[14:15]
	v_add_f64 v[86:87], v[92:93], -v[86:87]
	v_add_f64 v[14:15], v[86:87], v[14:15]
	v_add_f64 v[86:87], v[84:85], v[14:15]
	v_add_f64 v[84:85], v[86:87], -v[84:85]
	v_add_f64 v[14:15], v[14:15], -v[84:85]
	v_mul_f64 v[84:85], v[86:87], v[86:87]
	v_pk_mov_b32 v[88:89], v[18:19], v[18:19] op_sel:[0,1]
	v_fmac_f64_e32 v[88:89], s[30:31], v[84:85]
	v_pk_mov_b32 v[90:91], v[20:21], v[20:21] op_sel:[0,1]
	v_fmac_f64_e32 v[90:91], v[84:85], v[88:89]
	;; [unrolled: 2-line block ×6, first 2 shown]
	v_cvt_f64_i32_e32 v[88:89], v1
	v_mul_f64 v[92:93], v[88:89], s[34:35]
	v_fma_f64 v[94:95], v[88:89], s[34:35], -v[92:93]
	v_fmac_f64_e32 v[94:95], s[36:37], v[88:89]
	v_add_f64 v[88:89], v[92:93], v[94:95]
	v_add_f64 v[92:93], v[88:89], -v[92:93]
	v_mul_f64 v[84:85], v[86:87], v[84:85]
	v_add_f64 v[92:93], v[94:95], -v[92:93]
	v_ldexp_f64 v[94:95], v[86:87], 1
	v_mul_f64 v[84:85], v[84:85], v[90:91]
	v_add_f64 v[86:87], v[94:95], v[84:85]
	v_add_f64 v[90:91], v[86:87], -v[94:95]
	v_ldexp_f64 v[14:15], v[14:15], 1
	v_add_f64 v[84:85], v[84:85], -v[90:91]
	v_add_f64 v[14:15], v[14:15], v[84:85]
	v_add_f64 v[84:85], v[86:87], v[14:15]
	v_add_f64 v[86:87], v[84:85], -v[86:87]
	v_add_f64 v[14:15], v[14:15], -v[86:87]
	v_add_f64 v[86:87], v[88:89], v[84:85]
	v_add_f64 v[90:91], v[86:87], -v[88:89]
	v_add_f64 v[94:95], v[86:87], -v[90:91]
	;; [unrolled: 1-line block ×4, first 2 shown]
	v_add_f64 v[84:85], v[84:85], v[88:89]
	v_add_f64 v[88:89], v[92:93], v[14:15]
	v_add_f64 v[90:91], v[88:89], -v[92:93]
	v_add_f64 v[84:85], v[88:89], v[84:85]
	v_add_f64 v[94:95], v[88:89], -v[90:91]
	;; [unrolled: 2-line block ×3, first 2 shown]
	v_add_f64 v[14:15], v[14:15], -v[90:91]
	v_add_f64 v[86:87], v[88:89], -v[86:87]
	v_add_f64 v[14:15], v[14:15], v[92:93]
	v_add_f64 v[84:85], v[84:85], -v[86:87]
	v_add_f64 v[14:15], v[14:15], v[84:85]
	v_max_f64 v[84:85], |v[8:9]|, |v[8:9]|
	v_max_f64 v[86:87], |v[6:7]|, |v[6:7]|
	v_add_f64 v[14:15], v[88:89], v[14:15]
	v_max_f64 v[88:89], v[86:87], v[84:85]
	v_min_f64 v[84:85], v[86:87], v[84:85]
	v_div_scale_f64 v[86:87], s[12:13], v[88:89], v[88:89], v[84:85]
	v_cmp_eq_f64_e32 vcc, s[38:39], v[82:83]
	v_rcp_f64_e32 v[90:91], v[86:87]
	v_cndmask_b32_e32 v15, v15, v83, vcc
	v_cndmask_b32_e32 v14, v14, v82, vcc
	v_mul_f64 v[14:15], v[14:15], 0.5
	v_cmp_ngt_f64_e32 vcc, -1.0, v[82:83]
	v_cndmask_b32_e32 v1, v112, v15, vcc
	v_cmp_nge_f64_e32 vcc, -1.0, v[82:83]
	v_cndmask_b32_e32 v14, 0, v14, vcc
	v_cmp_neq_f64_e32 vcc, -1.0, v[82:83]
	v_fma_f64 v[82:83], -v[86:87], v[90:91], 1.0
	v_fmac_f64_e32 v[90:91], v[90:91], v[82:83]
	v_fma_f64 v[82:83], -v[86:87], v[90:91], 1.0
	v_cndmask_b32_e32 v15, v113, v1, vcc
	v_fmac_f64_e32 v[90:91], v[90:91], v[82:83]
	v_div_scale_f64 v[82:83], vcc, v[84:85], v[88:89], v[84:85]
	v_mul_f64 v[92:93], v[82:83], v[90:91]
	v_fma_f64 v[82:83], -v[86:87], v[92:93], v[82:83]
	v_pk_mov_b32 v[86:87], v[30:31], v[30:31] op_sel:[0,1]
	s_nop 0
	v_div_fmas_f64 v[82:83], v[82:83], v[90:91], v[92:93]
	v_div_fixup_f64 v[82:83], v[82:83], v[88:89], v[84:85]
	v_mul_f64 v[84:85], v[82:83], v[82:83]
	v_fmac_f64_e32 v[86:87], s[40:41], v[84:85]
	v_pk_mov_b32 v[88:89], v[32:33], v[32:33] op_sel:[0,1]
	v_fmac_f64_e32 v[88:89], v[84:85], v[86:87]
	v_pk_mov_b32 v[86:87], v[34:35], v[34:35] op_sel:[0,1]
	v_fmac_f64_e32 v[86:87], v[84:85], v[88:89]
	v_pk_mov_b32 v[88:89], v[36:37], v[36:37] op_sel:[0,1]
	v_fmac_f64_e32 v[88:89], v[84:85], v[86:87]
	v_pk_mov_b32 v[86:87], v[38:39], v[38:39] op_sel:[0,1]
	v_fmac_f64_e32 v[86:87], v[84:85], v[88:89]
	v_pk_mov_b32 v[88:89], v[40:41], v[40:41] op_sel:[0,1]
	v_fmac_f64_e32 v[88:89], v[84:85], v[86:87]
	v_pk_mov_b32 v[86:87], v[42:43], v[42:43] op_sel:[0,1]
	v_fmac_f64_e32 v[86:87], v[84:85], v[88:89]
	v_pk_mov_b32 v[88:89], v[44:45], v[44:45] op_sel:[0,1]
	v_fmac_f64_e32 v[88:89], v[84:85], v[86:87]
	v_pk_mov_b32 v[86:87], v[46:47], v[46:47] op_sel:[0,1]
	v_fmac_f64_e32 v[86:87], v[84:85], v[88:89]
	v_pk_mov_b32 v[88:89], v[48:49], v[48:49] op_sel:[0,1]
	v_fmac_f64_e32 v[88:89], v[84:85], v[86:87]
	v_pk_mov_b32 v[86:87], v[50:51], v[50:51] op_sel:[0,1]
	v_fmac_f64_e32 v[86:87], v[84:85], v[88:89]
	v_pk_mov_b32 v[88:89], v[52:53], v[52:53] op_sel:[0,1]
	v_fmac_f64_e32 v[88:89], v[84:85], v[86:87]
	v_pk_mov_b32 v[86:87], v[54:55], v[54:55] op_sel:[0,1]
	v_fmac_f64_e32 v[86:87], v[84:85], v[88:89]
	v_pk_mov_b32 v[88:89], v[56:57], v[56:57] op_sel:[0,1]
	v_fmac_f64_e32 v[88:89], v[84:85], v[86:87]
	v_pk_mov_b32 v[86:87], v[58:59], v[58:59] op_sel:[0,1]
	v_fmac_f64_e32 v[86:87], v[84:85], v[88:89]
	v_pk_mov_b32 v[88:89], v[60:61], v[60:61] op_sel:[0,1]
	v_fmac_f64_e32 v[88:89], v[84:85], v[86:87]
	v_pk_mov_b32 v[86:87], v[62:63], v[62:63] op_sel:[0,1]
	v_fmac_f64_e32 v[86:87], v[84:85], v[88:89]
	v_pk_mov_b32 v[88:89], v[64:65], v[64:65] op_sel:[0,1]
	v_fmac_f64_e32 v[88:89], v[84:85], v[86:87]
	v_pk_mov_b32 v[86:87], v[66:67], v[66:67] op_sel:[0,1]
	v_fmac_f64_e32 v[86:87], v[84:85], v[88:89]
	v_cmp_gt_i32_e32 vcc, 0, v7
	v_mul_f64 v[84:85], v[84:85], v[86:87]
	v_cmp_class_f64_e64 s[66:67], v[6:7], s77
	v_cndmask_b32_e32 v6, v116, v117, vcc
	v_fmac_f64_e32 v[82:83], v[82:83], v[84:85]
	v_bfi_b32 v16, s76, v6, v9
	v_ashrrev_i32_e32 v6, 31, v7
	v_and_b32_e32 v69, 0x400921fb, v6
	v_and_b32_e32 v84, 0x54442d18, v6
	v_add_f64 v[6:7], -v[82:83], s[42:43]
	v_cndmask_b32_e64 v7, v83, v7, s[10:11]
	v_cndmask_b32_e64 v6, v82, v6, s[10:11]
	s_mov_b32 s44, s42
	v_add_f64 v[82:83], -v[6:7], s[44:45]
	v_cmp_class_f64_e64 s[12:13], v[8:9], s77
	v_cndmask_b32_e32 v1, v114, v115, vcc
	v_cndmask_b32_e32 v7, v7, v83, vcc
	;; [unrolled: 1-line block ×3, first 2 shown]
	v_cmp_eq_f64_e32 vcc, 0, v[8:9]
	v_cndmask_b32_e32 v6, v6, v84, vcc
	v_cndmask_b32_e32 v7, v7, v69, vcc
	s_and_b64 vcc, s[12:13], s[66:67]
	v_cndmask_b32_e32 v83, v7, v16, vcc
	v_cndmask_b32_e32 v82, v6, v1, vcc
.LBB186_59:                             ;   in Loop: Header=BB186_4 Depth=1
	s_or_b64 exec, exec, s[64:65]
.LBB186_60:                             ;   in Loop: Header=BB186_4 Depth=1
	s_or_b64 exec, exec, s[62:63]
.LBB186_61:                             ;   in Loop: Header=BB186_4 Depth=1
	s_andn2_saveexec_b64 s[60:61], s[60:61]
	s_cbranch_execz .LBB186_63
; %bb.62:                               ;   in Loop: Header=BB186_4 Depth=1
	v_max_f64 v[14:15], |v[8:9]|, |v[8:9]|
	v_max_f64 v[82:83], |v[6:7]|, |v[6:7]|
	v_max_f64 v[84:85], v[82:83], v[14:15]
	v_frexp_exp_i32_f64_e32 v1, v[84:85]
	v_sub_u32_e32 v16, 0, v1
	v_ldexp_f64 v[88:89], |v[8:9]|, v16
	v_ldexp_f64 v[86:87], |v[6:7]|, v16
	v_mul_f64 v[88:89], v[88:89], v[88:89]
	v_fmac_f64_e32 v[88:89], v[86:87], v[86:87]
	v_rsq_f64_e32 v[86:87], v[88:89]
	v_cmp_eq_f64_e32 vcc, 0, v[88:89]
	v_cmp_class_f64_e64 s[62:63], v[6:7], s77
	v_cmp_class_f64_e64 s[64:65], v[8:9], s77
	v_mul_f64 v[90:91], v[88:89], v[86:87]
	v_mul_f64 v[86:87], v[86:87], 0.5
	v_fma_f64 v[92:93], -v[86:87], v[90:91], 0.5
	v_fmac_f64_e32 v[90:91], v[90:91], v[92:93]
	v_fmac_f64_e32 v[86:87], v[86:87], v[92:93]
	v_fma_f64 v[92:93], -v[90:91], v[90:91], v[88:89]
	v_fmac_f64_e32 v[90:91], v[92:93], v[86:87]
	v_cndmask_b32_e32 v87, v91, v89, vcc
	v_cndmask_b32_e32 v86, v90, v88, vcc
	v_ldexp_f64 v[86:87], v[86:87], v1
	s_or_b64 vcc, s[64:65], s[62:63]
	v_cndmask_b32_e32 v89, v87, v119, vcc
	v_cndmask_b32_e64 v88, v86, 0, vcc
	v_frexp_mant_f64_e32 v[90:91], v[88:89]
	v_cmp_gt_f64_e64 s[12:13], s[28:29], v[90:91]
	v_cndmask_b32_e64 v69, v118, 2.0, s[12:13]
	v_mul_f64 v[90:91], v[90:91], v[68:69]
	v_add_f64 v[92:93], v[90:91], 1.0
	v_rcp_f64_e32 v[94:95], v[92:93]
	v_add_f64 v[98:99], v[92:93], -1.0
	v_add_f64 v[96:97], v[90:91], -1.0
	v_add_f64 v[90:91], v[90:91], -v[98:99]
	v_fma_f64 v[98:99], -v[92:93], v[94:95], 1.0
	v_fmac_f64_e32 v[94:95], v[98:99], v[94:95]
	v_fma_f64 v[98:99], -v[92:93], v[94:95], 1.0
	v_fmac_f64_e32 v[94:95], v[98:99], v[94:95]
	v_mul_f64 v[98:99], v[96:97], v[94:95]
	v_mul_f64 v[100:101], v[92:93], v[98:99]
	v_fma_f64 v[92:93], v[98:99], v[92:93], -v[100:101]
	v_fmac_f64_e32 v[92:93], v[98:99], v[90:91]
	v_add_f64 v[90:91], v[100:101], v[92:93]
	v_add_f64 v[102:103], v[96:97], -v[90:91]
	v_add_f64 v[100:101], v[90:91], -v[100:101]
	;; [unrolled: 1-line block ×5, first 2 shown]
	v_add_f64 v[90:91], v[92:93], v[90:91]
	v_add_f64 v[90:91], v[102:103], v[90:91]
	v_mul_f64 v[90:91], v[94:95], v[90:91]
	v_add_f64 v[92:93], v[98:99], v[90:91]
	v_add_f64 v[94:95], v[92:93], -v[98:99]
	v_add_f64 v[90:91], v[90:91], -v[94:95]
	v_mul_f64 v[94:95], v[92:93], v[92:93]
	v_pk_mov_b32 v[96:97], v[18:19], v[18:19] op_sel:[0,1]
	v_fmac_f64_e32 v[96:97], s[30:31], v[94:95]
	v_pk_mov_b32 v[98:99], v[20:21], v[20:21] op_sel:[0,1]
	v_fmac_f64_e32 v[98:99], v[94:95], v[96:97]
	;; [unrolled: 2-line block ×6, first 2 shown]
	v_ldexp_f64 v[96:97], v[92:93], 1
	v_mul_f64 v[92:93], v[92:93], v[94:95]
	v_mul_f64 v[92:93], v[92:93], v[98:99]
	v_add_f64 v[94:95], v[96:97], v[92:93]
	v_add_f64 v[96:97], v[94:95], -v[96:97]
	v_ldexp_f64 v[90:91], v[90:91], 1
	v_add_f64 v[92:93], v[92:93], -v[96:97]
	v_add_f64 v[90:91], v[90:91], v[92:93]
	v_frexp_exp_i32_f64_e32 v1, v[88:89]
	v_add_f64 v[92:93], v[94:95], v[90:91]
	v_subbrev_co_u32_e64 v1, s[12:13], 0, v1, s[12:13]
	v_add_f64 v[94:95], v[92:93], -v[94:95]
	v_add_f64 v[90:91], v[90:91], -v[94:95]
	v_cvt_f64_i32_e32 v[94:95], v1
	v_mul_f64 v[96:97], v[94:95], s[34:35]
	v_fma_f64 v[98:99], v[94:95], s[34:35], -v[96:97]
	v_fmac_f64_e32 v[98:99], s[36:37], v[94:95]
	v_add_f64 v[94:95], v[96:97], v[98:99]
	v_add_f64 v[96:97], v[94:95], -v[96:97]
	v_add_f64 v[96:97], v[98:99], -v[96:97]
	v_add_f64 v[98:99], v[94:95], v[92:93]
	v_add_f64 v[100:101], v[98:99], -v[94:95]
	v_add_f64 v[102:103], v[98:99], -v[100:101]
	;; [unrolled: 1-line block ×4, first 2 shown]
	v_add_f64 v[92:93], v[92:93], v[94:95]
	v_add_f64 v[94:95], v[96:97], v[90:91]
	v_add_f64 v[100:101], v[94:95], -v[96:97]
	v_add_f64 v[102:103], v[94:95], -v[100:101]
	v_add_f64 v[92:93], v[94:95], v[92:93]
	v_add_f64 v[96:97], v[96:97], -v[102:103]
	v_add_f64 v[90:91], v[90:91], -v[100:101]
	v_add_f64 v[94:95], v[98:99], v[92:93]
	v_add_f64 v[90:91], v[90:91], v[96:97]
	v_add_f64 v[96:97], v[94:95], -v[98:99]
	v_add_f64 v[92:93], v[92:93], -v[96:97]
	v_add_f64 v[90:91], v[90:91], v[92:93]
	v_add_f64 v[90:91], v[94:95], v[90:91]
	v_cmp_class_f64_e64 s[12:13], v[86:87], s77
	v_min_f64 v[82:83], v[82:83], v[14:15]
	v_cndmask_b32_e64 v1, v91, v87, s[12:13]
	v_cndmask_b32_e64 v6, v90, v86, s[12:13]
	v_div_scale_f64 v[86:87], s[12:13], v[84:85], v[84:85], v[82:83]
	v_rcp_f64_e32 v[90:91], v[86:87]
	v_cndmask_b32_e64 v6, v6, 0, vcc
	v_cndmask_b32_e32 v1, v1, v119, vcc
	v_cmp_ngt_f64_e32 vcc, 0, v[88:89]
	v_cndmask_b32_e32 v1, v112, v1, vcc
	v_cmp_nge_f64_e32 vcc, 0, v[88:89]
	v_cndmask_b32_e32 v14, 0, v6, vcc
	v_cmp_neq_f64_e32 vcc, 0, v[88:89]
	v_fma_f64 v[88:89], -v[86:87], v[90:91], 1.0
	v_fmac_f64_e32 v[90:91], v[90:91], v[88:89]
	v_fma_f64 v[88:89], -v[86:87], v[90:91], 1.0
	v_cndmask_b32_e32 v15, v113, v1, vcc
	v_fmac_f64_e32 v[90:91], v[90:91], v[88:89]
	v_div_scale_f64 v[88:89], vcc, v[82:83], v[84:85], v[82:83]
	v_mul_f64 v[92:93], v[88:89], v[90:91]
	v_fma_f64 v[86:87], -v[86:87], v[92:93], v[88:89]
	v_pk_mov_b32 v[88:89], v[32:33], v[32:33] op_sel:[0,1]
	s_nop 0
	v_div_fmas_f64 v[86:87], v[86:87], v[90:91], v[92:93]
	v_div_fixup_f64 v[82:83], v[86:87], v[84:85], v[82:83]
	v_mul_f64 v[84:85], v[82:83], v[82:83]
	v_pk_mov_b32 v[86:87], v[30:31], v[30:31] op_sel:[0,1]
	v_fmac_f64_e32 v[86:87], s[40:41], v[84:85]
	v_fmac_f64_e32 v[88:89], v[84:85], v[86:87]
	v_pk_mov_b32 v[86:87], v[34:35], v[34:35] op_sel:[0,1]
	v_fmac_f64_e32 v[86:87], v[84:85], v[88:89]
	v_pk_mov_b32 v[88:89], v[36:37], v[36:37] op_sel:[0,1]
	;; [unrolled: 2-line block ×17, first 2 shown]
	v_fmac_f64_e32 v[86:87], v[84:85], v[88:89]
	v_cmp_gt_i32_e32 vcc, 0, v7
	v_mul_f64 v[84:85], v[84:85], v[86:87]
	v_cndmask_b32_e32 v6, v116, v117, vcc
	v_fmac_f64_e32 v[82:83], v[82:83], v[84:85]
	v_bfi_b32 v16, s76, v6, v9
	v_ashrrev_i32_e32 v6, 31, v7
	v_and_b32_e32 v69, 0x400921fb, v6
	v_and_b32_e32 v84, 0x54442d18, v6
	v_add_f64 v[6:7], -v[82:83], s[42:43]
	v_cndmask_b32_e64 v7, v83, v7, s[10:11]
	v_cndmask_b32_e64 v6, v82, v6, s[10:11]
	s_mov_b32 s44, s42
	v_add_f64 v[82:83], -v[6:7], s[44:45]
	v_cndmask_b32_e32 v1, v114, v115, vcc
	v_cndmask_b32_e32 v7, v7, v83, vcc
	;; [unrolled: 1-line block ×3, first 2 shown]
	v_cmp_eq_f64_e32 vcc, 0, v[8:9]
	v_cndmask_b32_e32 v6, v6, v84, vcc
	v_cndmask_b32_e32 v7, v7, v69, vcc
	s_and_b64 vcc, s[64:65], s[62:63]
	v_cndmask_b32_e32 v83, v7, v16, vcc
	v_cndmask_b32_e32 v82, v6, v1, vcc
.LBB186_63:                             ;   in Loop: Header=BB186_4 Depth=1
	s_or_b64 exec, exec, s[60:61]
                                        ; implicit-def: $vgpr84_vgpr85
.LBB186_64:                             ;   in Loop: Header=BB186_4 Depth=1
	s_andn2_saveexec_b64 s[12:13], s[58:59]
	s_cbranch_execz .LBB186_70
; %bb.65:                               ;   in Loop: Header=BB186_4 Depth=1
	v_cmp_ngt_f64_e32 vcc, s[48:49], v[84:85]
                                        ; implicit-def: $vgpr14_vgpr15
                                        ; implicit-def: $vgpr82_vgpr83
	s_and_saveexec_b64 s[58:59], vcc
	s_xor_b64 s[58:59], exec, s[58:59]
	s_cbranch_execz .LBB186_67
; %bb.66:                               ;   in Loop: Header=BB186_4 Depth=1
	v_mul_f64 v[14:15], v[84:85], v[84:85]
	v_add_f64 v[82:83], v[14:15], 1.0
	v_add_f64 v[84:85], v[82:83], -1.0
	v_add_f64 v[86:87], v[84:85], -v[82:83]
	v_add_f64 v[86:87], v[86:87], 1.0
	v_add_f64 v[84:85], v[14:15], -v[84:85]
	v_add_f64 v[84:85], v[84:85], v[86:87]
	v_frexp_mant_f64_e32 v[86:87], v[82:83]
	v_frexp_exp_i32_f64_e32 v1, v[82:83]
	v_cmp_gt_f64_e32 vcc, s[28:29], v[86:87]
	v_subbrev_co_u32_e32 v1, vcc, 0, v1, vcc
	v_sub_u32_e32 v16, 0, v1
	v_ldexp_f64 v[82:83], v[82:83], v16
	v_add_f64 v[86:87], v[82:83], -1.0
	v_add_f64 v[92:93], v[82:83], 1.0
	v_add_f64 v[88:89], v[86:87], 1.0
	v_add_f64 v[94:95], v[92:93], -1.0
	v_ldexp_f64 v[84:85], v[84:85], v16
	v_add_f64 v[88:89], v[82:83], -v[88:89]
	v_add_f64 v[82:83], v[82:83], -v[94:95]
	v_add_f64 v[82:83], v[84:85], v[82:83]
	v_add_f64 v[88:89], v[84:85], v[88:89]
	;; [unrolled: 1-line block ×3, first 2 shown]
	v_rcp_f64_e32 v[94:95], v[84:85]
	v_add_f64 v[90:91], v[86:87], v[88:89]
	v_add_f64 v[86:87], v[86:87], -v[90:91]
	v_add_f64 v[86:87], v[88:89], v[86:87]
	v_add_f64 v[88:89], v[92:93], -v[84:85]
	v_add_f64 v[82:83], v[82:83], v[88:89]
	v_fma_f64 v[88:89], -v[84:85], v[94:95], 1.0
	v_fmac_f64_e32 v[94:95], v[88:89], v[94:95]
	v_fma_f64 v[88:89], -v[84:85], v[94:95], 1.0
	v_fmac_f64_e32 v[94:95], v[88:89], v[94:95]
	v_mul_f64 v[88:89], v[90:91], v[94:95]
	v_mul_f64 v[92:93], v[84:85], v[88:89]
	v_fma_f64 v[96:97], v[88:89], v[84:85], -v[92:93]
	v_fmac_f64_e32 v[96:97], v[88:89], v[82:83]
	v_add_f64 v[98:99], v[92:93], v[96:97]
	v_add_f64 v[100:101], v[90:91], -v[98:99]
	v_add_f64 v[90:91], v[90:91], -v[100:101]
	;; [unrolled: 1-line block ×4, first 2 shown]
	v_add_f64 v[86:87], v[86:87], v[90:91]
	v_add_f64 v[90:91], v[92:93], -v[96:97]
	v_add_f64 v[86:87], v[90:91], v[86:87]
	v_add_f64 v[90:91], v[100:101], v[86:87]
	v_add_f64 v[92:93], v[100:101], -v[90:91]
	v_add_f64 v[86:87], v[86:87], v[92:93]
	v_mul_f64 v[92:93], v[94:95], v[90:91]
	v_mul_f64 v[96:97], v[84:85], v[92:93]
	v_fma_f64 v[84:85], v[92:93], v[84:85], -v[96:97]
	v_fmac_f64_e32 v[84:85], v[92:93], v[82:83]
	v_add_f64 v[82:83], v[96:97], v[84:85]
	v_add_f64 v[98:99], v[90:91], -v[82:83]
	v_add_f64 v[90:91], v[90:91], -v[98:99]
	;; [unrolled: 1-line block ×4, first 2 shown]
	v_add_f64 v[82:83], v[86:87], v[82:83]
	v_add_f64 v[84:85], v[96:97], -v[84:85]
	v_add_f64 v[82:83], v[84:85], v[82:83]
	v_add_f64 v[84:85], v[88:89], v[92:93]
	;; [unrolled: 1-line block ×3, first 2 shown]
	v_add_f64 v[86:87], v[84:85], -v[88:89]
	v_mul_f64 v[82:83], v[94:95], v[82:83]
	v_add_f64 v[86:87], v[92:93], -v[86:87]
	v_add_f64 v[82:83], v[86:87], v[82:83]
	v_add_f64 v[86:87], v[84:85], v[82:83]
	v_add_f64 v[84:85], v[86:87], -v[84:85]
	v_add_f64 v[82:83], v[82:83], -v[84:85]
	v_mul_f64 v[84:85], v[86:87], v[86:87]
	v_pk_mov_b32 v[88:89], v[18:19], v[18:19] op_sel:[0,1]
	v_fmac_f64_e32 v[88:89], s[30:31], v[84:85]
	v_pk_mov_b32 v[90:91], v[20:21], v[20:21] op_sel:[0,1]
	v_fmac_f64_e32 v[90:91], v[84:85], v[88:89]
	;; [unrolled: 2-line block ×6, first 2 shown]
	v_cvt_f64_i32_e32 v[88:89], v1
	v_mul_f64 v[92:93], v[88:89], s[34:35]
	v_fma_f64 v[94:95], v[88:89], s[34:35], -v[92:93]
	v_fmac_f64_e32 v[94:95], s[36:37], v[88:89]
	v_add_f64 v[88:89], v[92:93], v[94:95]
	v_add_f64 v[92:93], v[88:89], -v[92:93]
	v_mul_f64 v[84:85], v[86:87], v[84:85]
	v_add_f64 v[92:93], v[94:95], -v[92:93]
	v_ldexp_f64 v[94:95], v[86:87], 1
	v_mul_f64 v[84:85], v[84:85], v[90:91]
	v_add_f64 v[86:87], v[94:95], v[84:85]
	v_add_f64 v[90:91], v[86:87], -v[94:95]
	v_ldexp_f64 v[82:83], v[82:83], 1
	v_add_f64 v[84:85], v[84:85], -v[90:91]
	v_add_f64 v[82:83], v[82:83], v[84:85]
	v_add_f64 v[84:85], v[86:87], v[82:83]
	v_add_f64 v[86:87], v[84:85], -v[86:87]
	v_add_f64 v[82:83], v[82:83], -v[86:87]
	v_add_f64 v[86:87], v[88:89], v[84:85]
	v_add_f64 v[90:91], v[86:87], -v[88:89]
	v_add_f64 v[94:95], v[86:87], -v[90:91]
	;; [unrolled: 1-line block ×4, first 2 shown]
	v_add_f64 v[84:85], v[84:85], v[88:89]
	v_add_f64 v[88:89], v[92:93], v[82:83]
	v_add_f64 v[90:91], v[88:89], -v[92:93]
	v_add_f64 v[84:85], v[88:89], v[84:85]
	v_add_f64 v[94:95], v[88:89], -v[90:91]
	v_add_f64 v[88:89], v[86:87], v[84:85]
	v_add_f64 v[92:93], v[92:93], -v[94:95]
	v_add_f64 v[82:83], v[82:83], -v[90:91]
	v_add_f64 v[86:87], v[88:89], -v[86:87]
	v_add_f64 v[82:83], v[82:83], v[92:93]
	v_add_f64 v[84:85], v[84:85], -v[86:87]
	v_add_f64 v[82:83], v[82:83], v[84:85]
	v_max_f64 v[84:85], |v[8:9]|, |v[8:9]|
	v_max_f64 v[86:87], |v[6:7]|, |v[6:7]|
	v_add_f64 v[82:83], v[88:89], v[82:83]
	v_max_f64 v[88:89], v[86:87], v[84:85]
	v_min_f64 v[84:85], v[86:87], v[84:85]
	v_div_scale_f64 v[86:87], s[60:61], v[88:89], v[88:89], v[84:85]
	v_rcp_f64_e32 v[90:91], v[86:87]
	v_cmp_eq_f64_e32 vcc, s[38:39], v[14:15]
	v_cndmask_b32_e32 v15, v83, v15, vcc
	v_cndmask_b32_e32 v14, v82, v14, vcc
	v_fma_f64 v[82:83], -v[86:87], v[90:91], 1.0
	v_fmac_f64_e32 v[90:91], v[90:91], v[82:83]
	v_fma_f64 v[82:83], -v[86:87], v[90:91], 1.0
	v_fmac_f64_e32 v[90:91], v[90:91], v[82:83]
	v_div_scale_f64 v[82:83], vcc, v[84:85], v[88:89], v[84:85]
	v_mul_f64 v[92:93], v[82:83], v[90:91]
	v_fma_f64 v[82:83], -v[86:87], v[92:93], v[82:83]
	v_pk_mov_b32 v[86:87], v[30:31], v[30:31] op_sel:[0,1]
	s_nop 0
	v_div_fmas_f64 v[82:83], v[82:83], v[90:91], v[92:93]
	v_div_fixup_f64 v[82:83], v[82:83], v[88:89], v[84:85]
	v_mul_f64 v[84:85], v[82:83], v[82:83]
	v_fmac_f64_e32 v[86:87], s[40:41], v[84:85]
	v_pk_mov_b32 v[88:89], v[32:33], v[32:33] op_sel:[0,1]
	v_fmac_f64_e32 v[88:89], v[84:85], v[86:87]
	v_pk_mov_b32 v[86:87], v[34:35], v[34:35] op_sel:[0,1]
	;; [unrolled: 2-line block ×18, first 2 shown]
	v_fmac_f64_e32 v[86:87], v[84:85], v[88:89]
	v_cmp_gt_i32_e32 vcc, 0, v7
	v_mul_f64 v[84:85], v[84:85], v[86:87]
	v_cmp_class_f64_e64 s[62:63], v[6:7], s77
	v_cndmask_b32_e32 v6, v116, v117, vcc
	v_fmac_f64_e32 v[82:83], v[82:83], v[84:85]
	v_bfi_b32 v16, s76, v6, v9
	v_ashrrev_i32_e32 v6, 31, v7
	v_and_b32_e32 v69, 0x400921fb, v6
	v_and_b32_e32 v84, 0x54442d18, v6
	v_add_f64 v[6:7], -v[82:83], s[42:43]
	v_cndmask_b32_e64 v7, v83, v7, s[10:11]
	v_cndmask_b32_e64 v6, v82, v6, s[10:11]
	s_mov_b32 s44, s42
	v_add_f64 v[82:83], -v[6:7], s[44:45]
	v_cmp_class_f64_e64 s[60:61], v[8:9], s77
	v_cndmask_b32_e32 v1, v114, v115, vcc
	v_cndmask_b32_e32 v7, v7, v83, vcc
	;; [unrolled: 1-line block ×3, first 2 shown]
	v_cmp_eq_f64_e32 vcc, 0, v[8:9]
	v_cndmask_b32_e32 v6, v6, v84, vcc
	v_cndmask_b32_e32 v7, v7, v69, vcc
	s_and_b64 vcc, s[60:61], s[62:63]
	v_mul_f64 v[14:15], v[14:15], 0.5
	v_cndmask_b32_e32 v83, v7, v16, vcc
	v_cndmask_b32_e32 v82, v6, v1, vcc
                                        ; implicit-def: $vgpr84_vgpr85
.LBB186_67:                             ;   in Loop: Header=BB186_4 Depth=1
	s_andn2_saveexec_b64 s[58:59], s[58:59]
	s_cbranch_execz .LBB186_69
; %bb.68:                               ;   in Loop: Header=BB186_4 Depth=1
	v_max_f64 v[14:15], |v[8:9]|, |v[8:9]|
	v_max_f64 v[82:83], |v[6:7]|, |v[6:7]|
	v_max_f64 v[86:87], v[82:83], v[14:15]
	v_min_f64 v[82:83], v[82:83], v[14:15]
	v_div_scale_f64 v[88:89], s[60:61], v[86:87], v[86:87], v[82:83]
	v_rcp_f64_e32 v[90:91], v[88:89]
	v_mul_f64 v[14:15], v[84:85], 0.5
	v_mul_f64 v[14:15], v[84:85], v[14:15]
	v_cmp_class_f64_e64 s[62:63], v[6:7], s77
	v_fma_f64 v[84:85], -v[88:89], v[90:91], 1.0
	v_fmac_f64_e32 v[90:91], v[90:91], v[84:85]
	v_fma_f64 v[84:85], -v[88:89], v[90:91], 1.0
	v_fmac_f64_e32 v[90:91], v[90:91], v[84:85]
	v_div_scale_f64 v[84:85], vcc, v[82:83], v[86:87], v[82:83]
	v_mul_f64 v[92:93], v[84:85], v[90:91]
	v_fma_f64 v[84:85], -v[88:89], v[92:93], v[84:85]
	v_pk_mov_b32 v[88:89], v[32:33], v[32:33] op_sel:[0,1]
	s_nop 0
	v_div_fmas_f64 v[84:85], v[84:85], v[90:91], v[92:93]
	v_div_fixup_f64 v[82:83], v[84:85], v[86:87], v[82:83]
	v_mul_f64 v[84:85], v[82:83], v[82:83]
	v_pk_mov_b32 v[86:87], v[30:31], v[30:31] op_sel:[0,1]
	v_fmac_f64_e32 v[86:87], s[40:41], v[84:85]
	v_fmac_f64_e32 v[88:89], v[84:85], v[86:87]
	v_pk_mov_b32 v[86:87], v[34:35], v[34:35] op_sel:[0,1]
	v_fmac_f64_e32 v[86:87], v[84:85], v[88:89]
	v_pk_mov_b32 v[88:89], v[36:37], v[36:37] op_sel:[0,1]
	;; [unrolled: 2-line block ×17, first 2 shown]
	v_fmac_f64_e32 v[86:87], v[84:85], v[88:89]
	v_cmp_gt_i32_e32 vcc, 0, v7
	v_mul_f64 v[84:85], v[84:85], v[86:87]
	v_cndmask_b32_e32 v6, v116, v117, vcc
	v_fmac_f64_e32 v[82:83], v[82:83], v[84:85]
	v_bfi_b32 v16, s76, v6, v9
	v_ashrrev_i32_e32 v6, 31, v7
	v_and_b32_e32 v69, 0x400921fb, v6
	v_and_b32_e32 v84, 0x54442d18, v6
	v_add_f64 v[6:7], -v[82:83], s[42:43]
	v_cndmask_b32_e64 v7, v83, v7, s[10:11]
	v_cndmask_b32_e64 v6, v82, v6, s[10:11]
	s_mov_b32 s44, s42
	v_add_f64 v[82:83], -v[6:7], s[44:45]
	v_cmp_class_f64_e64 s[60:61], v[8:9], s77
	v_cndmask_b32_e32 v1, v114, v115, vcc
	v_cndmask_b32_e32 v7, v7, v83, vcc
	;; [unrolled: 1-line block ×3, first 2 shown]
	v_cmp_eq_f64_e32 vcc, 0, v[8:9]
	v_cndmask_b32_e32 v6, v6, v84, vcc
	v_cndmask_b32_e32 v7, v7, v69, vcc
	s_and_b64 vcc, s[60:61], s[62:63]
	v_cndmask_b32_e32 v83, v7, v16, vcc
	v_cndmask_b32_e32 v82, v6, v1, vcc
.LBB186_69:                             ;   in Loop: Header=BB186_4 Depth=1
	s_or_b64 exec, exec, s[58:59]
.LBB186_70:                             ;   in Loop: Header=BB186_4 Depth=1
	s_or_b64 exec, exec, s[12:13]
.LBB186_71:                             ;   in Loop: Header=BB186_4 Depth=1
	s_andn2_saveexec_b64 s[58:59], s[14:15]
	s_cbranch_execz .LBB186_73
; %bb.72:                               ;   in Loop: Header=BB186_4 Depth=1
	v_div_scale_f64 v[14:15], s[12:13], s[50:51], s[50:51], v[6:7]
	v_rcp_f64_e32 v[82:83], v[14:15]
	v_div_scale_f64 v[84:85], vcc, v[6:7], s[50:51], v[6:7]
	s_mov_b32 s44, s42
	v_fma_f64 v[86:87], -v[14:15], v[82:83], 1.0
	v_fmac_f64_e32 v[82:83], v[82:83], v[86:87]
	v_fma_f64 v[86:87], -v[14:15], v[82:83], 1.0
	v_fmac_f64_e32 v[82:83], v[82:83], v[86:87]
	v_mul_f64 v[86:87], v[84:85], v[82:83]
	v_fma_f64 v[14:15], -v[14:15], v[86:87], v[84:85]
	v_div_scale_f64 v[84:85], s[12:13], s[50:51], s[50:51], v[8:9]
	v_rcp_f64_e32 v[88:89], v[84:85]
	v_div_fmas_f64 v[14:15], v[14:15], v[82:83], v[86:87]
	v_div_fixup_f64 v[14:15], v[14:15], s[50:51], v[6:7]
	v_cmp_class_f64_e64 s[14:15], v[14:15], s77
	v_fma_f64 v[82:83], -v[84:85], v[88:89], 1.0
	v_fmac_f64_e32 v[88:89], v[88:89], v[82:83]
	v_fma_f64 v[82:83], -v[84:85], v[88:89], 1.0
	v_fmac_f64_e32 v[88:89], v[88:89], v[82:83]
	v_div_scale_f64 v[82:83], vcc, v[8:9], s[50:51], v[8:9]
	v_mul_f64 v[86:87], v[82:83], v[88:89]
	v_fma_f64 v[82:83], -v[84:85], v[86:87], v[82:83]
	s_nop 1
	v_div_fmas_f64 v[82:83], v[82:83], v[88:89], v[86:87]
	v_div_fixup_f64 v[82:83], v[82:83], s[50:51], v[8:9]
	v_max_f64 v[84:85], |v[14:15]|, |v[82:83]|
	v_frexp_exp_i32_f64_e32 v1, v[84:85]
	v_sub_u32_e32 v16, 0, v1
	v_ldexp_f64 v[86:87], |v[82:83]|, v16
	v_ldexp_f64 v[84:85], |v[14:15]|, v16
	v_mul_f64 v[86:87], v[86:87], v[86:87]
	v_fmac_f64_e32 v[86:87], v[84:85], v[84:85]
	v_rsq_f64_e32 v[84:85], v[86:87]
	v_cmp_eq_f64_e32 vcc, 0, v[86:87]
	v_cmp_o_f64_e64 s[12:13], v[14:15], v[82:83]
	v_cmp_class_f64_e64 s[60:61], v[82:83], s77
	v_mul_f64 v[88:89], v[86:87], v[84:85]
	v_mul_f64 v[84:85], v[84:85], 0.5
	v_fma_f64 v[90:91], -v[84:85], v[88:89], 0.5
	v_fmac_f64_e32 v[88:89], v[88:89], v[90:91]
	v_fmac_f64_e32 v[84:85], v[84:85], v[90:91]
	v_fma_f64 v[90:91], -v[88:89], v[88:89], v[86:87]
	v_fmac_f64_e32 v[88:89], v[90:91], v[84:85]
	v_cndmask_b32_e32 v85, v89, v87, vcc
	v_cndmask_b32_e32 v84, v88, v86, vcc
	v_ldexp_f64 v[84:85], v[84:85], v1
	v_cndmask_b32_e64 v1, 0, v84, s[12:13]
	v_cndmask_b32_e64 v16, v112, v85, s[12:13]
	s_or_b64 vcc, s[60:61], s[14:15]
	v_cndmask_b32_e32 v83, v16, v119, vcc
	v_cndmask_b32_e64 v82, v1, 0, vcc
	v_frexp_mant_f64_e32 v[14:15], v[82:83]
	v_cmp_gt_f64_e64 s[14:15], s[28:29], v[14:15]
	v_cndmask_b32_e64 v69, v118, 2.0, s[14:15]
	v_frexp_exp_i32_f64_e32 v86, v[82:83]
	v_mul_f64 v[14:15], v[14:15], v[68:69]
	v_subbrev_co_u32_e64 v69, s[14:15], 0, v86, s[14:15]
	v_add_f64 v[86:87], v[14:15], 1.0
	v_rcp_f64_e32 v[88:89], v[86:87]
	v_add_f64 v[92:93], v[86:87], -1.0
	v_add_f64 v[90:91], v[14:15], -1.0
	v_add_f64 v[14:15], v[14:15], -v[92:93]
	v_fma_f64 v[92:93], -v[86:87], v[88:89], 1.0
	v_fmac_f64_e32 v[88:89], v[92:93], v[88:89]
	v_fma_f64 v[92:93], -v[86:87], v[88:89], 1.0
	v_fmac_f64_e32 v[88:89], v[92:93], v[88:89]
	v_mul_f64 v[92:93], v[90:91], v[88:89]
	v_mul_f64 v[94:95], v[86:87], v[92:93]
	v_fma_f64 v[86:87], v[92:93], v[86:87], -v[94:95]
	v_fmac_f64_e32 v[86:87], v[92:93], v[14:15]
	v_add_f64 v[14:15], v[94:95], v[86:87]
	v_add_f64 v[96:97], v[90:91], -v[14:15]
	v_add_f64 v[94:95], v[14:15], -v[94:95]
	v_add_f64 v[90:91], v[90:91], -v[96:97]
	v_add_f64 v[14:15], v[90:91], -v[14:15]
	v_add_f64 v[86:87], v[94:95], -v[86:87]
	v_add_f64 v[14:15], v[86:87], v[14:15]
	v_add_f64 v[14:15], v[96:97], v[14:15]
	v_mul_f64 v[14:15], v[88:89], v[14:15]
	v_add_f64 v[86:87], v[92:93], v[14:15]
	v_add_f64 v[88:89], v[86:87], -v[92:93]
	v_add_f64 v[14:15], v[14:15], -v[88:89]
	v_mul_f64 v[88:89], v[86:87], v[86:87]
	v_pk_mov_b32 v[90:91], v[18:19], v[18:19] op_sel:[0,1]
	v_fmac_f64_e32 v[90:91], s[30:31], v[88:89]
	v_pk_mov_b32 v[92:93], v[20:21], v[20:21] op_sel:[0,1]
	v_fmac_f64_e32 v[92:93], v[88:89], v[90:91]
	;; [unrolled: 2-line block ×6, first 2 shown]
	v_ldexp_f64 v[90:91], v[86:87], 1
	v_mul_f64 v[86:87], v[86:87], v[88:89]
	v_mul_f64 v[86:87], v[86:87], v[92:93]
	v_add_f64 v[88:89], v[90:91], v[86:87]
	v_add_f64 v[90:91], v[88:89], -v[90:91]
	v_ldexp_f64 v[14:15], v[14:15], 1
	v_add_f64 v[86:87], v[86:87], -v[90:91]
	v_add_f64 v[14:15], v[14:15], v[86:87]
	v_add_f64 v[86:87], v[88:89], v[14:15]
	v_add_f64 v[88:89], v[86:87], -v[88:89]
	v_add_f64 v[14:15], v[14:15], -v[88:89]
	v_cvt_f64_i32_e32 v[88:89], v69
	v_mul_f64 v[90:91], v[88:89], s[34:35]
	v_fma_f64 v[92:93], v[88:89], s[34:35], -v[90:91]
	v_fmac_f64_e32 v[92:93], s[36:37], v[88:89]
	v_add_f64 v[88:89], v[90:91], v[92:93]
	v_add_f64 v[90:91], v[88:89], -v[90:91]
	v_add_f64 v[90:91], v[92:93], -v[90:91]
	v_add_f64 v[92:93], v[88:89], v[86:87]
	v_add_f64 v[94:95], v[92:93], -v[88:89]
	v_add_f64 v[96:97], v[92:93], -v[94:95]
	v_add_f64 v[88:89], v[88:89], -v[96:97]
	v_add_f64 v[86:87], v[86:87], -v[94:95]
	v_add_f64 v[86:87], v[86:87], v[88:89]
	v_add_f64 v[88:89], v[90:91], v[14:15]
	v_add_f64 v[94:95], v[88:89], -v[90:91]
	v_add_f64 v[96:97], v[88:89], -v[94:95]
	v_add_f64 v[86:87], v[88:89], v[86:87]
	v_add_f64 v[90:91], v[90:91], -v[96:97]
	v_add_f64 v[14:15], v[14:15], -v[94:95]
	v_add_f64 v[88:89], v[92:93], v[86:87]
	v_add_f64 v[14:15], v[14:15], v[90:91]
	v_add_f64 v[90:91], v[88:89], -v[92:93]
	v_add_f64 v[86:87], v[86:87], -v[90:91]
	v_and_b32_e32 v85, 0x7fffffff, v85
	v_add_f64 v[14:15], v[14:15], v[86:87]
	v_cmp_eq_f64_e64 s[14:15], s[38:39], v[84:85]
	v_add_f64 v[14:15], v[88:89], v[14:15]
	s_and_b64 s[12:13], s[12:13], s[14:15]
	v_cndmask_b32_e64 v15, v15, v16, s[12:13]
	v_cndmask_b32_e64 v14, v14, v1, s[12:13]
	v_add_f64 v[14:15], v[14:15], 1.0
	v_cndmask_b32_e64 v1, v14, 0, vcc
	v_cndmask_b32_e32 v14, v15, v119, vcc
	v_cmp_ngt_f64_e32 vcc, 0, v[82:83]
	v_cndmask_b32_e32 v16, v112, v14, vcc
	v_max_f64 v[14:15], |v[8:9]|, |v[8:9]|
	v_max_f64 v[84:85], |v[6:7]|, |v[6:7]|
	v_max_f64 v[86:87], v[84:85], v[14:15]
	v_min_f64 v[84:85], v[84:85], v[14:15]
	v_div_scale_f64 v[88:89], s[12:13], v[86:87], v[86:87], v[84:85]
	v_rcp_f64_e32 v[90:91], v[88:89]
	v_cmp_nge_f64_e32 vcc, 0, v[82:83]
	v_cndmask_b32_e32 v14, 0, v1, vcc
	v_cmp_neq_f64_e32 vcc, 0, v[82:83]
	v_fma_f64 v[82:83], -v[88:89], v[90:91], 1.0
	v_fmac_f64_e32 v[90:91], v[90:91], v[82:83]
	v_fma_f64 v[82:83], -v[88:89], v[90:91], 1.0
	v_cndmask_b32_e32 v15, v113, v16, vcc
	v_fmac_f64_e32 v[90:91], v[90:91], v[82:83]
	v_div_scale_f64 v[82:83], vcc, v[84:85], v[86:87], v[84:85]
	v_mul_f64 v[92:93], v[82:83], v[90:91]
	v_fma_f64 v[82:83], -v[88:89], v[92:93], v[82:83]
	v_pk_mov_b32 v[88:89], v[32:33], v[32:33] op_sel:[0,1]
	s_nop 0
	v_div_fmas_f64 v[82:83], v[82:83], v[90:91], v[92:93]
	v_div_fixup_f64 v[82:83], v[82:83], v[86:87], v[84:85]
	v_mul_f64 v[84:85], v[82:83], v[82:83]
	v_pk_mov_b32 v[86:87], v[30:31], v[30:31] op_sel:[0,1]
	v_fmac_f64_e32 v[86:87], s[40:41], v[84:85]
	v_fmac_f64_e32 v[88:89], v[84:85], v[86:87]
	v_pk_mov_b32 v[86:87], v[34:35], v[34:35] op_sel:[0,1]
	v_fmac_f64_e32 v[86:87], v[84:85], v[88:89]
	v_pk_mov_b32 v[88:89], v[36:37], v[36:37] op_sel:[0,1]
	;; [unrolled: 2-line block ×17, first 2 shown]
	v_fmac_f64_e32 v[86:87], v[84:85], v[88:89]
	v_cmp_gt_i32_e32 vcc, 0, v7
	v_mul_f64 v[84:85], v[84:85], v[86:87]
	v_cmp_class_f64_e64 s[14:15], v[6:7], s77
	v_cndmask_b32_e32 v6, v116, v117, vcc
	v_fmac_f64_e32 v[82:83], v[82:83], v[84:85]
	v_bfi_b32 v16, s76, v6, v9
	v_ashrrev_i32_e32 v6, 31, v7
	v_and_b32_e32 v69, 0x400921fb, v6
	v_and_b32_e32 v84, 0x54442d18, v6
	v_add_f64 v[6:7], -v[82:83], s[42:43]
	v_cndmask_b32_e64 v7, v83, v7, s[10:11]
	v_cndmask_b32_e64 v6, v82, v6, s[10:11]
	v_add_f64 v[82:83], -v[6:7], s[44:45]
	v_cmp_class_f64_e64 s[12:13], v[8:9], s77
	v_cndmask_b32_e32 v1, v114, v115, vcc
	v_cndmask_b32_e32 v7, v7, v83, vcc
	v_cndmask_b32_e32 v6, v6, v82, vcc
	v_cmp_eq_f64_e32 vcc, 0, v[8:9]
	v_cndmask_b32_e32 v6, v6, v84, vcc
	v_cndmask_b32_e32 v7, v7, v69, vcc
	s_and_b64 vcc, s[12:13], s[14:15]
	v_cndmask_b32_e32 v83, v7, v16, vcc
	v_cndmask_b32_e32 v82, v6, v1, vcc
.LBB186_73:                             ;   in Loop: Header=BB186_4 Depth=1
	s_or_b64 exec, exec, s[58:59]
.LBB186_74:                             ;   in Loop: Header=BB186_4 Depth=1
	s_andn2_saveexec_b64 s[10:11], s[56:57]
	s_cbranch_execz .LBB186_80
; %bb.75:                               ;   in Loop: Header=BB186_4 Depth=1
	v_cmp_nlt_f64_e64 s[12:13], |v[6:7]|, s[52:53]
	v_cmp_nlt_f64_e64 s[14:15], |v[8:9]|, s[52:53]
	s_or_b64 s[12:13], s[14:15], s[12:13]
                                        ; implicit-def: $vgpr82_vgpr83
	s_and_saveexec_b64 s[14:15], s[12:13]
	s_xor_b64 s[12:13], exec, s[14:15]
; %bb.76:                               ;   in Loop: Header=BB186_4 Depth=1
	v_mul_f64 v[82:83], v[6:7], v[6:7]
	v_fmac_f64_e32 v[82:83], v[8:9], v[8:9]
; %bb.77:                               ;   in Loop: Header=BB186_4 Depth=1
	s_andn2_saveexec_b64 s[12:13], s[12:13]
; %bb.78:                               ;   in Loop: Header=BB186_4 Depth=1
	v_mul_f64 v[6:7], v[6:7], 4.0
	v_mul_f64 v[14:15], v[8:9], 4.0
	v_mul_f64 v[6:7], v[6:7], v[6:7]
	v_fmac_f64_e32 v[6:7], v[14:15], v[14:15]
	v_ldexp_f64 v[82:83], v[6:7], -4
; %bb.79:                               ;   in Loop: Header=BB186_4 Depth=1
	s_or_b64 exec, exec, s[12:13]
	v_frexp_mant_f64_e32 v[6:7], v[82:83]
	v_cmp_gt_f64_e32 vcc, s[28:29], v[6:7]
	v_cndmask_b32_e64 v69, v118, 2.0, vcc
	v_mul_f64 v[6:7], v[6:7], v[68:69]
	v_add_f64 v[14:15], v[6:7], 1.0
	v_rcp_f64_e32 v[84:85], v[14:15]
	v_add_f64 v[88:89], v[14:15], -1.0
	v_add_f64 v[86:87], v[6:7], -1.0
	v_add_f64 v[6:7], v[6:7], -v[88:89]
	v_fma_f64 v[88:89], -v[14:15], v[84:85], 1.0
	v_fmac_f64_e32 v[84:85], v[88:89], v[84:85]
	v_fma_f64 v[88:89], -v[14:15], v[84:85], 1.0
	v_fmac_f64_e32 v[84:85], v[88:89], v[84:85]
	v_mul_f64 v[88:89], v[86:87], v[84:85]
	v_mul_f64 v[90:91], v[14:15], v[88:89]
	v_fma_f64 v[14:15], v[88:89], v[14:15], -v[90:91]
	v_fmac_f64_e32 v[14:15], v[88:89], v[6:7]
	v_add_f64 v[6:7], v[90:91], v[14:15]
	v_add_f64 v[92:93], v[86:87], -v[6:7]
	v_add_f64 v[90:91], v[6:7], -v[90:91]
	;; [unrolled: 1-line block ×5, first 2 shown]
	v_add_f64 v[6:7], v[14:15], v[6:7]
	v_add_f64 v[6:7], v[92:93], v[6:7]
	v_mul_f64 v[6:7], v[84:85], v[6:7]
	v_add_f64 v[14:15], v[88:89], v[6:7]
	v_add_f64 v[84:85], v[14:15], -v[88:89]
	v_add_f64 v[6:7], v[6:7], -v[84:85]
	v_mul_f64 v[84:85], v[14:15], v[14:15]
	v_pk_mov_b32 v[86:87], v[18:19], v[18:19] op_sel:[0,1]
	v_fmac_f64_e32 v[86:87], s[30:31], v[84:85]
	v_pk_mov_b32 v[88:89], v[20:21], v[20:21] op_sel:[0,1]
	v_fmac_f64_e32 v[88:89], v[84:85], v[86:87]
	;; [unrolled: 2-line block ×6, first 2 shown]
	v_ldexp_f64 v[86:87], v[14:15], 1
	v_mul_f64 v[14:15], v[14:15], v[84:85]
	v_mul_f64 v[14:15], v[14:15], v[88:89]
	v_add_f64 v[84:85], v[86:87], v[14:15]
	v_add_f64 v[86:87], v[84:85], -v[86:87]
	v_ldexp_f64 v[6:7], v[6:7], 1
	v_add_f64 v[14:15], v[14:15], -v[86:87]
	v_add_f64 v[6:7], v[6:7], v[14:15]
	v_frexp_exp_i32_f64_e32 v1, v[82:83]
	v_add_f64 v[14:15], v[84:85], v[6:7]
	v_subbrev_co_u32_e32 v1, vcc, 0, v1, vcc
	v_add_f64 v[84:85], v[14:15], -v[84:85]
	v_add_f64 v[6:7], v[6:7], -v[84:85]
	v_cvt_f64_i32_e32 v[84:85], v1
	v_mul_f64 v[86:87], v[84:85], s[34:35]
	v_fma_f64 v[88:89], v[84:85], s[34:35], -v[86:87]
	v_fmac_f64_e32 v[88:89], s[36:37], v[84:85]
	v_add_f64 v[84:85], v[86:87], v[88:89]
	v_add_f64 v[86:87], v[84:85], -v[86:87]
	v_add_f64 v[86:87], v[88:89], -v[86:87]
	v_add_f64 v[88:89], v[84:85], v[14:15]
	v_add_f64 v[90:91], v[88:89], -v[84:85]
	v_add_f64 v[92:93], v[88:89], -v[90:91]
	;; [unrolled: 1-line block ×4, first 2 shown]
	v_add_f64 v[14:15], v[14:15], v[84:85]
	v_add_f64 v[84:85], v[86:87], v[6:7]
	v_add_f64 v[90:91], v[84:85], -v[86:87]
	v_add_f64 v[92:93], v[84:85], -v[90:91]
	v_add_f64 v[14:15], v[84:85], v[14:15]
	v_add_f64 v[86:87], v[86:87], -v[92:93]
	v_add_f64 v[6:7], v[6:7], -v[90:91]
	v_add_f64 v[84:85], v[88:89], v[14:15]
	v_add_f64 v[6:7], v[6:7], v[86:87]
	v_add_f64 v[86:87], v[84:85], -v[88:89]
	v_add_f64 v[14:15], v[14:15], -v[86:87]
	v_add_f64 v[6:7], v[6:7], v[14:15]
	v_add_f64 v[6:7], v[84:85], v[6:7]
	v_cmp_class_f64_e64 vcc, v[82:83], s77
	v_cndmask_b32_e32 v1, v6, v82, vcc
	v_cndmask_b32_e32 v6, v7, v83, vcc
	v_cmp_ngt_f64_e32 vcc, 0, v[82:83]
	v_cndmask_b32_e32 v6, v112, v6, vcc
	v_cmp_nge_f64_e32 vcc, 0, v[82:83]
	v_cndmask_b32_e32 v14, 0, v1, vcc
	v_cmp_neq_f64_e32 vcc, 0, v[82:83]
	v_mov_b32_e32 v82, 0
	v_cndmask_b32_e32 v15, v113, v6, vcc
	v_mov_b32_e32 v83, 0x7ff80000
.LBB186_80:                             ;   in Loop: Header=BB186_4 Depth=1
	s_or_b64 exec, exec, s[10:11]
	v_cmp_o_f64_e32 vcc, v[10:11], v[12:13]
                                        ; implicit-def: $vgpr6_vgpr7
                                        ; implicit-def: $vgpr84_vgpr85
	s_and_saveexec_b64 s[10:11], vcc
	s_xor_b64 s[56:57], exec, s[10:11]
	s_cbranch_execz .LBB186_108
; %bb.81:                               ;   in Loop: Header=BB186_4 Depth=1
	v_and_b32_e32 v16, 0x7fffffff, v11
	v_and_b32_e32 v1, 0x7fffffff, v13
	v_mov_b32_e32 v8, v12
	v_cmp_lt_f64_e64 s[10:11], |v[10:11]|, |v[12:13]|
	v_cndmask_b32_e64 v87, v1, v16, s[10:11]
	v_cndmask_b32_e64 v86, v8, v10, s[10:11]
	v_cmp_nlt_f64_e32 vcc, s[22:23], v[86:87]
                                        ; implicit-def: $vgpr6_vgpr7
                                        ; implicit-def: $vgpr84_vgpr85
	s_and_saveexec_b64 s[12:13], vcc
	s_xor_b64 s[14:15], exec, s[12:13]
	s_cbranch_execz .LBB186_105
; %bb.82:                               ;   in Loop: Header=BB186_4 Depth=1
	v_cndmask_b32_e64 v91, v16, v1, s[10:11]
	v_cndmask_b32_e64 v90, v10, v8, s[10:11]
	v_cmp_neq_f64_e32 vcc, 1.0, v[90:91]
                                        ; implicit-def: $vgpr6_vgpr7
                                        ; implicit-def: $vgpr84_vgpr85
	s_and_saveexec_b64 s[12:13], vcc
	s_xor_b64 s[58:59], exec, s[12:13]
	s_cbranch_execz .LBB186_98
; %bb.83:                               ;   in Loop: Header=BB186_4 Depth=1
	v_max_f64 v[6:7], v[86:87], v[86:87]
	v_max_f64 v[84:85], v[90:91], v[90:91]
	v_min_f64 v[88:89], v[84:85], v[6:7]
	v_max_f64 v[6:7], v[84:85], v[6:7]
	v_cmp_ngt_f64_e32 vcc, s[24:25], v[88:89]
	v_cmp_nlt_f64_e64 s[12:13], s[26:27], v[6:7]
	s_and_b64 s[12:13], s[12:13], vcc
                                        ; implicit-def: $vgpr6_vgpr7
                                        ; implicit-def: $vgpr84_vgpr85
	s_and_saveexec_b64 s[60:61], s[12:13]
	s_xor_b64 s[60:61], exec, s[60:61]
	s_cbranch_execz .LBB186_95
; %bb.84:                               ;   in Loop: Header=BB186_4 Depth=1
	v_cmp_le_f64_e32 vcc, 1.0, v[90:91]
                                        ; implicit-def: $vgpr6_vgpr7
                                        ; implicit-def: $vgpr84_vgpr85
	s_and_saveexec_b64 s[12:13], vcc
	s_xor_b64 s[12:13], exec, s[12:13]
	s_cbranch_execz .LBB186_86
; %bb.85:                               ;   in Loop: Header=BB186_4 Depth=1
	v_add_f64 v[6:7], v[90:91], -1.0
	v_add_f64 v[84:85], v[90:91], 1.0
	v_mul_f64 v[84:85], v[6:7], v[84:85]
	v_fmac_f64_e32 v[84:85], v[86:87], v[86:87]
	v_add_f64 v[6:7], v[84:85], 1.0
	v_add_f64 v[86:87], v[6:7], -1.0
	v_add_f64 v[88:89], v[86:87], -v[6:7]
	v_add_f64 v[88:89], v[88:89], 1.0
	v_add_f64 v[86:87], v[84:85], -v[86:87]
	v_add_f64 v[86:87], v[86:87], v[88:89]
	v_frexp_mant_f64_e32 v[88:89], v[6:7]
	v_frexp_exp_i32_f64_e32 v1, v[6:7]
	v_cmp_gt_f64_e32 vcc, s[28:29], v[88:89]
	v_subbrev_co_u32_e32 v1, vcc, 0, v1, vcc
	v_sub_u32_e32 v8, 0, v1
	v_ldexp_f64 v[6:7], v[6:7], v8
	v_add_f64 v[88:89], v[6:7], -1.0
	v_add_f64 v[94:95], v[6:7], 1.0
	v_add_f64 v[90:91], v[88:89], 1.0
	v_add_f64 v[96:97], v[94:95], -1.0
	v_ldexp_f64 v[86:87], v[86:87], v8
	v_add_f64 v[90:91], v[6:7], -v[90:91]
	v_add_f64 v[6:7], v[6:7], -v[96:97]
	v_add_f64 v[6:7], v[86:87], v[6:7]
	v_add_f64 v[90:91], v[86:87], v[90:91]
	;; [unrolled: 1-line block ×3, first 2 shown]
	v_rcp_f64_e32 v[96:97], v[86:87]
	v_add_f64 v[92:93], v[88:89], v[90:91]
	v_add_f64 v[88:89], v[92:93], -v[88:89]
	v_add_f64 v[88:89], v[90:91], -v[88:89]
	v_add_f64 v[90:91], v[86:87], -v[94:95]
	v_add_f64 v[6:7], v[6:7], -v[90:91]
	v_fma_f64 v[90:91], -v[86:87], v[96:97], 1.0
	v_fmac_f64_e32 v[96:97], v[90:91], v[96:97]
	v_fma_f64 v[90:91], -v[86:87], v[96:97], 1.0
	v_fmac_f64_e32 v[96:97], v[90:91], v[96:97]
	v_mul_f64 v[90:91], v[92:93], v[96:97]
	v_mul_f64 v[94:95], v[86:87], v[90:91]
	v_fma_f64 v[98:99], v[90:91], v[86:87], -v[94:95]
	v_fmac_f64_e32 v[98:99], v[90:91], v[6:7]
	v_add_f64 v[100:101], v[94:95], v[98:99]
	v_add_f64 v[102:103], v[92:93], -v[100:101]
	v_add_f64 v[92:93], v[92:93], -v[102:103]
	;; [unrolled: 1-line block ×4, first 2 shown]
	v_add_f64 v[88:89], v[88:89], v[92:93]
	v_add_f64 v[92:93], v[94:95], -v[98:99]
	v_add_f64 v[88:89], v[92:93], v[88:89]
	v_add_f64 v[92:93], v[102:103], v[88:89]
	v_add_f64 v[94:95], v[102:103], -v[92:93]
	v_add_f64 v[88:89], v[88:89], v[94:95]
	v_mul_f64 v[94:95], v[96:97], v[92:93]
	v_mul_f64 v[98:99], v[86:87], v[94:95]
	v_fma_f64 v[86:87], v[94:95], v[86:87], -v[98:99]
	v_fmac_f64_e32 v[86:87], v[94:95], v[6:7]
	v_add_f64 v[6:7], v[98:99], v[86:87]
	v_add_f64 v[100:101], v[92:93], -v[6:7]
	v_add_f64 v[92:93], v[92:93], -v[100:101]
	;; [unrolled: 1-line block ×4, first 2 shown]
	v_add_f64 v[6:7], v[88:89], v[6:7]
	v_add_f64 v[86:87], v[98:99], -v[86:87]
	v_add_f64 v[6:7], v[86:87], v[6:7]
	v_add_f64 v[86:87], v[90:91], v[94:95]
	v_add_f64 v[6:7], v[100:101], v[6:7]
	v_add_f64 v[88:89], v[86:87], -v[90:91]
	v_mul_f64 v[6:7], v[96:97], v[6:7]
	v_add_f64 v[88:89], v[94:95], -v[88:89]
	v_add_f64 v[6:7], v[88:89], v[6:7]
	v_add_f64 v[88:89], v[86:87], v[6:7]
	v_add_f64 v[86:87], v[88:89], -v[86:87]
	v_add_f64 v[6:7], v[6:7], -v[86:87]
	v_mul_f64 v[86:87], v[88:89], v[88:89]
	v_pk_mov_b32 v[90:91], v[18:19], v[18:19] op_sel:[0,1]
	v_fmac_f64_e32 v[90:91], s[30:31], v[86:87]
	v_pk_mov_b32 v[92:93], v[20:21], v[20:21] op_sel:[0,1]
	v_fmac_f64_e32 v[92:93], v[86:87], v[90:91]
	;; [unrolled: 2-line block ×6, first 2 shown]
	v_cvt_f64_i32_e32 v[90:91], v1
	v_mul_f64 v[94:95], v[90:91], s[34:35]
	v_fma_f64 v[96:97], v[90:91], s[34:35], -v[94:95]
	v_fmac_f64_e32 v[96:97], s[36:37], v[90:91]
	v_add_f64 v[90:91], v[94:95], v[96:97]
	v_add_f64 v[94:95], v[90:91], -v[94:95]
	v_mul_f64 v[86:87], v[88:89], v[86:87]
	v_add_f64 v[94:95], v[96:97], -v[94:95]
	v_ldexp_f64 v[96:97], v[88:89], 1
	v_mul_f64 v[86:87], v[86:87], v[92:93]
	v_add_f64 v[88:89], v[96:97], v[86:87]
	v_add_f64 v[92:93], v[88:89], -v[96:97]
	v_ldexp_f64 v[6:7], v[6:7], 1
	v_add_f64 v[86:87], v[86:87], -v[92:93]
	v_add_f64 v[6:7], v[6:7], v[86:87]
	v_add_f64 v[86:87], v[88:89], v[6:7]
	v_add_f64 v[88:89], v[86:87], -v[88:89]
	v_add_f64 v[6:7], v[6:7], -v[88:89]
	v_add_f64 v[88:89], v[90:91], v[86:87]
	v_add_f64 v[92:93], v[88:89], -v[90:91]
	v_add_f64 v[96:97], v[88:89], -v[92:93]
	;; [unrolled: 1-line block ×4, first 2 shown]
	v_add_f64 v[86:87], v[86:87], v[90:91]
	v_add_f64 v[90:91], v[94:95], v[6:7]
	v_add_f64 v[92:93], v[90:91], -v[94:95]
	v_add_f64 v[86:87], v[90:91], v[86:87]
	v_add_f64 v[96:97], v[90:91], -v[92:93]
	v_add_f64 v[90:91], v[88:89], v[86:87]
	v_add_f64 v[94:95], v[94:95], -v[96:97]
	v_add_f64 v[6:7], v[6:7], -v[92:93]
	v_add_f64 v[88:89], v[90:91], -v[88:89]
	v_add_f64 v[6:7], v[6:7], v[94:95]
	v_add_f64 v[86:87], v[86:87], -v[88:89]
	v_add_f64 v[6:7], v[6:7], v[86:87]
	v_max_f64 v[86:87], |v[12:13]|, |v[12:13]|
	v_max_f64 v[88:89], |v[10:11]|, |v[10:11]|
	v_add_f64 v[6:7], v[90:91], v[6:7]
	v_max_f64 v[90:91], v[88:89], v[86:87]
	v_min_f64 v[86:87], v[88:89], v[86:87]
	v_div_scale_f64 v[88:89], s[62:63], v[90:91], v[90:91], v[86:87]
	v_cmp_eq_f64_e32 vcc, s[38:39], v[84:85]
	v_rcp_f64_e32 v[92:93], v[88:89]
	v_cndmask_b32_e32 v7, v7, v85, vcc
	v_cndmask_b32_e32 v6, v6, v84, vcc
	v_mul_f64 v[6:7], v[6:7], 0.5
	v_cmp_ngt_f64_e32 vcc, -1.0, v[84:85]
	v_cndmask_b32_e32 v1, v112, v7, vcc
	v_cmp_nge_f64_e32 vcc, -1.0, v[84:85]
	v_cndmask_b32_e32 v6, 0, v6, vcc
	v_cmp_neq_f64_e32 vcc, -1.0, v[84:85]
	v_fma_f64 v[84:85], -v[88:89], v[92:93], 1.0
	v_fmac_f64_e32 v[92:93], v[92:93], v[84:85]
	v_fma_f64 v[84:85], -v[88:89], v[92:93], 1.0
	v_cndmask_b32_e32 v7, v113, v1, vcc
	v_fmac_f64_e32 v[92:93], v[92:93], v[84:85]
	v_div_scale_f64 v[84:85], vcc, v[86:87], v[90:91], v[86:87]
	v_mul_f64 v[94:95], v[84:85], v[92:93]
	v_fma_f64 v[84:85], -v[88:89], v[94:95], v[84:85]
	v_pk_mov_b32 v[88:89], v[30:31], v[30:31] op_sel:[0,1]
	s_nop 0
	v_div_fmas_f64 v[84:85], v[84:85], v[92:93], v[94:95]
	v_div_fixup_f64 v[84:85], v[84:85], v[90:91], v[86:87]
	v_mul_f64 v[86:87], v[84:85], v[84:85]
	v_fmac_f64_e32 v[88:89], s[40:41], v[86:87]
	v_pk_mov_b32 v[90:91], v[32:33], v[32:33] op_sel:[0,1]
	v_fmac_f64_e32 v[90:91], v[86:87], v[88:89]
	v_pk_mov_b32 v[88:89], v[34:35], v[34:35] op_sel:[0,1]
	;; [unrolled: 2-line block ×18, first 2 shown]
	v_fmac_f64_e32 v[88:89], v[86:87], v[90:91]
	v_mul_f64 v[86:87], v[86:87], v[88:89]
	v_fmac_f64_e32 v[84:85], v[84:85], v[86:87]
	v_cmp_class_f64_e64 s[64:65], v[10:11], s77
	v_ashrrev_i32_e32 v10, 31, v11
	v_cmp_gt_i32_e32 vcc, 0, v11
	v_and_b32_e32 v16, 0x400921fb, v10
	v_and_b32_e32 v69, 0x54442d18, v10
	v_add_f64 v[10:11], -v[84:85], s[42:43]
	v_cndmask_b32_e64 v11, v85, v11, s[10:11]
	v_cndmask_b32_e64 v10, v84, v10, s[10:11]
	s_mov_b32 s44, s42
	v_add_f64 v[84:85], -v[10:11], s[44:45]
	v_cmp_class_f64_e64 s[62:63], v[12:13], s77
	v_cndmask_b32_e32 v1, v114, v115, vcc
	v_cndmask_b32_e32 v8, v116, v117, vcc
	;; [unrolled: 1-line block ×4, first 2 shown]
	v_cmp_eq_f64_e32 vcc, 0, v[12:13]
	v_bfi_b32 v8, s76, v8, v13
	v_cndmask_b32_e32 v10, v10, v69, vcc
	v_cndmask_b32_e32 v11, v11, v16, vcc
	s_and_b64 vcc, s[62:63], s[64:65]
	v_cndmask_b32_e32 v85, v11, v8, vcc
	v_cndmask_b32_e32 v84, v10, v1, vcc
                                        ; implicit-def: $vgpr86_vgpr87
                                        ; implicit-def: $vgpr90_vgpr91
.LBB186_86:                             ;   in Loop: Header=BB186_4 Depth=1
	s_andn2_saveexec_b64 s[62:63], s[12:13]
	s_cbranch_execz .LBB186_94
; %bb.87:                               ;   in Loop: Header=BB186_4 Depth=1
	v_mul_f64 v[88:89], v[86:87], v[86:87]
	v_fmac_f64_e32 v[88:89], v[90:91], v[90:91]
	v_cmp_ge_f64_e32 vcc, s[46:47], v[88:89]
                                        ; implicit-def: $vgpr6_vgpr7
                                        ; implicit-def: $vgpr84_vgpr85
	s_and_saveexec_b64 s[12:13], vcc
	s_xor_b64 s[12:13], exec, s[12:13]
	s_cbranch_execz .LBB186_89
; %bb.88:                               ;   in Loop: Header=BB186_4 Depth=1
	v_frexp_mant_f64_e32 v[6:7], v[88:89]
	v_cmp_gt_f64_e32 vcc, s[28:29], v[6:7]
	v_cndmask_b32_e64 v69, v118, 2.0, vcc
	v_mul_f64 v[6:7], v[6:7], v[68:69]
	v_add_f64 v[84:85], v[6:7], 1.0
	v_rcp_f64_e32 v[86:87], v[84:85]
	v_add_f64 v[92:93], v[84:85], -1.0
	v_add_f64 v[90:91], v[6:7], -1.0
	v_add_f64 v[6:7], v[6:7], -v[92:93]
	v_fma_f64 v[92:93], -v[84:85], v[86:87], 1.0
	v_fmac_f64_e32 v[86:87], v[92:93], v[86:87]
	v_fma_f64 v[92:93], -v[84:85], v[86:87], 1.0
	v_fmac_f64_e32 v[86:87], v[92:93], v[86:87]
	v_mul_f64 v[92:93], v[90:91], v[86:87]
	v_mul_f64 v[94:95], v[84:85], v[92:93]
	v_fma_f64 v[84:85], v[92:93], v[84:85], -v[94:95]
	v_fmac_f64_e32 v[84:85], v[92:93], v[6:7]
	v_add_f64 v[6:7], v[94:95], v[84:85]
	v_add_f64 v[96:97], v[90:91], -v[6:7]
	v_add_f64 v[94:95], v[6:7], -v[94:95]
	;; [unrolled: 1-line block ×5, first 2 shown]
	v_add_f64 v[6:7], v[84:85], v[6:7]
	v_add_f64 v[6:7], v[96:97], v[6:7]
	v_mul_f64 v[6:7], v[86:87], v[6:7]
	v_add_f64 v[84:85], v[92:93], v[6:7]
	v_add_f64 v[86:87], v[84:85], -v[92:93]
	v_add_f64 v[6:7], v[6:7], -v[86:87]
	v_mul_f64 v[86:87], v[84:85], v[84:85]
	v_pk_mov_b32 v[90:91], v[18:19], v[18:19] op_sel:[0,1]
	v_fmac_f64_e32 v[90:91], s[30:31], v[86:87]
	v_pk_mov_b32 v[92:93], v[20:21], v[20:21] op_sel:[0,1]
	v_fmac_f64_e32 v[92:93], v[86:87], v[90:91]
	;; [unrolled: 2-line block ×6, first 2 shown]
	v_ldexp_f64 v[90:91], v[84:85], 1
	v_mul_f64 v[84:85], v[84:85], v[86:87]
	v_mul_f64 v[84:85], v[84:85], v[92:93]
	v_add_f64 v[86:87], v[90:91], v[84:85]
	v_add_f64 v[90:91], v[86:87], -v[90:91]
	v_ldexp_f64 v[6:7], v[6:7], 1
	v_add_f64 v[84:85], v[84:85], -v[90:91]
	v_add_f64 v[6:7], v[6:7], v[84:85]
	v_frexp_exp_i32_f64_e32 v1, v[88:89]
	v_add_f64 v[84:85], v[86:87], v[6:7]
	v_subbrev_co_u32_e32 v1, vcc, 0, v1, vcc
	v_add_f64 v[86:87], v[84:85], -v[86:87]
	v_add_f64 v[6:7], v[6:7], -v[86:87]
	v_cvt_f64_i32_e32 v[86:87], v1
	v_mul_f64 v[90:91], v[86:87], s[34:35]
	v_fma_f64 v[92:93], v[86:87], s[34:35], -v[90:91]
	v_fmac_f64_e32 v[92:93], s[36:37], v[86:87]
	v_add_f64 v[86:87], v[90:91], v[92:93]
	v_add_f64 v[90:91], v[86:87], -v[90:91]
	v_add_f64 v[90:91], v[92:93], -v[90:91]
	v_add_f64 v[92:93], v[86:87], v[84:85]
	v_add_f64 v[94:95], v[92:93], -v[86:87]
	v_add_f64 v[96:97], v[92:93], -v[94:95]
	;; [unrolled: 1-line block ×4, first 2 shown]
	v_add_f64 v[84:85], v[84:85], v[86:87]
	v_add_f64 v[86:87], v[90:91], v[6:7]
	v_add_f64 v[94:95], v[86:87], -v[90:91]
	v_add_f64 v[96:97], v[86:87], -v[94:95]
	v_add_f64 v[84:85], v[86:87], v[84:85]
	v_add_f64 v[90:91], v[90:91], -v[96:97]
	v_add_f64 v[6:7], v[6:7], -v[94:95]
	v_add_f64 v[86:87], v[92:93], v[84:85]
	v_add_f64 v[6:7], v[6:7], v[90:91]
	v_add_f64 v[90:91], v[86:87], -v[92:93]
	v_add_f64 v[84:85], v[84:85], -v[90:91]
	v_add_f64 v[6:7], v[6:7], v[84:85]
	v_add_f64 v[6:7], v[86:87], v[6:7]
	v_max_f64 v[84:85], |v[12:13]|, |v[12:13]|
	v_max_f64 v[86:87], |v[10:11]|, |v[10:11]|
	v_max_f64 v[90:91], v[86:87], v[84:85]
	v_min_f64 v[84:85], v[86:87], v[84:85]
	v_div_scale_f64 v[86:87], s[64:65], v[90:91], v[90:91], v[84:85]
	v_rcp_f64_e32 v[92:93], v[86:87]
	v_cmp_neq_f64_e32 vcc, 0, v[88:89]
	v_mul_f64 v[6:7], v[6:7], 0.5
	v_cndmask_b32_e32 v7, v113, v7, vcc
	v_fma_f64 v[88:89], -v[86:87], v[92:93], 1.0
	v_fmac_f64_e32 v[92:93], v[92:93], v[88:89]
	v_fma_f64 v[88:89], -v[86:87], v[92:93], 1.0
	v_cndmask_b32_e32 v6, 0, v6, vcc
	v_fmac_f64_e32 v[92:93], v[92:93], v[88:89]
	v_div_scale_f64 v[88:89], vcc, v[84:85], v[90:91], v[84:85]
	v_mul_f64 v[94:95], v[88:89], v[92:93]
	v_fma_f64 v[86:87], -v[86:87], v[94:95], v[88:89]
	v_pk_mov_b32 v[88:89], v[30:31], v[30:31] op_sel:[0,1]
	s_nop 0
	v_div_fmas_f64 v[86:87], v[86:87], v[92:93], v[94:95]
	v_div_fixup_f64 v[84:85], v[86:87], v[90:91], v[84:85]
	v_mul_f64 v[86:87], v[84:85], v[84:85]
	v_fmac_f64_e32 v[88:89], s[40:41], v[86:87]
	v_pk_mov_b32 v[90:91], v[32:33], v[32:33] op_sel:[0,1]
	v_fmac_f64_e32 v[90:91], v[86:87], v[88:89]
	v_pk_mov_b32 v[88:89], v[34:35], v[34:35] op_sel:[0,1]
	;; [unrolled: 2-line block ×18, first 2 shown]
	v_fmac_f64_e32 v[88:89], v[86:87], v[90:91]
	v_mul_f64 v[86:87], v[86:87], v[88:89]
	v_fmac_f64_e32 v[84:85], v[84:85], v[86:87]
	v_cmp_class_f64_e64 s[66:67], v[10:11], s77
	v_ashrrev_i32_e32 v10, 31, v11
	v_cmp_gt_i32_e32 vcc, 0, v11
	v_and_b32_e32 v16, 0x400921fb, v10
	v_and_b32_e32 v69, 0x54442d18, v10
	v_add_f64 v[10:11], -v[84:85], s[42:43]
	v_cndmask_b32_e64 v11, v85, v11, s[10:11]
	v_cndmask_b32_e64 v10, v84, v10, s[10:11]
	s_mov_b32 s44, s42
	v_add_f64 v[84:85], -v[10:11], s[44:45]
	v_cmp_class_f64_e64 s[64:65], v[12:13], s77
	v_cndmask_b32_e32 v1, v114, v115, vcc
	v_cndmask_b32_e32 v8, v116, v117, vcc
	;; [unrolled: 1-line block ×4, first 2 shown]
	v_cmp_eq_f64_e32 vcc, 0, v[12:13]
	v_bfi_b32 v8, s76, v8, v13
	v_cndmask_b32_e32 v10, v10, v69, vcc
	v_cndmask_b32_e32 v11, v11, v16, vcc
	s_and_b64 vcc, s[64:65], s[66:67]
	v_cndmask_b32_e32 v85, v11, v8, vcc
	v_cndmask_b32_e32 v84, v10, v1, vcc
                                        ; implicit-def: $vgpr90_vgpr91
                                        ; implicit-def: $vgpr86_vgpr87
.LBB186_89:                             ;   in Loop: Header=BB186_4 Depth=1
	s_andn2_saveexec_b64 s[64:65], s[12:13]
	s_cbranch_execz .LBB186_93
; %bb.90:                               ;   in Loop: Header=BB186_4 Depth=1
	v_and_b32_e32 v69, 0x7ffffff8, v91
	v_add_f64 v[6:7], v[90:91], -v[68:69]
	v_and_b32_e32 v99, -8, v7
	v_mov_b32_e32 v98, v68
	v_and_b32_e32 v89, 0x7ffffff8, v87
	v_mov_b32_e32 v88, v68
	v_add_f64 v[102:103], v[6:7], -v[98:99]
	v_add_f64 v[6:7], v[86:87], -v[88:89]
	v_and_b32_e32 v101, -8, v7
	v_mov_b32_e32 v100, v68
	v_add_f64 v[92:93], v[68:69], v[68:69]
	v_add_f64 v[106:107], v[88:89], v[88:89]
	v_add_f64 v[104:105], v[6:7], -v[100:101]
	v_mul_f64 v[84:85], v[88:89], v[88:89]
	v_mul_f64 v[90:91], v[92:93], v[98:99]
	;; [unrolled: 1-line block ×5, first 2 shown]
	v_add_f64 v[98:99], v[98:99], v[98:99]
	v_add_f64 v[100:101], v[100:101], v[100:101]
	v_mul_f64 v[6:7], v[68:69], v[68:69]
	v_mul_f64 v[94:95], v[92:93], v[102:103]
	;; [unrolled: 1-line block ×7, first 2 shown]
	s_mov_b64 s[66:67], 0
.LBB186_91:                             ;   Parent Loop BB186_4 Depth=1
                                        ; =>  This Inner Loop Header: Depth=2
	v_cmp_nlt_f64_e32 vcc, v[6:7], v[84:85]
	v_cndmask_b32_e32 v107, v7, v85, vcc
	v_cndmask_b32_e32 v106, v6, v84, vcc
	v_cmp_nlt_f64_e64 s[12:13], v[106:107], v[90:91]
	v_cndmask_b32_e64 v109, v107, v91, s[12:13]
	v_cndmask_b32_e64 v108, v106, v90, s[12:13]
	v_cndmask_b32_e32 v7, v85, v7, vcc
	v_cndmask_b32_e32 v6, v84, v6, vcc
	s_and_b64 s[68:69], vcc, s[12:13]
	v_cmp_nlt_f64_e32 vcc, v[108:109], v[88:89]
	v_cndmask_b32_e64 v85, v91, v107, s[12:13]
	v_cndmask_b32_e64 v84, v90, v106, s[12:13]
	v_cndmask_b32_e32 v107, v109, v89, vcc
	v_cndmask_b32_e32 v106, v108, v88, vcc
	v_cmp_nlt_f64_e64 s[12:13], v[106:107], v[96:97]
	v_cndmask_b32_e32 v91, v89, v109, vcc
	v_cndmask_b32_e32 v90, v88, v108, vcc
	v_cndmask_b32_e64 v109, v107, v97, s[12:13]
	v_cndmask_b32_e64 v108, v106, v96, s[12:13]
	s_and_b64 s[78:79], vcc, s[12:13]
	v_cmp_nlt_f64_e32 vcc, v[108:109], v[86:87]
	v_cndmask_b32_e64 v89, v97, v107, s[12:13]
	v_cndmask_b32_e64 v88, v96, v106, s[12:13]
	v_cndmask_b32_e32 v107, v109, v87, vcc
	v_cndmask_b32_e32 v106, v108, v86, vcc
	v_cmp_nlt_f64_e64 s[12:13], v[106:107], v[94:95]
	v_cndmask_b32_e32 v97, v87, v109, vcc
	v_cndmask_b32_e32 v96, v86, v108, vcc
	v_cndmask_b32_e64 v109, v107, v95, s[12:13]
	v_cndmask_b32_e64 v108, v106, v94, s[12:13]
	;; [unrolled: 1-line block ×4, first 2 shown]
	s_and_b64 s[12:13], vcc, s[12:13]
	v_cmp_nlt_f64_e32 vcc, v[108:109], v[92:93]
	v_cndmask_b32_e32 v107, v109, v93, vcc
	v_cndmask_b32_e32 v106, v108, v92, vcc
	v_cndmask_b32_e32 v95, v93, v109, vcc
	v_cndmask_b32_e32 v94, v92, v108, vcc
	s_and_b64 s[12:13], s[12:13], vcc
	v_cmp_nlt_f64_e32 vcc, v[106:107], v[98:99]
	v_cndmask_b32_e32 v109, v107, v99, vcc
	v_cndmask_b32_e32 v108, v106, v98, vcc
	v_cndmask_b32_e32 v93, v99, v107, vcc
	v_cndmask_b32_e32 v92, v98, v106, vcc
	s_and_b64 s[12:13], s[12:13], vcc
	;; [unrolled: 6-line block ×4, first 2 shown]
	v_cmp_nlt_f64_e32 vcc, v[108:109], v[104:105]
	s_and_b64 s[12:13], s[12:13], vcc
	s_and_b64 s[12:13], s[12:13], s[78:79]
	s_and_b64 s[12:13], s[12:13], s[68:69]
	v_cndmask_b32_e32 v107, v109, v105, vcc
	v_cndmask_b32_e32 v106, v108, v104, vcc
	s_and_b64 s[12:13], exec, s[12:13]
	v_cndmask_b32_e32 v103, v105, v109, vcc
	v_cndmask_b32_e32 v102, v104, v108, vcc
	s_or_b64 s[66:67], s[12:13], s[66:67]
	v_pk_mov_b32 v[104:105], v[106:107], v[106:107] op_sel:[0,1]
	s_andn2_b64 exec, exec, s[66:67]
	s_cbranch_execnz .LBB186_91
; %bb.92:                               ;   in Loop: Header=BB186_4 Depth=1
	s_or_b64 exec, exec, s[66:67]
	v_add_f64 v[6:7], v[6:7], -1.0
	v_add_f64 v[6:7], v[6:7], v[84:85]
	v_add_f64 v[6:7], v[6:7], v[90:91]
	;; [unrolled: 1-line block ×11, first 2 shown]
	v_add_f64 v[6:7], v[84:85], 1.0
	v_add_f64 v[86:87], v[6:7], -1.0
	v_add_f64 v[88:89], v[86:87], -v[6:7]
	v_add_f64 v[88:89], v[88:89], 1.0
	v_add_f64 v[86:87], v[84:85], -v[86:87]
	v_add_f64 v[86:87], v[86:87], v[88:89]
	v_frexp_mant_f64_e32 v[88:89], v[6:7]
	v_frexp_exp_i32_f64_e32 v1, v[6:7]
	v_cmp_gt_f64_e32 vcc, s[28:29], v[88:89]
	v_subbrev_co_u32_e32 v1, vcc, 0, v1, vcc
	v_sub_u32_e32 v8, 0, v1
	v_ldexp_f64 v[6:7], v[6:7], v8
	v_add_f64 v[88:89], v[6:7], -1.0
	v_add_f64 v[94:95], v[6:7], 1.0
	v_add_f64 v[90:91], v[88:89], 1.0
	v_add_f64 v[96:97], v[94:95], -1.0
	v_ldexp_f64 v[86:87], v[86:87], v8
	v_add_f64 v[90:91], v[6:7], -v[90:91]
	v_add_f64 v[6:7], v[6:7], -v[96:97]
	v_add_f64 v[6:7], v[86:87], v[6:7]
	v_add_f64 v[90:91], v[86:87], v[90:91]
	;; [unrolled: 1-line block ×3, first 2 shown]
	v_rcp_f64_e32 v[96:97], v[86:87]
	v_add_f64 v[92:93], v[88:89], v[90:91]
	v_add_f64 v[88:89], v[92:93], -v[88:89]
	v_add_f64 v[88:89], v[90:91], -v[88:89]
	;; [unrolled: 1-line block ×4, first 2 shown]
	v_fma_f64 v[90:91], -v[86:87], v[96:97], 1.0
	v_fmac_f64_e32 v[96:97], v[90:91], v[96:97]
	v_fma_f64 v[90:91], -v[86:87], v[96:97], 1.0
	v_fmac_f64_e32 v[96:97], v[90:91], v[96:97]
	v_mul_f64 v[90:91], v[92:93], v[96:97]
	v_mul_f64 v[94:95], v[86:87], v[90:91]
	v_fma_f64 v[98:99], v[90:91], v[86:87], -v[94:95]
	v_fmac_f64_e32 v[98:99], v[90:91], v[6:7]
	v_add_f64 v[100:101], v[94:95], v[98:99]
	v_add_f64 v[102:103], v[92:93], -v[100:101]
	v_add_f64 v[92:93], v[92:93], -v[102:103]
	;; [unrolled: 1-line block ×4, first 2 shown]
	v_add_f64 v[88:89], v[88:89], v[92:93]
	v_add_f64 v[92:93], v[94:95], -v[98:99]
	v_add_f64 v[88:89], v[92:93], v[88:89]
	v_add_f64 v[92:93], v[102:103], v[88:89]
	v_add_f64 v[94:95], v[102:103], -v[92:93]
	v_add_f64 v[88:89], v[88:89], v[94:95]
	v_mul_f64 v[94:95], v[96:97], v[92:93]
	v_mul_f64 v[98:99], v[86:87], v[94:95]
	v_fma_f64 v[86:87], v[94:95], v[86:87], -v[98:99]
	v_fmac_f64_e32 v[86:87], v[94:95], v[6:7]
	v_add_f64 v[6:7], v[98:99], v[86:87]
	v_add_f64 v[100:101], v[92:93], -v[6:7]
	v_add_f64 v[92:93], v[92:93], -v[100:101]
	;; [unrolled: 1-line block ×4, first 2 shown]
	v_add_f64 v[6:7], v[88:89], v[6:7]
	v_add_f64 v[86:87], v[98:99], -v[86:87]
	v_add_f64 v[6:7], v[86:87], v[6:7]
	v_add_f64 v[86:87], v[90:91], v[94:95]
	;; [unrolled: 1-line block ×3, first 2 shown]
	v_add_f64 v[88:89], v[86:87], -v[90:91]
	v_mul_f64 v[6:7], v[96:97], v[6:7]
	v_add_f64 v[88:89], v[94:95], -v[88:89]
	v_add_f64 v[6:7], v[88:89], v[6:7]
	v_add_f64 v[88:89], v[86:87], v[6:7]
	v_add_f64 v[86:87], v[88:89], -v[86:87]
	v_add_f64 v[6:7], v[6:7], -v[86:87]
	v_mul_f64 v[86:87], v[88:89], v[88:89]
	v_pk_mov_b32 v[90:91], v[18:19], v[18:19] op_sel:[0,1]
	v_fmac_f64_e32 v[90:91], s[30:31], v[86:87]
	v_pk_mov_b32 v[92:93], v[20:21], v[20:21] op_sel:[0,1]
	v_fmac_f64_e32 v[92:93], v[86:87], v[90:91]
	;; [unrolled: 2-line block ×6, first 2 shown]
	v_cvt_f64_i32_e32 v[90:91], v1
	v_mul_f64 v[94:95], v[90:91], s[34:35]
	v_fma_f64 v[96:97], v[90:91], s[34:35], -v[94:95]
	v_fmac_f64_e32 v[96:97], s[36:37], v[90:91]
	v_add_f64 v[90:91], v[94:95], v[96:97]
	v_add_f64 v[94:95], v[90:91], -v[94:95]
	v_mul_f64 v[86:87], v[88:89], v[86:87]
	v_add_f64 v[94:95], v[96:97], -v[94:95]
	v_ldexp_f64 v[96:97], v[88:89], 1
	v_mul_f64 v[86:87], v[86:87], v[92:93]
	v_add_f64 v[88:89], v[96:97], v[86:87]
	v_add_f64 v[92:93], v[88:89], -v[96:97]
	v_ldexp_f64 v[6:7], v[6:7], 1
	v_add_f64 v[86:87], v[86:87], -v[92:93]
	v_add_f64 v[6:7], v[6:7], v[86:87]
	v_add_f64 v[86:87], v[88:89], v[6:7]
	v_add_f64 v[88:89], v[86:87], -v[88:89]
	v_add_f64 v[6:7], v[6:7], -v[88:89]
	v_add_f64 v[88:89], v[90:91], v[86:87]
	v_add_f64 v[92:93], v[88:89], -v[90:91]
	v_add_f64 v[96:97], v[88:89], -v[92:93]
	;; [unrolled: 1-line block ×4, first 2 shown]
	v_add_f64 v[86:87], v[86:87], v[90:91]
	v_add_f64 v[90:91], v[94:95], v[6:7]
	v_add_f64 v[92:93], v[90:91], -v[94:95]
	v_add_f64 v[86:87], v[90:91], v[86:87]
	v_add_f64 v[96:97], v[90:91], -v[92:93]
	;; [unrolled: 2-line block ×3, first 2 shown]
	v_add_f64 v[6:7], v[6:7], -v[92:93]
	v_add_f64 v[88:89], v[90:91], -v[88:89]
	v_add_f64 v[6:7], v[6:7], v[94:95]
	v_add_f64 v[86:87], v[86:87], -v[88:89]
	v_add_f64 v[6:7], v[6:7], v[86:87]
	v_max_f64 v[86:87], |v[12:13]|, |v[12:13]|
	v_max_f64 v[88:89], |v[10:11]|, |v[10:11]|
	v_add_f64 v[6:7], v[90:91], v[6:7]
	v_max_f64 v[90:91], v[88:89], v[86:87]
	v_min_f64 v[86:87], v[88:89], v[86:87]
	v_div_scale_f64 v[88:89], s[12:13], v[90:91], v[90:91], v[86:87]
	v_cmp_eq_f64_e32 vcc, s[38:39], v[84:85]
	v_rcp_f64_e32 v[92:93], v[88:89]
	v_cndmask_b32_e32 v7, v7, v85, vcc
	v_cndmask_b32_e32 v6, v6, v84, vcc
	v_mul_f64 v[6:7], v[6:7], 0.5
	v_cmp_ngt_f64_e32 vcc, -1.0, v[84:85]
	v_cndmask_b32_e32 v1, v112, v7, vcc
	v_cmp_nge_f64_e32 vcc, -1.0, v[84:85]
	v_cndmask_b32_e32 v6, 0, v6, vcc
	v_cmp_neq_f64_e32 vcc, -1.0, v[84:85]
	v_fma_f64 v[84:85], -v[88:89], v[92:93], 1.0
	v_fmac_f64_e32 v[92:93], v[92:93], v[84:85]
	v_fma_f64 v[84:85], -v[88:89], v[92:93], 1.0
	v_cndmask_b32_e32 v7, v113, v1, vcc
	v_fmac_f64_e32 v[92:93], v[92:93], v[84:85]
	v_div_scale_f64 v[84:85], vcc, v[86:87], v[90:91], v[86:87]
	v_mul_f64 v[94:95], v[84:85], v[92:93]
	v_fma_f64 v[84:85], -v[88:89], v[94:95], v[84:85]
	v_pk_mov_b32 v[88:89], v[30:31], v[30:31] op_sel:[0,1]
	s_nop 0
	v_div_fmas_f64 v[84:85], v[84:85], v[92:93], v[94:95]
	v_div_fixup_f64 v[84:85], v[84:85], v[90:91], v[86:87]
	v_mul_f64 v[86:87], v[84:85], v[84:85]
	v_fmac_f64_e32 v[88:89], s[40:41], v[86:87]
	v_pk_mov_b32 v[90:91], v[32:33], v[32:33] op_sel:[0,1]
	v_fmac_f64_e32 v[90:91], v[86:87], v[88:89]
	v_pk_mov_b32 v[88:89], v[34:35], v[34:35] op_sel:[0,1]
	;; [unrolled: 2-line block ×18, first 2 shown]
	v_fmac_f64_e32 v[88:89], v[86:87], v[90:91]
	v_mul_f64 v[86:87], v[86:87], v[88:89]
	v_fmac_f64_e32 v[84:85], v[84:85], v[86:87]
	v_cmp_class_f64_e64 s[66:67], v[10:11], s77
	v_ashrrev_i32_e32 v10, 31, v11
	v_cmp_gt_i32_e32 vcc, 0, v11
	v_and_b32_e32 v16, 0x400921fb, v10
	v_and_b32_e32 v69, 0x54442d18, v10
	v_add_f64 v[10:11], -v[84:85], s[42:43]
	v_cndmask_b32_e64 v11, v85, v11, s[10:11]
	v_cndmask_b32_e64 v10, v84, v10, s[10:11]
	s_mov_b32 s44, s42
	v_add_f64 v[84:85], -v[10:11], s[44:45]
	v_cmp_class_f64_e64 s[12:13], v[12:13], s77
	v_cndmask_b32_e32 v1, v114, v115, vcc
	v_cndmask_b32_e32 v8, v116, v117, vcc
	;; [unrolled: 1-line block ×4, first 2 shown]
	v_cmp_eq_f64_e32 vcc, 0, v[12:13]
	v_bfi_b32 v8, s76, v8, v13
	v_cndmask_b32_e32 v10, v10, v69, vcc
	v_cndmask_b32_e32 v11, v11, v16, vcc
	s_and_b64 vcc, s[12:13], s[66:67]
	v_cndmask_b32_e32 v85, v11, v8, vcc
	v_cndmask_b32_e32 v84, v10, v1, vcc
.LBB186_93:                             ;   in Loop: Header=BB186_4 Depth=1
	s_or_b64 exec, exec, s[64:65]
.LBB186_94:                             ;   in Loop: Header=BB186_4 Depth=1
	s_or_b64 exec, exec, s[62:63]
.LBB186_95:                             ;   in Loop: Header=BB186_4 Depth=1
	s_andn2_saveexec_b64 s[60:61], s[60:61]
	s_cbranch_execz .LBB186_97
; %bb.96:                               ;   in Loop: Header=BB186_4 Depth=1
	v_max_f64 v[6:7], |v[12:13]|, |v[12:13]|
	v_max_f64 v[84:85], |v[10:11]|, |v[10:11]|
	v_max_f64 v[86:87], v[84:85], v[6:7]
	v_frexp_exp_i32_f64_e32 v1, v[86:87]
	v_sub_u32_e32 v8, 0, v1
	v_ldexp_f64 v[90:91], |v[12:13]|, v8
	v_ldexp_f64 v[88:89], |v[10:11]|, v8
	v_mul_f64 v[90:91], v[90:91], v[90:91]
	v_fmac_f64_e32 v[90:91], v[88:89], v[88:89]
	v_rsq_f64_e32 v[88:89], v[90:91]
	v_cmp_eq_f64_e32 vcc, 0, v[90:91]
	v_cmp_class_f64_e64 s[62:63], v[10:11], s77
	v_cmp_class_f64_e64 s[64:65], v[12:13], s77
	v_mul_f64 v[92:93], v[90:91], v[88:89]
	v_mul_f64 v[88:89], v[88:89], 0.5
	v_fma_f64 v[94:95], -v[88:89], v[92:93], 0.5
	v_fmac_f64_e32 v[92:93], v[92:93], v[94:95]
	v_fmac_f64_e32 v[88:89], v[88:89], v[94:95]
	v_fma_f64 v[94:95], -v[92:93], v[92:93], v[90:91]
	v_fmac_f64_e32 v[92:93], v[94:95], v[88:89]
	v_cndmask_b32_e32 v89, v93, v91, vcc
	v_cndmask_b32_e32 v88, v92, v90, vcc
	v_ldexp_f64 v[88:89], v[88:89], v1
	s_or_b64 vcc, s[64:65], s[62:63]
	v_cndmask_b32_e32 v91, v89, v119, vcc
	v_cndmask_b32_e64 v90, v88, 0, vcc
	v_frexp_mant_f64_e32 v[92:93], v[90:91]
	v_cmp_gt_f64_e64 s[12:13], s[28:29], v[92:93]
	v_cndmask_b32_e64 v69, v118, 2.0, s[12:13]
	v_mul_f64 v[92:93], v[92:93], v[68:69]
	v_add_f64 v[94:95], v[92:93], 1.0
	v_rcp_f64_e32 v[96:97], v[94:95]
	v_add_f64 v[100:101], v[94:95], -1.0
	v_add_f64 v[98:99], v[92:93], -1.0
	v_add_f64 v[92:93], v[92:93], -v[100:101]
	v_fma_f64 v[100:101], -v[94:95], v[96:97], 1.0
	v_fmac_f64_e32 v[96:97], v[100:101], v[96:97]
	v_fma_f64 v[100:101], -v[94:95], v[96:97], 1.0
	v_fmac_f64_e32 v[96:97], v[100:101], v[96:97]
	v_mul_f64 v[100:101], v[98:99], v[96:97]
	v_mul_f64 v[102:103], v[94:95], v[100:101]
	v_fma_f64 v[94:95], v[100:101], v[94:95], -v[102:103]
	v_fmac_f64_e32 v[94:95], v[100:101], v[92:93]
	v_add_f64 v[92:93], v[102:103], v[94:95]
	v_add_f64 v[104:105], v[98:99], -v[92:93]
	v_add_f64 v[102:103], v[92:93], -v[102:103]
	;; [unrolled: 1-line block ×5, first 2 shown]
	v_add_f64 v[92:93], v[94:95], v[92:93]
	v_add_f64 v[92:93], v[104:105], v[92:93]
	v_mul_f64 v[92:93], v[96:97], v[92:93]
	v_add_f64 v[94:95], v[100:101], v[92:93]
	v_add_f64 v[96:97], v[94:95], -v[100:101]
	v_add_f64 v[92:93], v[92:93], -v[96:97]
	v_mul_f64 v[96:97], v[94:95], v[94:95]
	v_pk_mov_b32 v[98:99], v[18:19], v[18:19] op_sel:[0,1]
	v_fmac_f64_e32 v[98:99], s[30:31], v[96:97]
	v_pk_mov_b32 v[100:101], v[20:21], v[20:21] op_sel:[0,1]
	v_fmac_f64_e32 v[100:101], v[96:97], v[98:99]
	;; [unrolled: 2-line block ×6, first 2 shown]
	v_ldexp_f64 v[98:99], v[94:95], 1
	v_mul_f64 v[94:95], v[94:95], v[96:97]
	v_mul_f64 v[94:95], v[94:95], v[100:101]
	v_add_f64 v[96:97], v[98:99], v[94:95]
	v_add_f64 v[98:99], v[96:97], -v[98:99]
	v_ldexp_f64 v[92:93], v[92:93], 1
	v_add_f64 v[94:95], v[94:95], -v[98:99]
	v_add_f64 v[92:93], v[92:93], v[94:95]
	v_frexp_exp_i32_f64_e32 v1, v[90:91]
	v_add_f64 v[94:95], v[96:97], v[92:93]
	v_subbrev_co_u32_e64 v1, s[12:13], 0, v1, s[12:13]
	v_add_f64 v[96:97], v[94:95], -v[96:97]
	v_add_f64 v[92:93], v[92:93], -v[96:97]
	v_cvt_f64_i32_e32 v[96:97], v1
	v_mul_f64 v[98:99], v[96:97], s[34:35]
	v_fma_f64 v[100:101], v[96:97], s[34:35], -v[98:99]
	v_fmac_f64_e32 v[100:101], s[36:37], v[96:97]
	v_add_f64 v[96:97], v[98:99], v[100:101]
	v_add_f64 v[98:99], v[96:97], -v[98:99]
	v_add_f64 v[98:99], v[100:101], -v[98:99]
	v_add_f64 v[100:101], v[96:97], v[94:95]
	v_add_f64 v[102:103], v[100:101], -v[96:97]
	v_add_f64 v[104:105], v[100:101], -v[102:103]
	;; [unrolled: 1-line block ×4, first 2 shown]
	v_add_f64 v[94:95], v[94:95], v[96:97]
	v_add_f64 v[96:97], v[98:99], v[92:93]
	v_add_f64 v[102:103], v[96:97], -v[98:99]
	v_add_f64 v[104:105], v[96:97], -v[102:103]
	v_add_f64 v[94:95], v[96:97], v[94:95]
	v_add_f64 v[98:99], v[98:99], -v[104:105]
	v_add_f64 v[92:93], v[92:93], -v[102:103]
	v_add_f64 v[96:97], v[100:101], v[94:95]
	v_add_f64 v[92:93], v[92:93], v[98:99]
	v_add_f64 v[98:99], v[96:97], -v[100:101]
	v_add_f64 v[94:95], v[94:95], -v[98:99]
	v_add_f64 v[92:93], v[92:93], v[94:95]
	v_add_f64 v[92:93], v[96:97], v[92:93]
	v_cmp_class_f64_e64 s[12:13], v[88:89], s77
	v_min_f64 v[84:85], v[84:85], v[6:7]
	v_cndmask_b32_e64 v1, v93, v89, s[12:13]
	v_cndmask_b32_e64 v8, v92, v88, s[12:13]
	v_div_scale_f64 v[88:89], s[12:13], v[86:87], v[86:87], v[84:85]
	v_rcp_f64_e32 v[92:93], v[88:89]
	v_cndmask_b32_e64 v8, v8, 0, vcc
	v_cndmask_b32_e32 v1, v1, v119, vcc
	v_cmp_ngt_f64_e32 vcc, 0, v[90:91]
	v_cndmask_b32_e32 v1, v112, v1, vcc
	v_cmp_nge_f64_e32 vcc, 0, v[90:91]
	v_cndmask_b32_e32 v6, 0, v8, vcc
	v_cmp_neq_f64_e32 vcc, 0, v[90:91]
	v_fma_f64 v[90:91], -v[88:89], v[92:93], 1.0
	v_fmac_f64_e32 v[92:93], v[92:93], v[90:91]
	v_fma_f64 v[90:91], -v[88:89], v[92:93], 1.0
	v_cndmask_b32_e32 v7, v113, v1, vcc
	v_fmac_f64_e32 v[92:93], v[92:93], v[90:91]
	v_div_scale_f64 v[90:91], vcc, v[84:85], v[86:87], v[84:85]
	v_mul_f64 v[94:95], v[90:91], v[92:93]
	v_fma_f64 v[88:89], -v[88:89], v[94:95], v[90:91]
	v_pk_mov_b32 v[90:91], v[32:33], v[32:33] op_sel:[0,1]
	s_nop 0
	v_div_fmas_f64 v[88:89], v[88:89], v[92:93], v[94:95]
	v_div_fixup_f64 v[84:85], v[88:89], v[86:87], v[84:85]
	v_mul_f64 v[86:87], v[84:85], v[84:85]
	v_pk_mov_b32 v[88:89], v[30:31], v[30:31] op_sel:[0,1]
	v_fmac_f64_e32 v[88:89], s[40:41], v[86:87]
	v_fmac_f64_e32 v[90:91], v[86:87], v[88:89]
	v_pk_mov_b32 v[88:89], v[34:35], v[34:35] op_sel:[0,1]
	v_fmac_f64_e32 v[88:89], v[86:87], v[90:91]
	v_pk_mov_b32 v[90:91], v[36:37], v[36:37] op_sel:[0,1]
	;; [unrolled: 2-line block ×17, first 2 shown]
	v_fmac_f64_e32 v[88:89], v[86:87], v[90:91]
	v_mul_f64 v[86:87], v[86:87], v[88:89]
	v_fmac_f64_e32 v[84:85], v[84:85], v[86:87]
	v_ashrrev_i32_e32 v10, 31, v11
	v_cmp_gt_i32_e32 vcc, 0, v11
	v_and_b32_e32 v16, 0x400921fb, v10
	v_and_b32_e32 v69, 0x54442d18, v10
	v_add_f64 v[10:11], -v[84:85], s[42:43]
	v_cndmask_b32_e64 v11, v85, v11, s[10:11]
	v_cndmask_b32_e64 v10, v84, v10, s[10:11]
	s_mov_b32 s44, s42
	v_add_f64 v[84:85], -v[10:11], s[44:45]
	v_cndmask_b32_e32 v1, v114, v115, vcc
	v_cndmask_b32_e32 v8, v116, v117, vcc
	v_cndmask_b32_e32 v11, v11, v85, vcc
	v_cndmask_b32_e32 v10, v10, v84, vcc
	v_cmp_eq_f64_e32 vcc, 0, v[12:13]
	v_bfi_b32 v8, s76, v8, v13
	v_cndmask_b32_e32 v10, v10, v69, vcc
	v_cndmask_b32_e32 v11, v11, v16, vcc
	s_and_b64 vcc, s[64:65], s[62:63]
	v_cndmask_b32_e32 v85, v11, v8, vcc
	v_cndmask_b32_e32 v84, v10, v1, vcc
.LBB186_97:                             ;   in Loop: Header=BB186_4 Depth=1
	s_or_b64 exec, exec, s[60:61]
                                        ; implicit-def: $vgpr86_vgpr87
.LBB186_98:                             ;   in Loop: Header=BB186_4 Depth=1
	s_andn2_saveexec_b64 s[12:13], s[58:59]
	s_cbranch_execz .LBB186_104
; %bb.99:                               ;   in Loop: Header=BB186_4 Depth=1
	v_cmp_ngt_f64_e32 vcc, s[48:49], v[86:87]
                                        ; implicit-def: $vgpr6_vgpr7
                                        ; implicit-def: $vgpr84_vgpr85
	s_and_saveexec_b64 s[58:59], vcc
	s_xor_b64 s[58:59], exec, s[58:59]
	s_cbranch_execz .LBB186_101
; %bb.100:                              ;   in Loop: Header=BB186_4 Depth=1
	v_mul_f64 v[6:7], v[86:87], v[86:87]
	v_add_f64 v[84:85], v[6:7], 1.0
	v_add_f64 v[86:87], v[84:85], -1.0
	v_add_f64 v[88:89], v[86:87], -v[84:85]
	v_add_f64 v[88:89], v[88:89], 1.0
	v_add_f64 v[86:87], v[6:7], -v[86:87]
	v_add_f64 v[86:87], v[86:87], v[88:89]
	v_frexp_mant_f64_e32 v[88:89], v[84:85]
	v_frexp_exp_i32_f64_e32 v1, v[84:85]
	v_cmp_gt_f64_e32 vcc, s[28:29], v[88:89]
	v_subbrev_co_u32_e32 v1, vcc, 0, v1, vcc
	v_sub_u32_e32 v8, 0, v1
	v_ldexp_f64 v[84:85], v[84:85], v8
	v_add_f64 v[88:89], v[84:85], -1.0
	v_add_f64 v[94:95], v[84:85], 1.0
	v_add_f64 v[90:91], v[88:89], 1.0
	v_add_f64 v[96:97], v[94:95], -1.0
	v_ldexp_f64 v[86:87], v[86:87], v8
	v_add_f64 v[90:91], v[84:85], -v[90:91]
	v_add_f64 v[84:85], v[84:85], -v[96:97]
	v_add_f64 v[84:85], v[86:87], v[84:85]
	v_add_f64 v[90:91], v[86:87], v[90:91]
	;; [unrolled: 1-line block ×3, first 2 shown]
	v_rcp_f64_e32 v[96:97], v[86:87]
	v_add_f64 v[92:93], v[88:89], v[90:91]
	v_add_f64 v[88:89], v[88:89], -v[92:93]
	v_add_f64 v[88:89], v[90:91], v[88:89]
	v_add_f64 v[90:91], v[94:95], -v[86:87]
	v_add_f64 v[84:85], v[84:85], v[90:91]
	v_fma_f64 v[90:91], -v[86:87], v[96:97], 1.0
	v_fmac_f64_e32 v[96:97], v[90:91], v[96:97]
	v_fma_f64 v[90:91], -v[86:87], v[96:97], 1.0
	v_fmac_f64_e32 v[96:97], v[90:91], v[96:97]
	v_mul_f64 v[90:91], v[92:93], v[96:97]
	v_mul_f64 v[94:95], v[86:87], v[90:91]
	v_fma_f64 v[98:99], v[90:91], v[86:87], -v[94:95]
	v_fmac_f64_e32 v[98:99], v[90:91], v[84:85]
	v_add_f64 v[100:101], v[94:95], v[98:99]
	v_add_f64 v[102:103], v[92:93], -v[100:101]
	v_add_f64 v[92:93], v[92:93], -v[102:103]
	;; [unrolled: 1-line block ×4, first 2 shown]
	v_add_f64 v[88:89], v[88:89], v[92:93]
	v_add_f64 v[92:93], v[94:95], -v[98:99]
	v_add_f64 v[88:89], v[92:93], v[88:89]
	v_add_f64 v[92:93], v[102:103], v[88:89]
	v_add_f64 v[94:95], v[102:103], -v[92:93]
	v_add_f64 v[88:89], v[88:89], v[94:95]
	v_mul_f64 v[94:95], v[96:97], v[92:93]
	v_mul_f64 v[98:99], v[86:87], v[94:95]
	v_fma_f64 v[86:87], v[94:95], v[86:87], -v[98:99]
	v_fmac_f64_e32 v[86:87], v[94:95], v[84:85]
	v_add_f64 v[84:85], v[98:99], v[86:87]
	v_add_f64 v[100:101], v[92:93], -v[84:85]
	v_add_f64 v[92:93], v[92:93], -v[100:101]
	;; [unrolled: 1-line block ×4, first 2 shown]
	v_add_f64 v[84:85], v[88:89], v[84:85]
	v_add_f64 v[86:87], v[98:99], -v[86:87]
	v_add_f64 v[84:85], v[86:87], v[84:85]
	v_add_f64 v[86:87], v[90:91], v[94:95]
	;; [unrolled: 1-line block ×3, first 2 shown]
	v_add_f64 v[88:89], v[86:87], -v[90:91]
	v_mul_f64 v[84:85], v[96:97], v[84:85]
	v_add_f64 v[88:89], v[94:95], -v[88:89]
	v_add_f64 v[84:85], v[88:89], v[84:85]
	v_add_f64 v[88:89], v[86:87], v[84:85]
	v_add_f64 v[86:87], v[88:89], -v[86:87]
	v_add_f64 v[84:85], v[84:85], -v[86:87]
	v_mul_f64 v[86:87], v[88:89], v[88:89]
	v_pk_mov_b32 v[90:91], v[18:19], v[18:19] op_sel:[0,1]
	v_fmac_f64_e32 v[90:91], s[30:31], v[86:87]
	v_pk_mov_b32 v[92:93], v[20:21], v[20:21] op_sel:[0,1]
	v_fmac_f64_e32 v[92:93], v[86:87], v[90:91]
	;; [unrolled: 2-line block ×6, first 2 shown]
	v_cvt_f64_i32_e32 v[90:91], v1
	v_mul_f64 v[94:95], v[90:91], s[34:35]
	v_fma_f64 v[96:97], v[90:91], s[34:35], -v[94:95]
	v_fmac_f64_e32 v[96:97], s[36:37], v[90:91]
	v_add_f64 v[90:91], v[94:95], v[96:97]
	v_add_f64 v[94:95], v[90:91], -v[94:95]
	v_mul_f64 v[86:87], v[88:89], v[86:87]
	v_add_f64 v[94:95], v[96:97], -v[94:95]
	v_ldexp_f64 v[96:97], v[88:89], 1
	v_mul_f64 v[86:87], v[86:87], v[92:93]
	v_add_f64 v[88:89], v[96:97], v[86:87]
	v_add_f64 v[92:93], v[88:89], -v[96:97]
	v_ldexp_f64 v[84:85], v[84:85], 1
	v_add_f64 v[86:87], v[86:87], -v[92:93]
	v_add_f64 v[84:85], v[84:85], v[86:87]
	v_add_f64 v[86:87], v[88:89], v[84:85]
	v_add_f64 v[88:89], v[86:87], -v[88:89]
	v_add_f64 v[84:85], v[84:85], -v[88:89]
	v_add_f64 v[88:89], v[90:91], v[86:87]
	v_add_f64 v[92:93], v[88:89], -v[90:91]
	v_add_f64 v[96:97], v[88:89], -v[92:93]
	v_add_f64 v[90:91], v[90:91], -v[96:97]
	v_add_f64 v[86:87], v[86:87], -v[92:93]
	v_add_f64 v[86:87], v[86:87], v[90:91]
	v_add_f64 v[90:91], v[94:95], v[84:85]
	v_add_f64 v[92:93], v[90:91], -v[94:95]
	v_add_f64 v[86:87], v[90:91], v[86:87]
	v_add_f64 v[96:97], v[90:91], -v[92:93]
	;; [unrolled: 2-line block ×3, first 2 shown]
	v_add_f64 v[84:85], v[84:85], -v[92:93]
	v_add_f64 v[88:89], v[90:91], -v[88:89]
	v_add_f64 v[84:85], v[84:85], v[94:95]
	v_add_f64 v[86:87], v[86:87], -v[88:89]
	v_add_f64 v[84:85], v[84:85], v[86:87]
	v_max_f64 v[86:87], |v[12:13]|, |v[12:13]|
	v_max_f64 v[88:89], |v[10:11]|, |v[10:11]|
	v_add_f64 v[84:85], v[90:91], v[84:85]
	v_max_f64 v[90:91], v[88:89], v[86:87]
	v_min_f64 v[86:87], v[88:89], v[86:87]
	v_div_scale_f64 v[88:89], s[60:61], v[90:91], v[90:91], v[86:87]
	v_rcp_f64_e32 v[92:93], v[88:89]
	v_cmp_eq_f64_e32 vcc, s[38:39], v[6:7]
	v_cndmask_b32_e32 v7, v85, v7, vcc
	v_cndmask_b32_e32 v6, v84, v6, vcc
	v_fma_f64 v[84:85], -v[88:89], v[92:93], 1.0
	v_fmac_f64_e32 v[92:93], v[92:93], v[84:85]
	v_fma_f64 v[84:85], -v[88:89], v[92:93], 1.0
	v_fmac_f64_e32 v[92:93], v[92:93], v[84:85]
	v_div_scale_f64 v[84:85], vcc, v[86:87], v[90:91], v[86:87]
	v_mul_f64 v[94:95], v[84:85], v[92:93]
	v_fma_f64 v[84:85], -v[88:89], v[94:95], v[84:85]
	v_pk_mov_b32 v[88:89], v[30:31], v[30:31] op_sel:[0,1]
	s_nop 0
	v_div_fmas_f64 v[84:85], v[84:85], v[92:93], v[94:95]
	v_div_fixup_f64 v[84:85], v[84:85], v[90:91], v[86:87]
	v_mul_f64 v[86:87], v[84:85], v[84:85]
	v_fmac_f64_e32 v[88:89], s[40:41], v[86:87]
	v_pk_mov_b32 v[90:91], v[32:33], v[32:33] op_sel:[0,1]
	v_fmac_f64_e32 v[90:91], v[86:87], v[88:89]
	v_pk_mov_b32 v[88:89], v[34:35], v[34:35] op_sel:[0,1]
	;; [unrolled: 2-line block ×18, first 2 shown]
	v_fmac_f64_e32 v[88:89], v[86:87], v[90:91]
	v_mul_f64 v[86:87], v[86:87], v[88:89]
	v_fmac_f64_e32 v[84:85], v[84:85], v[86:87]
	v_cmp_class_f64_e64 s[62:63], v[10:11], s77
	v_ashrrev_i32_e32 v10, 31, v11
	v_cmp_gt_i32_e32 vcc, 0, v11
	v_and_b32_e32 v16, 0x400921fb, v10
	v_and_b32_e32 v69, 0x54442d18, v10
	v_add_f64 v[10:11], -v[84:85], s[42:43]
	v_cndmask_b32_e64 v11, v85, v11, s[10:11]
	v_cndmask_b32_e64 v10, v84, v10, s[10:11]
	s_mov_b32 s44, s42
	v_add_f64 v[84:85], -v[10:11], s[44:45]
	v_cmp_class_f64_e64 s[60:61], v[12:13], s77
	v_cndmask_b32_e32 v1, v114, v115, vcc
	v_cndmask_b32_e32 v8, v116, v117, vcc
	;; [unrolled: 1-line block ×4, first 2 shown]
	v_cmp_eq_f64_e32 vcc, 0, v[12:13]
	v_bfi_b32 v8, s76, v8, v13
	v_cndmask_b32_e32 v10, v10, v69, vcc
	v_cndmask_b32_e32 v11, v11, v16, vcc
	s_and_b64 vcc, s[60:61], s[62:63]
	v_mul_f64 v[6:7], v[6:7], 0.5
	v_cndmask_b32_e32 v85, v11, v8, vcc
	v_cndmask_b32_e32 v84, v10, v1, vcc
                                        ; implicit-def: $vgpr86_vgpr87
.LBB186_101:                            ;   in Loop: Header=BB186_4 Depth=1
	s_andn2_saveexec_b64 s[58:59], s[58:59]
	s_cbranch_execz .LBB186_103
; %bb.102:                              ;   in Loop: Header=BB186_4 Depth=1
	v_max_f64 v[6:7], |v[12:13]|, |v[12:13]|
	v_max_f64 v[84:85], |v[10:11]|, |v[10:11]|
	v_max_f64 v[88:89], v[84:85], v[6:7]
	v_min_f64 v[84:85], v[84:85], v[6:7]
	v_div_scale_f64 v[90:91], s[60:61], v[88:89], v[88:89], v[84:85]
	v_rcp_f64_e32 v[92:93], v[90:91]
	v_mul_f64 v[6:7], v[86:87], 0.5
	v_mul_f64 v[6:7], v[86:87], v[6:7]
	v_cmp_class_f64_e64 s[62:63], v[10:11], s77
	v_fma_f64 v[86:87], -v[90:91], v[92:93], 1.0
	v_fmac_f64_e32 v[92:93], v[92:93], v[86:87]
	v_fma_f64 v[86:87], -v[90:91], v[92:93], 1.0
	v_fmac_f64_e32 v[92:93], v[92:93], v[86:87]
	v_div_scale_f64 v[86:87], vcc, v[84:85], v[88:89], v[84:85]
	v_mul_f64 v[94:95], v[86:87], v[92:93]
	v_fma_f64 v[86:87], -v[90:91], v[94:95], v[86:87]
	v_pk_mov_b32 v[90:91], v[32:33], v[32:33] op_sel:[0,1]
	s_nop 0
	v_div_fmas_f64 v[86:87], v[86:87], v[92:93], v[94:95]
	v_div_fixup_f64 v[84:85], v[86:87], v[88:89], v[84:85]
	v_mul_f64 v[86:87], v[84:85], v[84:85]
	v_pk_mov_b32 v[88:89], v[30:31], v[30:31] op_sel:[0,1]
	v_fmac_f64_e32 v[88:89], s[40:41], v[86:87]
	v_fmac_f64_e32 v[90:91], v[86:87], v[88:89]
	v_pk_mov_b32 v[88:89], v[34:35], v[34:35] op_sel:[0,1]
	v_fmac_f64_e32 v[88:89], v[86:87], v[90:91]
	v_pk_mov_b32 v[90:91], v[36:37], v[36:37] op_sel:[0,1]
	;; [unrolled: 2-line block ×17, first 2 shown]
	v_fmac_f64_e32 v[88:89], v[86:87], v[90:91]
	v_mul_f64 v[86:87], v[86:87], v[88:89]
	v_fmac_f64_e32 v[84:85], v[84:85], v[86:87]
	v_ashrrev_i32_e32 v10, 31, v11
	v_cmp_gt_i32_e32 vcc, 0, v11
	v_and_b32_e32 v16, 0x400921fb, v10
	v_and_b32_e32 v69, 0x54442d18, v10
	v_add_f64 v[10:11], -v[84:85], s[42:43]
	v_cndmask_b32_e64 v11, v85, v11, s[10:11]
	v_cndmask_b32_e64 v10, v84, v10, s[10:11]
	s_mov_b32 s44, s42
	v_add_f64 v[84:85], -v[10:11], s[44:45]
	v_cmp_class_f64_e64 s[60:61], v[12:13], s77
	v_cndmask_b32_e32 v1, v114, v115, vcc
	v_cndmask_b32_e32 v8, v116, v117, vcc
	;; [unrolled: 1-line block ×4, first 2 shown]
	v_cmp_eq_f64_e32 vcc, 0, v[12:13]
	v_bfi_b32 v8, s76, v8, v13
	v_cndmask_b32_e32 v10, v10, v69, vcc
	v_cndmask_b32_e32 v11, v11, v16, vcc
	s_and_b64 vcc, s[60:61], s[62:63]
	v_cndmask_b32_e32 v85, v11, v8, vcc
	v_cndmask_b32_e32 v84, v10, v1, vcc
.LBB186_103:                            ;   in Loop: Header=BB186_4 Depth=1
	s_or_b64 exec, exec, s[58:59]
.LBB186_104:                            ;   in Loop: Header=BB186_4 Depth=1
	s_or_b64 exec, exec, s[12:13]
.LBB186_105:                            ;   in Loop: Header=BB186_4 Depth=1
	s_andn2_saveexec_b64 s[58:59], s[14:15]
	s_cbranch_execz .LBB186_107
; %bb.106:                              ;   in Loop: Header=BB186_4 Depth=1
	v_div_scale_f64 v[6:7], s[12:13], s[50:51], s[50:51], v[10:11]
	v_rcp_f64_e32 v[84:85], v[6:7]
	v_div_scale_f64 v[86:87], vcc, v[10:11], s[50:51], v[10:11]
	s_mov_b32 s44, s42
	v_fma_f64 v[88:89], -v[6:7], v[84:85], 1.0
	v_fmac_f64_e32 v[84:85], v[84:85], v[88:89]
	v_fma_f64 v[88:89], -v[6:7], v[84:85], 1.0
	v_fmac_f64_e32 v[84:85], v[84:85], v[88:89]
	v_mul_f64 v[88:89], v[86:87], v[84:85]
	v_fma_f64 v[6:7], -v[6:7], v[88:89], v[86:87]
	v_div_scale_f64 v[86:87], s[12:13], s[50:51], s[50:51], v[12:13]
	v_rcp_f64_e32 v[90:91], v[86:87]
	v_div_fmas_f64 v[6:7], v[6:7], v[84:85], v[88:89]
	v_div_fixup_f64 v[6:7], v[6:7], s[50:51], v[10:11]
	v_cmp_class_f64_e64 s[14:15], v[6:7], s77
	v_fma_f64 v[84:85], -v[86:87], v[90:91], 1.0
	v_fmac_f64_e32 v[90:91], v[90:91], v[84:85]
	v_fma_f64 v[84:85], -v[86:87], v[90:91], 1.0
	v_fmac_f64_e32 v[90:91], v[90:91], v[84:85]
	v_div_scale_f64 v[84:85], vcc, v[12:13], s[50:51], v[12:13]
	v_mul_f64 v[88:89], v[84:85], v[90:91]
	v_fma_f64 v[84:85], -v[86:87], v[88:89], v[84:85]
	s_nop 1
	v_div_fmas_f64 v[84:85], v[84:85], v[90:91], v[88:89]
	v_div_fixup_f64 v[84:85], v[84:85], s[50:51], v[12:13]
	v_max_f64 v[86:87], |v[6:7]|, |v[84:85]|
	v_frexp_exp_i32_f64_e32 v1, v[86:87]
	v_sub_u32_e32 v8, 0, v1
	v_ldexp_f64 v[88:89], |v[84:85]|, v8
	v_ldexp_f64 v[86:87], |v[6:7]|, v8
	v_mul_f64 v[88:89], v[88:89], v[88:89]
	v_fmac_f64_e32 v[88:89], v[86:87], v[86:87]
	v_rsq_f64_e32 v[86:87], v[88:89]
	v_cmp_eq_f64_e32 vcc, 0, v[88:89]
	v_cmp_o_f64_e64 s[12:13], v[6:7], v[84:85]
	v_cmp_class_f64_e64 s[60:61], v[84:85], s77
	v_mul_f64 v[90:91], v[88:89], v[86:87]
	v_mul_f64 v[86:87], v[86:87], 0.5
	v_fma_f64 v[92:93], -v[86:87], v[90:91], 0.5
	v_fmac_f64_e32 v[90:91], v[90:91], v[92:93]
	v_fmac_f64_e32 v[86:87], v[86:87], v[92:93]
	v_fma_f64 v[92:93], -v[90:91], v[90:91], v[88:89]
	v_fmac_f64_e32 v[90:91], v[92:93], v[86:87]
	v_cndmask_b32_e32 v87, v91, v89, vcc
	v_cndmask_b32_e32 v86, v90, v88, vcc
	v_ldexp_f64 v[86:87], v[86:87], v1
	v_cndmask_b32_e64 v1, 0, v86, s[12:13]
	v_cndmask_b32_e64 v8, v112, v87, s[12:13]
	s_or_b64 vcc, s[60:61], s[14:15]
	v_cndmask_b32_e32 v85, v8, v119, vcc
	v_cndmask_b32_e64 v84, v1, 0, vcc
	v_frexp_mant_f64_e32 v[6:7], v[84:85]
	v_cmp_gt_f64_e64 s[14:15], s[28:29], v[6:7]
	v_cndmask_b32_e64 v69, v118, 2.0, s[14:15]
	v_mul_f64 v[6:7], v[6:7], v[68:69]
	v_add_f64 v[88:89], v[6:7], 1.0
	v_rcp_f64_e32 v[90:91], v[88:89]
	v_add_f64 v[94:95], v[88:89], -1.0
	v_add_f64 v[92:93], v[6:7], -1.0
	v_add_f64 v[6:7], v[6:7], -v[94:95]
	v_fma_f64 v[94:95], -v[88:89], v[90:91], 1.0
	v_fmac_f64_e32 v[90:91], v[94:95], v[90:91]
	v_fma_f64 v[94:95], -v[88:89], v[90:91], 1.0
	v_fmac_f64_e32 v[90:91], v[94:95], v[90:91]
	v_mul_f64 v[94:95], v[92:93], v[90:91]
	v_mul_f64 v[96:97], v[88:89], v[94:95]
	v_fma_f64 v[88:89], v[94:95], v[88:89], -v[96:97]
	v_fmac_f64_e32 v[88:89], v[94:95], v[6:7]
	v_add_f64 v[6:7], v[96:97], v[88:89]
	v_add_f64 v[98:99], v[92:93], -v[6:7]
	v_add_f64 v[96:97], v[6:7], -v[96:97]
	;; [unrolled: 1-line block ×5, first 2 shown]
	v_add_f64 v[6:7], v[88:89], v[6:7]
	v_add_f64 v[6:7], v[98:99], v[6:7]
	v_mul_f64 v[6:7], v[90:91], v[6:7]
	v_add_f64 v[88:89], v[94:95], v[6:7]
	v_add_f64 v[90:91], v[88:89], -v[94:95]
	v_add_f64 v[6:7], v[6:7], -v[90:91]
	v_mul_f64 v[90:91], v[88:89], v[88:89]
	v_pk_mov_b32 v[92:93], v[18:19], v[18:19] op_sel:[0,1]
	v_fmac_f64_e32 v[92:93], s[30:31], v[90:91]
	v_pk_mov_b32 v[94:95], v[20:21], v[20:21] op_sel:[0,1]
	v_fmac_f64_e32 v[94:95], v[90:91], v[92:93]
	;; [unrolled: 2-line block ×6, first 2 shown]
	v_ldexp_f64 v[92:93], v[88:89], 1
	v_mul_f64 v[88:89], v[88:89], v[90:91]
	v_mul_f64 v[88:89], v[88:89], v[94:95]
	v_add_f64 v[90:91], v[92:93], v[88:89]
	v_add_f64 v[92:93], v[90:91], -v[92:93]
	v_ldexp_f64 v[6:7], v[6:7], 1
	v_add_f64 v[88:89], v[88:89], -v[92:93]
	v_add_f64 v[6:7], v[6:7], v[88:89]
	v_frexp_exp_i32_f64_e32 v16, v[84:85]
	v_add_f64 v[88:89], v[90:91], v[6:7]
	v_subbrev_co_u32_e64 v16, s[14:15], 0, v16, s[14:15]
	v_add_f64 v[90:91], v[88:89], -v[90:91]
	v_add_f64 v[6:7], v[6:7], -v[90:91]
	v_cvt_f64_i32_e32 v[90:91], v16
	v_mul_f64 v[92:93], v[90:91], s[34:35]
	v_fma_f64 v[94:95], v[90:91], s[34:35], -v[92:93]
	v_fmac_f64_e32 v[94:95], s[36:37], v[90:91]
	v_add_f64 v[90:91], v[92:93], v[94:95]
	v_add_f64 v[92:93], v[90:91], -v[92:93]
	v_add_f64 v[92:93], v[94:95], -v[92:93]
	v_add_f64 v[94:95], v[90:91], v[88:89]
	v_add_f64 v[96:97], v[94:95], -v[90:91]
	v_add_f64 v[98:99], v[94:95], -v[96:97]
	;; [unrolled: 1-line block ×4, first 2 shown]
	v_add_f64 v[88:89], v[88:89], v[90:91]
	v_add_f64 v[90:91], v[92:93], v[6:7]
	v_add_f64 v[96:97], v[90:91], -v[92:93]
	v_add_f64 v[98:99], v[90:91], -v[96:97]
	v_add_f64 v[88:89], v[90:91], v[88:89]
	v_add_f64 v[92:93], v[92:93], -v[98:99]
	v_add_f64 v[6:7], v[6:7], -v[96:97]
	v_add_f64 v[90:91], v[94:95], v[88:89]
	v_add_f64 v[6:7], v[6:7], v[92:93]
	v_add_f64 v[92:93], v[90:91], -v[94:95]
	v_add_f64 v[88:89], v[88:89], -v[92:93]
	v_and_b32_e32 v87, 0x7fffffff, v87
	v_add_f64 v[6:7], v[6:7], v[88:89]
	v_cmp_eq_f64_e64 s[14:15], s[38:39], v[86:87]
	v_add_f64 v[6:7], v[90:91], v[6:7]
	s_and_b64 s[12:13], s[12:13], s[14:15]
	v_cndmask_b32_e64 v7, v7, v8, s[12:13]
	v_cndmask_b32_e64 v6, v6, v1, s[12:13]
	v_add_f64 v[6:7], v[6:7], 1.0
	v_cndmask_b32_e64 v1, v6, 0, vcc
	v_cndmask_b32_e32 v6, v7, v119, vcc
	v_cmp_ngt_f64_e32 vcc, 0, v[84:85]
	v_cndmask_b32_e32 v8, v112, v6, vcc
	v_max_f64 v[6:7], |v[12:13]|, |v[12:13]|
	v_max_f64 v[86:87], |v[10:11]|, |v[10:11]|
	v_max_f64 v[88:89], v[86:87], v[6:7]
	v_min_f64 v[86:87], v[86:87], v[6:7]
	v_div_scale_f64 v[90:91], s[12:13], v[88:89], v[88:89], v[86:87]
	v_rcp_f64_e32 v[92:93], v[90:91]
	v_cmp_nge_f64_e32 vcc, 0, v[84:85]
	v_cndmask_b32_e32 v6, 0, v1, vcc
	v_cmp_neq_f64_e32 vcc, 0, v[84:85]
	v_fma_f64 v[84:85], -v[90:91], v[92:93], 1.0
	v_fmac_f64_e32 v[92:93], v[92:93], v[84:85]
	v_fma_f64 v[84:85], -v[90:91], v[92:93], 1.0
	v_cndmask_b32_e32 v7, v113, v8, vcc
	v_fmac_f64_e32 v[92:93], v[92:93], v[84:85]
	v_div_scale_f64 v[84:85], vcc, v[86:87], v[88:89], v[86:87]
	v_mul_f64 v[94:95], v[84:85], v[92:93]
	v_fma_f64 v[84:85], -v[90:91], v[94:95], v[84:85]
	v_pk_mov_b32 v[90:91], v[32:33], v[32:33] op_sel:[0,1]
	s_nop 0
	v_div_fmas_f64 v[84:85], v[84:85], v[92:93], v[94:95]
	v_div_fixup_f64 v[84:85], v[84:85], v[88:89], v[86:87]
	v_mul_f64 v[86:87], v[84:85], v[84:85]
	v_pk_mov_b32 v[88:89], v[30:31], v[30:31] op_sel:[0,1]
	v_fmac_f64_e32 v[88:89], s[40:41], v[86:87]
	v_fmac_f64_e32 v[90:91], v[86:87], v[88:89]
	v_pk_mov_b32 v[88:89], v[34:35], v[34:35] op_sel:[0,1]
	v_fmac_f64_e32 v[88:89], v[86:87], v[90:91]
	v_pk_mov_b32 v[90:91], v[36:37], v[36:37] op_sel:[0,1]
	;; [unrolled: 2-line block ×17, first 2 shown]
	v_fmac_f64_e32 v[88:89], v[86:87], v[90:91]
	v_mul_f64 v[86:87], v[86:87], v[88:89]
	v_fmac_f64_e32 v[84:85], v[84:85], v[86:87]
	v_cmp_class_f64_e64 s[14:15], v[10:11], s77
	v_ashrrev_i32_e32 v10, 31, v11
	v_cmp_gt_i32_e32 vcc, 0, v11
	v_and_b32_e32 v16, 0x400921fb, v10
	v_and_b32_e32 v69, 0x54442d18, v10
	v_add_f64 v[10:11], -v[84:85], s[42:43]
	v_cndmask_b32_e64 v11, v85, v11, s[10:11]
	v_cndmask_b32_e64 v10, v84, v10, s[10:11]
	v_add_f64 v[84:85], -v[10:11], s[44:45]
	v_cmp_class_f64_e64 s[12:13], v[12:13], s77
	v_cndmask_b32_e32 v1, v114, v115, vcc
	v_cndmask_b32_e32 v8, v116, v117, vcc
	;; [unrolled: 1-line block ×4, first 2 shown]
	v_cmp_eq_f64_e32 vcc, 0, v[12:13]
	v_bfi_b32 v8, s76, v8, v13
	v_cndmask_b32_e32 v10, v10, v69, vcc
	v_cndmask_b32_e32 v11, v11, v16, vcc
	s_and_b64 vcc, s[12:13], s[14:15]
	v_cndmask_b32_e32 v85, v11, v8, vcc
	v_cndmask_b32_e32 v84, v10, v1, vcc
.LBB186_107:                            ;   in Loop: Header=BB186_4 Depth=1
	s_or_b64 exec, exec, s[58:59]
.LBB186_108:                            ;   in Loop: Header=BB186_4 Depth=1
	s_andn2_saveexec_b64 s[10:11], s[56:57]
	s_cbranch_execz .LBB186_114
; %bb.109:                              ;   in Loop: Header=BB186_4 Depth=1
	v_cmp_nlt_f64_e64 s[12:13], |v[10:11]|, s[52:53]
	v_cmp_nlt_f64_e64 s[14:15], |v[12:13]|, s[52:53]
	s_or_b64 s[12:13], s[14:15], s[12:13]
                                        ; implicit-def: $vgpr84_vgpr85
	s_and_saveexec_b64 s[14:15], s[12:13]
	s_xor_b64 s[12:13], exec, s[14:15]
; %bb.110:                              ;   in Loop: Header=BB186_4 Depth=1
	v_mul_f64 v[84:85], v[10:11], v[10:11]
	v_fmac_f64_e32 v[84:85], v[12:13], v[12:13]
; %bb.111:                              ;   in Loop: Header=BB186_4 Depth=1
	s_andn2_saveexec_b64 s[12:13], s[12:13]
; %bb.112:                              ;   in Loop: Header=BB186_4 Depth=1
	v_mul_f64 v[6:7], v[10:11], 4.0
	v_mul_f64 v[10:11], v[12:13], 4.0
	v_mul_f64 v[6:7], v[6:7], v[6:7]
	v_fmac_f64_e32 v[6:7], v[10:11], v[10:11]
	v_ldexp_f64 v[84:85], v[6:7], -4
; %bb.113:                              ;   in Loop: Header=BB186_4 Depth=1
	s_or_b64 exec, exec, s[12:13]
	v_frexp_mant_f64_e32 v[6:7], v[84:85]
	v_cmp_gt_f64_e32 vcc, s[28:29], v[6:7]
	v_cndmask_b32_e64 v69, v118, 2.0, vcc
	v_mul_f64 v[6:7], v[6:7], v[68:69]
	v_add_f64 v[10:11], v[6:7], 1.0
	v_rcp_f64_e32 v[86:87], v[10:11]
	v_add_f64 v[90:91], v[10:11], -1.0
	v_add_f64 v[88:89], v[6:7], -1.0
	v_add_f64 v[6:7], v[6:7], -v[90:91]
	v_fma_f64 v[90:91], -v[10:11], v[86:87], 1.0
	v_fmac_f64_e32 v[86:87], v[90:91], v[86:87]
	v_fma_f64 v[90:91], -v[10:11], v[86:87], 1.0
	v_fmac_f64_e32 v[86:87], v[90:91], v[86:87]
	v_mul_f64 v[90:91], v[88:89], v[86:87]
	v_mul_f64 v[92:93], v[10:11], v[90:91]
	v_fma_f64 v[10:11], v[90:91], v[10:11], -v[92:93]
	v_fmac_f64_e32 v[10:11], v[90:91], v[6:7]
	v_add_f64 v[6:7], v[92:93], v[10:11]
	v_add_f64 v[94:95], v[88:89], -v[6:7]
	v_add_f64 v[92:93], v[6:7], -v[92:93]
	;; [unrolled: 1-line block ×5, first 2 shown]
	v_add_f64 v[6:7], v[10:11], v[6:7]
	v_add_f64 v[6:7], v[94:95], v[6:7]
	v_mul_f64 v[6:7], v[86:87], v[6:7]
	v_add_f64 v[10:11], v[90:91], v[6:7]
	v_add_f64 v[86:87], v[10:11], -v[90:91]
	v_add_f64 v[6:7], v[6:7], -v[86:87]
	v_mul_f64 v[86:87], v[10:11], v[10:11]
	v_pk_mov_b32 v[88:89], v[18:19], v[18:19] op_sel:[0,1]
	v_fmac_f64_e32 v[88:89], s[30:31], v[86:87]
	v_pk_mov_b32 v[90:91], v[20:21], v[20:21] op_sel:[0,1]
	v_fmac_f64_e32 v[90:91], v[86:87], v[88:89]
	;; [unrolled: 2-line block ×6, first 2 shown]
	v_ldexp_f64 v[88:89], v[10:11], 1
	v_mul_f64 v[10:11], v[10:11], v[86:87]
	v_mul_f64 v[10:11], v[10:11], v[90:91]
	v_add_f64 v[86:87], v[88:89], v[10:11]
	v_add_f64 v[88:89], v[86:87], -v[88:89]
	v_ldexp_f64 v[6:7], v[6:7], 1
	v_add_f64 v[10:11], v[10:11], -v[88:89]
	v_add_f64 v[6:7], v[6:7], v[10:11]
	v_frexp_exp_i32_f64_e32 v1, v[84:85]
	v_add_f64 v[10:11], v[86:87], v[6:7]
	v_subbrev_co_u32_e32 v1, vcc, 0, v1, vcc
	v_add_f64 v[86:87], v[10:11], -v[86:87]
	v_add_f64 v[6:7], v[6:7], -v[86:87]
	v_cvt_f64_i32_e32 v[86:87], v1
	v_mul_f64 v[88:89], v[86:87], s[34:35]
	v_fma_f64 v[90:91], v[86:87], s[34:35], -v[88:89]
	v_fmac_f64_e32 v[90:91], s[36:37], v[86:87]
	v_add_f64 v[86:87], v[88:89], v[90:91]
	v_add_f64 v[88:89], v[86:87], -v[88:89]
	v_add_f64 v[88:89], v[90:91], -v[88:89]
	v_add_f64 v[90:91], v[86:87], v[10:11]
	v_add_f64 v[92:93], v[90:91], -v[86:87]
	v_add_f64 v[94:95], v[90:91], -v[92:93]
	;; [unrolled: 1-line block ×4, first 2 shown]
	v_add_f64 v[10:11], v[10:11], v[86:87]
	v_add_f64 v[86:87], v[88:89], v[6:7]
	v_add_f64 v[92:93], v[86:87], -v[88:89]
	v_add_f64 v[94:95], v[86:87], -v[92:93]
	v_add_f64 v[10:11], v[86:87], v[10:11]
	v_add_f64 v[88:89], v[88:89], -v[94:95]
	v_add_f64 v[6:7], v[6:7], -v[92:93]
	v_add_f64 v[86:87], v[90:91], v[10:11]
	v_add_f64 v[6:7], v[6:7], v[88:89]
	v_add_f64 v[88:89], v[86:87], -v[90:91]
	v_add_f64 v[10:11], v[10:11], -v[88:89]
	v_add_f64 v[6:7], v[6:7], v[10:11]
	v_add_f64 v[6:7], v[86:87], v[6:7]
	v_cmp_class_f64_e64 vcc, v[84:85], s77
	v_cndmask_b32_e32 v1, v6, v84, vcc
	v_cndmask_b32_e32 v6, v7, v85, vcc
	v_cmp_ngt_f64_e32 vcc, 0, v[84:85]
	v_cndmask_b32_e32 v7, v112, v6, vcc
	v_cmp_nge_f64_e32 vcc, 0, v[84:85]
	v_cndmask_b32_e32 v6, 0, v1, vcc
	v_cmp_neq_f64_e32 vcc, 0, v[84:85]
	v_mov_b32_e32 v84, 0
	v_cndmask_b32_e32 v7, v113, v7, vcc
	v_mov_b32_e32 v85, 0x7ff80000
.LBB186_114:                            ;   in Loop: Header=BB186_4 Depth=1
	s_or_b64 exec, exec, s[10:11]
	v_cmp_o_f64_e32 vcc, v[2:3], v[4:5]
                                        ; implicit-def: $vgpr10_vgpr11
                                        ; implicit-def: $vgpr86_vgpr87
	s_and_saveexec_b64 s[10:11], vcc
	s_xor_b64 s[56:57], exec, s[10:11]
	s_cbranch_execnz .LBB186_120
; %bb.115:                              ;   in Loop: Header=BB186_4 Depth=1
	s_andn2_saveexec_b64 s[10:11], s[56:57]
	s_cbranch_execnz .LBB186_147
.LBB186_116:                            ;   in Loop: Header=BB186_4 Depth=1
	s_or_b64 exec, exec, s[10:11]
	s_and_saveexec_b64 s[10:11], s[8:9]
	s_xor_b64 s[8:9], exec, s[10:11]
	s_cbranch_execnz .LBB186_152
.LBB186_117:                            ;   in Loop: Header=BB186_4 Depth=1
	s_or_b64 exec, exec, s[8:9]
	s_and_saveexec_b64 s[8:9], s[6:7]
	s_cbranch_execnz .LBB186_153
.LBB186_118:                            ;   in Loop: Header=BB186_4 Depth=1
	s_or_b64 exec, exec, s[8:9]
	s_and_saveexec_b64 s[6:7], s[2:3]
	s_cbranch_execnz .LBB186_154
.LBB186_119:                            ;   in Loop: Header=BB186_4 Depth=1
	s_or_b64 exec, exec, s[6:7]
	s_and_saveexec_b64 s[2:3], s[0:1]
	s_cbranch_execz .LBB186_3
	s_branch .LBB186_155
.LBB186_120:                            ;   in Loop: Header=BB186_4 Depth=1
	v_and_b32_e32 v12, 0x7fffffff, v3
	v_and_b32_e32 v1, 0x7fffffff, v5
	v_mov_b32_e32 v8, v4
	v_cmp_lt_f64_e64 s[10:11], |v[2:3]|, |v[4:5]|
	v_cndmask_b32_e64 v89, v1, v12, s[10:11]
	v_cndmask_b32_e64 v88, v8, v2, s[10:11]
	v_cmp_nlt_f64_e32 vcc, s[22:23], v[88:89]
                                        ; implicit-def: $vgpr10_vgpr11
                                        ; implicit-def: $vgpr86_vgpr87
	s_and_saveexec_b64 s[12:13], vcc
	s_xor_b64 s[14:15], exec, s[12:13]
	s_cbranch_execz .LBB186_144
; %bb.121:                              ;   in Loop: Header=BB186_4 Depth=1
	v_cndmask_b32_e64 v93, v12, v1, s[10:11]
	v_cndmask_b32_e64 v92, v2, v8, s[10:11]
	v_cmp_neq_f64_e32 vcc, 1.0, v[92:93]
                                        ; implicit-def: $vgpr10_vgpr11
                                        ; implicit-def: $vgpr86_vgpr87
	s_and_saveexec_b64 s[12:13], vcc
	s_xor_b64 s[58:59], exec, s[12:13]
	s_cbranch_execz .LBB186_137
; %bb.122:                              ;   in Loop: Header=BB186_4 Depth=1
	v_max_f64 v[10:11], v[88:89], v[88:89]
	v_max_f64 v[86:87], v[92:93], v[92:93]
	v_min_f64 v[90:91], v[86:87], v[10:11]
	v_max_f64 v[10:11], v[86:87], v[10:11]
	v_cmp_ngt_f64_e32 vcc, s[24:25], v[90:91]
	v_cmp_nlt_f64_e64 s[12:13], s[26:27], v[10:11]
	s_and_b64 s[12:13], s[12:13], vcc
                                        ; implicit-def: $vgpr10_vgpr11
                                        ; implicit-def: $vgpr86_vgpr87
	s_and_saveexec_b64 s[60:61], s[12:13]
	s_xor_b64 s[60:61], exec, s[60:61]
	s_cbranch_execz .LBB186_134
; %bb.123:                              ;   in Loop: Header=BB186_4 Depth=1
	v_cmp_le_f64_e32 vcc, 1.0, v[92:93]
                                        ; implicit-def: $vgpr10_vgpr11
                                        ; implicit-def: $vgpr86_vgpr87
	s_and_saveexec_b64 s[12:13], vcc
	s_xor_b64 s[12:13], exec, s[12:13]
	s_cbranch_execz .LBB186_125
; %bb.124:                              ;   in Loop: Header=BB186_4 Depth=1
	v_add_f64 v[10:11], v[92:93], -1.0
	v_add_f64 v[86:87], v[92:93], 1.0
	v_mul_f64 v[86:87], v[10:11], v[86:87]
	v_fmac_f64_e32 v[86:87], v[88:89], v[88:89]
	v_add_f64 v[10:11], v[86:87], 1.0
	v_add_f64 v[88:89], v[10:11], -1.0
	v_add_f64 v[90:91], v[88:89], -v[10:11]
	v_add_f64 v[90:91], v[90:91], 1.0
	v_add_f64 v[88:89], v[86:87], -v[88:89]
	v_add_f64 v[88:89], v[88:89], v[90:91]
	v_frexp_mant_f64_e32 v[90:91], v[10:11]
	v_frexp_exp_i32_f64_e32 v1, v[10:11]
	v_cmp_gt_f64_e32 vcc, s[28:29], v[90:91]
	v_subbrev_co_u32_e32 v1, vcc, 0, v1, vcc
	v_sub_u32_e32 v8, 0, v1
	v_ldexp_f64 v[10:11], v[10:11], v8
	v_add_f64 v[90:91], v[10:11], -1.0
	v_add_f64 v[96:97], v[10:11], 1.0
	v_add_f64 v[92:93], v[90:91], 1.0
	v_add_f64 v[98:99], v[96:97], -1.0
	v_ldexp_f64 v[88:89], v[88:89], v8
	v_add_f64 v[92:93], v[10:11], -v[92:93]
	v_add_f64 v[10:11], v[10:11], -v[98:99]
	v_add_f64 v[10:11], v[88:89], v[10:11]
	v_add_f64 v[92:93], v[88:89], v[92:93]
	;; [unrolled: 1-line block ×3, first 2 shown]
	v_rcp_f64_e32 v[98:99], v[88:89]
	v_add_f64 v[94:95], v[90:91], v[92:93]
	v_add_f64 v[90:91], v[94:95], -v[90:91]
	v_add_f64 v[90:91], v[92:93], -v[90:91]
	;; [unrolled: 1-line block ×4, first 2 shown]
	v_fma_f64 v[92:93], -v[88:89], v[98:99], 1.0
	v_fmac_f64_e32 v[98:99], v[92:93], v[98:99]
	v_fma_f64 v[92:93], -v[88:89], v[98:99], 1.0
	v_fmac_f64_e32 v[98:99], v[92:93], v[98:99]
	v_mul_f64 v[92:93], v[94:95], v[98:99]
	v_mul_f64 v[96:97], v[88:89], v[92:93]
	v_fma_f64 v[100:101], v[92:93], v[88:89], -v[96:97]
	v_fmac_f64_e32 v[100:101], v[92:93], v[10:11]
	v_add_f64 v[102:103], v[96:97], v[100:101]
	v_add_f64 v[104:105], v[94:95], -v[102:103]
	v_add_f64 v[94:95], v[94:95], -v[104:105]
	;; [unrolled: 1-line block ×4, first 2 shown]
	v_add_f64 v[90:91], v[90:91], v[94:95]
	v_add_f64 v[94:95], v[96:97], -v[100:101]
	v_add_f64 v[90:91], v[94:95], v[90:91]
	v_add_f64 v[94:95], v[104:105], v[90:91]
	v_add_f64 v[96:97], v[104:105], -v[94:95]
	v_add_f64 v[90:91], v[90:91], v[96:97]
	v_mul_f64 v[96:97], v[98:99], v[94:95]
	v_mul_f64 v[100:101], v[88:89], v[96:97]
	v_fma_f64 v[88:89], v[96:97], v[88:89], -v[100:101]
	v_fmac_f64_e32 v[88:89], v[96:97], v[10:11]
	v_add_f64 v[10:11], v[100:101], v[88:89]
	v_add_f64 v[102:103], v[94:95], -v[10:11]
	v_add_f64 v[94:95], v[94:95], -v[102:103]
	;; [unrolled: 1-line block ×4, first 2 shown]
	v_add_f64 v[10:11], v[90:91], v[10:11]
	v_add_f64 v[88:89], v[100:101], -v[88:89]
	v_add_f64 v[10:11], v[88:89], v[10:11]
	v_add_f64 v[88:89], v[92:93], v[96:97]
	;; [unrolled: 1-line block ×3, first 2 shown]
	v_add_f64 v[90:91], v[88:89], -v[92:93]
	v_mul_f64 v[10:11], v[98:99], v[10:11]
	v_add_f64 v[90:91], v[96:97], -v[90:91]
	v_add_f64 v[10:11], v[90:91], v[10:11]
	v_add_f64 v[90:91], v[88:89], v[10:11]
	v_add_f64 v[88:89], v[90:91], -v[88:89]
	v_add_f64 v[10:11], v[10:11], -v[88:89]
	v_mul_f64 v[88:89], v[90:91], v[90:91]
	v_pk_mov_b32 v[92:93], v[18:19], v[18:19] op_sel:[0,1]
	v_fmac_f64_e32 v[92:93], s[30:31], v[88:89]
	v_pk_mov_b32 v[94:95], v[20:21], v[20:21] op_sel:[0,1]
	v_fmac_f64_e32 v[94:95], v[88:89], v[92:93]
	;; [unrolled: 2-line block ×6, first 2 shown]
	v_cvt_f64_i32_e32 v[92:93], v1
	v_mul_f64 v[96:97], v[92:93], s[34:35]
	v_fma_f64 v[98:99], v[92:93], s[34:35], -v[96:97]
	v_fmac_f64_e32 v[98:99], s[36:37], v[92:93]
	v_add_f64 v[92:93], v[96:97], v[98:99]
	v_add_f64 v[96:97], v[92:93], -v[96:97]
	v_mul_f64 v[88:89], v[90:91], v[88:89]
	v_add_f64 v[96:97], v[98:99], -v[96:97]
	v_ldexp_f64 v[98:99], v[90:91], 1
	v_mul_f64 v[88:89], v[88:89], v[94:95]
	v_add_f64 v[90:91], v[98:99], v[88:89]
	v_add_f64 v[94:95], v[90:91], -v[98:99]
	v_ldexp_f64 v[10:11], v[10:11], 1
	v_add_f64 v[88:89], v[88:89], -v[94:95]
	v_add_f64 v[10:11], v[10:11], v[88:89]
	v_add_f64 v[88:89], v[90:91], v[10:11]
	v_add_f64 v[90:91], v[88:89], -v[90:91]
	v_add_f64 v[10:11], v[10:11], -v[90:91]
	v_add_f64 v[90:91], v[92:93], v[88:89]
	v_add_f64 v[94:95], v[90:91], -v[92:93]
	v_add_f64 v[98:99], v[90:91], -v[94:95]
	;; [unrolled: 1-line block ×4, first 2 shown]
	v_add_f64 v[88:89], v[88:89], v[92:93]
	v_add_f64 v[92:93], v[96:97], v[10:11]
	v_add_f64 v[94:95], v[92:93], -v[96:97]
	v_add_f64 v[88:89], v[92:93], v[88:89]
	v_add_f64 v[98:99], v[92:93], -v[94:95]
	;; [unrolled: 2-line block ×3, first 2 shown]
	v_add_f64 v[10:11], v[10:11], -v[94:95]
	v_add_f64 v[90:91], v[92:93], -v[90:91]
	v_add_f64 v[10:11], v[10:11], v[96:97]
	v_add_f64 v[88:89], v[88:89], -v[90:91]
	v_add_f64 v[10:11], v[10:11], v[88:89]
	v_max_f64 v[88:89], |v[4:5]|, |v[4:5]|
	v_max_f64 v[90:91], |v[2:3]|, |v[2:3]|
	v_add_f64 v[10:11], v[92:93], v[10:11]
	v_max_f64 v[92:93], v[90:91], v[88:89]
	v_min_f64 v[88:89], v[90:91], v[88:89]
	v_div_scale_f64 v[90:91], s[62:63], v[92:93], v[92:93], v[88:89]
	v_cmp_eq_f64_e32 vcc, s[38:39], v[86:87]
	v_rcp_f64_e32 v[94:95], v[90:91]
	v_cndmask_b32_e32 v11, v11, v87, vcc
	v_cndmask_b32_e32 v10, v10, v86, vcc
	v_mul_f64 v[10:11], v[10:11], 0.5
	v_cmp_ngt_f64_e32 vcc, -1.0, v[86:87]
	v_cndmask_b32_e32 v1, v112, v11, vcc
	v_cmp_nge_f64_e32 vcc, -1.0, v[86:87]
	v_cndmask_b32_e32 v10, 0, v10, vcc
	v_cmp_neq_f64_e32 vcc, -1.0, v[86:87]
	v_fma_f64 v[86:87], -v[90:91], v[94:95], 1.0
	v_fmac_f64_e32 v[94:95], v[94:95], v[86:87]
	v_fma_f64 v[86:87], -v[90:91], v[94:95], 1.0
	v_cndmask_b32_e32 v11, v113, v1, vcc
	v_fmac_f64_e32 v[94:95], v[94:95], v[86:87]
	v_div_scale_f64 v[86:87], vcc, v[88:89], v[92:93], v[88:89]
	v_mul_f64 v[96:97], v[86:87], v[94:95]
	v_fma_f64 v[86:87], -v[90:91], v[96:97], v[86:87]
	v_pk_mov_b32 v[90:91], v[30:31], v[30:31] op_sel:[0,1]
	s_nop 0
	v_div_fmas_f64 v[86:87], v[86:87], v[94:95], v[96:97]
	v_div_fixup_f64 v[86:87], v[86:87], v[92:93], v[88:89]
	v_mul_f64 v[88:89], v[86:87], v[86:87]
	v_fmac_f64_e32 v[90:91], s[40:41], v[88:89]
	v_pk_mov_b32 v[92:93], v[32:33], v[32:33] op_sel:[0,1]
	v_fmac_f64_e32 v[92:93], v[88:89], v[90:91]
	v_pk_mov_b32 v[90:91], v[34:35], v[34:35] op_sel:[0,1]
	v_fmac_f64_e32 v[90:91], v[88:89], v[92:93]
	v_pk_mov_b32 v[92:93], v[36:37], v[36:37] op_sel:[0,1]
	v_fmac_f64_e32 v[92:93], v[88:89], v[90:91]
	v_pk_mov_b32 v[90:91], v[38:39], v[38:39] op_sel:[0,1]
	v_fmac_f64_e32 v[90:91], v[88:89], v[92:93]
	v_pk_mov_b32 v[92:93], v[40:41], v[40:41] op_sel:[0,1]
	v_fmac_f64_e32 v[92:93], v[88:89], v[90:91]
	v_pk_mov_b32 v[90:91], v[42:43], v[42:43] op_sel:[0,1]
	v_fmac_f64_e32 v[90:91], v[88:89], v[92:93]
	v_pk_mov_b32 v[92:93], v[44:45], v[44:45] op_sel:[0,1]
	v_fmac_f64_e32 v[92:93], v[88:89], v[90:91]
	v_pk_mov_b32 v[90:91], v[46:47], v[46:47] op_sel:[0,1]
	v_fmac_f64_e32 v[90:91], v[88:89], v[92:93]
	v_pk_mov_b32 v[92:93], v[48:49], v[48:49] op_sel:[0,1]
	v_fmac_f64_e32 v[92:93], v[88:89], v[90:91]
	v_pk_mov_b32 v[90:91], v[50:51], v[50:51] op_sel:[0,1]
	v_fmac_f64_e32 v[90:91], v[88:89], v[92:93]
	v_pk_mov_b32 v[92:93], v[52:53], v[52:53] op_sel:[0,1]
	v_fmac_f64_e32 v[92:93], v[88:89], v[90:91]
	v_pk_mov_b32 v[90:91], v[54:55], v[54:55] op_sel:[0,1]
	v_fmac_f64_e32 v[90:91], v[88:89], v[92:93]
	v_pk_mov_b32 v[92:93], v[56:57], v[56:57] op_sel:[0,1]
	v_fmac_f64_e32 v[92:93], v[88:89], v[90:91]
	v_pk_mov_b32 v[90:91], v[58:59], v[58:59] op_sel:[0,1]
	v_fmac_f64_e32 v[90:91], v[88:89], v[92:93]
	v_pk_mov_b32 v[92:93], v[60:61], v[60:61] op_sel:[0,1]
	v_fmac_f64_e32 v[92:93], v[88:89], v[90:91]
	v_pk_mov_b32 v[90:91], v[62:63], v[62:63] op_sel:[0,1]
	v_fmac_f64_e32 v[90:91], v[88:89], v[92:93]
	v_pk_mov_b32 v[92:93], v[64:65], v[64:65] op_sel:[0,1]
	v_fmac_f64_e32 v[92:93], v[88:89], v[90:91]
	v_pk_mov_b32 v[90:91], v[66:67], v[66:67] op_sel:[0,1]
	v_fmac_f64_e32 v[90:91], v[88:89], v[92:93]
	v_cmp_gt_i32_e32 vcc, 0, v3
	v_mul_f64 v[88:89], v[88:89], v[90:91]
	v_cmp_class_f64_e64 s[64:65], v[2:3], s77
	v_cndmask_b32_e32 v2, v116, v117, vcc
	v_fmac_f64_e32 v[86:87], v[86:87], v[88:89]
	v_bfi_b32 v8, s76, v2, v5
	v_ashrrev_i32_e32 v2, 31, v3
	v_and_b32_e32 v12, 0x400921fb, v2
	v_and_b32_e32 v16, 0x54442d18, v2
	v_add_f64 v[2:3], -v[86:87], s[42:43]
	v_cndmask_b32_e64 v3, v87, v3, s[10:11]
	v_cndmask_b32_e64 v2, v86, v2, s[10:11]
	s_mov_b32 s44, s42
	v_add_f64 v[86:87], -v[2:3], s[44:45]
	v_cmp_class_f64_e64 s[62:63], v[4:5], s77
	v_cndmask_b32_e32 v1, v114, v115, vcc
	v_cndmask_b32_e32 v3, v3, v87, vcc
	v_cndmask_b32_e32 v2, v2, v86, vcc
	v_cmp_eq_f64_e32 vcc, 0, v[4:5]
	v_cndmask_b32_e32 v2, v2, v16, vcc
	v_cndmask_b32_e32 v3, v3, v12, vcc
	s_and_b64 vcc, s[62:63], s[64:65]
	v_cndmask_b32_e32 v87, v3, v8, vcc
	v_cndmask_b32_e32 v86, v2, v1, vcc
                                        ; implicit-def: $vgpr88_vgpr89
                                        ; implicit-def: $vgpr92_vgpr93
.LBB186_125:                            ;   in Loop: Header=BB186_4 Depth=1
	s_andn2_saveexec_b64 s[62:63], s[12:13]
	s_cbranch_execz .LBB186_133
; %bb.126:                              ;   in Loop: Header=BB186_4 Depth=1
	v_mul_f64 v[90:91], v[88:89], v[88:89]
	v_fmac_f64_e32 v[90:91], v[92:93], v[92:93]
	v_cmp_ge_f64_e32 vcc, s[46:47], v[90:91]
                                        ; implicit-def: $vgpr10_vgpr11
                                        ; implicit-def: $vgpr86_vgpr87
	s_and_saveexec_b64 s[12:13], vcc
	s_xor_b64 s[12:13], exec, s[12:13]
	s_cbranch_execz .LBB186_128
; %bb.127:                              ;   in Loop: Header=BB186_4 Depth=1
	v_frexp_mant_f64_e32 v[10:11], v[90:91]
	v_cmp_gt_f64_e32 vcc, s[28:29], v[10:11]
	v_cndmask_b32_e64 v69, v118, 2.0, vcc
	v_mul_f64 v[10:11], v[10:11], v[68:69]
	v_add_f64 v[86:87], v[10:11], 1.0
	v_rcp_f64_e32 v[88:89], v[86:87]
	v_add_f64 v[94:95], v[86:87], -1.0
	v_add_f64 v[92:93], v[10:11], -1.0
	v_add_f64 v[10:11], v[10:11], -v[94:95]
	v_fma_f64 v[94:95], -v[86:87], v[88:89], 1.0
	v_fmac_f64_e32 v[88:89], v[94:95], v[88:89]
	v_fma_f64 v[94:95], -v[86:87], v[88:89], 1.0
	v_fmac_f64_e32 v[88:89], v[94:95], v[88:89]
	v_mul_f64 v[94:95], v[92:93], v[88:89]
	v_mul_f64 v[96:97], v[86:87], v[94:95]
	v_fma_f64 v[86:87], v[94:95], v[86:87], -v[96:97]
	v_fmac_f64_e32 v[86:87], v[94:95], v[10:11]
	v_add_f64 v[10:11], v[96:97], v[86:87]
	v_add_f64 v[98:99], v[92:93], -v[10:11]
	v_add_f64 v[96:97], v[10:11], -v[96:97]
	;; [unrolled: 1-line block ×5, first 2 shown]
	v_add_f64 v[10:11], v[86:87], v[10:11]
	v_add_f64 v[10:11], v[98:99], v[10:11]
	v_mul_f64 v[10:11], v[88:89], v[10:11]
	v_add_f64 v[86:87], v[94:95], v[10:11]
	v_add_f64 v[88:89], v[86:87], -v[94:95]
	v_add_f64 v[10:11], v[10:11], -v[88:89]
	v_mul_f64 v[88:89], v[86:87], v[86:87]
	v_pk_mov_b32 v[92:93], v[18:19], v[18:19] op_sel:[0,1]
	v_fmac_f64_e32 v[92:93], s[30:31], v[88:89]
	v_pk_mov_b32 v[94:95], v[20:21], v[20:21] op_sel:[0,1]
	v_fmac_f64_e32 v[94:95], v[88:89], v[92:93]
	;; [unrolled: 2-line block ×6, first 2 shown]
	v_ldexp_f64 v[92:93], v[86:87], 1
	v_mul_f64 v[86:87], v[86:87], v[88:89]
	v_mul_f64 v[86:87], v[86:87], v[94:95]
	v_add_f64 v[88:89], v[92:93], v[86:87]
	v_add_f64 v[92:93], v[88:89], -v[92:93]
	v_ldexp_f64 v[10:11], v[10:11], 1
	v_add_f64 v[86:87], v[86:87], -v[92:93]
	v_add_f64 v[10:11], v[10:11], v[86:87]
	v_frexp_exp_i32_f64_e32 v1, v[90:91]
	v_add_f64 v[86:87], v[88:89], v[10:11]
	v_subbrev_co_u32_e32 v1, vcc, 0, v1, vcc
	v_add_f64 v[88:89], v[86:87], -v[88:89]
	v_add_f64 v[10:11], v[10:11], -v[88:89]
	v_cvt_f64_i32_e32 v[88:89], v1
	v_mul_f64 v[92:93], v[88:89], s[34:35]
	v_fma_f64 v[94:95], v[88:89], s[34:35], -v[92:93]
	v_fmac_f64_e32 v[94:95], s[36:37], v[88:89]
	v_add_f64 v[88:89], v[92:93], v[94:95]
	v_add_f64 v[92:93], v[88:89], -v[92:93]
	v_add_f64 v[92:93], v[94:95], -v[92:93]
	v_add_f64 v[94:95], v[88:89], v[86:87]
	v_add_f64 v[96:97], v[94:95], -v[88:89]
	v_add_f64 v[98:99], v[94:95], -v[96:97]
	;; [unrolled: 1-line block ×4, first 2 shown]
	v_add_f64 v[86:87], v[86:87], v[88:89]
	v_add_f64 v[88:89], v[92:93], v[10:11]
	v_add_f64 v[96:97], v[88:89], -v[92:93]
	v_add_f64 v[98:99], v[88:89], -v[96:97]
	v_add_f64 v[86:87], v[88:89], v[86:87]
	v_add_f64 v[92:93], v[92:93], -v[98:99]
	v_add_f64 v[10:11], v[10:11], -v[96:97]
	v_add_f64 v[88:89], v[94:95], v[86:87]
	v_add_f64 v[10:11], v[10:11], v[92:93]
	v_add_f64 v[92:93], v[88:89], -v[94:95]
	v_add_f64 v[86:87], v[86:87], -v[92:93]
	v_add_f64 v[10:11], v[10:11], v[86:87]
	v_add_f64 v[10:11], v[88:89], v[10:11]
	v_max_f64 v[86:87], |v[4:5]|, |v[4:5]|
	v_max_f64 v[88:89], |v[2:3]|, |v[2:3]|
	v_max_f64 v[92:93], v[88:89], v[86:87]
	v_min_f64 v[86:87], v[88:89], v[86:87]
	v_div_scale_f64 v[88:89], s[64:65], v[92:93], v[92:93], v[86:87]
	v_rcp_f64_e32 v[94:95], v[88:89]
	v_cmp_neq_f64_e32 vcc, 0, v[90:91]
	v_mul_f64 v[10:11], v[10:11], 0.5
	v_cndmask_b32_e32 v11, v113, v11, vcc
	v_fma_f64 v[90:91], -v[88:89], v[94:95], 1.0
	v_fmac_f64_e32 v[94:95], v[94:95], v[90:91]
	v_fma_f64 v[90:91], -v[88:89], v[94:95], 1.0
	v_cndmask_b32_e32 v10, 0, v10, vcc
	v_fmac_f64_e32 v[94:95], v[94:95], v[90:91]
	v_div_scale_f64 v[90:91], vcc, v[86:87], v[92:93], v[86:87]
	v_mul_f64 v[96:97], v[90:91], v[94:95]
	v_fma_f64 v[88:89], -v[88:89], v[96:97], v[90:91]
	v_pk_mov_b32 v[90:91], v[30:31], v[30:31] op_sel:[0,1]
	s_nop 0
	v_div_fmas_f64 v[88:89], v[88:89], v[94:95], v[96:97]
	v_div_fixup_f64 v[86:87], v[88:89], v[92:93], v[86:87]
	v_mul_f64 v[88:89], v[86:87], v[86:87]
	v_fmac_f64_e32 v[90:91], s[40:41], v[88:89]
	v_pk_mov_b32 v[92:93], v[32:33], v[32:33] op_sel:[0,1]
	v_fmac_f64_e32 v[92:93], v[88:89], v[90:91]
	v_pk_mov_b32 v[90:91], v[34:35], v[34:35] op_sel:[0,1]
	;; [unrolled: 2-line block ×18, first 2 shown]
	v_fmac_f64_e32 v[90:91], v[88:89], v[92:93]
	v_cmp_gt_i32_e32 vcc, 0, v3
	v_mul_f64 v[88:89], v[88:89], v[90:91]
	v_cmp_class_f64_e64 s[66:67], v[2:3], s77
	v_cndmask_b32_e32 v2, v116, v117, vcc
	v_fmac_f64_e32 v[86:87], v[86:87], v[88:89]
	v_bfi_b32 v8, s76, v2, v5
	v_ashrrev_i32_e32 v2, 31, v3
	v_and_b32_e32 v12, 0x400921fb, v2
	v_and_b32_e32 v16, 0x54442d18, v2
	v_add_f64 v[2:3], -v[86:87], s[42:43]
	v_cndmask_b32_e64 v3, v87, v3, s[10:11]
	v_cndmask_b32_e64 v2, v86, v2, s[10:11]
	s_mov_b32 s44, s42
	v_add_f64 v[86:87], -v[2:3], s[44:45]
	v_cmp_class_f64_e64 s[64:65], v[4:5], s77
	v_cndmask_b32_e32 v1, v114, v115, vcc
	v_cndmask_b32_e32 v3, v3, v87, vcc
	v_cndmask_b32_e32 v2, v2, v86, vcc
	v_cmp_eq_f64_e32 vcc, 0, v[4:5]
	v_cndmask_b32_e32 v2, v2, v16, vcc
	v_cndmask_b32_e32 v3, v3, v12, vcc
	s_and_b64 vcc, s[64:65], s[66:67]
	v_cndmask_b32_e32 v87, v3, v8, vcc
	v_cndmask_b32_e32 v86, v2, v1, vcc
                                        ; implicit-def: $vgpr92_vgpr93
                                        ; implicit-def: $vgpr88_vgpr89
.LBB186_128:                            ;   in Loop: Header=BB186_4 Depth=1
	s_andn2_saveexec_b64 s[64:65], s[12:13]
	s_cbranch_execz .LBB186_132
; %bb.129:                              ;   in Loop: Header=BB186_4 Depth=1
	v_and_b32_e32 v69, 0x7ffffff8, v93
	v_add_f64 v[10:11], v[92:93], -v[68:69]
	v_and_b32_e32 v101, -8, v11
	v_mov_b32_e32 v100, v68
	v_and_b32_e32 v91, 0x7ffffff8, v89
	v_mov_b32_e32 v90, v68
	v_add_f64 v[104:105], v[10:11], -v[100:101]
	v_add_f64 v[10:11], v[88:89], -v[90:91]
	v_and_b32_e32 v103, -8, v11
	v_mov_b32_e32 v102, v68
	v_add_f64 v[94:95], v[68:69], v[68:69]
	v_add_f64 v[108:109], v[90:91], v[90:91]
	v_add_f64 v[106:107], v[10:11], -v[102:103]
	v_mul_f64 v[86:87], v[90:91], v[90:91]
	v_mul_f64 v[92:93], v[94:95], v[100:101]
	;; [unrolled: 1-line block ×5, first 2 shown]
	v_add_f64 v[100:101], v[100:101], v[100:101]
	v_add_f64 v[102:103], v[102:103], v[102:103]
	v_mul_f64 v[10:11], v[68:69], v[68:69]
	v_mul_f64 v[96:97], v[94:95], v[104:105]
	;; [unrolled: 1-line block ×7, first 2 shown]
	s_mov_b64 s[66:67], 0
.LBB186_130:                            ;   Parent Loop BB186_4 Depth=1
                                        ; =>  This Inner Loop Header: Depth=2
	v_cmp_nlt_f64_e32 vcc, v[10:11], v[86:87]
	v_cndmask_b32_e32 v109, v11, v87, vcc
	v_cndmask_b32_e32 v108, v10, v86, vcc
	v_cmp_nlt_f64_e64 s[12:13], v[108:109], v[92:93]
	v_cndmask_b32_e64 v121, v109, v93, s[12:13]
	v_cndmask_b32_e64 v120, v108, v92, s[12:13]
	v_cndmask_b32_e32 v11, v87, v11, vcc
	v_cndmask_b32_e32 v10, v86, v10, vcc
	s_and_b64 s[68:69], vcc, s[12:13]
	v_cmp_nlt_f64_e32 vcc, v[120:121], v[90:91]
	v_cndmask_b32_e64 v87, v93, v109, s[12:13]
	v_cndmask_b32_e64 v86, v92, v108, s[12:13]
	v_cndmask_b32_e32 v109, v121, v91, vcc
	v_cndmask_b32_e32 v108, v120, v90, vcc
	v_cmp_nlt_f64_e64 s[12:13], v[108:109], v[98:99]
	v_cndmask_b32_e32 v93, v91, v121, vcc
	v_cndmask_b32_e32 v92, v90, v120, vcc
	v_cndmask_b32_e64 v121, v109, v99, s[12:13]
	v_cndmask_b32_e64 v120, v108, v98, s[12:13]
	s_and_b64 s[78:79], vcc, s[12:13]
	v_cmp_nlt_f64_e32 vcc, v[120:121], v[88:89]
	v_cndmask_b32_e64 v91, v99, v109, s[12:13]
	v_cndmask_b32_e64 v90, v98, v108, s[12:13]
	v_cndmask_b32_e32 v109, v121, v89, vcc
	v_cndmask_b32_e32 v108, v120, v88, vcc
	v_cmp_nlt_f64_e64 s[12:13], v[108:109], v[96:97]
	v_cndmask_b32_e32 v99, v89, v121, vcc
	v_cndmask_b32_e32 v98, v88, v120, vcc
	v_cndmask_b32_e64 v121, v109, v97, s[12:13]
	v_cndmask_b32_e64 v120, v108, v96, s[12:13]
	;; [unrolled: 1-line block ×4, first 2 shown]
	s_and_b64 s[12:13], vcc, s[12:13]
	v_cmp_nlt_f64_e32 vcc, v[120:121], v[94:95]
	v_cndmask_b32_e32 v109, v121, v95, vcc
	v_cndmask_b32_e32 v108, v120, v94, vcc
	v_cndmask_b32_e32 v97, v95, v121, vcc
	v_cndmask_b32_e32 v96, v94, v120, vcc
	s_and_b64 s[12:13], s[12:13], vcc
	v_cmp_nlt_f64_e32 vcc, v[108:109], v[100:101]
	v_cndmask_b32_e32 v121, v109, v101, vcc
	v_cndmask_b32_e32 v120, v108, v100, vcc
	v_cndmask_b32_e32 v95, v101, v109, vcc
	v_cndmask_b32_e32 v94, v100, v108, vcc
	s_and_b64 s[12:13], s[12:13], vcc
	;; [unrolled: 6-line block ×4, first 2 shown]
	v_cmp_nlt_f64_e32 vcc, v[120:121], v[106:107]
	s_and_b64 s[12:13], s[12:13], vcc
	s_and_b64 s[12:13], s[12:13], s[78:79]
	s_and_b64 s[12:13], s[12:13], s[68:69]
	v_cndmask_b32_e32 v109, v121, v107, vcc
	v_cndmask_b32_e32 v108, v120, v106, vcc
	s_and_b64 s[12:13], exec, s[12:13]
	v_cndmask_b32_e32 v105, v107, v121, vcc
	v_cndmask_b32_e32 v104, v106, v120, vcc
	s_or_b64 s[66:67], s[12:13], s[66:67]
	v_pk_mov_b32 v[106:107], v[108:109], v[108:109] op_sel:[0,1]
	s_andn2_b64 exec, exec, s[66:67]
	s_cbranch_execnz .LBB186_130
; %bb.131:                              ;   in Loop: Header=BB186_4 Depth=1
	s_or_b64 exec, exec, s[66:67]
	v_add_f64 v[10:11], v[10:11], -1.0
	v_add_f64 v[10:11], v[10:11], v[86:87]
	v_add_f64 v[10:11], v[10:11], v[92:93]
	v_add_f64 v[10:11], v[10:11], v[90:91]
	v_add_f64 v[10:11], v[10:11], v[98:99]
	v_add_f64 v[10:11], v[10:11], v[88:89]
	v_add_f64 v[10:11], v[10:11], v[96:97]
	v_add_f64 v[10:11], v[10:11], v[94:95]
	v_add_f64 v[10:11], v[10:11], v[100:101]
	v_add_f64 v[10:11], v[10:11], v[102:103]
	v_add_f64 v[10:11], v[10:11], v[104:105]
	v_add_f64 v[86:87], v[108:109], v[10:11]
	v_add_f64 v[10:11], v[86:87], 1.0
	v_add_f64 v[88:89], v[10:11], -1.0
	v_add_f64 v[90:91], v[88:89], -v[10:11]
	v_add_f64 v[90:91], v[90:91], 1.0
	v_add_f64 v[88:89], v[86:87], -v[88:89]
	v_add_f64 v[88:89], v[88:89], v[90:91]
	v_frexp_mant_f64_e32 v[90:91], v[10:11]
	v_frexp_exp_i32_f64_e32 v1, v[10:11]
	v_cmp_gt_f64_e32 vcc, s[28:29], v[90:91]
	v_subbrev_co_u32_e32 v1, vcc, 0, v1, vcc
	v_sub_u32_e32 v8, 0, v1
	v_ldexp_f64 v[10:11], v[10:11], v8
	v_add_f64 v[90:91], v[10:11], -1.0
	v_add_f64 v[96:97], v[10:11], 1.0
	v_add_f64 v[92:93], v[90:91], 1.0
	v_add_f64 v[98:99], v[96:97], -1.0
	v_ldexp_f64 v[88:89], v[88:89], v8
	v_add_f64 v[92:93], v[10:11], -v[92:93]
	v_add_f64 v[10:11], v[10:11], -v[98:99]
	v_add_f64 v[10:11], v[88:89], v[10:11]
	v_add_f64 v[92:93], v[88:89], v[92:93]
	v_add_f64 v[88:89], v[96:97], v[10:11]
	v_rcp_f64_e32 v[98:99], v[88:89]
	v_add_f64 v[94:95], v[90:91], v[92:93]
	v_add_f64 v[90:91], v[94:95], -v[90:91]
	v_add_f64 v[90:91], v[92:93], -v[90:91]
	;; [unrolled: 1-line block ×4, first 2 shown]
	v_fma_f64 v[92:93], -v[88:89], v[98:99], 1.0
	v_fmac_f64_e32 v[98:99], v[92:93], v[98:99]
	v_fma_f64 v[92:93], -v[88:89], v[98:99], 1.0
	v_fmac_f64_e32 v[98:99], v[92:93], v[98:99]
	v_mul_f64 v[92:93], v[94:95], v[98:99]
	v_mul_f64 v[96:97], v[88:89], v[92:93]
	v_fma_f64 v[100:101], v[92:93], v[88:89], -v[96:97]
	v_fmac_f64_e32 v[100:101], v[92:93], v[10:11]
	v_add_f64 v[102:103], v[96:97], v[100:101]
	v_add_f64 v[104:105], v[94:95], -v[102:103]
	v_add_f64 v[94:95], v[94:95], -v[104:105]
	;; [unrolled: 1-line block ×4, first 2 shown]
	v_add_f64 v[90:91], v[90:91], v[94:95]
	v_add_f64 v[94:95], v[96:97], -v[100:101]
	v_add_f64 v[90:91], v[94:95], v[90:91]
	v_add_f64 v[94:95], v[104:105], v[90:91]
	v_add_f64 v[96:97], v[104:105], -v[94:95]
	v_add_f64 v[90:91], v[90:91], v[96:97]
	v_mul_f64 v[96:97], v[98:99], v[94:95]
	v_mul_f64 v[100:101], v[88:89], v[96:97]
	v_fma_f64 v[88:89], v[96:97], v[88:89], -v[100:101]
	v_fmac_f64_e32 v[88:89], v[96:97], v[10:11]
	v_add_f64 v[10:11], v[100:101], v[88:89]
	v_add_f64 v[102:103], v[94:95], -v[10:11]
	v_add_f64 v[94:95], v[94:95], -v[102:103]
	;; [unrolled: 1-line block ×4, first 2 shown]
	v_add_f64 v[10:11], v[90:91], v[10:11]
	v_add_f64 v[88:89], v[100:101], -v[88:89]
	v_add_f64 v[10:11], v[88:89], v[10:11]
	v_add_f64 v[88:89], v[92:93], v[96:97]
	;; [unrolled: 1-line block ×3, first 2 shown]
	v_add_f64 v[90:91], v[88:89], -v[92:93]
	v_mul_f64 v[10:11], v[98:99], v[10:11]
	v_add_f64 v[90:91], v[96:97], -v[90:91]
	v_add_f64 v[10:11], v[90:91], v[10:11]
	v_add_f64 v[90:91], v[88:89], v[10:11]
	v_add_f64 v[88:89], v[90:91], -v[88:89]
	v_add_f64 v[10:11], v[10:11], -v[88:89]
	v_mul_f64 v[88:89], v[90:91], v[90:91]
	v_pk_mov_b32 v[92:93], v[18:19], v[18:19] op_sel:[0,1]
	v_fmac_f64_e32 v[92:93], s[30:31], v[88:89]
	v_pk_mov_b32 v[94:95], v[20:21], v[20:21] op_sel:[0,1]
	v_fmac_f64_e32 v[94:95], v[88:89], v[92:93]
	;; [unrolled: 2-line block ×6, first 2 shown]
	v_cvt_f64_i32_e32 v[92:93], v1
	v_mul_f64 v[96:97], v[92:93], s[34:35]
	v_fma_f64 v[98:99], v[92:93], s[34:35], -v[96:97]
	v_fmac_f64_e32 v[98:99], s[36:37], v[92:93]
	v_add_f64 v[92:93], v[96:97], v[98:99]
	v_add_f64 v[96:97], v[92:93], -v[96:97]
	v_mul_f64 v[88:89], v[90:91], v[88:89]
	v_add_f64 v[96:97], v[98:99], -v[96:97]
	v_ldexp_f64 v[98:99], v[90:91], 1
	v_mul_f64 v[88:89], v[88:89], v[94:95]
	v_add_f64 v[90:91], v[98:99], v[88:89]
	v_add_f64 v[94:95], v[90:91], -v[98:99]
	v_ldexp_f64 v[10:11], v[10:11], 1
	v_add_f64 v[88:89], v[88:89], -v[94:95]
	v_add_f64 v[10:11], v[10:11], v[88:89]
	v_add_f64 v[88:89], v[90:91], v[10:11]
	v_add_f64 v[90:91], v[88:89], -v[90:91]
	v_add_f64 v[10:11], v[10:11], -v[90:91]
	v_add_f64 v[90:91], v[92:93], v[88:89]
	v_add_f64 v[94:95], v[90:91], -v[92:93]
	v_add_f64 v[98:99], v[90:91], -v[94:95]
	;; [unrolled: 1-line block ×4, first 2 shown]
	v_add_f64 v[88:89], v[88:89], v[92:93]
	v_add_f64 v[92:93], v[96:97], v[10:11]
	v_add_f64 v[94:95], v[92:93], -v[96:97]
	v_add_f64 v[88:89], v[92:93], v[88:89]
	v_add_f64 v[98:99], v[92:93], -v[94:95]
	;; [unrolled: 2-line block ×3, first 2 shown]
	v_add_f64 v[10:11], v[10:11], -v[94:95]
	v_add_f64 v[90:91], v[92:93], -v[90:91]
	v_add_f64 v[10:11], v[10:11], v[96:97]
	v_add_f64 v[88:89], v[88:89], -v[90:91]
	v_add_f64 v[10:11], v[10:11], v[88:89]
	v_max_f64 v[88:89], |v[4:5]|, |v[4:5]|
	v_max_f64 v[90:91], |v[2:3]|, |v[2:3]|
	v_add_f64 v[10:11], v[92:93], v[10:11]
	v_max_f64 v[92:93], v[90:91], v[88:89]
	v_min_f64 v[88:89], v[90:91], v[88:89]
	v_div_scale_f64 v[90:91], s[12:13], v[92:93], v[92:93], v[88:89]
	v_cmp_eq_f64_e32 vcc, s[38:39], v[86:87]
	v_rcp_f64_e32 v[94:95], v[90:91]
	v_cndmask_b32_e32 v11, v11, v87, vcc
	v_cndmask_b32_e32 v10, v10, v86, vcc
	v_mul_f64 v[10:11], v[10:11], 0.5
	v_cmp_ngt_f64_e32 vcc, -1.0, v[86:87]
	v_cndmask_b32_e32 v1, v112, v11, vcc
	v_cmp_nge_f64_e32 vcc, -1.0, v[86:87]
	v_cndmask_b32_e32 v10, 0, v10, vcc
	v_cmp_neq_f64_e32 vcc, -1.0, v[86:87]
	v_fma_f64 v[86:87], -v[90:91], v[94:95], 1.0
	v_fmac_f64_e32 v[94:95], v[94:95], v[86:87]
	v_fma_f64 v[86:87], -v[90:91], v[94:95], 1.0
	v_cndmask_b32_e32 v11, v113, v1, vcc
	v_fmac_f64_e32 v[94:95], v[94:95], v[86:87]
	v_div_scale_f64 v[86:87], vcc, v[88:89], v[92:93], v[88:89]
	v_mul_f64 v[96:97], v[86:87], v[94:95]
	v_fma_f64 v[86:87], -v[90:91], v[96:97], v[86:87]
	v_pk_mov_b32 v[90:91], v[30:31], v[30:31] op_sel:[0,1]
	s_nop 0
	v_div_fmas_f64 v[86:87], v[86:87], v[94:95], v[96:97]
	v_div_fixup_f64 v[86:87], v[86:87], v[92:93], v[88:89]
	v_mul_f64 v[88:89], v[86:87], v[86:87]
	v_fmac_f64_e32 v[90:91], s[40:41], v[88:89]
	v_pk_mov_b32 v[92:93], v[32:33], v[32:33] op_sel:[0,1]
	v_fmac_f64_e32 v[92:93], v[88:89], v[90:91]
	v_pk_mov_b32 v[90:91], v[34:35], v[34:35] op_sel:[0,1]
	;; [unrolled: 2-line block ×18, first 2 shown]
	v_fmac_f64_e32 v[90:91], v[88:89], v[92:93]
	v_cmp_gt_i32_e32 vcc, 0, v3
	v_mul_f64 v[88:89], v[88:89], v[90:91]
	v_cmp_class_f64_e64 s[66:67], v[2:3], s77
	v_cndmask_b32_e32 v2, v116, v117, vcc
	v_fmac_f64_e32 v[86:87], v[86:87], v[88:89]
	v_bfi_b32 v8, s76, v2, v5
	v_ashrrev_i32_e32 v2, 31, v3
	v_and_b32_e32 v12, 0x400921fb, v2
	v_and_b32_e32 v16, 0x54442d18, v2
	v_add_f64 v[2:3], -v[86:87], s[42:43]
	v_cndmask_b32_e64 v3, v87, v3, s[10:11]
	v_cndmask_b32_e64 v2, v86, v2, s[10:11]
	s_mov_b32 s44, s42
	v_add_f64 v[86:87], -v[2:3], s[44:45]
	v_cmp_class_f64_e64 s[12:13], v[4:5], s77
	v_cndmask_b32_e32 v1, v114, v115, vcc
	v_cndmask_b32_e32 v3, v3, v87, vcc
	;; [unrolled: 1-line block ×3, first 2 shown]
	v_cmp_eq_f64_e32 vcc, 0, v[4:5]
	v_cndmask_b32_e32 v2, v2, v16, vcc
	v_cndmask_b32_e32 v3, v3, v12, vcc
	s_and_b64 vcc, s[12:13], s[66:67]
	v_cndmask_b32_e32 v87, v3, v8, vcc
	v_cndmask_b32_e32 v86, v2, v1, vcc
.LBB186_132:                            ;   in Loop: Header=BB186_4 Depth=1
	s_or_b64 exec, exec, s[64:65]
.LBB186_133:                            ;   in Loop: Header=BB186_4 Depth=1
	s_or_b64 exec, exec, s[62:63]
.LBB186_134:                            ;   in Loop: Header=BB186_4 Depth=1
	s_andn2_saveexec_b64 s[60:61], s[60:61]
	s_cbranch_execz .LBB186_136
; %bb.135:                              ;   in Loop: Header=BB186_4 Depth=1
	v_max_f64 v[10:11], |v[4:5]|, |v[4:5]|
	v_max_f64 v[86:87], |v[2:3]|, |v[2:3]|
	v_max_f64 v[88:89], v[86:87], v[10:11]
	v_frexp_exp_i32_f64_e32 v1, v[88:89]
	v_sub_u32_e32 v8, 0, v1
	v_ldexp_f64 v[92:93], |v[4:5]|, v8
	v_ldexp_f64 v[90:91], |v[2:3]|, v8
	v_mul_f64 v[92:93], v[92:93], v[92:93]
	v_fmac_f64_e32 v[92:93], v[90:91], v[90:91]
	v_rsq_f64_e32 v[90:91], v[92:93]
	v_cmp_eq_f64_e32 vcc, 0, v[92:93]
	v_cmp_class_f64_e64 s[62:63], v[2:3], s77
	v_cmp_class_f64_e64 s[64:65], v[4:5], s77
	v_mul_f64 v[94:95], v[92:93], v[90:91]
	v_mul_f64 v[90:91], v[90:91], 0.5
	v_fma_f64 v[96:97], -v[90:91], v[94:95], 0.5
	v_fmac_f64_e32 v[94:95], v[94:95], v[96:97]
	v_fmac_f64_e32 v[90:91], v[90:91], v[96:97]
	v_fma_f64 v[96:97], -v[94:95], v[94:95], v[92:93]
	v_fmac_f64_e32 v[94:95], v[96:97], v[90:91]
	v_cndmask_b32_e32 v91, v95, v93, vcc
	v_cndmask_b32_e32 v90, v94, v92, vcc
	v_ldexp_f64 v[90:91], v[90:91], v1
	s_or_b64 vcc, s[64:65], s[62:63]
	v_cndmask_b32_e32 v93, v91, v119, vcc
	v_cndmask_b32_e64 v92, v90, 0, vcc
	v_frexp_mant_f64_e32 v[94:95], v[92:93]
	v_cmp_gt_f64_e64 s[12:13], s[28:29], v[94:95]
	v_cndmask_b32_e64 v69, v118, 2.0, s[12:13]
	v_mul_f64 v[94:95], v[94:95], v[68:69]
	v_add_f64 v[96:97], v[94:95], 1.0
	v_rcp_f64_e32 v[98:99], v[96:97]
	v_add_f64 v[102:103], v[96:97], -1.0
	v_add_f64 v[100:101], v[94:95], -1.0
	v_add_f64 v[94:95], v[94:95], -v[102:103]
	v_fma_f64 v[102:103], -v[96:97], v[98:99], 1.0
	v_fmac_f64_e32 v[98:99], v[102:103], v[98:99]
	v_fma_f64 v[102:103], -v[96:97], v[98:99], 1.0
	v_fmac_f64_e32 v[98:99], v[102:103], v[98:99]
	v_mul_f64 v[102:103], v[100:101], v[98:99]
	v_mul_f64 v[104:105], v[96:97], v[102:103]
	v_fma_f64 v[96:97], v[102:103], v[96:97], -v[104:105]
	v_fmac_f64_e32 v[96:97], v[102:103], v[94:95]
	v_add_f64 v[94:95], v[104:105], v[96:97]
	v_add_f64 v[106:107], v[100:101], -v[94:95]
	v_add_f64 v[104:105], v[94:95], -v[104:105]
	;; [unrolled: 1-line block ×5, first 2 shown]
	v_add_f64 v[94:95], v[96:97], v[94:95]
	v_add_f64 v[94:95], v[106:107], v[94:95]
	v_mul_f64 v[94:95], v[98:99], v[94:95]
	v_add_f64 v[96:97], v[102:103], v[94:95]
	v_add_f64 v[98:99], v[96:97], -v[102:103]
	v_add_f64 v[94:95], v[94:95], -v[98:99]
	v_mul_f64 v[98:99], v[96:97], v[96:97]
	v_pk_mov_b32 v[100:101], v[18:19], v[18:19] op_sel:[0,1]
	v_fmac_f64_e32 v[100:101], s[30:31], v[98:99]
	v_pk_mov_b32 v[102:103], v[20:21], v[20:21] op_sel:[0,1]
	v_fmac_f64_e32 v[102:103], v[98:99], v[100:101]
	;; [unrolled: 2-line block ×6, first 2 shown]
	v_ldexp_f64 v[100:101], v[96:97], 1
	v_mul_f64 v[96:97], v[96:97], v[98:99]
	v_mul_f64 v[96:97], v[96:97], v[102:103]
	v_add_f64 v[98:99], v[100:101], v[96:97]
	v_add_f64 v[100:101], v[98:99], -v[100:101]
	v_ldexp_f64 v[94:95], v[94:95], 1
	v_add_f64 v[96:97], v[96:97], -v[100:101]
	v_add_f64 v[94:95], v[94:95], v[96:97]
	v_frexp_exp_i32_f64_e32 v1, v[92:93]
	v_add_f64 v[96:97], v[98:99], v[94:95]
	v_subbrev_co_u32_e64 v1, s[12:13], 0, v1, s[12:13]
	v_add_f64 v[98:99], v[96:97], -v[98:99]
	v_add_f64 v[94:95], v[94:95], -v[98:99]
	v_cvt_f64_i32_e32 v[98:99], v1
	v_mul_f64 v[100:101], v[98:99], s[34:35]
	v_fma_f64 v[102:103], v[98:99], s[34:35], -v[100:101]
	v_fmac_f64_e32 v[102:103], s[36:37], v[98:99]
	v_add_f64 v[98:99], v[100:101], v[102:103]
	v_add_f64 v[100:101], v[98:99], -v[100:101]
	v_add_f64 v[100:101], v[102:103], -v[100:101]
	v_add_f64 v[102:103], v[98:99], v[96:97]
	v_add_f64 v[104:105], v[102:103], -v[98:99]
	v_add_f64 v[106:107], v[102:103], -v[104:105]
	;; [unrolled: 1-line block ×4, first 2 shown]
	v_add_f64 v[96:97], v[96:97], v[98:99]
	v_add_f64 v[98:99], v[100:101], v[94:95]
	v_add_f64 v[104:105], v[98:99], -v[100:101]
	v_add_f64 v[106:107], v[98:99], -v[104:105]
	v_add_f64 v[96:97], v[98:99], v[96:97]
	v_add_f64 v[100:101], v[100:101], -v[106:107]
	v_add_f64 v[94:95], v[94:95], -v[104:105]
	v_add_f64 v[98:99], v[102:103], v[96:97]
	v_add_f64 v[94:95], v[94:95], v[100:101]
	v_add_f64 v[100:101], v[98:99], -v[102:103]
	v_add_f64 v[96:97], v[96:97], -v[100:101]
	v_add_f64 v[94:95], v[94:95], v[96:97]
	v_add_f64 v[94:95], v[98:99], v[94:95]
	v_cmp_class_f64_e64 s[12:13], v[90:91], s77
	v_min_f64 v[86:87], v[86:87], v[10:11]
	v_cndmask_b32_e64 v1, v95, v91, s[12:13]
	v_cndmask_b32_e64 v2, v94, v90, s[12:13]
	v_div_scale_f64 v[90:91], s[12:13], v[88:89], v[88:89], v[86:87]
	v_rcp_f64_e32 v[94:95], v[90:91]
	v_cndmask_b32_e64 v2, v2, 0, vcc
	v_cndmask_b32_e32 v1, v1, v119, vcc
	v_cmp_ngt_f64_e32 vcc, 0, v[92:93]
	v_cndmask_b32_e32 v1, v112, v1, vcc
	v_cmp_nge_f64_e32 vcc, 0, v[92:93]
	v_cndmask_b32_e32 v10, 0, v2, vcc
	v_cmp_neq_f64_e32 vcc, 0, v[92:93]
	v_fma_f64 v[92:93], -v[90:91], v[94:95], 1.0
	v_fmac_f64_e32 v[94:95], v[94:95], v[92:93]
	v_fma_f64 v[92:93], -v[90:91], v[94:95], 1.0
	v_cndmask_b32_e32 v11, v113, v1, vcc
	v_fmac_f64_e32 v[94:95], v[94:95], v[92:93]
	v_div_scale_f64 v[92:93], vcc, v[86:87], v[88:89], v[86:87]
	v_mul_f64 v[96:97], v[92:93], v[94:95]
	v_fma_f64 v[90:91], -v[90:91], v[96:97], v[92:93]
	v_pk_mov_b32 v[92:93], v[32:33], v[32:33] op_sel:[0,1]
	s_nop 0
	v_div_fmas_f64 v[90:91], v[90:91], v[94:95], v[96:97]
	v_div_fixup_f64 v[86:87], v[90:91], v[88:89], v[86:87]
	v_mul_f64 v[88:89], v[86:87], v[86:87]
	v_pk_mov_b32 v[90:91], v[30:31], v[30:31] op_sel:[0,1]
	v_fmac_f64_e32 v[90:91], s[40:41], v[88:89]
	v_fmac_f64_e32 v[92:93], v[88:89], v[90:91]
	v_pk_mov_b32 v[90:91], v[34:35], v[34:35] op_sel:[0,1]
	v_fmac_f64_e32 v[90:91], v[88:89], v[92:93]
	v_pk_mov_b32 v[92:93], v[36:37], v[36:37] op_sel:[0,1]
	;; [unrolled: 2-line block ×17, first 2 shown]
	v_fmac_f64_e32 v[90:91], v[88:89], v[92:93]
	v_cmp_gt_i32_e32 vcc, 0, v3
	v_mul_f64 v[88:89], v[88:89], v[90:91]
	v_cndmask_b32_e32 v2, v116, v117, vcc
	v_fmac_f64_e32 v[86:87], v[86:87], v[88:89]
	v_bfi_b32 v8, s76, v2, v5
	v_ashrrev_i32_e32 v2, 31, v3
	v_and_b32_e32 v12, 0x400921fb, v2
	v_and_b32_e32 v16, 0x54442d18, v2
	v_add_f64 v[2:3], -v[86:87], s[42:43]
	v_cndmask_b32_e64 v3, v87, v3, s[10:11]
	v_cndmask_b32_e64 v2, v86, v2, s[10:11]
	s_mov_b32 s44, s42
	v_add_f64 v[86:87], -v[2:3], s[44:45]
	v_cndmask_b32_e32 v1, v114, v115, vcc
	v_cndmask_b32_e32 v3, v3, v87, vcc
	;; [unrolled: 1-line block ×3, first 2 shown]
	v_cmp_eq_f64_e32 vcc, 0, v[4:5]
	v_cndmask_b32_e32 v2, v2, v16, vcc
	v_cndmask_b32_e32 v3, v3, v12, vcc
	s_and_b64 vcc, s[64:65], s[62:63]
	v_cndmask_b32_e32 v87, v3, v8, vcc
	v_cndmask_b32_e32 v86, v2, v1, vcc
.LBB186_136:                            ;   in Loop: Header=BB186_4 Depth=1
	s_or_b64 exec, exec, s[60:61]
                                        ; implicit-def: $vgpr88_vgpr89
.LBB186_137:                            ;   in Loop: Header=BB186_4 Depth=1
	s_andn2_saveexec_b64 s[12:13], s[58:59]
	s_cbranch_execz .LBB186_143
; %bb.138:                              ;   in Loop: Header=BB186_4 Depth=1
	v_cmp_ngt_f64_e32 vcc, s[48:49], v[88:89]
                                        ; implicit-def: $vgpr10_vgpr11
                                        ; implicit-def: $vgpr86_vgpr87
	s_and_saveexec_b64 s[58:59], vcc
	s_xor_b64 s[58:59], exec, s[58:59]
	s_cbranch_execz .LBB186_140
; %bb.139:                              ;   in Loop: Header=BB186_4 Depth=1
	v_mul_f64 v[10:11], v[88:89], v[88:89]
	v_add_f64 v[86:87], v[10:11], 1.0
	v_add_f64 v[88:89], v[86:87], -1.0
	v_add_f64 v[90:91], v[88:89], -v[86:87]
	v_add_f64 v[90:91], v[90:91], 1.0
	v_add_f64 v[88:89], v[10:11], -v[88:89]
	v_add_f64 v[88:89], v[88:89], v[90:91]
	v_frexp_mant_f64_e32 v[90:91], v[86:87]
	v_frexp_exp_i32_f64_e32 v1, v[86:87]
	v_cmp_gt_f64_e32 vcc, s[28:29], v[90:91]
	v_subbrev_co_u32_e32 v1, vcc, 0, v1, vcc
	v_sub_u32_e32 v8, 0, v1
	v_ldexp_f64 v[86:87], v[86:87], v8
	v_add_f64 v[90:91], v[86:87], -1.0
	v_add_f64 v[96:97], v[86:87], 1.0
	v_add_f64 v[92:93], v[90:91], 1.0
	v_add_f64 v[98:99], v[96:97], -1.0
	v_ldexp_f64 v[88:89], v[88:89], v8
	v_add_f64 v[92:93], v[86:87], -v[92:93]
	v_add_f64 v[86:87], v[86:87], -v[98:99]
	v_add_f64 v[86:87], v[88:89], v[86:87]
	v_add_f64 v[92:93], v[88:89], v[92:93]
	v_add_f64 v[88:89], v[96:97], v[86:87]
	v_rcp_f64_e32 v[98:99], v[88:89]
	v_add_f64 v[94:95], v[90:91], v[92:93]
	v_add_f64 v[90:91], v[90:91], -v[94:95]
	v_add_f64 v[90:91], v[92:93], v[90:91]
	v_add_f64 v[92:93], v[96:97], -v[88:89]
	v_add_f64 v[86:87], v[86:87], v[92:93]
	v_fma_f64 v[92:93], -v[88:89], v[98:99], 1.0
	v_fmac_f64_e32 v[98:99], v[92:93], v[98:99]
	v_fma_f64 v[92:93], -v[88:89], v[98:99], 1.0
	v_fmac_f64_e32 v[98:99], v[92:93], v[98:99]
	v_mul_f64 v[92:93], v[94:95], v[98:99]
	v_mul_f64 v[96:97], v[88:89], v[92:93]
	v_fma_f64 v[100:101], v[92:93], v[88:89], -v[96:97]
	v_fmac_f64_e32 v[100:101], v[92:93], v[86:87]
	v_add_f64 v[102:103], v[96:97], v[100:101]
	v_add_f64 v[104:105], v[94:95], -v[102:103]
	v_add_f64 v[94:95], v[94:95], -v[104:105]
	;; [unrolled: 1-line block ×4, first 2 shown]
	v_add_f64 v[90:91], v[90:91], v[94:95]
	v_add_f64 v[94:95], v[96:97], -v[100:101]
	v_add_f64 v[90:91], v[94:95], v[90:91]
	v_add_f64 v[94:95], v[104:105], v[90:91]
	v_add_f64 v[96:97], v[104:105], -v[94:95]
	v_add_f64 v[90:91], v[90:91], v[96:97]
	v_mul_f64 v[96:97], v[98:99], v[94:95]
	v_mul_f64 v[100:101], v[88:89], v[96:97]
	v_fma_f64 v[88:89], v[96:97], v[88:89], -v[100:101]
	v_fmac_f64_e32 v[88:89], v[96:97], v[86:87]
	v_add_f64 v[86:87], v[100:101], v[88:89]
	v_add_f64 v[102:103], v[94:95], -v[86:87]
	v_add_f64 v[94:95], v[94:95], -v[102:103]
	;; [unrolled: 1-line block ×4, first 2 shown]
	v_add_f64 v[86:87], v[90:91], v[86:87]
	v_add_f64 v[88:89], v[100:101], -v[88:89]
	v_add_f64 v[86:87], v[88:89], v[86:87]
	v_add_f64 v[88:89], v[92:93], v[96:97]
	;; [unrolled: 1-line block ×3, first 2 shown]
	v_add_f64 v[90:91], v[88:89], -v[92:93]
	v_mul_f64 v[86:87], v[98:99], v[86:87]
	v_add_f64 v[90:91], v[96:97], -v[90:91]
	v_add_f64 v[86:87], v[90:91], v[86:87]
	v_add_f64 v[90:91], v[88:89], v[86:87]
	v_add_f64 v[88:89], v[90:91], -v[88:89]
	v_add_f64 v[86:87], v[86:87], -v[88:89]
	v_mul_f64 v[88:89], v[90:91], v[90:91]
	v_pk_mov_b32 v[92:93], v[18:19], v[18:19] op_sel:[0,1]
	v_fmac_f64_e32 v[92:93], s[30:31], v[88:89]
	v_pk_mov_b32 v[94:95], v[20:21], v[20:21] op_sel:[0,1]
	v_fmac_f64_e32 v[94:95], v[88:89], v[92:93]
	;; [unrolled: 2-line block ×6, first 2 shown]
	v_cvt_f64_i32_e32 v[92:93], v1
	v_mul_f64 v[96:97], v[92:93], s[34:35]
	v_fma_f64 v[98:99], v[92:93], s[34:35], -v[96:97]
	v_fmac_f64_e32 v[98:99], s[36:37], v[92:93]
	v_add_f64 v[92:93], v[96:97], v[98:99]
	v_add_f64 v[96:97], v[92:93], -v[96:97]
	v_mul_f64 v[88:89], v[90:91], v[88:89]
	v_add_f64 v[96:97], v[98:99], -v[96:97]
	v_ldexp_f64 v[98:99], v[90:91], 1
	v_mul_f64 v[88:89], v[88:89], v[94:95]
	v_add_f64 v[90:91], v[98:99], v[88:89]
	v_add_f64 v[94:95], v[90:91], -v[98:99]
	v_ldexp_f64 v[86:87], v[86:87], 1
	v_add_f64 v[88:89], v[88:89], -v[94:95]
	v_add_f64 v[86:87], v[86:87], v[88:89]
	v_add_f64 v[88:89], v[90:91], v[86:87]
	v_add_f64 v[90:91], v[88:89], -v[90:91]
	v_add_f64 v[86:87], v[86:87], -v[90:91]
	v_add_f64 v[90:91], v[92:93], v[88:89]
	v_add_f64 v[94:95], v[90:91], -v[92:93]
	v_add_f64 v[98:99], v[90:91], -v[94:95]
	;; [unrolled: 1-line block ×4, first 2 shown]
	v_add_f64 v[88:89], v[88:89], v[92:93]
	v_add_f64 v[92:93], v[96:97], v[86:87]
	v_add_f64 v[94:95], v[92:93], -v[96:97]
	v_add_f64 v[88:89], v[92:93], v[88:89]
	v_add_f64 v[98:99], v[92:93], -v[94:95]
	;; [unrolled: 2-line block ×3, first 2 shown]
	v_add_f64 v[86:87], v[86:87], -v[94:95]
	v_add_f64 v[90:91], v[92:93], -v[90:91]
	v_add_f64 v[86:87], v[86:87], v[96:97]
	v_add_f64 v[88:89], v[88:89], -v[90:91]
	v_add_f64 v[86:87], v[86:87], v[88:89]
	v_max_f64 v[88:89], |v[4:5]|, |v[4:5]|
	v_max_f64 v[90:91], |v[2:3]|, |v[2:3]|
	v_add_f64 v[86:87], v[92:93], v[86:87]
	v_max_f64 v[92:93], v[90:91], v[88:89]
	v_min_f64 v[88:89], v[90:91], v[88:89]
	v_div_scale_f64 v[90:91], s[60:61], v[92:93], v[92:93], v[88:89]
	v_rcp_f64_e32 v[94:95], v[90:91]
	v_cmp_eq_f64_e32 vcc, s[38:39], v[10:11]
	v_cndmask_b32_e32 v11, v87, v11, vcc
	v_cndmask_b32_e32 v10, v86, v10, vcc
	v_fma_f64 v[86:87], -v[90:91], v[94:95], 1.0
	v_fmac_f64_e32 v[94:95], v[94:95], v[86:87]
	v_fma_f64 v[86:87], -v[90:91], v[94:95], 1.0
	v_fmac_f64_e32 v[94:95], v[94:95], v[86:87]
	v_div_scale_f64 v[86:87], vcc, v[88:89], v[92:93], v[88:89]
	v_mul_f64 v[96:97], v[86:87], v[94:95]
	v_fma_f64 v[86:87], -v[90:91], v[96:97], v[86:87]
	v_pk_mov_b32 v[90:91], v[30:31], v[30:31] op_sel:[0,1]
	s_nop 0
	v_div_fmas_f64 v[86:87], v[86:87], v[94:95], v[96:97]
	v_div_fixup_f64 v[86:87], v[86:87], v[92:93], v[88:89]
	v_mul_f64 v[88:89], v[86:87], v[86:87]
	v_fmac_f64_e32 v[90:91], s[40:41], v[88:89]
	v_pk_mov_b32 v[92:93], v[32:33], v[32:33] op_sel:[0,1]
	v_fmac_f64_e32 v[92:93], v[88:89], v[90:91]
	v_pk_mov_b32 v[90:91], v[34:35], v[34:35] op_sel:[0,1]
	;; [unrolled: 2-line block ×18, first 2 shown]
	v_fmac_f64_e32 v[90:91], v[88:89], v[92:93]
	v_cmp_gt_i32_e32 vcc, 0, v3
	v_mul_f64 v[88:89], v[88:89], v[90:91]
	v_cmp_class_f64_e64 s[62:63], v[2:3], s77
	v_cndmask_b32_e32 v2, v116, v117, vcc
	v_fmac_f64_e32 v[86:87], v[86:87], v[88:89]
	v_bfi_b32 v8, s76, v2, v5
	v_ashrrev_i32_e32 v2, 31, v3
	v_and_b32_e32 v12, 0x400921fb, v2
	v_and_b32_e32 v16, 0x54442d18, v2
	v_add_f64 v[2:3], -v[86:87], s[42:43]
	v_cndmask_b32_e64 v3, v87, v3, s[10:11]
	v_cndmask_b32_e64 v2, v86, v2, s[10:11]
	s_mov_b32 s44, s42
	v_add_f64 v[86:87], -v[2:3], s[44:45]
	v_cmp_class_f64_e64 s[60:61], v[4:5], s77
	v_cndmask_b32_e32 v1, v114, v115, vcc
	v_cndmask_b32_e32 v3, v3, v87, vcc
	;; [unrolled: 1-line block ×3, first 2 shown]
	v_cmp_eq_f64_e32 vcc, 0, v[4:5]
	v_cndmask_b32_e32 v2, v2, v16, vcc
	v_cndmask_b32_e32 v3, v3, v12, vcc
	s_and_b64 vcc, s[60:61], s[62:63]
	v_mul_f64 v[10:11], v[10:11], 0.5
	v_cndmask_b32_e32 v87, v3, v8, vcc
	v_cndmask_b32_e32 v86, v2, v1, vcc
                                        ; implicit-def: $vgpr88_vgpr89
.LBB186_140:                            ;   in Loop: Header=BB186_4 Depth=1
	s_andn2_saveexec_b64 s[58:59], s[58:59]
	s_cbranch_execz .LBB186_142
; %bb.141:                              ;   in Loop: Header=BB186_4 Depth=1
	v_max_f64 v[10:11], |v[4:5]|, |v[4:5]|
	v_max_f64 v[86:87], |v[2:3]|, |v[2:3]|
	v_max_f64 v[90:91], v[86:87], v[10:11]
	v_min_f64 v[86:87], v[86:87], v[10:11]
	v_div_scale_f64 v[92:93], s[60:61], v[90:91], v[90:91], v[86:87]
	v_rcp_f64_e32 v[94:95], v[92:93]
	v_mul_f64 v[10:11], v[88:89], 0.5
	v_mul_f64 v[10:11], v[88:89], v[10:11]
	v_cmp_class_f64_e64 s[62:63], v[2:3], s77
	v_fma_f64 v[88:89], -v[92:93], v[94:95], 1.0
	v_fmac_f64_e32 v[94:95], v[94:95], v[88:89]
	v_fma_f64 v[88:89], -v[92:93], v[94:95], 1.0
	v_fmac_f64_e32 v[94:95], v[94:95], v[88:89]
	v_div_scale_f64 v[88:89], vcc, v[86:87], v[90:91], v[86:87]
	v_mul_f64 v[96:97], v[88:89], v[94:95]
	v_fma_f64 v[88:89], -v[92:93], v[96:97], v[88:89]
	v_pk_mov_b32 v[92:93], v[32:33], v[32:33] op_sel:[0,1]
	s_nop 0
	v_div_fmas_f64 v[88:89], v[88:89], v[94:95], v[96:97]
	v_div_fixup_f64 v[86:87], v[88:89], v[90:91], v[86:87]
	v_mul_f64 v[88:89], v[86:87], v[86:87]
	v_pk_mov_b32 v[90:91], v[30:31], v[30:31] op_sel:[0,1]
	v_fmac_f64_e32 v[90:91], s[40:41], v[88:89]
	v_fmac_f64_e32 v[92:93], v[88:89], v[90:91]
	v_pk_mov_b32 v[90:91], v[34:35], v[34:35] op_sel:[0,1]
	v_fmac_f64_e32 v[90:91], v[88:89], v[92:93]
	v_pk_mov_b32 v[92:93], v[36:37], v[36:37] op_sel:[0,1]
	;; [unrolled: 2-line block ×17, first 2 shown]
	v_fmac_f64_e32 v[90:91], v[88:89], v[92:93]
	v_cmp_gt_i32_e32 vcc, 0, v3
	v_mul_f64 v[88:89], v[88:89], v[90:91]
	v_cndmask_b32_e32 v2, v116, v117, vcc
	v_fmac_f64_e32 v[86:87], v[86:87], v[88:89]
	v_bfi_b32 v8, s76, v2, v5
	v_ashrrev_i32_e32 v2, 31, v3
	v_and_b32_e32 v12, 0x400921fb, v2
	v_and_b32_e32 v16, 0x54442d18, v2
	v_add_f64 v[2:3], -v[86:87], s[42:43]
	v_cndmask_b32_e64 v3, v87, v3, s[10:11]
	v_cndmask_b32_e64 v2, v86, v2, s[10:11]
	s_mov_b32 s44, s42
	v_add_f64 v[86:87], -v[2:3], s[44:45]
	v_cmp_class_f64_e64 s[60:61], v[4:5], s77
	v_cndmask_b32_e32 v1, v114, v115, vcc
	v_cndmask_b32_e32 v3, v3, v87, vcc
	;; [unrolled: 1-line block ×3, first 2 shown]
	v_cmp_eq_f64_e32 vcc, 0, v[4:5]
	v_cndmask_b32_e32 v2, v2, v16, vcc
	v_cndmask_b32_e32 v3, v3, v12, vcc
	s_and_b64 vcc, s[60:61], s[62:63]
	v_cndmask_b32_e32 v87, v3, v8, vcc
	v_cndmask_b32_e32 v86, v2, v1, vcc
.LBB186_142:                            ;   in Loop: Header=BB186_4 Depth=1
	s_or_b64 exec, exec, s[58:59]
.LBB186_143:                            ;   in Loop: Header=BB186_4 Depth=1
	s_or_b64 exec, exec, s[12:13]
.LBB186_144:                            ;   in Loop: Header=BB186_4 Depth=1
	s_andn2_saveexec_b64 s[58:59], s[14:15]
	s_cbranch_execz .LBB186_146
; %bb.145:                              ;   in Loop: Header=BB186_4 Depth=1
	v_div_scale_f64 v[10:11], s[12:13], s[50:51], s[50:51], v[2:3]
	v_rcp_f64_e32 v[86:87], v[10:11]
	v_div_scale_f64 v[88:89], vcc, v[2:3], s[50:51], v[2:3]
	s_mov_b32 s44, s42
	v_fma_f64 v[90:91], -v[10:11], v[86:87], 1.0
	v_fmac_f64_e32 v[86:87], v[86:87], v[90:91]
	v_fma_f64 v[90:91], -v[10:11], v[86:87], 1.0
	v_fmac_f64_e32 v[86:87], v[86:87], v[90:91]
	v_mul_f64 v[90:91], v[88:89], v[86:87]
	v_fma_f64 v[10:11], -v[10:11], v[90:91], v[88:89]
	v_div_scale_f64 v[88:89], s[12:13], s[50:51], s[50:51], v[4:5]
	v_rcp_f64_e32 v[92:93], v[88:89]
	v_div_fmas_f64 v[10:11], v[10:11], v[86:87], v[90:91]
	v_div_fixup_f64 v[10:11], v[10:11], s[50:51], v[2:3]
	v_cmp_class_f64_e64 s[14:15], v[10:11], s77
	v_fma_f64 v[86:87], -v[88:89], v[92:93], 1.0
	v_fmac_f64_e32 v[92:93], v[92:93], v[86:87]
	v_fma_f64 v[86:87], -v[88:89], v[92:93], 1.0
	v_fmac_f64_e32 v[92:93], v[92:93], v[86:87]
	v_div_scale_f64 v[86:87], vcc, v[4:5], s[50:51], v[4:5]
	v_mul_f64 v[90:91], v[86:87], v[92:93]
	v_fma_f64 v[86:87], -v[88:89], v[90:91], v[86:87]
	s_nop 1
	v_div_fmas_f64 v[86:87], v[86:87], v[92:93], v[90:91]
	v_div_fixup_f64 v[86:87], v[86:87], s[50:51], v[4:5]
	v_max_f64 v[88:89], |v[10:11]|, |v[86:87]|
	v_frexp_exp_i32_f64_e32 v1, v[88:89]
	v_sub_u32_e32 v8, 0, v1
	v_ldexp_f64 v[90:91], |v[86:87]|, v8
	v_ldexp_f64 v[88:89], |v[10:11]|, v8
	v_mul_f64 v[90:91], v[90:91], v[90:91]
	v_fmac_f64_e32 v[90:91], v[88:89], v[88:89]
	v_rsq_f64_e32 v[88:89], v[90:91]
	v_cmp_eq_f64_e32 vcc, 0, v[90:91]
	v_cmp_o_f64_e64 s[12:13], v[10:11], v[86:87]
	v_cmp_class_f64_e64 s[60:61], v[86:87], s77
	v_mul_f64 v[92:93], v[90:91], v[88:89]
	v_mul_f64 v[88:89], v[88:89], 0.5
	v_fma_f64 v[94:95], -v[88:89], v[92:93], 0.5
	v_fmac_f64_e32 v[92:93], v[92:93], v[94:95]
	v_fmac_f64_e32 v[88:89], v[88:89], v[94:95]
	v_fma_f64 v[94:95], -v[92:93], v[92:93], v[90:91]
	v_fmac_f64_e32 v[92:93], v[94:95], v[88:89]
	v_cndmask_b32_e32 v89, v93, v91, vcc
	v_cndmask_b32_e32 v88, v92, v90, vcc
	v_ldexp_f64 v[88:89], v[88:89], v1
	v_cndmask_b32_e64 v1, 0, v88, s[12:13]
	v_cndmask_b32_e64 v8, v112, v89, s[12:13]
	s_or_b64 vcc, s[60:61], s[14:15]
	v_cndmask_b32_e32 v87, v8, v119, vcc
	v_cndmask_b32_e64 v86, v1, 0, vcc
	v_frexp_mant_f64_e32 v[10:11], v[86:87]
	v_cmp_gt_f64_e64 s[14:15], s[28:29], v[10:11]
	v_cndmask_b32_e64 v69, v118, 2.0, s[14:15]
	v_mul_f64 v[10:11], v[10:11], v[68:69]
	v_add_f64 v[90:91], v[10:11], 1.0
	v_rcp_f64_e32 v[92:93], v[90:91]
	v_add_f64 v[96:97], v[90:91], -1.0
	v_add_f64 v[94:95], v[10:11], -1.0
	v_add_f64 v[10:11], v[10:11], -v[96:97]
	v_fma_f64 v[96:97], -v[90:91], v[92:93], 1.0
	v_fmac_f64_e32 v[92:93], v[96:97], v[92:93]
	v_fma_f64 v[96:97], -v[90:91], v[92:93], 1.0
	v_fmac_f64_e32 v[92:93], v[96:97], v[92:93]
	v_mul_f64 v[96:97], v[94:95], v[92:93]
	v_mul_f64 v[98:99], v[90:91], v[96:97]
	v_fma_f64 v[90:91], v[96:97], v[90:91], -v[98:99]
	v_fmac_f64_e32 v[90:91], v[96:97], v[10:11]
	v_add_f64 v[10:11], v[98:99], v[90:91]
	v_add_f64 v[100:101], v[94:95], -v[10:11]
	v_add_f64 v[98:99], v[10:11], -v[98:99]
	;; [unrolled: 1-line block ×5, first 2 shown]
	v_add_f64 v[10:11], v[90:91], v[10:11]
	v_add_f64 v[10:11], v[100:101], v[10:11]
	v_mul_f64 v[10:11], v[92:93], v[10:11]
	v_add_f64 v[90:91], v[96:97], v[10:11]
	v_add_f64 v[92:93], v[90:91], -v[96:97]
	v_add_f64 v[10:11], v[10:11], -v[92:93]
	v_mul_f64 v[92:93], v[90:91], v[90:91]
	v_pk_mov_b32 v[94:95], v[18:19], v[18:19] op_sel:[0,1]
	v_fmac_f64_e32 v[94:95], s[30:31], v[92:93]
	v_pk_mov_b32 v[96:97], v[20:21], v[20:21] op_sel:[0,1]
	v_fmac_f64_e32 v[96:97], v[92:93], v[94:95]
	;; [unrolled: 2-line block ×6, first 2 shown]
	v_ldexp_f64 v[94:95], v[90:91], 1
	v_mul_f64 v[90:91], v[90:91], v[92:93]
	v_mul_f64 v[90:91], v[90:91], v[96:97]
	v_add_f64 v[92:93], v[94:95], v[90:91]
	v_add_f64 v[94:95], v[92:93], -v[94:95]
	v_ldexp_f64 v[10:11], v[10:11], 1
	v_add_f64 v[90:91], v[90:91], -v[94:95]
	v_add_f64 v[10:11], v[10:11], v[90:91]
	v_frexp_exp_i32_f64_e32 v12, v[86:87]
	v_add_f64 v[90:91], v[92:93], v[10:11]
	v_subbrev_co_u32_e64 v12, s[14:15], 0, v12, s[14:15]
	v_add_f64 v[92:93], v[90:91], -v[92:93]
	v_add_f64 v[10:11], v[10:11], -v[92:93]
	v_cvt_f64_i32_e32 v[92:93], v12
	v_mul_f64 v[94:95], v[92:93], s[34:35]
	v_fma_f64 v[96:97], v[92:93], s[34:35], -v[94:95]
	v_fmac_f64_e32 v[96:97], s[36:37], v[92:93]
	v_add_f64 v[92:93], v[94:95], v[96:97]
	v_add_f64 v[94:95], v[92:93], -v[94:95]
	v_add_f64 v[94:95], v[96:97], -v[94:95]
	v_add_f64 v[96:97], v[92:93], v[90:91]
	v_add_f64 v[98:99], v[96:97], -v[92:93]
	v_add_f64 v[100:101], v[96:97], -v[98:99]
	v_add_f64 v[92:93], v[92:93], -v[100:101]
	v_add_f64 v[90:91], v[90:91], -v[98:99]
	v_add_f64 v[90:91], v[90:91], v[92:93]
	v_add_f64 v[92:93], v[94:95], v[10:11]
	v_add_f64 v[98:99], v[92:93], -v[94:95]
	v_add_f64 v[100:101], v[92:93], -v[98:99]
	v_add_f64 v[90:91], v[92:93], v[90:91]
	v_add_f64 v[94:95], v[94:95], -v[100:101]
	v_add_f64 v[10:11], v[10:11], -v[98:99]
	v_add_f64 v[92:93], v[96:97], v[90:91]
	v_add_f64 v[10:11], v[10:11], v[94:95]
	v_add_f64 v[94:95], v[92:93], -v[96:97]
	v_add_f64 v[90:91], v[90:91], -v[94:95]
	v_and_b32_e32 v89, 0x7fffffff, v89
	v_add_f64 v[10:11], v[10:11], v[90:91]
	v_cmp_eq_f64_e64 s[14:15], s[38:39], v[88:89]
	v_add_f64 v[10:11], v[92:93], v[10:11]
	s_and_b64 s[12:13], s[12:13], s[14:15]
	v_cndmask_b32_e64 v11, v11, v8, s[12:13]
	v_cndmask_b32_e64 v10, v10, v1, s[12:13]
	v_add_f64 v[10:11], v[10:11], 1.0
	v_cndmask_b32_e64 v1, v10, 0, vcc
	v_cndmask_b32_e32 v8, v11, v119, vcc
	v_max_f64 v[10:11], |v[4:5]|, |v[4:5]|
	v_max_f64 v[88:89], |v[2:3]|, |v[2:3]|
	v_max_f64 v[90:91], v[88:89], v[10:11]
	v_min_f64 v[88:89], v[88:89], v[10:11]
	v_div_scale_f64 v[92:93], s[12:13], v[90:91], v[90:91], v[88:89]
	v_rcp_f64_e32 v[94:95], v[92:93]
	v_cmp_ngt_f64_e32 vcc, 0, v[86:87]
	v_cndmask_b32_e32 v8, v112, v8, vcc
	v_cmp_nge_f64_e32 vcc, 0, v[86:87]
	v_cndmask_b32_e32 v10, 0, v1, vcc
	v_cmp_neq_f64_e32 vcc, 0, v[86:87]
	v_fma_f64 v[86:87], -v[92:93], v[94:95], 1.0
	v_fmac_f64_e32 v[94:95], v[94:95], v[86:87]
	v_fma_f64 v[86:87], -v[92:93], v[94:95], 1.0
	v_cndmask_b32_e32 v11, v113, v8, vcc
	v_fmac_f64_e32 v[94:95], v[94:95], v[86:87]
	v_div_scale_f64 v[86:87], vcc, v[88:89], v[90:91], v[88:89]
	v_mul_f64 v[96:97], v[86:87], v[94:95]
	v_fma_f64 v[86:87], -v[92:93], v[96:97], v[86:87]
	v_pk_mov_b32 v[92:93], v[32:33], v[32:33] op_sel:[0,1]
	s_nop 0
	v_div_fmas_f64 v[86:87], v[86:87], v[94:95], v[96:97]
	v_div_fixup_f64 v[86:87], v[86:87], v[90:91], v[88:89]
	v_mul_f64 v[88:89], v[86:87], v[86:87]
	v_pk_mov_b32 v[90:91], v[30:31], v[30:31] op_sel:[0,1]
	v_fmac_f64_e32 v[90:91], s[40:41], v[88:89]
	v_fmac_f64_e32 v[92:93], v[88:89], v[90:91]
	v_pk_mov_b32 v[90:91], v[34:35], v[34:35] op_sel:[0,1]
	v_fmac_f64_e32 v[90:91], v[88:89], v[92:93]
	v_pk_mov_b32 v[92:93], v[36:37], v[36:37] op_sel:[0,1]
	;; [unrolled: 2-line block ×17, first 2 shown]
	v_fmac_f64_e32 v[90:91], v[88:89], v[92:93]
	v_cmp_gt_i32_e32 vcc, 0, v3
	v_mul_f64 v[88:89], v[88:89], v[90:91]
	v_cmp_class_f64_e64 s[14:15], v[2:3], s77
	v_cndmask_b32_e32 v2, v116, v117, vcc
	v_fmac_f64_e32 v[86:87], v[86:87], v[88:89]
	v_bfi_b32 v8, s76, v2, v5
	v_ashrrev_i32_e32 v2, 31, v3
	v_and_b32_e32 v12, 0x400921fb, v2
	v_and_b32_e32 v16, 0x54442d18, v2
	v_add_f64 v[2:3], -v[86:87], s[42:43]
	v_cndmask_b32_e64 v3, v87, v3, s[10:11]
	v_cndmask_b32_e64 v2, v86, v2, s[10:11]
	v_add_f64 v[86:87], -v[2:3], s[44:45]
	v_cmp_class_f64_e64 s[12:13], v[4:5], s77
	v_cndmask_b32_e32 v1, v114, v115, vcc
	v_cndmask_b32_e32 v3, v3, v87, vcc
	;; [unrolled: 1-line block ×3, first 2 shown]
	v_cmp_eq_f64_e32 vcc, 0, v[4:5]
	v_cndmask_b32_e32 v2, v2, v16, vcc
	v_cndmask_b32_e32 v3, v3, v12, vcc
	s_and_b64 vcc, s[12:13], s[14:15]
	v_cndmask_b32_e32 v87, v3, v8, vcc
	v_cndmask_b32_e32 v86, v2, v1, vcc
.LBB186_146:                            ;   in Loop: Header=BB186_4 Depth=1
	s_or_b64 exec, exec, s[58:59]
	s_andn2_saveexec_b64 s[10:11], s[56:57]
	s_cbranch_execz .LBB186_116
.LBB186_147:                            ;   in Loop: Header=BB186_4 Depth=1
	v_cmp_nlt_f64_e64 s[12:13], |v[2:3]|, s[52:53]
	v_cmp_nlt_f64_e64 s[14:15], |v[4:5]|, s[52:53]
	s_or_b64 s[12:13], s[14:15], s[12:13]
                                        ; implicit-def: $vgpr86_vgpr87
	s_and_saveexec_b64 s[14:15], s[12:13]
	s_xor_b64 s[12:13], exec, s[14:15]
; %bb.148:                              ;   in Loop: Header=BB186_4 Depth=1
	v_mul_f64 v[86:87], v[2:3], v[2:3]
	v_fmac_f64_e32 v[86:87], v[4:5], v[4:5]
; %bb.149:                              ;   in Loop: Header=BB186_4 Depth=1
	s_andn2_saveexec_b64 s[12:13], s[12:13]
; %bb.150:                              ;   in Loop: Header=BB186_4 Depth=1
	v_mul_f64 v[2:3], v[2:3], 4.0
	v_mul_f64 v[10:11], v[4:5], 4.0
	v_mul_f64 v[2:3], v[2:3], v[2:3]
	v_fmac_f64_e32 v[2:3], v[10:11], v[10:11]
	v_ldexp_f64 v[86:87], v[2:3], -4
; %bb.151:                              ;   in Loop: Header=BB186_4 Depth=1
	s_or_b64 exec, exec, s[12:13]
	v_frexp_mant_f64_e32 v[2:3], v[86:87]
	v_cmp_gt_f64_e32 vcc, s[28:29], v[2:3]
	v_cndmask_b32_e64 v69, v118, 2.0, vcc
	v_mul_f64 v[2:3], v[2:3], v[68:69]
	v_add_f64 v[10:11], v[2:3], 1.0
	v_rcp_f64_e32 v[88:89], v[10:11]
	v_add_f64 v[92:93], v[10:11], -1.0
	v_add_f64 v[90:91], v[2:3], -1.0
	v_add_f64 v[2:3], v[2:3], -v[92:93]
	v_fma_f64 v[92:93], -v[10:11], v[88:89], 1.0
	v_fmac_f64_e32 v[88:89], v[92:93], v[88:89]
	v_fma_f64 v[92:93], -v[10:11], v[88:89], 1.0
	v_fmac_f64_e32 v[88:89], v[92:93], v[88:89]
	v_mul_f64 v[92:93], v[90:91], v[88:89]
	v_mul_f64 v[94:95], v[10:11], v[92:93]
	v_fma_f64 v[10:11], v[92:93], v[10:11], -v[94:95]
	v_fmac_f64_e32 v[10:11], v[92:93], v[2:3]
	v_add_f64 v[2:3], v[94:95], v[10:11]
	v_add_f64 v[96:97], v[90:91], -v[2:3]
	v_add_f64 v[94:95], v[2:3], -v[94:95]
	;; [unrolled: 1-line block ×5, first 2 shown]
	v_add_f64 v[2:3], v[10:11], v[2:3]
	v_add_f64 v[2:3], v[96:97], v[2:3]
	v_mul_f64 v[2:3], v[88:89], v[2:3]
	v_add_f64 v[10:11], v[92:93], v[2:3]
	v_add_f64 v[88:89], v[10:11], -v[92:93]
	v_add_f64 v[2:3], v[2:3], -v[88:89]
	v_mul_f64 v[88:89], v[10:11], v[10:11]
	v_pk_mov_b32 v[90:91], v[18:19], v[18:19] op_sel:[0,1]
	v_fmac_f64_e32 v[90:91], s[30:31], v[88:89]
	v_pk_mov_b32 v[92:93], v[20:21], v[20:21] op_sel:[0,1]
	v_fmac_f64_e32 v[92:93], v[88:89], v[90:91]
	;; [unrolled: 2-line block ×6, first 2 shown]
	v_ldexp_f64 v[90:91], v[10:11], 1
	v_mul_f64 v[10:11], v[10:11], v[88:89]
	v_mul_f64 v[10:11], v[10:11], v[92:93]
	v_add_f64 v[88:89], v[90:91], v[10:11]
	v_add_f64 v[90:91], v[88:89], -v[90:91]
	v_ldexp_f64 v[2:3], v[2:3], 1
	v_add_f64 v[10:11], v[10:11], -v[90:91]
	v_add_f64 v[2:3], v[2:3], v[10:11]
	v_frexp_exp_i32_f64_e32 v1, v[86:87]
	v_add_f64 v[10:11], v[88:89], v[2:3]
	v_subbrev_co_u32_e32 v1, vcc, 0, v1, vcc
	v_add_f64 v[88:89], v[10:11], -v[88:89]
	v_add_f64 v[2:3], v[2:3], -v[88:89]
	v_cvt_f64_i32_e32 v[88:89], v1
	v_mul_f64 v[90:91], v[88:89], s[34:35]
	v_fma_f64 v[92:93], v[88:89], s[34:35], -v[90:91]
	v_fmac_f64_e32 v[92:93], s[36:37], v[88:89]
	v_add_f64 v[88:89], v[90:91], v[92:93]
	v_add_f64 v[90:91], v[88:89], -v[90:91]
	v_add_f64 v[90:91], v[92:93], -v[90:91]
	v_add_f64 v[92:93], v[88:89], v[10:11]
	v_add_f64 v[94:95], v[92:93], -v[88:89]
	v_add_f64 v[96:97], v[92:93], -v[94:95]
	v_add_f64 v[88:89], v[88:89], -v[96:97]
	v_add_f64 v[10:11], v[10:11], -v[94:95]
	v_add_f64 v[10:11], v[10:11], v[88:89]
	v_add_f64 v[88:89], v[90:91], v[2:3]
	v_add_f64 v[94:95], v[88:89], -v[90:91]
	v_add_f64 v[96:97], v[88:89], -v[94:95]
	v_add_f64 v[10:11], v[88:89], v[10:11]
	v_add_f64 v[90:91], v[90:91], -v[96:97]
	v_add_f64 v[2:3], v[2:3], -v[94:95]
	v_add_f64 v[88:89], v[92:93], v[10:11]
	v_add_f64 v[2:3], v[2:3], v[90:91]
	v_add_f64 v[90:91], v[88:89], -v[92:93]
	v_add_f64 v[10:11], v[10:11], -v[90:91]
	v_add_f64 v[2:3], v[2:3], v[10:11]
	v_add_f64 v[2:3], v[88:89], v[2:3]
	v_cmp_class_f64_e64 vcc, v[86:87], s77
	v_cndmask_b32_e32 v1, v2, v86, vcc
	v_cndmask_b32_e32 v2, v3, v87, vcc
	v_cmp_ngt_f64_e32 vcc, 0, v[86:87]
	v_cndmask_b32_e32 v2, v112, v2, vcc
	v_cmp_nge_f64_e32 vcc, 0, v[86:87]
	v_cndmask_b32_e32 v10, 0, v1, vcc
	v_cmp_neq_f64_e32 vcc, 0, v[86:87]
	v_mov_b32_e32 v86, 0
	v_cndmask_b32_e32 v11, v113, v2, vcc
	v_mov_b32_e32 v87, 0x7ff80000
	s_or_b64 exec, exec, s[10:11]
	s_and_saveexec_b64 s[10:11], s[8:9]
	s_xor_b64 s[8:9], exec, s[10:11]
	s_cbranch_execz .LBB186_117
.LBB186_152:                            ;   in Loop: Header=BB186_4 Depth=1
	v_div_scale_f64 v[2:3], s[10:11], s[54:55], s[54:55], v[78:79]
	v_rcp_f64_e32 v[88:89], v[2:3]
	v_bfi_b32 v81, s76, v81, v17
	v_mov_b32_e32 v1, s70
	v_fma_f64 v[16:17], -v[2:3], v[88:89], 1.0
	v_fmac_f64_e32 v[88:89], v[88:89], v[16:17]
	v_fma_f64 v[16:17], -v[2:3], v[88:89], 1.0
	v_fmac_f64_e32 v[88:89], v[88:89], v[16:17]
	v_div_scale_f64 v[16:17], vcc, v[78:79], s[54:55], v[78:79]
	v_mul_f64 v[90:91], v[16:17], v[88:89]
	v_fma_f64 v[2:3], -v[2:3], v[90:91], v[16:17]
	v_div_scale_f64 v[16:17], s[10:11], s[54:55], s[54:55], v[80:81]
	v_rcp_f64_e32 v[92:93], v[16:17]
	v_div_fmas_f64 v[2:3], v[2:3], v[88:89], v[90:91]
	v_div_fixup_f64 v[78:79], v[2:3], s[54:55], v[78:79]
	v_fma_f64 v[2:3], -v[16:17], v[92:93], 1.0
	v_fmac_f64_e32 v[92:93], v[92:93], v[2:3]
	v_fma_f64 v[2:3], -v[16:17], v[92:93], 1.0
	v_fmac_f64_e32 v[92:93], v[92:93], v[2:3]
	v_div_scale_f64 v[2:3], vcc, v[80:81], s[54:55], v[80:81]
	v_mul_f64 v[88:89], v[2:3], v[92:93]
	v_fma_f64 v[2:3], -v[16:17], v[88:89], v[2:3]
	s_nop 1
	v_div_fmas_f64 v[2:3], v[2:3], v[92:93], v[88:89]
	v_div_fixup_f64 v[80:81], v[2:3], s[54:55], v[80:81]
	v_add_co_u32_e32 v2, vcc, s33, v76
	v_addc_co_u32_e32 v3, vcc, v1, v77, vcc
	global_store_dwordx4 v[2:3], v[78:81], off
	s_or_b64 exec, exec, s[8:9]
	s_and_saveexec_b64 s[8:9], s[6:7]
	s_cbranch_execz .LBB186_118
.LBB186_153:                            ;   in Loop: Header=BB186_4 Depth=1
	v_div_scale_f64 v[2:3], s[6:7], s[54:55], s[54:55], v[14:15]
	v_rcp_f64_e32 v[16:17], v[2:3]
	v_bfi_b32 v83, s76, v83, v9
	v_mov_b32_e32 v1, s70
	v_fma_f64 v[8:9], -v[2:3], v[16:17], 1.0
	v_fmac_f64_e32 v[16:17], v[16:17], v[8:9]
	v_fma_f64 v[8:9], -v[2:3], v[16:17], 1.0
	v_fmac_f64_e32 v[16:17], v[16:17], v[8:9]
	v_div_scale_f64 v[8:9], vcc, v[14:15], s[54:55], v[14:15]
	v_mul_f64 v[76:77], v[8:9], v[16:17]
	v_fma_f64 v[2:3], -v[2:3], v[76:77], v[8:9]
	v_div_scale_f64 v[8:9], s[6:7], s[54:55], s[54:55], v[82:83]
	v_rcp_f64_e32 v[78:79], v[8:9]
	v_div_fmas_f64 v[2:3], v[2:3], v[16:17], v[76:77]
	v_div_fixup_f64 v[14:15], v[2:3], s[54:55], v[14:15]
	v_fma_f64 v[2:3], -v[8:9], v[78:79], 1.0
	v_fmac_f64_e32 v[78:79], v[78:79], v[2:3]
	v_fma_f64 v[2:3], -v[8:9], v[78:79], 1.0
	v_fmac_f64_e32 v[78:79], v[78:79], v[2:3]
	v_div_scale_f64 v[2:3], vcc, v[82:83], s[54:55], v[82:83]
	v_mul_f64 v[16:17], v[2:3], v[78:79]
	v_fma_f64 v[2:3], -v[8:9], v[16:17], v[2:3]
	s_nop 1
	v_div_fmas_f64 v[2:3], v[2:3], v[78:79], v[16:17]
	v_div_fixup_f64 v[16:17], v[2:3], s[54:55], v[82:83]
	v_add_co_u32_e32 v2, vcc, s33, v74
	v_addc_co_u32_e32 v3, vcc, v1, v75, vcc
	global_store_dwordx4 v[2:3], v[14:17], off
	s_or_b64 exec, exec, s[8:9]
	s_and_saveexec_b64 s[6:7], s[2:3]
	s_cbranch_execz .LBB186_119
.LBB186_154:                            ;   in Loop: Header=BB186_4 Depth=1
	v_div_scale_f64 v[2:3], s[2:3], s[54:55], s[54:55], v[6:7]
	v_rcp_f64_e32 v[8:9], v[2:3]
	v_bfi_b32 v85, s76, v85, v13
	v_mov_b32_e32 v1, s70
	v_fma_f64 v[12:13], -v[2:3], v[8:9], 1.0
	v_fmac_f64_e32 v[8:9], v[8:9], v[12:13]
	v_fma_f64 v[12:13], -v[2:3], v[8:9], 1.0
	v_fmac_f64_e32 v[8:9], v[8:9], v[12:13]
	v_div_scale_f64 v[12:13], vcc, v[6:7], s[54:55], v[6:7]
	v_mul_f64 v[14:15], v[12:13], v[8:9]
	v_fma_f64 v[2:3], -v[2:3], v[14:15], v[12:13]
	v_div_scale_f64 v[12:13], s[2:3], s[54:55], s[54:55], v[84:85]
	v_rcp_f64_e32 v[16:17], v[12:13]
	v_div_fmas_f64 v[2:3], v[2:3], v[8:9], v[14:15]
	v_div_fixup_f64 v[6:7], v[2:3], s[54:55], v[6:7]
	v_fma_f64 v[2:3], -v[12:13], v[16:17], 1.0
	v_fmac_f64_e32 v[16:17], v[16:17], v[2:3]
	v_fma_f64 v[2:3], -v[12:13], v[16:17], 1.0
	v_fmac_f64_e32 v[16:17], v[16:17], v[2:3]
	v_div_scale_f64 v[2:3], vcc, v[84:85], s[54:55], v[84:85]
	v_mul_f64 v[8:9], v[2:3], v[16:17]
	v_fma_f64 v[2:3], -v[12:13], v[8:9], v[2:3]
	s_nop 1
	v_div_fmas_f64 v[2:3], v[2:3], v[16:17], v[8:9]
	v_div_fixup_f64 v[8:9], v[2:3], s[54:55], v[84:85]
	v_add_co_u32_e32 v2, vcc, s33, v72
	v_addc_co_u32_e32 v3, vcc, v1, v73, vcc
	global_store_dwordx4 v[2:3], v[6:9], off
	s_or_b64 exec, exec, s[6:7]
	s_and_saveexec_b64 s[2:3], s[0:1]
	s_cbranch_execz .LBB186_3
.LBB186_155:                            ;   in Loop: Header=BB186_4 Depth=1
	v_div_scale_f64 v[2:3], s[0:1], s[54:55], s[54:55], v[10:11]
	v_rcp_f64_e32 v[6:7], v[2:3]
	v_bfi_b32 v87, s76, v87, v5
	v_mov_b32_e32 v1, s70
	v_fma_f64 v[4:5], -v[2:3], v[6:7], 1.0
	v_fmac_f64_e32 v[6:7], v[6:7], v[4:5]
	v_fma_f64 v[4:5], -v[2:3], v[6:7], 1.0
	v_fmac_f64_e32 v[6:7], v[6:7], v[4:5]
	v_div_scale_f64 v[4:5], vcc, v[10:11], s[54:55], v[10:11]
	v_mul_f64 v[8:9], v[4:5], v[6:7]
	v_fma_f64 v[2:3], -v[2:3], v[8:9], v[4:5]
	v_div_scale_f64 v[4:5], s[0:1], s[54:55], s[54:55], v[86:87]
	v_rcp_f64_e32 v[12:13], v[4:5]
	v_div_fmas_f64 v[2:3], v[2:3], v[6:7], v[8:9]
	v_div_fixup_f64 v[2:3], v[2:3], s[54:55], v[10:11]
	v_fma_f64 v[6:7], -v[4:5], v[12:13], 1.0
	v_fmac_f64_e32 v[12:13], v[12:13], v[6:7]
	v_fma_f64 v[6:7], -v[4:5], v[12:13], 1.0
	v_fmac_f64_e32 v[12:13], v[12:13], v[6:7]
	v_div_scale_f64 v[6:7], vcc, v[86:87], s[54:55], v[86:87]
	v_mul_f64 v[8:9], v[6:7], v[12:13]
	v_fma_f64 v[4:5], -v[4:5], v[8:9], v[6:7]
	s_nop 1
	v_div_fmas_f64 v[4:5], v[4:5], v[12:13], v[8:9]
	v_add_co_u32_e32 v6, vcc, s33, v70
	v_div_fixup_f64 v[4:5], v[4:5], s[54:55], v[86:87]
	v_addc_co_u32_e32 v7, vcc, v1, v71, vcc
	global_store_dwordx4 v[6:7], v[2:5], off
	s_branch .LBB186_3
.LBB186_156:
	s_cbranch_execz .LBB186_158
	s_branch .LBB186_297
.LBB186_157:
.LBB186_158:
	v_mov_b32_e32 v18, 0
	v_lshlrev_b32_e32 v2, 2, v0
	v_mov_b32_e32 v3, v18
	s_mov_b32 s60, 0
	v_cmp_gt_i64_e32 vcc, s[16:17], v[2:3]
	s_and_saveexec_b64 s[0:1], vcc
	s_cbranch_execz .LBB186_297
; %bb.159:
	s_load_dword s0, s[4:5], 0xd3c
	s_mov_b32 s8, 0x85ebc8a0
	s_mov_b32 s10, 0x4ad4b81f
	;; [unrolled: 1-line block ×15, first 2 shown]
	s_mov_b64 s[6:7], 0
	v_mov_b32_e32 v104, s70
	s_brev_b32 s61, -2
	s_waitcnt lgkmcnt(0)
	s_and_b32 s62, s0, 0xffff
	s_mov_b32 s9, 0x7fd1ccf3
	s_mov_b32 s11, 0x358dee7a
	s_mov_b32 s13, 0x4a511b0e
	s_mov_b32 s15, 0x3fe55555
	s_mov_b32 s19, 0x3fc3ab76
	s_mov_b32 s21, 0x3fe62e42
	s_mov_b32 s23, 0x3c7abc9e
	s_mov_b32 s25, 0x7ff00000
	s_mov_b32 s27, 0x3eeba404
	s_movk_i32 s63, 0x204
	s_mov_b32 s29, 0x3ff921fb
	s_mov_b32 s31, 0x400921fb
	;; [unrolled: 1-line block ×5, first 2 shown]
	s_brev_b32 s41, 4
	s_mov_b32 s43, 0x40026bb1
	s_mov_b64 s[44:45], 0xffff
	v_mov_b32_e32 v20, 0x6b47b09a
	v_mov_b32_e32 v21, 0x3fc38538
	;; [unrolled: 1-line block ×59, first 2 shown]
	s_branch .LBB186_162
.LBB186_160:                            ;   in Loop: Header=BB186_162 Depth=1
	s_or_b64 exec, exec, s[2:3]
	v_frexp_mant_f64_e32 v[2:3], v[80:81]
	v_cmp_gt_f64_e32 vcc, s[14:15], v[2:3]
	v_cndmask_b32_e64 v19, v111, 2.0, vcc
	v_mul_f64 v[2:3], v[2:3], v[18:19]
	v_add_f64 v[14:15], v[2:3], 1.0
	v_rcp_f64_e32 v[82:83], v[14:15]
	v_add_f64 v[86:87], v[14:15], -1.0
	v_add_f64 v[84:85], v[2:3], -1.0
	v_add_f64 v[2:3], v[2:3], -v[86:87]
	v_fma_f64 v[86:87], -v[14:15], v[82:83], 1.0
	v_fmac_f64_e32 v[82:83], v[86:87], v[82:83]
	v_fma_f64 v[86:87], -v[14:15], v[82:83], 1.0
	v_fmac_f64_e32 v[82:83], v[86:87], v[82:83]
	v_mul_f64 v[86:87], v[84:85], v[82:83]
	v_mul_f64 v[88:89], v[14:15], v[86:87]
	v_fma_f64 v[14:15], v[86:87], v[14:15], -v[88:89]
	v_fmac_f64_e32 v[14:15], v[86:87], v[2:3]
	v_add_f64 v[2:3], v[88:89], v[14:15]
	v_add_f64 v[90:91], v[84:85], -v[2:3]
	v_add_f64 v[88:89], v[2:3], -v[88:89]
	;; [unrolled: 1-line block ×5, first 2 shown]
	v_add_f64 v[2:3], v[14:15], v[2:3]
	v_add_f64 v[2:3], v[90:91], v[2:3]
	v_mul_f64 v[2:3], v[82:83], v[2:3]
	v_add_f64 v[14:15], v[86:87], v[2:3]
	v_add_f64 v[82:83], v[14:15], -v[86:87]
	v_add_f64 v[2:3], v[2:3], -v[82:83]
	v_mul_f64 v[82:83], v[14:15], v[14:15]
	v_pk_mov_b32 v[84:85], v[20:21], v[20:21] op_sel:[0,1]
	v_fmac_f64_e32 v[84:85], s[18:19], v[82:83]
	v_pk_mov_b32 v[86:87], v[22:23], v[22:23] op_sel:[0,1]
	v_fmac_f64_e32 v[86:87], v[82:83], v[84:85]
	;; [unrolled: 2-line block ×6, first 2 shown]
	v_ldexp_f64 v[84:85], v[14:15], 1
	v_mul_f64 v[14:15], v[14:15], v[82:83]
	v_mul_f64 v[14:15], v[14:15], v[86:87]
	v_add_f64 v[82:83], v[84:85], v[14:15]
	v_add_f64 v[84:85], v[82:83], -v[84:85]
	v_ldexp_f64 v[2:3], v[2:3], 1
	v_add_f64 v[14:15], v[14:15], -v[84:85]
	v_add_f64 v[2:3], v[2:3], v[14:15]
	v_frexp_exp_i32_f64_e32 v4, v[80:81]
	v_add_f64 v[14:15], v[82:83], v[2:3]
	v_subbrev_co_u32_e32 v4, vcc, 0, v4, vcc
	v_add_f64 v[82:83], v[14:15], -v[82:83]
	v_add_f64 v[2:3], v[2:3], -v[82:83]
	v_cvt_f64_i32_e32 v[82:83], v4
	v_mul_f64 v[84:85], v[82:83], s[20:21]
	v_fma_f64 v[86:87], v[82:83], s[20:21], -v[84:85]
	v_fmac_f64_e32 v[86:87], s[22:23], v[82:83]
	v_add_f64 v[82:83], v[84:85], v[86:87]
	v_add_f64 v[84:85], v[82:83], -v[84:85]
	v_add_f64 v[84:85], v[86:87], -v[84:85]
	v_add_f64 v[86:87], v[82:83], v[14:15]
	v_add_f64 v[88:89], v[86:87], -v[82:83]
	v_add_f64 v[90:91], v[86:87], -v[88:89]
	;; [unrolled: 1-line block ×4, first 2 shown]
	v_add_f64 v[14:15], v[14:15], v[82:83]
	v_add_f64 v[82:83], v[84:85], v[2:3]
	v_add_f64 v[88:89], v[82:83], -v[84:85]
	v_add_f64 v[90:91], v[82:83], -v[88:89]
	v_add_f64 v[14:15], v[82:83], v[14:15]
	v_add_f64 v[84:85], v[84:85], -v[90:91]
	v_add_f64 v[2:3], v[2:3], -v[88:89]
	v_add_f64 v[82:83], v[86:87], v[14:15]
	v_add_f64 v[2:3], v[2:3], v[84:85]
	v_add_f64 v[84:85], v[82:83], -v[86:87]
	v_add_f64 v[14:15], v[14:15], -v[84:85]
	v_add_f64 v[2:3], v[2:3], v[14:15]
	v_add_f64 v[2:3], v[82:83], v[2:3]
	v_cmp_class_f64_e64 vcc, v[80:81], s63
	v_cndmask_b32_e32 v2, v2, v80, vcc
	v_cndmask_b32_e32 v3, v3, v81, vcc
	v_cmp_ngt_f64_e32 vcc, 0, v[80:81]
	v_cndmask_b32_e32 v3, v105, v3, vcc
	v_cmp_nge_f64_e32 vcc, 0, v[80:81]
	v_cndmask_b32_e32 v14, 0, v2, vcc
	v_cmp_neq_f64_e32 vcc, 0, v[80:81]
	v_mov_b32_e32 v80, 0
	v_cndmask_b32_e32 v15, v106, v3, vcc
	v_mov_b32_e32 v81, 0x7ff80000
.LBB186_161:                            ;   in Loop: Header=BB186_162 Depth=1
	s_or_b64 exec, exec, s[0:1]
	v_div_scale_f64 v[2:3], s[0:1], s[42:43], s[42:43], v[10:11]
	v_rcp_f64_e32 v[82:83], v[2:3]
	v_bfi_b32 v79, s61, v79, v17
	v_bfi_b32 v77, s61, v77, v13
	v_div_scale_f64 v[12:13], s[0:1], s[42:43], s[42:43], v[76:77]
	v_fma_f64 v[16:17], -v[2:3], v[82:83], 1.0
	v_fmac_f64_e32 v[82:83], v[82:83], v[16:17]
	v_fma_f64 v[16:17], -v[2:3], v[82:83], 1.0
	v_fmac_f64_e32 v[82:83], v[82:83], v[16:17]
	v_div_scale_f64 v[16:17], vcc, v[10:11], s[42:43], v[10:11]
	v_mul_f64 v[84:85], v[16:17], v[82:83]
	v_fma_f64 v[2:3], -v[2:3], v[84:85], v[16:17]
	v_div_scale_f64 v[16:17], s[0:1], s[42:43], s[42:43], v[78:79]
	v_rcp_f64_e32 v[86:87], v[16:17]
	v_div_fmas_f64 v[2:3], v[2:3], v[82:83], v[84:85]
	v_div_fixup_f64 v[82:83], v[2:3], s[42:43], v[10:11]
	v_bfi_b32 v75, s61, v75, v9
	v_fma_f64 v[2:3], -v[16:17], v[86:87], 1.0
	v_fmac_f64_e32 v[86:87], v[86:87], v[2:3]
	v_fma_f64 v[2:3], -v[16:17], v[86:87], 1.0
	v_fmac_f64_e32 v[86:87], v[86:87], v[2:3]
	v_div_scale_f64 v[2:3], vcc, v[78:79], s[42:43], v[78:79]
	v_mul_f64 v[10:11], v[2:3], v[86:87]
	v_fma_f64 v[2:3], -v[16:17], v[10:11], v[2:3]
	v_div_scale_f64 v[16:17], s[0:1], s[42:43], s[42:43], v[6:7]
	v_rcp_f64_e32 v[88:89], v[16:17]
	v_div_fmas_f64 v[2:3], v[2:3], v[86:87], v[10:11]
	v_div_fixup_f64 v[84:85], v[2:3], s[42:43], v[78:79]
	v_div_scale_f64 v[78:79], s[0:1], s[42:43], s[42:43], v[72:73]
	v_fma_f64 v[2:3], -v[16:17], v[88:89], 1.0
	v_fmac_f64_e32 v[88:89], v[88:89], v[2:3]
	v_fma_f64 v[2:3], -v[16:17], v[88:89], 1.0
	v_fmac_f64_e32 v[88:89], v[88:89], v[2:3]
	v_div_scale_f64 v[2:3], vcc, v[6:7], s[42:43], v[6:7]
	v_mul_f64 v[10:11], v[2:3], v[88:89]
	v_fma_f64 v[2:3], -v[16:17], v[10:11], v[2:3]
	v_rcp_f64_e32 v[16:17], v[12:13]
	s_nop 0
	v_div_fmas_f64 v[2:3], v[2:3], v[88:89], v[10:11]
	v_div_fixup_f64 v[10:11], v[2:3], s[42:43], v[6:7]
	v_rcp_f64_e32 v[86:87], v[78:79]
	v_fma_f64 v[2:3], -v[12:13], v[16:17], 1.0
	v_fmac_f64_e32 v[16:17], v[16:17], v[2:3]
	v_fma_f64 v[2:3], -v[12:13], v[16:17], 1.0
	v_fmac_f64_e32 v[16:17], v[16:17], v[2:3]
	v_div_scale_f64 v[2:3], vcc, v[76:77], s[42:43], v[76:77]
	v_mul_f64 v[6:7], v[2:3], v[16:17]
	v_fma_f64 v[2:3], -v[12:13], v[6:7], v[2:3]
	v_div_scale_f64 v[8:9], s[0:1], s[42:43], s[42:43], v[74:75]
	s_nop 0
	v_div_fmas_f64 v[2:3], v[2:3], v[16:17], v[6:7]
	v_div_fixup_f64 v[12:13], v[2:3], s[42:43], v[76:77]
	v_fma_f64 v[2:3], -v[78:79], v[86:87], 1.0
	v_fmac_f64_e32 v[86:87], v[86:87], v[2:3]
	v_fma_f64 v[2:3], -v[78:79], v[86:87], 1.0
	v_fmac_f64_e32 v[86:87], v[86:87], v[2:3]
	v_div_scale_f64 v[2:3], vcc, v[72:73], s[42:43], v[72:73]
	v_rcp_f64_e32 v[16:17], v[8:9]
	v_mul_f64 v[6:7], v[2:3], v[86:87]
	v_fma_f64 v[2:3], -v[78:79], v[6:7], v[2:3]
	s_nop 0
	v_div_fmas_f64 v[2:3], v[2:3], v[86:87], v[6:7]
	v_div_fixup_f64 v[6:7], v[2:3], s[42:43], v[72:73]
	v_fma_f64 v[2:3], -v[8:9], v[16:17], 1.0
	v_fmac_f64_e32 v[16:17], v[16:17], v[2:3]
	v_fma_f64 v[2:3], -v[8:9], v[16:17], 1.0
	v_div_scale_f64 v[76:77], s[0:1], s[42:43], s[42:43], v[14:15]
	v_fmac_f64_e32 v[16:17], v[16:17], v[2:3]
	v_div_scale_f64 v[2:3], vcc, v[74:75], s[42:43], v[74:75]
	v_rcp_f64_e32 v[78:79], v[76:77]
	v_mul_f64 v[72:73], v[2:3], v[16:17]
	v_fma_f64 v[2:3], -v[8:9], v[72:73], v[2:3]
	s_nop 0
	v_div_fmas_f64 v[2:3], v[2:3], v[16:17], v[72:73]
	v_div_fixup_f64 v[8:9], v[2:3], s[42:43], v[74:75]
	v_bfi_b32 v81, s61, v81, v5
	v_fma_f64 v[2:3], -v[76:77], v[78:79], 1.0
	v_fmac_f64_e32 v[78:79], v[78:79], v[2:3]
	v_div_scale_f64 v[16:17], s[0:1], s[42:43], s[42:43], v[80:81]
	v_fma_f64 v[2:3], -v[76:77], v[78:79], 1.0
	v_rcp_f64_e32 v[72:73], v[16:17]
	v_fmac_f64_e32 v[78:79], v[78:79], v[2:3]
	v_div_scale_f64 v[2:3], vcc, v[14:15], s[42:43], v[14:15]
	v_mul_f64 v[4:5], v[2:3], v[78:79]
	v_fma_f64 v[2:3], -v[76:77], v[4:5], v[2:3]
	global_store_dwordx4 v[70:71], v[6:9], off
	global_store_dwordx4 v[70:71], v[10:13], off offset:16
	global_store_dwordx4 v[70:71], v[82:85], off offset:32
	v_div_fmas_f64 v[2:3], v[2:3], v[78:79], v[4:5]
	v_fma_f64 v[4:5], -v[16:17], v[72:73], 1.0
	v_fmac_f64_e32 v[72:73], v[72:73], v[4:5]
	v_fma_f64 v[4:5], -v[16:17], v[72:73], 1.0
	v_fmac_f64_e32 v[72:73], v[72:73], v[4:5]
	v_div_scale_f64 v[4:5], vcc, v[80:81], s[42:43], v[80:81]
	v_div_fixup_f64 v[2:3], v[2:3], s[42:43], v[14:15]
	v_mul_f64 v[14:15], v[4:5], v[72:73]
	v_fma_f64 v[4:5], -v[16:17], v[14:15], v[4:5]
	s_nop 0
	v_div_fmas_f64 v[4:5], v[4:5], v[72:73], v[14:15]
	v_mov_b32_e32 v6, s60
	v_add_co_u32_e32 v0, vcc, s62, v0
	v_addc_co_u32_e32 v1, vcc, v1, v6, vcc
	v_lshlrev_b64 v[6:7], 2, v[0:1]
	v_cmp_le_i64_e32 vcc, s[16:17], v[6:7]
	v_cmp_lt_u64_e64 s[0:1], s[44:45], v[6:7]
	s_or_b64 s[0:1], vcc, s[0:1]
	s_and_b64 s[0:1], exec, s[0:1]
	v_div_fixup_f64 v[4:5], v[4:5], s[42:43], v[80:81]
	s_or_b64 s[6:7], s[0:1], s[6:7]
	global_store_dwordx4 v[70:71], v[2:5], off offset:48
	s_andn2_b64 exec, exec, s[6:7]
	s_cbranch_execz .LBB186_297
.LBB186_162:                            ; =>This Loop Header: Depth=1
                                        ;     Child Loop BB186_173 Depth 2
                                        ;     Child Loop BB186_207 Depth 2
	;; [unrolled: 1-line block ×4, first 2 shown]
	v_lshlrev_b64 v[2:3], 6, v[0:1]
	v_add_co_u32_e32 v70, vcc, s33, v2
	v_addc_co_u32_e32 v71, vcc, v104, v3, vcc
	global_load_dwordx4 v[10:13], v[70:71], off offset:16
	global_load_dwordx4 v[6:9], v[70:71], off
	global_load_dwordx4 v[2:5], v[70:71], off offset:48
	global_load_dwordx4 v[14:17], v[70:71], off offset:32
                                        ; implicit-def: $vgpr72_vgpr73
                                        ; implicit-def: $vgpr74_vgpr75
	s_waitcnt vmcnt(2)
	v_cmp_o_f64_e32 vcc, v[6:7], v[8:9]
	s_and_saveexec_b64 s[0:1], vcc
	s_xor_b64 s[46:47], exec, s[0:1]
	s_cbranch_execz .LBB186_190
; %bb.163:                              ;   in Loop: Header=BB186_162 Depth=1
	v_and_b32_e32 v79, 0x7fffffff, v7
	v_and_b32_e32 v19, 0x7fffffff, v9
	v_mov_b32_e32 v78, v8
	v_cmp_lt_f64_e64 s[0:1], |v[6:7]|, |v[8:9]|
	v_cndmask_b32_e64 v77, v19, v79, s[0:1]
	v_cndmask_b32_e64 v76, v78, v6, s[0:1]
	v_cmp_nlt_f64_e32 vcc, s[8:9], v[76:77]
                                        ; implicit-def: $vgpr72_vgpr73
                                        ; implicit-def: $vgpr74_vgpr75
	s_and_saveexec_b64 s[2:3], vcc
	s_xor_b64 s[4:5], exec, s[2:3]
	s_cbranch_execz .LBB186_187
; %bb.164:                              ;   in Loop: Header=BB186_162 Depth=1
	v_cndmask_b32_e64 v81, v79, v19, s[0:1]
	v_cndmask_b32_e64 v80, v6, v78, s[0:1]
	v_cmp_neq_f64_e32 vcc, 1.0, v[80:81]
                                        ; implicit-def: $vgpr72_vgpr73
                                        ; implicit-def: $vgpr74_vgpr75
	s_and_saveexec_b64 s[2:3], vcc
	s_xor_b64 s[48:49], exec, s[2:3]
	s_cbranch_execz .LBB186_180
; %bb.165:                              ;   in Loop: Header=BB186_162 Depth=1
	v_max_f64 v[72:73], v[76:77], v[76:77]
	v_max_f64 v[74:75], v[80:81], v[80:81]
	v_min_f64 v[78:79], v[74:75], v[72:73]
	v_max_f64 v[72:73], v[74:75], v[72:73]
	v_cmp_ngt_f64_e32 vcc, s[10:11], v[78:79]
	v_cmp_nlt_f64_e64 s[2:3], s[12:13], v[72:73]
	s_and_b64 s[2:3], s[2:3], vcc
                                        ; implicit-def: $vgpr72_vgpr73
                                        ; implicit-def: $vgpr74_vgpr75
	s_and_saveexec_b64 s[50:51], s[2:3]
	s_xor_b64 s[50:51], exec, s[50:51]
	s_cbranch_execz .LBB186_177
; %bb.166:                              ;   in Loop: Header=BB186_162 Depth=1
	v_cmp_le_f64_e32 vcc, 1.0, v[80:81]
                                        ; implicit-def: $vgpr72_vgpr73
                                        ; implicit-def: $vgpr74_vgpr75
	s_and_saveexec_b64 s[2:3], vcc
	s_xor_b64 s[2:3], exec, s[2:3]
	s_cbranch_execz .LBB186_168
; %bb.167:                              ;   in Loop: Header=BB186_162 Depth=1
	v_add_f64 v[72:73], v[80:81], -1.0
	v_add_f64 v[74:75], v[80:81], 1.0
	v_mul_f64 v[74:75], v[72:73], v[74:75]
	v_fmac_f64_e32 v[74:75], v[76:77], v[76:77]
	v_add_f64 v[72:73], v[74:75], 1.0
	v_add_f64 v[76:77], v[72:73], -1.0
	v_add_f64 v[78:79], v[76:77], -v[72:73]
	v_add_f64 v[78:79], v[78:79], 1.0
	v_add_f64 v[76:77], v[74:75], -v[76:77]
	v_add_f64 v[76:77], v[76:77], v[78:79]
	v_frexp_mant_f64_e32 v[78:79], v[72:73]
	v_frexp_exp_i32_f64_e32 v19, v[72:73]
	v_cmp_gt_f64_e32 vcc, s[14:15], v[78:79]
	v_subbrev_co_u32_e32 v19, vcc, 0, v19, vcc
	v_sub_u32_e32 v78, 0, v19
	v_ldexp_f64 v[72:73], v[72:73], v78
	v_ldexp_f64 v[76:77], v[76:77], v78
	v_add_f64 v[78:79], v[72:73], -1.0
	v_add_f64 v[84:85], v[72:73], 1.0
	v_add_f64 v[80:81], v[78:79], 1.0
	v_add_f64 v[86:87], v[84:85], -1.0
	v_add_f64 v[80:81], v[72:73], -v[80:81]
	v_add_f64 v[72:73], v[72:73], -v[86:87]
	v_add_f64 v[72:73], v[76:77], v[72:73]
	v_add_f64 v[80:81], v[76:77], v[80:81]
	;; [unrolled: 1-line block ×3, first 2 shown]
	v_rcp_f64_e32 v[86:87], v[76:77]
	v_add_f64 v[82:83], v[78:79], v[80:81]
	v_add_f64 v[78:79], v[82:83], -v[78:79]
	v_add_f64 v[78:79], v[80:81], -v[78:79]
	;; [unrolled: 1-line block ×4, first 2 shown]
	v_fma_f64 v[80:81], -v[76:77], v[86:87], 1.0
	v_fmac_f64_e32 v[86:87], v[80:81], v[86:87]
	v_fma_f64 v[80:81], -v[76:77], v[86:87], 1.0
	v_fmac_f64_e32 v[86:87], v[80:81], v[86:87]
	v_mul_f64 v[80:81], v[82:83], v[86:87]
	v_mul_f64 v[84:85], v[76:77], v[80:81]
	v_fma_f64 v[88:89], v[80:81], v[76:77], -v[84:85]
	v_fmac_f64_e32 v[88:89], v[80:81], v[72:73]
	v_add_f64 v[90:91], v[84:85], v[88:89]
	v_add_f64 v[92:93], v[82:83], -v[90:91]
	v_add_f64 v[82:83], v[82:83], -v[92:93]
	;; [unrolled: 1-line block ×4, first 2 shown]
	v_add_f64 v[78:79], v[78:79], v[82:83]
	v_add_f64 v[82:83], v[84:85], -v[88:89]
	v_add_f64 v[78:79], v[82:83], v[78:79]
	v_add_f64 v[82:83], v[92:93], v[78:79]
	v_add_f64 v[84:85], v[92:93], -v[82:83]
	v_add_f64 v[78:79], v[78:79], v[84:85]
	v_mul_f64 v[84:85], v[86:87], v[82:83]
	v_mul_f64 v[88:89], v[76:77], v[84:85]
	v_fma_f64 v[76:77], v[84:85], v[76:77], -v[88:89]
	v_fmac_f64_e32 v[76:77], v[84:85], v[72:73]
	v_add_f64 v[72:73], v[88:89], v[76:77]
	v_add_f64 v[90:91], v[82:83], -v[72:73]
	v_add_f64 v[82:83], v[82:83], -v[90:91]
	;; [unrolled: 1-line block ×4, first 2 shown]
	v_add_f64 v[72:73], v[78:79], v[72:73]
	v_add_f64 v[76:77], v[88:89], -v[76:77]
	v_add_f64 v[72:73], v[76:77], v[72:73]
	v_add_f64 v[76:77], v[80:81], v[84:85]
	;; [unrolled: 1-line block ×3, first 2 shown]
	v_add_f64 v[78:79], v[76:77], -v[80:81]
	v_mul_f64 v[72:73], v[86:87], v[72:73]
	v_add_f64 v[78:79], v[84:85], -v[78:79]
	v_add_f64 v[72:73], v[78:79], v[72:73]
	v_add_f64 v[78:79], v[76:77], v[72:73]
	v_add_f64 v[76:77], v[78:79], -v[76:77]
	v_add_f64 v[72:73], v[72:73], -v[76:77]
	v_mul_f64 v[76:77], v[78:79], v[78:79]
	v_pk_mov_b32 v[80:81], v[20:21], v[20:21] op_sel:[0,1]
	v_fmac_f64_e32 v[80:81], s[18:19], v[76:77]
	v_pk_mov_b32 v[82:83], v[22:23], v[22:23] op_sel:[0,1]
	v_fmac_f64_e32 v[82:83], v[76:77], v[80:81]
	v_pk_mov_b32 v[80:81], v[24:25], v[24:25] op_sel:[0,1]
	v_fmac_f64_e32 v[80:81], v[76:77], v[82:83]
	v_pk_mov_b32 v[82:83], v[26:27], v[26:27] op_sel:[0,1]
	v_fmac_f64_e32 v[82:83], v[76:77], v[80:81]
	v_pk_mov_b32 v[80:81], v[28:29], v[28:29] op_sel:[0,1]
	v_fmac_f64_e32 v[80:81], v[76:77], v[82:83]
	v_pk_mov_b32 v[82:83], v[30:31], v[30:31] op_sel:[0,1]
	v_fmac_f64_e32 v[82:83], v[76:77], v[80:81]
	v_cvt_f64_i32_e32 v[80:81], v19
	v_mul_f64 v[84:85], v[80:81], s[20:21]
	v_fma_f64 v[86:87], v[80:81], s[20:21], -v[84:85]
	v_fmac_f64_e32 v[86:87], s[22:23], v[80:81]
	v_add_f64 v[80:81], v[84:85], v[86:87]
	v_add_f64 v[84:85], v[80:81], -v[84:85]
	v_mul_f64 v[76:77], v[78:79], v[76:77]
	v_add_f64 v[84:85], v[86:87], -v[84:85]
	v_ldexp_f64 v[86:87], v[78:79], 1
	v_mul_f64 v[76:77], v[76:77], v[82:83]
	v_add_f64 v[78:79], v[86:87], v[76:77]
	v_add_f64 v[82:83], v[78:79], -v[86:87]
	v_ldexp_f64 v[72:73], v[72:73], 1
	v_add_f64 v[76:77], v[76:77], -v[82:83]
	v_add_f64 v[72:73], v[72:73], v[76:77]
	v_add_f64 v[76:77], v[78:79], v[72:73]
	v_add_f64 v[78:79], v[76:77], -v[78:79]
	v_add_f64 v[72:73], v[72:73], -v[78:79]
	v_add_f64 v[78:79], v[80:81], v[76:77]
	v_add_f64 v[82:83], v[78:79], -v[80:81]
	v_add_f64 v[86:87], v[78:79], -v[82:83]
	;; [unrolled: 1-line block ×4, first 2 shown]
	v_add_f64 v[76:77], v[76:77], v[80:81]
	v_add_f64 v[80:81], v[84:85], v[72:73]
	v_add_f64 v[82:83], v[80:81], -v[84:85]
	v_add_f64 v[76:77], v[80:81], v[76:77]
	v_add_f64 v[86:87], v[80:81], -v[82:83]
	;; [unrolled: 2-line block ×3, first 2 shown]
	v_add_f64 v[72:73], v[72:73], -v[82:83]
	v_add_f64 v[78:79], v[80:81], -v[78:79]
	v_add_f64 v[72:73], v[72:73], v[84:85]
	v_add_f64 v[76:77], v[76:77], -v[78:79]
	v_add_f64 v[72:73], v[72:73], v[76:77]
	v_max_f64 v[76:77], |v[8:9]|, |v[8:9]|
	v_max_f64 v[78:79], |v[6:7]|, |v[6:7]|
	v_add_f64 v[72:73], v[80:81], v[72:73]
	v_max_f64 v[80:81], v[78:79], v[76:77]
	v_min_f64 v[76:77], v[78:79], v[76:77]
	v_div_scale_f64 v[78:79], s[52:53], v[80:81], v[80:81], v[76:77]
	v_cmp_eq_f64_e32 vcc, s[24:25], v[74:75]
	v_rcp_f64_e32 v[82:83], v[78:79]
	v_cndmask_b32_e32 v73, v73, v75, vcc
	v_cndmask_b32_e32 v72, v72, v74, vcc
	v_mul_f64 v[72:73], v[72:73], 0.5
	v_cmp_ngt_f64_e32 vcc, -1.0, v[74:75]
	v_cndmask_b32_e32 v19, v105, v73, vcc
	v_cmp_nge_f64_e32 vcc, -1.0, v[74:75]
	v_cndmask_b32_e32 v72, 0, v72, vcc
	v_cmp_neq_f64_e32 vcc, -1.0, v[74:75]
	v_fma_f64 v[74:75], -v[78:79], v[82:83], 1.0
	v_fmac_f64_e32 v[82:83], v[82:83], v[74:75]
	v_fma_f64 v[74:75], -v[78:79], v[82:83], 1.0
	v_cndmask_b32_e32 v73, v106, v19, vcc
	v_fmac_f64_e32 v[82:83], v[82:83], v[74:75]
	v_div_scale_f64 v[74:75], vcc, v[76:77], v[80:81], v[76:77]
	v_mul_f64 v[84:85], v[74:75], v[82:83]
	v_fma_f64 v[74:75], -v[78:79], v[84:85], v[74:75]
	v_pk_mov_b32 v[78:79], v[32:33], v[32:33] op_sel:[0,1]
	s_nop 0
	v_div_fmas_f64 v[74:75], v[74:75], v[82:83], v[84:85]
	v_div_fixup_f64 v[74:75], v[74:75], v[80:81], v[76:77]
	v_mul_f64 v[76:77], v[74:75], v[74:75]
	v_fmac_f64_e32 v[78:79], s[26:27], v[76:77]
	v_pk_mov_b32 v[80:81], v[34:35], v[34:35] op_sel:[0,1]
	v_fmac_f64_e32 v[80:81], v[76:77], v[78:79]
	v_pk_mov_b32 v[78:79], v[36:37], v[36:37] op_sel:[0,1]
	;; [unrolled: 2-line block ×18, first 2 shown]
	v_fmac_f64_e32 v[78:79], v[76:77], v[80:81]
	v_cmp_gt_i32_e32 vcc, 0, v7
	v_mul_f64 v[76:77], v[76:77], v[78:79]
	v_cmp_class_f64_e64 s[54:55], v[6:7], s63
	v_cndmask_b32_e32 v6, v109, v110, vcc
	v_fmac_f64_e32 v[74:75], v[74:75], v[76:77]
	v_bfi_b32 v76, s61, v6, v9
	v_ashrrev_i32_e32 v6, 31, v7
	v_and_b32_e32 v77, 0x400921fb, v6
	v_and_b32_e32 v78, 0x54442d18, v6
	v_add_f64 v[6:7], -v[74:75], s[28:29]
	v_cndmask_b32_e64 v7, v75, v7, s[0:1]
	v_cndmask_b32_e64 v6, v74, v6, s[0:1]
	s_mov_b32 s30, s28
	v_add_f64 v[74:75], -v[6:7], s[30:31]
	v_cmp_class_f64_e64 s[52:53], v[8:9], s63
	v_cndmask_b32_e32 v19, v107, v108, vcc
	v_cndmask_b32_e32 v7, v7, v75, vcc
	;; [unrolled: 1-line block ×3, first 2 shown]
	v_cmp_eq_f64_e32 vcc, 0, v[8:9]
	v_cndmask_b32_e32 v6, v6, v78, vcc
	v_cndmask_b32_e32 v7, v7, v77, vcc
	s_and_b64 vcc, s[54:55], s[52:53]
	v_cndmask_b32_e32 v75, v7, v76, vcc
	v_cndmask_b32_e32 v74, v6, v19, vcc
                                        ; implicit-def: $vgpr76_vgpr77
                                        ; implicit-def: $vgpr80_vgpr81
.LBB186_168:                            ;   in Loop: Header=BB186_162 Depth=1
	s_andn2_saveexec_b64 s[52:53], s[2:3]
	s_cbranch_execz .LBB186_176
; %bb.169:                              ;   in Loop: Header=BB186_162 Depth=1
	v_mul_f64 v[78:79], v[76:77], v[76:77]
	v_fmac_f64_e32 v[78:79], v[80:81], v[80:81]
	v_cmp_ge_f64_e32 vcc, s[34:35], v[78:79]
                                        ; implicit-def: $vgpr72_vgpr73
                                        ; implicit-def: $vgpr74_vgpr75
	s_and_saveexec_b64 s[2:3], vcc
	s_xor_b64 s[2:3], exec, s[2:3]
	s_cbranch_execz .LBB186_171
; %bb.170:                              ;   in Loop: Header=BB186_162 Depth=1
	v_frexp_mant_f64_e32 v[72:73], v[78:79]
	v_cmp_gt_f64_e32 vcc, s[14:15], v[72:73]
	v_cndmask_b32_e64 v19, v111, 2.0, vcc
	v_frexp_exp_i32_f64_e32 v74, v[78:79]
	v_mul_f64 v[72:73], v[72:73], v[18:19]
	v_subbrev_co_u32_e32 v19, vcc, 0, v74, vcc
	v_add_f64 v[74:75], v[72:73], 1.0
	v_rcp_f64_e32 v[76:77], v[74:75]
	v_add_f64 v[82:83], v[74:75], -1.0
	v_add_f64 v[80:81], v[72:73], -1.0
	v_add_f64 v[72:73], v[72:73], -v[82:83]
	v_fma_f64 v[82:83], -v[74:75], v[76:77], 1.0
	v_fmac_f64_e32 v[76:77], v[82:83], v[76:77]
	v_fma_f64 v[82:83], -v[74:75], v[76:77], 1.0
	v_fmac_f64_e32 v[76:77], v[82:83], v[76:77]
	v_mul_f64 v[82:83], v[80:81], v[76:77]
	v_mul_f64 v[84:85], v[74:75], v[82:83]
	v_fma_f64 v[74:75], v[82:83], v[74:75], -v[84:85]
	v_fmac_f64_e32 v[74:75], v[82:83], v[72:73]
	v_add_f64 v[72:73], v[84:85], v[74:75]
	v_add_f64 v[86:87], v[80:81], -v[72:73]
	v_add_f64 v[84:85], v[72:73], -v[84:85]
	;; [unrolled: 1-line block ×5, first 2 shown]
	v_add_f64 v[72:73], v[74:75], v[72:73]
	v_add_f64 v[72:73], v[86:87], v[72:73]
	v_mul_f64 v[72:73], v[76:77], v[72:73]
	v_add_f64 v[74:75], v[82:83], v[72:73]
	v_add_f64 v[76:77], v[74:75], -v[82:83]
	v_add_f64 v[72:73], v[72:73], -v[76:77]
	v_mul_f64 v[76:77], v[74:75], v[74:75]
	v_pk_mov_b32 v[80:81], v[20:21], v[20:21] op_sel:[0,1]
	v_fmac_f64_e32 v[80:81], s[18:19], v[76:77]
	v_pk_mov_b32 v[82:83], v[22:23], v[22:23] op_sel:[0,1]
	v_fmac_f64_e32 v[82:83], v[76:77], v[80:81]
	;; [unrolled: 2-line block ×6, first 2 shown]
	v_ldexp_f64 v[80:81], v[74:75], 1
	v_mul_f64 v[74:75], v[74:75], v[76:77]
	v_mul_f64 v[74:75], v[74:75], v[82:83]
	v_add_f64 v[76:77], v[80:81], v[74:75]
	v_add_f64 v[80:81], v[76:77], -v[80:81]
	v_ldexp_f64 v[72:73], v[72:73], 1
	v_add_f64 v[74:75], v[74:75], -v[80:81]
	v_add_f64 v[72:73], v[72:73], v[74:75]
	v_add_f64 v[74:75], v[76:77], v[72:73]
	v_add_f64 v[76:77], v[74:75], -v[76:77]
	v_add_f64 v[72:73], v[72:73], -v[76:77]
	v_cvt_f64_i32_e32 v[76:77], v19
	v_mul_f64 v[80:81], v[76:77], s[20:21]
	v_fma_f64 v[82:83], v[76:77], s[20:21], -v[80:81]
	v_fmac_f64_e32 v[82:83], s[22:23], v[76:77]
	v_add_f64 v[76:77], v[80:81], v[82:83]
	v_add_f64 v[80:81], v[76:77], -v[80:81]
	v_add_f64 v[80:81], v[82:83], -v[80:81]
	v_add_f64 v[82:83], v[76:77], v[74:75]
	v_add_f64 v[84:85], v[82:83], -v[76:77]
	v_add_f64 v[86:87], v[82:83], -v[84:85]
	;; [unrolled: 1-line block ×4, first 2 shown]
	v_add_f64 v[74:75], v[74:75], v[76:77]
	v_add_f64 v[76:77], v[80:81], v[72:73]
	v_add_f64 v[84:85], v[76:77], -v[80:81]
	v_add_f64 v[86:87], v[76:77], -v[84:85]
	v_add_f64 v[74:75], v[76:77], v[74:75]
	v_add_f64 v[80:81], v[80:81], -v[86:87]
	v_add_f64 v[72:73], v[72:73], -v[84:85]
	v_add_f64 v[76:77], v[82:83], v[74:75]
	v_add_f64 v[72:73], v[72:73], v[80:81]
	v_add_f64 v[80:81], v[76:77], -v[82:83]
	v_add_f64 v[74:75], v[74:75], -v[80:81]
	v_add_f64 v[72:73], v[72:73], v[74:75]
	v_add_f64 v[72:73], v[76:77], v[72:73]
	v_max_f64 v[74:75], |v[8:9]|, |v[8:9]|
	v_max_f64 v[76:77], |v[6:7]|, |v[6:7]|
	v_max_f64 v[80:81], v[76:77], v[74:75]
	v_min_f64 v[74:75], v[76:77], v[74:75]
	v_div_scale_f64 v[76:77], s[54:55], v[80:81], v[80:81], v[74:75]
	v_rcp_f64_e32 v[82:83], v[76:77]
	v_cmp_neq_f64_e32 vcc, 0, v[78:79]
	v_mul_f64 v[72:73], v[72:73], 0.5
	v_cndmask_b32_e32 v73, v106, v73, vcc
	v_fma_f64 v[78:79], -v[76:77], v[82:83], 1.0
	v_fmac_f64_e32 v[82:83], v[82:83], v[78:79]
	v_fma_f64 v[78:79], -v[76:77], v[82:83], 1.0
	v_cndmask_b32_e32 v72, 0, v72, vcc
	v_fmac_f64_e32 v[82:83], v[82:83], v[78:79]
	v_div_scale_f64 v[78:79], vcc, v[74:75], v[80:81], v[74:75]
	v_mul_f64 v[84:85], v[78:79], v[82:83]
	v_fma_f64 v[76:77], -v[76:77], v[84:85], v[78:79]
	v_pk_mov_b32 v[78:79], v[32:33], v[32:33] op_sel:[0,1]
	s_nop 0
	v_div_fmas_f64 v[76:77], v[76:77], v[82:83], v[84:85]
	v_div_fixup_f64 v[74:75], v[76:77], v[80:81], v[74:75]
	v_mul_f64 v[76:77], v[74:75], v[74:75]
	v_fmac_f64_e32 v[78:79], s[26:27], v[76:77]
	v_pk_mov_b32 v[80:81], v[34:35], v[34:35] op_sel:[0,1]
	v_fmac_f64_e32 v[80:81], v[76:77], v[78:79]
	v_pk_mov_b32 v[78:79], v[36:37], v[36:37] op_sel:[0,1]
	;; [unrolled: 2-line block ×18, first 2 shown]
	v_fmac_f64_e32 v[78:79], v[76:77], v[80:81]
	v_cmp_gt_i32_e32 vcc, 0, v7
	v_mul_f64 v[76:77], v[76:77], v[78:79]
	v_cmp_class_f64_e64 s[56:57], v[6:7], s63
	v_cndmask_b32_e32 v6, v109, v110, vcc
	v_fmac_f64_e32 v[74:75], v[74:75], v[76:77]
	v_bfi_b32 v76, s61, v6, v9
	v_ashrrev_i32_e32 v6, 31, v7
	v_and_b32_e32 v77, 0x400921fb, v6
	v_and_b32_e32 v78, 0x54442d18, v6
	v_add_f64 v[6:7], -v[74:75], s[28:29]
	v_cndmask_b32_e64 v7, v75, v7, s[0:1]
	v_cndmask_b32_e64 v6, v74, v6, s[0:1]
	s_mov_b32 s30, s28
	v_add_f64 v[74:75], -v[6:7], s[30:31]
	v_cmp_class_f64_e64 s[54:55], v[8:9], s63
	v_cndmask_b32_e32 v19, v107, v108, vcc
	v_cndmask_b32_e32 v7, v7, v75, vcc
	;; [unrolled: 1-line block ×3, first 2 shown]
	v_cmp_eq_f64_e32 vcc, 0, v[8:9]
	v_cndmask_b32_e32 v6, v6, v78, vcc
	v_cndmask_b32_e32 v7, v7, v77, vcc
	s_and_b64 vcc, s[56:57], s[54:55]
	v_cndmask_b32_e32 v75, v7, v76, vcc
	v_cndmask_b32_e32 v74, v6, v19, vcc
                                        ; implicit-def: $vgpr80_vgpr81
                                        ; implicit-def: $vgpr76_vgpr77
.LBB186_171:                            ;   in Loop: Header=BB186_162 Depth=1
	s_andn2_saveexec_b64 s[54:55], s[2:3]
	s_cbranch_execz .LBB186_175
; %bb.172:                              ;   in Loop: Header=BB186_162 Depth=1
	v_and_b32_e32 v19, 0x7ffffff8, v81
	v_add_f64 v[72:73], v[80:81], -v[18:19]
	v_and_b32_e32 v89, -8, v73
	v_mov_b32_e32 v88, v18
	v_and_b32_e32 v79, 0x7ffffff8, v77
	v_mov_b32_e32 v78, v18
	v_add_f64 v[92:93], v[72:73], -v[88:89]
	v_add_f64 v[72:73], v[76:77], -v[78:79]
	v_and_b32_e32 v91, -8, v73
	v_mov_b32_e32 v90, v18
	v_add_f64 v[82:83], v[18:19], v[18:19]
	v_add_f64 v[96:97], v[78:79], v[78:79]
	v_add_f64 v[94:95], v[72:73], -v[90:91]
	v_mul_f64 v[74:75], v[78:79], v[78:79]
	v_mul_f64 v[80:81], v[82:83], v[88:89]
	;; [unrolled: 1-line block ×5, first 2 shown]
	v_add_f64 v[88:89], v[88:89], v[88:89]
	v_add_f64 v[90:91], v[90:91], v[90:91]
	v_mul_f64 v[72:73], v[18:19], v[18:19]
	v_mul_f64 v[84:85], v[82:83], v[92:93]
	;; [unrolled: 1-line block ×7, first 2 shown]
	s_mov_b64 s[56:57], 0
.LBB186_173:                            ;   Parent Loop BB186_162 Depth=1
                                        ; =>  This Inner Loop Header: Depth=2
	v_cmp_nlt_f64_e32 vcc, v[72:73], v[74:75]
	v_cndmask_b32_e32 v97, v73, v75, vcc
	v_cndmask_b32_e32 v96, v72, v74, vcc
	v_cmp_nlt_f64_e64 s[2:3], v[96:97], v[80:81]
	v_cndmask_b32_e64 v99, v97, v81, s[2:3]
	v_cndmask_b32_e64 v98, v96, v80, s[2:3]
	v_cndmask_b32_e32 v73, v75, v73, vcc
	v_cndmask_b32_e32 v72, v74, v72, vcc
	s_and_b64 s[58:59], vcc, s[2:3]
	v_cmp_nlt_f64_e32 vcc, v[98:99], v[78:79]
	v_cndmask_b32_e64 v75, v81, v97, s[2:3]
	v_cndmask_b32_e64 v74, v80, v96, s[2:3]
	v_cndmask_b32_e32 v97, v99, v79, vcc
	v_cndmask_b32_e32 v96, v98, v78, vcc
	v_cmp_nlt_f64_e64 s[2:3], v[96:97], v[86:87]
	v_cndmask_b32_e32 v81, v79, v99, vcc
	v_cndmask_b32_e32 v80, v78, v98, vcc
	v_cndmask_b32_e64 v99, v97, v87, s[2:3]
	v_cndmask_b32_e64 v98, v96, v86, s[2:3]
	s_and_b64 s[64:65], vcc, s[2:3]
	v_cmp_nlt_f64_e32 vcc, v[98:99], v[76:77]
	v_cndmask_b32_e64 v79, v87, v97, s[2:3]
	v_cndmask_b32_e64 v78, v86, v96, s[2:3]
	v_cndmask_b32_e32 v97, v99, v77, vcc
	v_cndmask_b32_e32 v96, v98, v76, vcc
	v_cmp_nlt_f64_e64 s[2:3], v[96:97], v[84:85]
	v_cndmask_b32_e32 v87, v77, v99, vcc
	v_cndmask_b32_e32 v86, v76, v98, vcc
	v_cndmask_b32_e64 v99, v97, v85, s[2:3]
	v_cndmask_b32_e64 v98, v96, v84, s[2:3]
	;; [unrolled: 1-line block ×4, first 2 shown]
	s_and_b64 s[2:3], vcc, s[2:3]
	v_cmp_nlt_f64_e32 vcc, v[98:99], v[82:83]
	v_cndmask_b32_e32 v97, v99, v83, vcc
	v_cndmask_b32_e32 v96, v98, v82, vcc
	v_cndmask_b32_e32 v85, v83, v99, vcc
	v_cndmask_b32_e32 v84, v82, v98, vcc
	s_and_b64 s[2:3], s[2:3], vcc
	v_cmp_nlt_f64_e32 vcc, v[96:97], v[88:89]
	v_cndmask_b32_e32 v99, v97, v89, vcc
	v_cndmask_b32_e32 v98, v96, v88, vcc
	v_cndmask_b32_e32 v83, v89, v97, vcc
	v_cndmask_b32_e32 v82, v88, v96, vcc
	s_and_b64 s[2:3], s[2:3], vcc
	;; [unrolled: 6-line block ×4, first 2 shown]
	v_cmp_nlt_f64_e32 vcc, v[98:99], v[94:95]
	s_and_b64 s[2:3], s[2:3], vcc
	s_and_b64 s[2:3], s[2:3], s[64:65]
	s_and_b64 s[2:3], s[2:3], s[58:59]
	v_cndmask_b32_e32 v97, v99, v95, vcc
	v_cndmask_b32_e32 v96, v98, v94, vcc
	s_and_b64 s[2:3], exec, s[2:3]
	v_cndmask_b32_e32 v93, v95, v99, vcc
	v_cndmask_b32_e32 v92, v94, v98, vcc
	s_or_b64 s[56:57], s[2:3], s[56:57]
	v_pk_mov_b32 v[94:95], v[96:97], v[96:97] op_sel:[0,1]
	s_andn2_b64 exec, exec, s[56:57]
	s_cbranch_execnz .LBB186_173
; %bb.174:                              ;   in Loop: Header=BB186_162 Depth=1
	s_or_b64 exec, exec, s[56:57]
	v_add_f64 v[72:73], v[72:73], -1.0
	v_add_f64 v[72:73], v[72:73], v[74:75]
	v_add_f64 v[72:73], v[72:73], v[80:81]
	;; [unrolled: 1-line block ×11, first 2 shown]
	v_add_f64 v[72:73], v[74:75], 1.0
	v_add_f64 v[76:77], v[72:73], -1.0
	v_add_f64 v[78:79], v[76:77], -v[72:73]
	v_add_f64 v[78:79], v[78:79], 1.0
	v_add_f64 v[76:77], v[74:75], -v[76:77]
	v_add_f64 v[76:77], v[76:77], v[78:79]
	v_frexp_mant_f64_e32 v[78:79], v[72:73]
	v_frexp_exp_i32_f64_e32 v19, v[72:73]
	v_cmp_gt_f64_e32 vcc, s[14:15], v[78:79]
	v_subbrev_co_u32_e32 v19, vcc, 0, v19, vcc
	v_sub_u32_e32 v78, 0, v19
	v_ldexp_f64 v[72:73], v[72:73], v78
	v_ldexp_f64 v[76:77], v[76:77], v78
	v_add_f64 v[78:79], v[72:73], -1.0
	v_add_f64 v[84:85], v[72:73], 1.0
	v_add_f64 v[80:81], v[78:79], 1.0
	v_add_f64 v[86:87], v[84:85], -1.0
	v_add_f64 v[80:81], v[72:73], -v[80:81]
	v_add_f64 v[72:73], v[72:73], -v[86:87]
	v_add_f64 v[72:73], v[76:77], v[72:73]
	v_add_f64 v[80:81], v[76:77], v[80:81]
	;; [unrolled: 1-line block ×3, first 2 shown]
	v_rcp_f64_e32 v[86:87], v[76:77]
	v_add_f64 v[82:83], v[78:79], v[80:81]
	v_add_f64 v[78:79], v[82:83], -v[78:79]
	v_add_f64 v[78:79], v[80:81], -v[78:79]
	;; [unrolled: 1-line block ×4, first 2 shown]
	v_fma_f64 v[80:81], -v[76:77], v[86:87], 1.0
	v_fmac_f64_e32 v[86:87], v[80:81], v[86:87]
	v_fma_f64 v[80:81], -v[76:77], v[86:87], 1.0
	v_fmac_f64_e32 v[86:87], v[80:81], v[86:87]
	v_mul_f64 v[80:81], v[82:83], v[86:87]
	v_mul_f64 v[84:85], v[76:77], v[80:81]
	v_fma_f64 v[88:89], v[80:81], v[76:77], -v[84:85]
	v_fmac_f64_e32 v[88:89], v[80:81], v[72:73]
	v_add_f64 v[90:91], v[84:85], v[88:89]
	v_add_f64 v[92:93], v[82:83], -v[90:91]
	v_add_f64 v[82:83], v[82:83], -v[92:93]
	;; [unrolled: 1-line block ×4, first 2 shown]
	v_add_f64 v[78:79], v[78:79], v[82:83]
	v_add_f64 v[82:83], v[84:85], -v[88:89]
	v_add_f64 v[78:79], v[82:83], v[78:79]
	v_add_f64 v[82:83], v[92:93], v[78:79]
	v_add_f64 v[84:85], v[92:93], -v[82:83]
	v_add_f64 v[78:79], v[78:79], v[84:85]
	v_mul_f64 v[84:85], v[86:87], v[82:83]
	v_mul_f64 v[88:89], v[76:77], v[84:85]
	v_fma_f64 v[76:77], v[84:85], v[76:77], -v[88:89]
	v_fmac_f64_e32 v[76:77], v[84:85], v[72:73]
	v_add_f64 v[72:73], v[88:89], v[76:77]
	v_add_f64 v[90:91], v[82:83], -v[72:73]
	v_add_f64 v[82:83], v[82:83], -v[90:91]
	v_add_f64 v[88:89], v[72:73], -v[88:89]
	v_add_f64 v[72:73], v[82:83], -v[72:73]
	v_add_f64 v[72:73], v[78:79], v[72:73]
	v_add_f64 v[76:77], v[88:89], -v[76:77]
	v_add_f64 v[72:73], v[76:77], v[72:73]
	v_add_f64 v[76:77], v[80:81], v[84:85]
	;; [unrolled: 1-line block ×3, first 2 shown]
	v_add_f64 v[78:79], v[76:77], -v[80:81]
	v_mul_f64 v[72:73], v[86:87], v[72:73]
	v_add_f64 v[78:79], v[84:85], -v[78:79]
	v_add_f64 v[72:73], v[78:79], v[72:73]
	v_add_f64 v[78:79], v[76:77], v[72:73]
	v_add_f64 v[76:77], v[78:79], -v[76:77]
	v_add_f64 v[72:73], v[72:73], -v[76:77]
	v_mul_f64 v[76:77], v[78:79], v[78:79]
	v_pk_mov_b32 v[80:81], v[20:21], v[20:21] op_sel:[0,1]
	v_fmac_f64_e32 v[80:81], s[18:19], v[76:77]
	v_pk_mov_b32 v[82:83], v[22:23], v[22:23] op_sel:[0,1]
	v_fmac_f64_e32 v[82:83], v[76:77], v[80:81]
	;; [unrolled: 2-line block ×6, first 2 shown]
	v_cvt_f64_i32_e32 v[80:81], v19
	v_mul_f64 v[84:85], v[80:81], s[20:21]
	v_fma_f64 v[86:87], v[80:81], s[20:21], -v[84:85]
	v_fmac_f64_e32 v[86:87], s[22:23], v[80:81]
	v_add_f64 v[80:81], v[84:85], v[86:87]
	v_add_f64 v[84:85], v[80:81], -v[84:85]
	v_mul_f64 v[76:77], v[78:79], v[76:77]
	v_add_f64 v[84:85], v[86:87], -v[84:85]
	v_ldexp_f64 v[86:87], v[78:79], 1
	v_mul_f64 v[76:77], v[76:77], v[82:83]
	v_add_f64 v[78:79], v[86:87], v[76:77]
	v_add_f64 v[82:83], v[78:79], -v[86:87]
	v_ldexp_f64 v[72:73], v[72:73], 1
	v_add_f64 v[76:77], v[76:77], -v[82:83]
	v_add_f64 v[72:73], v[72:73], v[76:77]
	v_add_f64 v[76:77], v[78:79], v[72:73]
	v_add_f64 v[78:79], v[76:77], -v[78:79]
	v_add_f64 v[72:73], v[72:73], -v[78:79]
	v_add_f64 v[78:79], v[80:81], v[76:77]
	v_add_f64 v[82:83], v[78:79], -v[80:81]
	v_add_f64 v[86:87], v[78:79], -v[82:83]
	;; [unrolled: 1-line block ×4, first 2 shown]
	v_add_f64 v[76:77], v[76:77], v[80:81]
	v_add_f64 v[80:81], v[84:85], v[72:73]
	v_add_f64 v[82:83], v[80:81], -v[84:85]
	v_add_f64 v[76:77], v[80:81], v[76:77]
	v_add_f64 v[86:87], v[80:81], -v[82:83]
	;; [unrolled: 2-line block ×3, first 2 shown]
	v_add_f64 v[72:73], v[72:73], -v[82:83]
	v_add_f64 v[78:79], v[80:81], -v[78:79]
	v_add_f64 v[72:73], v[72:73], v[84:85]
	v_add_f64 v[76:77], v[76:77], -v[78:79]
	v_add_f64 v[72:73], v[72:73], v[76:77]
	v_max_f64 v[76:77], |v[8:9]|, |v[8:9]|
	v_max_f64 v[78:79], |v[6:7]|, |v[6:7]|
	v_add_f64 v[72:73], v[80:81], v[72:73]
	v_max_f64 v[80:81], v[78:79], v[76:77]
	v_min_f64 v[76:77], v[78:79], v[76:77]
	v_div_scale_f64 v[78:79], s[2:3], v[80:81], v[80:81], v[76:77]
	v_cmp_eq_f64_e32 vcc, s[24:25], v[74:75]
	v_rcp_f64_e32 v[82:83], v[78:79]
	v_cndmask_b32_e32 v73, v73, v75, vcc
	v_cndmask_b32_e32 v72, v72, v74, vcc
	v_mul_f64 v[72:73], v[72:73], 0.5
	v_cmp_ngt_f64_e32 vcc, -1.0, v[74:75]
	v_cndmask_b32_e32 v19, v105, v73, vcc
	v_cmp_nge_f64_e32 vcc, -1.0, v[74:75]
	v_cndmask_b32_e32 v72, 0, v72, vcc
	v_cmp_neq_f64_e32 vcc, -1.0, v[74:75]
	v_fma_f64 v[74:75], -v[78:79], v[82:83], 1.0
	v_fmac_f64_e32 v[82:83], v[82:83], v[74:75]
	v_fma_f64 v[74:75], -v[78:79], v[82:83], 1.0
	v_cndmask_b32_e32 v73, v106, v19, vcc
	v_fmac_f64_e32 v[82:83], v[82:83], v[74:75]
	v_div_scale_f64 v[74:75], vcc, v[76:77], v[80:81], v[76:77]
	v_mul_f64 v[84:85], v[74:75], v[82:83]
	v_fma_f64 v[74:75], -v[78:79], v[84:85], v[74:75]
	v_pk_mov_b32 v[78:79], v[32:33], v[32:33] op_sel:[0,1]
	s_nop 0
	v_div_fmas_f64 v[74:75], v[74:75], v[82:83], v[84:85]
	v_div_fixup_f64 v[74:75], v[74:75], v[80:81], v[76:77]
	v_mul_f64 v[76:77], v[74:75], v[74:75]
	v_fmac_f64_e32 v[78:79], s[26:27], v[76:77]
	v_pk_mov_b32 v[80:81], v[34:35], v[34:35] op_sel:[0,1]
	v_fmac_f64_e32 v[80:81], v[76:77], v[78:79]
	v_pk_mov_b32 v[78:79], v[36:37], v[36:37] op_sel:[0,1]
	;; [unrolled: 2-line block ×18, first 2 shown]
	v_fmac_f64_e32 v[78:79], v[76:77], v[80:81]
	v_cmp_gt_i32_e32 vcc, 0, v7
	v_mul_f64 v[76:77], v[76:77], v[78:79]
	v_cmp_class_f64_e64 s[56:57], v[6:7], s63
	v_cndmask_b32_e32 v6, v109, v110, vcc
	v_fmac_f64_e32 v[74:75], v[74:75], v[76:77]
	v_bfi_b32 v76, s61, v6, v9
	v_ashrrev_i32_e32 v6, 31, v7
	v_and_b32_e32 v77, 0x400921fb, v6
	v_and_b32_e32 v78, 0x54442d18, v6
	v_add_f64 v[6:7], -v[74:75], s[28:29]
	v_cndmask_b32_e64 v7, v75, v7, s[0:1]
	v_cndmask_b32_e64 v6, v74, v6, s[0:1]
	s_mov_b32 s30, s28
	v_add_f64 v[74:75], -v[6:7], s[30:31]
	v_cmp_class_f64_e64 s[2:3], v[8:9], s63
	v_cndmask_b32_e32 v19, v107, v108, vcc
	v_cndmask_b32_e32 v7, v7, v75, vcc
	;; [unrolled: 1-line block ×3, first 2 shown]
	v_cmp_eq_f64_e32 vcc, 0, v[8:9]
	v_cndmask_b32_e32 v6, v6, v78, vcc
	v_cndmask_b32_e32 v7, v7, v77, vcc
	s_and_b64 vcc, s[56:57], s[2:3]
	v_cndmask_b32_e32 v75, v7, v76, vcc
	v_cndmask_b32_e32 v74, v6, v19, vcc
.LBB186_175:                            ;   in Loop: Header=BB186_162 Depth=1
	s_or_b64 exec, exec, s[54:55]
.LBB186_176:                            ;   in Loop: Header=BB186_162 Depth=1
	s_or_b64 exec, exec, s[52:53]
.LBB186_177:                            ;   in Loop: Header=BB186_162 Depth=1
	s_andn2_saveexec_b64 s[50:51], s[50:51]
	s_cbranch_execz .LBB186_179
; %bb.178:                              ;   in Loop: Header=BB186_162 Depth=1
	v_max_f64 v[72:73], |v[8:9]|, |v[8:9]|
	v_max_f64 v[74:75], |v[6:7]|, |v[6:7]|
	v_max_f64 v[76:77], v[74:75], v[72:73]
	v_frexp_exp_i32_f64_e32 v19, v[76:77]
	v_sub_u32_e32 v80, 0, v19
	v_ldexp_f64 v[78:79], |v[6:7]|, v80
	v_ldexp_f64 v[80:81], |v[8:9]|, v80
	v_mul_f64 v[80:81], v[80:81], v[80:81]
	v_fmac_f64_e32 v[80:81], v[78:79], v[78:79]
	v_rsq_f64_e32 v[78:79], v[80:81]
	v_cmp_eq_f64_e32 vcc, 0, v[80:81]
	v_cmp_class_f64_e64 s[52:53], v[6:7], s63
	v_cmp_class_f64_e64 s[54:55], v[8:9], s63
	v_mul_f64 v[82:83], v[80:81], v[78:79]
	v_mul_f64 v[78:79], v[78:79], 0.5
	v_fma_f64 v[84:85], -v[78:79], v[82:83], 0.5
	v_fmac_f64_e32 v[82:83], v[82:83], v[84:85]
	v_fmac_f64_e32 v[78:79], v[78:79], v[84:85]
	v_fma_f64 v[84:85], -v[82:83], v[82:83], v[80:81]
	v_fmac_f64_e32 v[82:83], v[84:85], v[78:79]
	v_cndmask_b32_e32 v79, v83, v81, vcc
	v_cndmask_b32_e32 v78, v82, v80, vcc
	v_ldexp_f64 v[78:79], v[78:79], v19
	s_or_b64 vcc, s[52:53], s[54:55]
	v_cndmask_b32_e32 v81, v79, v112, vcc
	v_cndmask_b32_e64 v80, v78, 0, vcc
	v_frexp_mant_f64_e32 v[82:83], v[80:81]
	v_cmp_gt_f64_e64 s[2:3], s[14:15], v[82:83]
	v_cndmask_b32_e64 v19, v111, 2.0, s[2:3]
	v_mul_f64 v[82:83], v[82:83], v[18:19]
	v_add_f64 v[84:85], v[82:83], 1.0
	v_rcp_f64_e32 v[86:87], v[84:85]
	v_add_f64 v[90:91], v[84:85], -1.0
	v_add_f64 v[88:89], v[82:83], -1.0
	v_add_f64 v[82:83], v[82:83], -v[90:91]
	v_fma_f64 v[90:91], -v[84:85], v[86:87], 1.0
	v_fmac_f64_e32 v[86:87], v[90:91], v[86:87]
	v_fma_f64 v[90:91], -v[84:85], v[86:87], 1.0
	v_fmac_f64_e32 v[86:87], v[90:91], v[86:87]
	v_mul_f64 v[90:91], v[88:89], v[86:87]
	v_mul_f64 v[92:93], v[84:85], v[90:91]
	v_fma_f64 v[84:85], v[90:91], v[84:85], -v[92:93]
	v_fmac_f64_e32 v[84:85], v[90:91], v[82:83]
	v_add_f64 v[82:83], v[92:93], v[84:85]
	v_add_f64 v[94:95], v[88:89], -v[82:83]
	v_add_f64 v[92:93], v[82:83], -v[92:93]
	;; [unrolled: 1-line block ×5, first 2 shown]
	v_add_f64 v[82:83], v[84:85], v[82:83]
	v_add_f64 v[82:83], v[94:95], v[82:83]
	v_mul_f64 v[82:83], v[86:87], v[82:83]
	v_add_f64 v[84:85], v[90:91], v[82:83]
	v_add_f64 v[86:87], v[84:85], -v[90:91]
	v_add_f64 v[82:83], v[82:83], -v[86:87]
	v_mul_f64 v[86:87], v[84:85], v[84:85]
	v_pk_mov_b32 v[88:89], v[20:21], v[20:21] op_sel:[0,1]
	v_fmac_f64_e32 v[88:89], s[18:19], v[86:87]
	v_pk_mov_b32 v[90:91], v[22:23], v[22:23] op_sel:[0,1]
	v_fmac_f64_e32 v[90:91], v[86:87], v[88:89]
	;; [unrolled: 2-line block ×6, first 2 shown]
	v_ldexp_f64 v[88:89], v[84:85], 1
	v_mul_f64 v[84:85], v[84:85], v[86:87]
	v_mul_f64 v[84:85], v[84:85], v[90:91]
	v_add_f64 v[86:87], v[88:89], v[84:85]
	v_add_f64 v[88:89], v[86:87], -v[88:89]
	v_ldexp_f64 v[82:83], v[82:83], 1
	v_add_f64 v[84:85], v[84:85], -v[88:89]
	v_add_f64 v[82:83], v[82:83], v[84:85]
	v_frexp_exp_i32_f64_e32 v6, v[80:81]
	v_add_f64 v[84:85], v[86:87], v[82:83]
	v_subbrev_co_u32_e64 v6, s[2:3], 0, v6, s[2:3]
	v_add_f64 v[86:87], v[84:85], -v[86:87]
	v_add_f64 v[82:83], v[82:83], -v[86:87]
	v_cvt_f64_i32_e32 v[86:87], v6
	v_mul_f64 v[88:89], v[86:87], s[20:21]
	v_fma_f64 v[90:91], v[86:87], s[20:21], -v[88:89]
	v_fmac_f64_e32 v[90:91], s[22:23], v[86:87]
	v_add_f64 v[86:87], v[88:89], v[90:91]
	v_add_f64 v[88:89], v[86:87], -v[88:89]
	v_add_f64 v[88:89], v[90:91], -v[88:89]
	v_add_f64 v[90:91], v[86:87], v[84:85]
	v_add_f64 v[92:93], v[90:91], -v[86:87]
	v_add_f64 v[94:95], v[90:91], -v[92:93]
	;; [unrolled: 1-line block ×4, first 2 shown]
	v_add_f64 v[84:85], v[84:85], v[86:87]
	v_add_f64 v[86:87], v[88:89], v[82:83]
	v_add_f64 v[92:93], v[86:87], -v[88:89]
	v_add_f64 v[94:95], v[86:87], -v[92:93]
	v_add_f64 v[84:85], v[86:87], v[84:85]
	v_add_f64 v[88:89], v[88:89], -v[94:95]
	v_add_f64 v[82:83], v[82:83], -v[92:93]
	v_add_f64 v[86:87], v[90:91], v[84:85]
	v_add_f64 v[82:83], v[82:83], v[88:89]
	v_add_f64 v[88:89], v[86:87], -v[90:91]
	v_add_f64 v[84:85], v[84:85], -v[88:89]
	v_add_f64 v[82:83], v[82:83], v[84:85]
	v_add_f64 v[82:83], v[86:87], v[82:83]
	v_cmp_class_f64_e64 s[2:3], v[78:79], s63
	v_min_f64 v[74:75], v[74:75], v[72:73]
	v_cndmask_b32_e64 v6, v83, v79, s[2:3]
	v_cndmask_b32_e64 v19, v82, v78, s[2:3]
	v_div_scale_f64 v[78:79], s[2:3], v[76:77], v[76:77], v[74:75]
	v_rcp_f64_e32 v[82:83], v[78:79]
	v_cndmask_b32_e64 v19, v19, 0, vcc
	v_cndmask_b32_e32 v6, v6, v112, vcc
	v_cmp_ngt_f64_e32 vcc, 0, v[80:81]
	v_cndmask_b32_e32 v6, v105, v6, vcc
	v_cmp_nge_f64_e32 vcc, 0, v[80:81]
	v_cndmask_b32_e32 v72, 0, v19, vcc
	v_cmp_neq_f64_e32 vcc, 0, v[80:81]
	v_fma_f64 v[80:81], -v[78:79], v[82:83], 1.0
	v_fmac_f64_e32 v[82:83], v[82:83], v[80:81]
	v_fma_f64 v[80:81], -v[78:79], v[82:83], 1.0
	v_cndmask_b32_e32 v73, v106, v6, vcc
	v_fmac_f64_e32 v[82:83], v[82:83], v[80:81]
	v_div_scale_f64 v[80:81], vcc, v[74:75], v[76:77], v[74:75]
	v_mul_f64 v[84:85], v[80:81], v[82:83]
	v_fma_f64 v[78:79], -v[78:79], v[84:85], v[80:81]
	v_pk_mov_b32 v[80:81], v[34:35], v[34:35] op_sel:[0,1]
	s_nop 0
	v_div_fmas_f64 v[78:79], v[78:79], v[82:83], v[84:85]
	v_div_fixup_f64 v[74:75], v[78:79], v[76:77], v[74:75]
	v_mul_f64 v[76:77], v[74:75], v[74:75]
	v_pk_mov_b32 v[78:79], v[32:33], v[32:33] op_sel:[0,1]
	v_fmac_f64_e32 v[78:79], s[26:27], v[76:77]
	v_fmac_f64_e32 v[80:81], v[76:77], v[78:79]
	v_pk_mov_b32 v[78:79], v[36:37], v[36:37] op_sel:[0,1]
	v_fmac_f64_e32 v[78:79], v[76:77], v[80:81]
	v_pk_mov_b32 v[80:81], v[38:39], v[38:39] op_sel:[0,1]
	;; [unrolled: 2-line block ×17, first 2 shown]
	v_fmac_f64_e32 v[78:79], v[76:77], v[80:81]
	v_cmp_gt_i32_e32 vcc, 0, v7
	v_mul_f64 v[76:77], v[76:77], v[78:79]
	v_cndmask_b32_e32 v6, v109, v110, vcc
	v_fmac_f64_e32 v[74:75], v[74:75], v[76:77]
	v_bfi_b32 v76, s61, v6, v9
	v_ashrrev_i32_e32 v6, 31, v7
	v_and_b32_e32 v77, 0x400921fb, v6
	v_and_b32_e32 v78, 0x54442d18, v6
	v_add_f64 v[6:7], -v[74:75], s[28:29]
	v_cndmask_b32_e64 v7, v75, v7, s[0:1]
	v_cndmask_b32_e64 v6, v74, v6, s[0:1]
	s_mov_b32 s30, s28
	v_add_f64 v[74:75], -v[6:7], s[30:31]
	v_cndmask_b32_e32 v19, v107, v108, vcc
	v_cndmask_b32_e32 v7, v7, v75, vcc
	;; [unrolled: 1-line block ×3, first 2 shown]
	v_cmp_eq_f64_e32 vcc, 0, v[8:9]
	v_cndmask_b32_e32 v6, v6, v78, vcc
	v_cndmask_b32_e32 v7, v7, v77, vcc
	s_and_b64 vcc, s[52:53], s[54:55]
	v_cndmask_b32_e32 v75, v7, v76, vcc
	v_cndmask_b32_e32 v74, v6, v19, vcc
.LBB186_179:                            ;   in Loop: Header=BB186_162 Depth=1
	s_or_b64 exec, exec, s[50:51]
                                        ; implicit-def: $vgpr76_vgpr77
.LBB186_180:                            ;   in Loop: Header=BB186_162 Depth=1
	s_andn2_saveexec_b64 s[2:3], s[48:49]
	s_cbranch_execz .LBB186_186
; %bb.181:                              ;   in Loop: Header=BB186_162 Depth=1
	v_cmp_ngt_f64_e32 vcc, s[36:37], v[76:77]
                                        ; implicit-def: $vgpr72_vgpr73
                                        ; implicit-def: $vgpr74_vgpr75
	s_and_saveexec_b64 s[48:49], vcc
	s_xor_b64 s[48:49], exec, s[48:49]
	s_cbranch_execz .LBB186_183
; %bb.182:                              ;   in Loop: Header=BB186_162 Depth=1
	v_mul_f64 v[72:73], v[76:77], v[76:77]
	v_add_f64 v[74:75], v[72:73], 1.0
	v_add_f64 v[76:77], v[74:75], -1.0
	v_add_f64 v[78:79], v[76:77], -v[74:75]
	v_add_f64 v[78:79], v[78:79], 1.0
	v_add_f64 v[76:77], v[72:73], -v[76:77]
	v_add_f64 v[76:77], v[76:77], v[78:79]
	v_frexp_mant_f64_e32 v[78:79], v[74:75]
	v_frexp_exp_i32_f64_e32 v19, v[74:75]
	v_cmp_gt_f64_e32 vcc, s[14:15], v[78:79]
	v_subbrev_co_u32_e32 v19, vcc, 0, v19, vcc
	v_sub_u32_e32 v78, 0, v19
	v_ldexp_f64 v[74:75], v[74:75], v78
	v_ldexp_f64 v[76:77], v[76:77], v78
	v_add_f64 v[78:79], v[74:75], -1.0
	v_add_f64 v[84:85], v[74:75], 1.0
	v_add_f64 v[80:81], v[78:79], 1.0
	v_add_f64 v[86:87], v[84:85], -1.0
	v_add_f64 v[80:81], v[74:75], -v[80:81]
	v_add_f64 v[74:75], v[74:75], -v[86:87]
	v_add_f64 v[74:75], v[76:77], v[74:75]
	v_add_f64 v[80:81], v[76:77], v[80:81]
	;; [unrolled: 1-line block ×3, first 2 shown]
	v_rcp_f64_e32 v[86:87], v[76:77]
	v_add_f64 v[82:83], v[78:79], v[80:81]
	v_add_f64 v[78:79], v[78:79], -v[82:83]
	v_add_f64 v[78:79], v[80:81], v[78:79]
	v_add_f64 v[80:81], v[84:85], -v[76:77]
	v_add_f64 v[74:75], v[74:75], v[80:81]
	v_fma_f64 v[80:81], -v[76:77], v[86:87], 1.0
	v_fmac_f64_e32 v[86:87], v[80:81], v[86:87]
	v_fma_f64 v[80:81], -v[76:77], v[86:87], 1.0
	v_fmac_f64_e32 v[86:87], v[80:81], v[86:87]
	v_mul_f64 v[80:81], v[82:83], v[86:87]
	v_mul_f64 v[84:85], v[76:77], v[80:81]
	v_fma_f64 v[88:89], v[80:81], v[76:77], -v[84:85]
	v_fmac_f64_e32 v[88:89], v[80:81], v[74:75]
	v_add_f64 v[90:91], v[84:85], v[88:89]
	v_add_f64 v[92:93], v[82:83], -v[90:91]
	v_add_f64 v[82:83], v[82:83], -v[92:93]
	;; [unrolled: 1-line block ×4, first 2 shown]
	v_add_f64 v[78:79], v[78:79], v[82:83]
	v_add_f64 v[82:83], v[84:85], -v[88:89]
	v_add_f64 v[78:79], v[82:83], v[78:79]
	v_add_f64 v[82:83], v[92:93], v[78:79]
	v_add_f64 v[84:85], v[92:93], -v[82:83]
	v_add_f64 v[78:79], v[78:79], v[84:85]
	v_mul_f64 v[84:85], v[86:87], v[82:83]
	v_mul_f64 v[88:89], v[76:77], v[84:85]
	v_fma_f64 v[76:77], v[84:85], v[76:77], -v[88:89]
	v_fmac_f64_e32 v[76:77], v[84:85], v[74:75]
	v_add_f64 v[74:75], v[88:89], v[76:77]
	v_add_f64 v[90:91], v[82:83], -v[74:75]
	v_add_f64 v[82:83], v[82:83], -v[90:91]
	;; [unrolled: 1-line block ×4, first 2 shown]
	v_add_f64 v[74:75], v[78:79], v[74:75]
	v_add_f64 v[76:77], v[88:89], -v[76:77]
	v_add_f64 v[74:75], v[76:77], v[74:75]
	v_add_f64 v[76:77], v[80:81], v[84:85]
	;; [unrolled: 1-line block ×3, first 2 shown]
	v_add_f64 v[78:79], v[76:77], -v[80:81]
	v_mul_f64 v[74:75], v[86:87], v[74:75]
	v_add_f64 v[78:79], v[84:85], -v[78:79]
	v_add_f64 v[74:75], v[78:79], v[74:75]
	v_add_f64 v[78:79], v[76:77], v[74:75]
	v_add_f64 v[76:77], v[78:79], -v[76:77]
	v_add_f64 v[74:75], v[74:75], -v[76:77]
	v_mul_f64 v[76:77], v[78:79], v[78:79]
	v_pk_mov_b32 v[80:81], v[20:21], v[20:21] op_sel:[0,1]
	v_fmac_f64_e32 v[80:81], s[18:19], v[76:77]
	v_pk_mov_b32 v[82:83], v[22:23], v[22:23] op_sel:[0,1]
	v_fmac_f64_e32 v[82:83], v[76:77], v[80:81]
	;; [unrolled: 2-line block ×6, first 2 shown]
	v_cvt_f64_i32_e32 v[80:81], v19
	v_mul_f64 v[84:85], v[80:81], s[20:21]
	v_fma_f64 v[86:87], v[80:81], s[20:21], -v[84:85]
	v_fmac_f64_e32 v[86:87], s[22:23], v[80:81]
	v_add_f64 v[80:81], v[84:85], v[86:87]
	v_add_f64 v[84:85], v[80:81], -v[84:85]
	v_mul_f64 v[76:77], v[78:79], v[76:77]
	v_add_f64 v[84:85], v[86:87], -v[84:85]
	v_ldexp_f64 v[86:87], v[78:79], 1
	v_mul_f64 v[76:77], v[76:77], v[82:83]
	v_add_f64 v[78:79], v[86:87], v[76:77]
	v_add_f64 v[82:83], v[78:79], -v[86:87]
	v_ldexp_f64 v[74:75], v[74:75], 1
	v_add_f64 v[76:77], v[76:77], -v[82:83]
	v_add_f64 v[74:75], v[74:75], v[76:77]
	v_add_f64 v[76:77], v[78:79], v[74:75]
	v_add_f64 v[78:79], v[76:77], -v[78:79]
	v_add_f64 v[74:75], v[74:75], -v[78:79]
	v_add_f64 v[78:79], v[80:81], v[76:77]
	v_add_f64 v[82:83], v[78:79], -v[80:81]
	v_add_f64 v[86:87], v[78:79], -v[82:83]
	;; [unrolled: 1-line block ×4, first 2 shown]
	v_add_f64 v[76:77], v[76:77], v[80:81]
	v_add_f64 v[80:81], v[84:85], v[74:75]
	v_add_f64 v[82:83], v[80:81], -v[84:85]
	v_add_f64 v[76:77], v[80:81], v[76:77]
	v_add_f64 v[86:87], v[80:81], -v[82:83]
	;; [unrolled: 2-line block ×3, first 2 shown]
	v_add_f64 v[74:75], v[74:75], -v[82:83]
	v_add_f64 v[78:79], v[80:81], -v[78:79]
	v_add_f64 v[74:75], v[74:75], v[84:85]
	v_add_f64 v[76:77], v[76:77], -v[78:79]
	v_add_f64 v[74:75], v[74:75], v[76:77]
	v_max_f64 v[76:77], |v[8:9]|, |v[8:9]|
	v_max_f64 v[78:79], |v[6:7]|, |v[6:7]|
	v_add_f64 v[74:75], v[80:81], v[74:75]
	v_max_f64 v[80:81], v[78:79], v[76:77]
	v_min_f64 v[76:77], v[78:79], v[76:77]
	v_div_scale_f64 v[78:79], s[50:51], v[80:81], v[80:81], v[76:77]
	v_rcp_f64_e32 v[82:83], v[78:79]
	v_cmp_eq_f64_e32 vcc, s[24:25], v[72:73]
	v_cndmask_b32_e32 v73, v75, v73, vcc
	v_cndmask_b32_e32 v72, v74, v72, vcc
	v_fma_f64 v[74:75], -v[78:79], v[82:83], 1.0
	v_fmac_f64_e32 v[82:83], v[82:83], v[74:75]
	v_fma_f64 v[74:75], -v[78:79], v[82:83], 1.0
	v_fmac_f64_e32 v[82:83], v[82:83], v[74:75]
	v_div_scale_f64 v[74:75], vcc, v[76:77], v[80:81], v[76:77]
	v_mul_f64 v[84:85], v[74:75], v[82:83]
	v_fma_f64 v[74:75], -v[78:79], v[84:85], v[74:75]
	v_pk_mov_b32 v[78:79], v[32:33], v[32:33] op_sel:[0,1]
	s_nop 0
	v_div_fmas_f64 v[74:75], v[74:75], v[82:83], v[84:85]
	v_div_fixup_f64 v[74:75], v[74:75], v[80:81], v[76:77]
	v_mul_f64 v[76:77], v[74:75], v[74:75]
	v_fmac_f64_e32 v[78:79], s[26:27], v[76:77]
	v_pk_mov_b32 v[80:81], v[34:35], v[34:35] op_sel:[0,1]
	v_fmac_f64_e32 v[80:81], v[76:77], v[78:79]
	v_pk_mov_b32 v[78:79], v[36:37], v[36:37] op_sel:[0,1]
	;; [unrolled: 2-line block ×18, first 2 shown]
	v_fmac_f64_e32 v[78:79], v[76:77], v[80:81]
	v_cmp_gt_i32_e32 vcc, 0, v7
	v_mul_f64 v[76:77], v[76:77], v[78:79]
	v_cmp_class_f64_e64 s[52:53], v[6:7], s63
	v_cndmask_b32_e32 v6, v109, v110, vcc
	v_fmac_f64_e32 v[74:75], v[74:75], v[76:77]
	v_bfi_b32 v76, s61, v6, v9
	v_ashrrev_i32_e32 v6, 31, v7
	v_and_b32_e32 v77, 0x400921fb, v6
	v_and_b32_e32 v78, 0x54442d18, v6
	v_add_f64 v[6:7], -v[74:75], s[28:29]
	v_cndmask_b32_e64 v7, v75, v7, s[0:1]
	v_cndmask_b32_e64 v6, v74, v6, s[0:1]
	s_mov_b32 s30, s28
	v_add_f64 v[74:75], -v[6:7], s[30:31]
	v_cmp_class_f64_e64 s[50:51], v[8:9], s63
	v_cndmask_b32_e32 v19, v107, v108, vcc
	v_cndmask_b32_e32 v7, v7, v75, vcc
	;; [unrolled: 1-line block ×3, first 2 shown]
	v_cmp_eq_f64_e32 vcc, 0, v[8:9]
	v_cndmask_b32_e32 v6, v6, v78, vcc
	v_cndmask_b32_e32 v7, v7, v77, vcc
	s_and_b64 vcc, s[52:53], s[50:51]
	v_mul_f64 v[72:73], v[72:73], 0.5
	v_cndmask_b32_e32 v75, v7, v76, vcc
	v_cndmask_b32_e32 v74, v6, v19, vcc
                                        ; implicit-def: $vgpr76_vgpr77
.LBB186_183:                            ;   in Loop: Header=BB186_162 Depth=1
	s_andn2_saveexec_b64 s[48:49], s[48:49]
	s_cbranch_execz .LBB186_185
; %bb.184:                              ;   in Loop: Header=BB186_162 Depth=1
	v_max_f64 v[72:73], |v[8:9]|, |v[8:9]|
	v_max_f64 v[74:75], |v[6:7]|, |v[6:7]|
	v_max_f64 v[78:79], v[74:75], v[72:73]
	v_min_f64 v[74:75], v[74:75], v[72:73]
	v_div_scale_f64 v[80:81], s[50:51], v[78:79], v[78:79], v[74:75]
	v_rcp_f64_e32 v[82:83], v[80:81]
	v_mul_f64 v[72:73], v[76:77], 0.5
	v_mul_f64 v[72:73], v[76:77], v[72:73]
	v_cmp_class_f64_e64 s[52:53], v[6:7], s63
	v_fma_f64 v[76:77], -v[80:81], v[82:83], 1.0
	v_fmac_f64_e32 v[82:83], v[82:83], v[76:77]
	v_fma_f64 v[76:77], -v[80:81], v[82:83], 1.0
	v_fmac_f64_e32 v[82:83], v[82:83], v[76:77]
	v_div_scale_f64 v[76:77], vcc, v[74:75], v[78:79], v[74:75]
	v_mul_f64 v[84:85], v[76:77], v[82:83]
	v_fma_f64 v[76:77], -v[80:81], v[84:85], v[76:77]
	v_pk_mov_b32 v[80:81], v[34:35], v[34:35] op_sel:[0,1]
	s_nop 0
	v_div_fmas_f64 v[76:77], v[76:77], v[82:83], v[84:85]
	v_div_fixup_f64 v[74:75], v[76:77], v[78:79], v[74:75]
	v_mul_f64 v[76:77], v[74:75], v[74:75]
	v_pk_mov_b32 v[78:79], v[32:33], v[32:33] op_sel:[0,1]
	v_fmac_f64_e32 v[78:79], s[26:27], v[76:77]
	v_fmac_f64_e32 v[80:81], v[76:77], v[78:79]
	v_pk_mov_b32 v[78:79], v[36:37], v[36:37] op_sel:[0,1]
	v_fmac_f64_e32 v[78:79], v[76:77], v[80:81]
	v_pk_mov_b32 v[80:81], v[38:39], v[38:39] op_sel:[0,1]
	;; [unrolled: 2-line block ×17, first 2 shown]
	v_fmac_f64_e32 v[78:79], v[76:77], v[80:81]
	v_cmp_gt_i32_e32 vcc, 0, v7
	v_mul_f64 v[76:77], v[76:77], v[78:79]
	v_cndmask_b32_e32 v6, v109, v110, vcc
	v_fmac_f64_e32 v[74:75], v[74:75], v[76:77]
	v_bfi_b32 v76, s61, v6, v9
	v_ashrrev_i32_e32 v6, 31, v7
	v_and_b32_e32 v77, 0x400921fb, v6
	v_and_b32_e32 v78, 0x54442d18, v6
	v_add_f64 v[6:7], -v[74:75], s[28:29]
	v_cndmask_b32_e64 v7, v75, v7, s[0:1]
	v_cndmask_b32_e64 v6, v74, v6, s[0:1]
	s_mov_b32 s30, s28
	v_add_f64 v[74:75], -v[6:7], s[30:31]
	v_cmp_class_f64_e64 s[50:51], v[8:9], s63
	v_cndmask_b32_e32 v19, v107, v108, vcc
	v_cndmask_b32_e32 v7, v7, v75, vcc
	;; [unrolled: 1-line block ×3, first 2 shown]
	v_cmp_eq_f64_e32 vcc, 0, v[8:9]
	v_cndmask_b32_e32 v6, v6, v78, vcc
	v_cndmask_b32_e32 v7, v7, v77, vcc
	s_and_b64 vcc, s[52:53], s[50:51]
	v_cndmask_b32_e32 v75, v7, v76, vcc
	v_cndmask_b32_e32 v74, v6, v19, vcc
.LBB186_185:                            ;   in Loop: Header=BB186_162 Depth=1
	s_or_b64 exec, exec, s[48:49]
.LBB186_186:                            ;   in Loop: Header=BB186_162 Depth=1
	s_or_b64 exec, exec, s[2:3]
.LBB186_187:                            ;   in Loop: Header=BB186_162 Depth=1
	s_andn2_saveexec_b64 s[48:49], s[4:5]
	s_cbranch_execz .LBB186_189
; %bb.188:                              ;   in Loop: Header=BB186_162 Depth=1
	v_div_scale_f64 v[72:73], s[2:3], s[38:39], s[38:39], v[6:7]
	v_rcp_f64_e32 v[74:75], v[72:73]
	v_div_scale_f64 v[76:77], vcc, v[6:7], s[38:39], v[6:7]
	s_mov_b32 s30, s28
	v_fma_f64 v[78:79], -v[72:73], v[74:75], 1.0
	v_fmac_f64_e32 v[74:75], v[74:75], v[78:79]
	v_fma_f64 v[78:79], -v[72:73], v[74:75], 1.0
	v_fmac_f64_e32 v[74:75], v[74:75], v[78:79]
	v_mul_f64 v[78:79], v[76:77], v[74:75]
	v_fma_f64 v[72:73], -v[72:73], v[78:79], v[76:77]
	v_div_scale_f64 v[76:77], s[2:3], s[38:39], s[38:39], v[8:9]
	v_rcp_f64_e32 v[80:81], v[76:77]
	v_div_fmas_f64 v[72:73], v[72:73], v[74:75], v[78:79]
	v_div_fixup_f64 v[72:73], v[72:73], s[38:39], v[6:7]
	v_cmp_class_f64_e64 s[4:5], v[72:73], s63
	v_fma_f64 v[74:75], -v[76:77], v[80:81], 1.0
	v_fmac_f64_e32 v[80:81], v[80:81], v[74:75]
	v_fma_f64 v[74:75], -v[76:77], v[80:81], 1.0
	v_fmac_f64_e32 v[80:81], v[80:81], v[74:75]
	v_div_scale_f64 v[74:75], vcc, v[8:9], s[38:39], v[8:9]
	v_mul_f64 v[78:79], v[74:75], v[80:81]
	v_fma_f64 v[74:75], -v[76:77], v[78:79], v[74:75]
	s_nop 1
	v_div_fmas_f64 v[74:75], v[74:75], v[80:81], v[78:79]
	v_div_fixup_f64 v[74:75], v[74:75], s[38:39], v[8:9]
	v_max_f64 v[76:77], |v[72:73]|, |v[74:75]|
	v_frexp_exp_i32_f64_e32 v19, v[76:77]
	v_sub_u32_e32 v78, 0, v19
	v_ldexp_f64 v[76:77], |v[72:73]|, v78
	v_ldexp_f64 v[78:79], |v[74:75]|, v78
	v_mul_f64 v[78:79], v[78:79], v[78:79]
	v_fmac_f64_e32 v[78:79], v[76:77], v[76:77]
	v_rsq_f64_e32 v[76:77], v[78:79]
	v_cmp_eq_f64_e32 vcc, 0, v[78:79]
	v_cmp_o_f64_e64 s[2:3], v[72:73], v[74:75]
	v_cmp_class_f64_e64 s[50:51], v[74:75], s63
	v_mul_f64 v[80:81], v[78:79], v[76:77]
	v_mul_f64 v[76:77], v[76:77], 0.5
	v_fma_f64 v[82:83], -v[76:77], v[80:81], 0.5
	v_fmac_f64_e32 v[80:81], v[80:81], v[82:83]
	v_fmac_f64_e32 v[76:77], v[76:77], v[82:83]
	v_fma_f64 v[82:83], -v[80:81], v[80:81], v[78:79]
	v_fmac_f64_e32 v[80:81], v[82:83], v[76:77]
	v_cndmask_b32_e32 v77, v81, v79, vcc
	v_cndmask_b32_e32 v76, v80, v78, vcc
	v_ldexp_f64 v[76:77], v[76:77], v19
	v_cndmask_b32_e64 v90, 0, v76, s[2:3]
	v_cndmask_b32_e64 v91, v105, v77, s[2:3]
	s_or_b64 vcc, s[4:5], s[50:51]
	v_cndmask_b32_e32 v75, v91, v112, vcc
	v_cndmask_b32_e64 v74, v90, 0, vcc
	v_frexp_mant_f64_e32 v[72:73], v[74:75]
	v_cmp_gt_f64_e64 s[4:5], s[14:15], v[72:73]
	v_cndmask_b32_e64 v19, v111, 2.0, s[4:5]
	v_frexp_exp_i32_f64_e32 v78, v[74:75]
	v_mul_f64 v[72:73], v[72:73], v[18:19]
	v_subbrev_co_u32_e64 v19, s[4:5], 0, v78, s[4:5]
	v_add_f64 v[78:79], v[72:73], 1.0
	v_rcp_f64_e32 v[80:81], v[78:79]
	v_add_f64 v[84:85], v[78:79], -1.0
	v_add_f64 v[82:83], v[72:73], -1.0
	v_add_f64 v[72:73], v[72:73], -v[84:85]
	v_fma_f64 v[84:85], -v[78:79], v[80:81], 1.0
	v_fmac_f64_e32 v[80:81], v[84:85], v[80:81]
	v_fma_f64 v[84:85], -v[78:79], v[80:81], 1.0
	v_fmac_f64_e32 v[80:81], v[84:85], v[80:81]
	v_mul_f64 v[84:85], v[82:83], v[80:81]
	v_mul_f64 v[86:87], v[78:79], v[84:85]
	v_fma_f64 v[78:79], v[84:85], v[78:79], -v[86:87]
	v_fmac_f64_e32 v[78:79], v[84:85], v[72:73]
	v_add_f64 v[72:73], v[86:87], v[78:79]
	v_add_f64 v[88:89], v[82:83], -v[72:73]
	v_add_f64 v[86:87], v[72:73], -v[86:87]
	;; [unrolled: 1-line block ×5, first 2 shown]
	v_add_f64 v[72:73], v[78:79], v[72:73]
	v_add_f64 v[72:73], v[88:89], v[72:73]
	v_mul_f64 v[72:73], v[80:81], v[72:73]
	v_add_f64 v[78:79], v[84:85], v[72:73]
	v_add_f64 v[80:81], v[78:79], -v[84:85]
	v_add_f64 v[72:73], v[72:73], -v[80:81]
	v_mul_f64 v[80:81], v[78:79], v[78:79]
	v_pk_mov_b32 v[82:83], v[20:21], v[20:21] op_sel:[0,1]
	v_fmac_f64_e32 v[82:83], s[18:19], v[80:81]
	v_pk_mov_b32 v[84:85], v[22:23], v[22:23] op_sel:[0,1]
	v_fmac_f64_e32 v[84:85], v[80:81], v[82:83]
	;; [unrolled: 2-line block ×6, first 2 shown]
	v_ldexp_f64 v[82:83], v[78:79], 1
	v_mul_f64 v[78:79], v[78:79], v[80:81]
	v_mul_f64 v[78:79], v[78:79], v[84:85]
	v_add_f64 v[80:81], v[82:83], v[78:79]
	v_add_f64 v[82:83], v[80:81], -v[82:83]
	v_ldexp_f64 v[72:73], v[72:73], 1
	v_add_f64 v[78:79], v[78:79], -v[82:83]
	v_add_f64 v[72:73], v[72:73], v[78:79]
	v_add_f64 v[78:79], v[80:81], v[72:73]
	v_add_f64 v[80:81], v[78:79], -v[80:81]
	v_add_f64 v[72:73], v[72:73], -v[80:81]
	v_cvt_f64_i32_e32 v[80:81], v19
	v_mul_f64 v[82:83], v[80:81], s[20:21]
	v_fma_f64 v[84:85], v[80:81], s[20:21], -v[82:83]
	v_fmac_f64_e32 v[84:85], s[22:23], v[80:81]
	v_add_f64 v[80:81], v[82:83], v[84:85]
	v_add_f64 v[82:83], v[80:81], -v[82:83]
	v_add_f64 v[82:83], v[84:85], -v[82:83]
	v_add_f64 v[84:85], v[80:81], v[78:79]
	v_add_f64 v[86:87], v[84:85], -v[80:81]
	v_add_f64 v[88:89], v[84:85], -v[86:87]
	;; [unrolled: 1-line block ×4, first 2 shown]
	v_add_f64 v[78:79], v[78:79], v[80:81]
	v_add_f64 v[80:81], v[82:83], v[72:73]
	v_add_f64 v[86:87], v[80:81], -v[82:83]
	v_add_f64 v[88:89], v[80:81], -v[86:87]
	v_add_f64 v[78:79], v[80:81], v[78:79]
	v_add_f64 v[82:83], v[82:83], -v[88:89]
	v_add_f64 v[72:73], v[72:73], -v[86:87]
	v_add_f64 v[80:81], v[84:85], v[78:79]
	v_add_f64 v[72:73], v[72:73], v[82:83]
	v_add_f64 v[82:83], v[80:81], -v[84:85]
	v_add_f64 v[78:79], v[78:79], -v[82:83]
	v_and_b32_e32 v77, 0x7fffffff, v77
	v_add_f64 v[72:73], v[72:73], v[78:79]
	v_cmp_eq_f64_e64 s[4:5], s[24:25], v[76:77]
	v_add_f64 v[72:73], v[80:81], v[72:73]
	s_and_b64 s[2:3], s[2:3], s[4:5]
	v_cndmask_b32_e64 v73, v73, v91, s[2:3]
	v_cndmask_b32_e64 v72, v72, v90, s[2:3]
	v_add_f64 v[72:73], v[72:73], 1.0
	v_cndmask_b32_e64 v19, v72, 0, vcc
	v_cndmask_b32_e32 v72, v73, v112, vcc
	v_cmp_ngt_f64_e32 vcc, 0, v[74:75]
	v_cndmask_b32_e32 v84, v105, v72, vcc
	v_max_f64 v[72:73], |v[8:9]|, |v[8:9]|
	v_max_f64 v[76:77], |v[6:7]|, |v[6:7]|
	v_max_f64 v[78:79], v[76:77], v[72:73]
	v_min_f64 v[76:77], v[76:77], v[72:73]
	v_div_scale_f64 v[80:81], s[2:3], v[78:79], v[78:79], v[76:77]
	v_rcp_f64_e32 v[82:83], v[80:81]
	v_cmp_nge_f64_e32 vcc, 0, v[74:75]
	v_cndmask_b32_e32 v72, 0, v19, vcc
	v_cmp_neq_f64_e32 vcc, 0, v[74:75]
	v_fma_f64 v[74:75], -v[80:81], v[82:83], 1.0
	v_fmac_f64_e32 v[82:83], v[82:83], v[74:75]
	v_fma_f64 v[74:75], -v[80:81], v[82:83], 1.0
	v_cndmask_b32_e32 v73, v106, v84, vcc
	v_fmac_f64_e32 v[82:83], v[82:83], v[74:75]
	v_div_scale_f64 v[74:75], vcc, v[76:77], v[78:79], v[76:77]
	v_mul_f64 v[84:85], v[74:75], v[82:83]
	v_fma_f64 v[74:75], -v[80:81], v[84:85], v[74:75]
	v_pk_mov_b32 v[80:81], v[34:35], v[34:35] op_sel:[0,1]
	s_nop 0
	v_div_fmas_f64 v[74:75], v[74:75], v[82:83], v[84:85]
	v_div_fixup_f64 v[74:75], v[74:75], v[78:79], v[76:77]
	v_mul_f64 v[76:77], v[74:75], v[74:75]
	v_pk_mov_b32 v[78:79], v[32:33], v[32:33] op_sel:[0,1]
	v_fmac_f64_e32 v[78:79], s[26:27], v[76:77]
	v_fmac_f64_e32 v[80:81], v[76:77], v[78:79]
	v_pk_mov_b32 v[78:79], v[36:37], v[36:37] op_sel:[0,1]
	v_fmac_f64_e32 v[78:79], v[76:77], v[80:81]
	v_pk_mov_b32 v[80:81], v[38:39], v[38:39] op_sel:[0,1]
	;; [unrolled: 2-line block ×17, first 2 shown]
	v_fmac_f64_e32 v[78:79], v[76:77], v[80:81]
	v_cmp_gt_i32_e32 vcc, 0, v7
	v_mul_f64 v[76:77], v[76:77], v[78:79]
	v_cmp_class_f64_e64 s[4:5], v[6:7], s63
	v_cndmask_b32_e32 v6, v109, v110, vcc
	v_fmac_f64_e32 v[74:75], v[74:75], v[76:77]
	v_bfi_b32 v76, s61, v6, v9
	v_ashrrev_i32_e32 v6, 31, v7
	v_and_b32_e32 v77, 0x400921fb, v6
	v_and_b32_e32 v78, 0x54442d18, v6
	v_add_f64 v[6:7], -v[74:75], s[28:29]
	v_cndmask_b32_e64 v7, v75, v7, s[0:1]
	v_cndmask_b32_e64 v6, v74, v6, s[0:1]
	v_add_f64 v[74:75], -v[6:7], s[30:31]
	v_cmp_class_f64_e64 s[2:3], v[8:9], s63
	v_cndmask_b32_e32 v19, v107, v108, vcc
	v_cndmask_b32_e32 v7, v7, v75, vcc
	;; [unrolled: 1-line block ×3, first 2 shown]
	v_cmp_eq_f64_e32 vcc, 0, v[8:9]
	v_cndmask_b32_e32 v6, v6, v78, vcc
	v_cndmask_b32_e32 v7, v7, v77, vcc
	s_and_b64 vcc, s[4:5], s[2:3]
	v_cndmask_b32_e32 v75, v7, v76, vcc
	v_cndmask_b32_e32 v74, v6, v19, vcc
.LBB186_189:                            ;   in Loop: Header=BB186_162 Depth=1
	s_or_b64 exec, exec, s[48:49]
.LBB186_190:                            ;   in Loop: Header=BB186_162 Depth=1
	s_andn2_saveexec_b64 s[0:1], s[46:47]
	s_cbranch_execz .LBB186_196
; %bb.191:                              ;   in Loop: Header=BB186_162 Depth=1
	v_cmp_nlt_f64_e64 s[2:3], |v[6:7]|, s[40:41]
	v_cmp_nlt_f64_e64 s[4:5], |v[8:9]|, s[40:41]
	s_or_b64 s[2:3], s[2:3], s[4:5]
                                        ; implicit-def: $vgpr74_vgpr75
	s_and_saveexec_b64 s[4:5], s[2:3]
	s_xor_b64 s[2:3], exec, s[4:5]
; %bb.192:                              ;   in Loop: Header=BB186_162 Depth=1
	v_mul_f64 v[74:75], v[8:9], v[8:9]
	v_fmac_f64_e32 v[74:75], v[6:7], v[6:7]
; %bb.193:                              ;   in Loop: Header=BB186_162 Depth=1
	s_andn2_saveexec_b64 s[2:3], s[2:3]
; %bb.194:                              ;   in Loop: Header=BB186_162 Depth=1
	v_mul_f64 v[72:73], v[8:9], 4.0
	v_mul_f64 v[6:7], v[6:7], 4.0
	v_mul_f64 v[72:73], v[72:73], v[72:73]
	v_fmac_f64_e32 v[72:73], v[6:7], v[6:7]
	v_ldexp_f64 v[74:75], v[72:73], -4
; %bb.195:                              ;   in Loop: Header=BB186_162 Depth=1
	s_or_b64 exec, exec, s[2:3]
	v_frexp_mant_f64_e32 v[6:7], v[74:75]
	v_cmp_gt_f64_e32 vcc, s[14:15], v[6:7]
	v_cndmask_b32_e64 v19, v111, 2.0, vcc
	v_mul_f64 v[6:7], v[6:7], v[18:19]
	v_add_f64 v[72:73], v[6:7], 1.0
	v_rcp_f64_e32 v[76:77], v[72:73]
	v_add_f64 v[80:81], v[72:73], -1.0
	v_add_f64 v[78:79], v[6:7], -1.0
	v_add_f64 v[6:7], v[6:7], -v[80:81]
	v_fma_f64 v[80:81], -v[72:73], v[76:77], 1.0
	v_fmac_f64_e32 v[76:77], v[80:81], v[76:77]
	v_fma_f64 v[80:81], -v[72:73], v[76:77], 1.0
	v_fmac_f64_e32 v[76:77], v[80:81], v[76:77]
	v_mul_f64 v[80:81], v[78:79], v[76:77]
	v_mul_f64 v[82:83], v[72:73], v[80:81]
	v_fma_f64 v[72:73], v[80:81], v[72:73], -v[82:83]
	v_fmac_f64_e32 v[72:73], v[80:81], v[6:7]
	v_add_f64 v[6:7], v[82:83], v[72:73]
	v_add_f64 v[84:85], v[78:79], -v[6:7]
	v_add_f64 v[82:83], v[6:7], -v[82:83]
	;; [unrolled: 1-line block ×5, first 2 shown]
	v_add_f64 v[6:7], v[72:73], v[6:7]
	v_add_f64 v[6:7], v[84:85], v[6:7]
	v_mul_f64 v[6:7], v[76:77], v[6:7]
	v_add_f64 v[72:73], v[80:81], v[6:7]
	v_add_f64 v[76:77], v[72:73], -v[80:81]
	v_add_f64 v[6:7], v[6:7], -v[76:77]
	v_mul_f64 v[76:77], v[72:73], v[72:73]
	v_pk_mov_b32 v[78:79], v[20:21], v[20:21] op_sel:[0,1]
	v_fmac_f64_e32 v[78:79], s[18:19], v[76:77]
	v_pk_mov_b32 v[80:81], v[22:23], v[22:23] op_sel:[0,1]
	v_fmac_f64_e32 v[80:81], v[76:77], v[78:79]
	;; [unrolled: 2-line block ×6, first 2 shown]
	v_ldexp_f64 v[78:79], v[72:73], 1
	v_mul_f64 v[72:73], v[72:73], v[76:77]
	v_mul_f64 v[72:73], v[72:73], v[80:81]
	v_add_f64 v[76:77], v[78:79], v[72:73]
	v_add_f64 v[78:79], v[76:77], -v[78:79]
	v_ldexp_f64 v[6:7], v[6:7], 1
	v_add_f64 v[72:73], v[72:73], -v[78:79]
	v_add_f64 v[6:7], v[6:7], v[72:73]
	v_frexp_exp_i32_f64_e32 v8, v[74:75]
	v_add_f64 v[72:73], v[76:77], v[6:7]
	v_subbrev_co_u32_e32 v8, vcc, 0, v8, vcc
	v_add_f64 v[76:77], v[72:73], -v[76:77]
	v_add_f64 v[6:7], v[6:7], -v[76:77]
	v_cvt_f64_i32_e32 v[76:77], v8
	v_mul_f64 v[78:79], v[76:77], s[20:21]
	v_fma_f64 v[80:81], v[76:77], s[20:21], -v[78:79]
	v_fmac_f64_e32 v[80:81], s[22:23], v[76:77]
	v_add_f64 v[76:77], v[78:79], v[80:81]
	v_add_f64 v[78:79], v[76:77], -v[78:79]
	v_add_f64 v[78:79], v[80:81], -v[78:79]
	v_add_f64 v[80:81], v[76:77], v[72:73]
	v_add_f64 v[82:83], v[80:81], -v[76:77]
	v_add_f64 v[84:85], v[80:81], -v[82:83]
	;; [unrolled: 1-line block ×4, first 2 shown]
	v_add_f64 v[72:73], v[72:73], v[76:77]
	v_add_f64 v[76:77], v[78:79], v[6:7]
	v_add_f64 v[82:83], v[76:77], -v[78:79]
	v_add_f64 v[84:85], v[76:77], -v[82:83]
	v_add_f64 v[72:73], v[76:77], v[72:73]
	v_add_f64 v[78:79], v[78:79], -v[84:85]
	v_add_f64 v[6:7], v[6:7], -v[82:83]
	v_add_f64 v[76:77], v[80:81], v[72:73]
	v_add_f64 v[6:7], v[6:7], v[78:79]
	v_add_f64 v[78:79], v[76:77], -v[80:81]
	v_add_f64 v[72:73], v[72:73], -v[78:79]
	v_add_f64 v[6:7], v[6:7], v[72:73]
	v_add_f64 v[6:7], v[76:77], v[6:7]
	v_cmp_class_f64_e64 vcc, v[74:75], s63
	v_cndmask_b32_e32 v6, v6, v74, vcc
	v_cndmask_b32_e32 v7, v7, v75, vcc
	v_cmp_ngt_f64_e32 vcc, 0, v[74:75]
	v_cndmask_b32_e32 v7, v105, v7, vcc
	v_cmp_nge_f64_e32 vcc, 0, v[74:75]
	v_cndmask_b32_e32 v72, 0, v6, vcc
	v_cmp_neq_f64_e32 vcc, 0, v[74:75]
	v_mov_b32_e32 v74, 0
	v_cndmask_b32_e32 v73, v106, v7, vcc
	v_mov_b32_e32 v75, 0x7ff80000
.LBB186_196:                            ;   in Loop: Header=BB186_162 Depth=1
	s_or_b64 exec, exec, s[0:1]
	v_cmp_o_f64_e32 vcc, v[10:11], v[12:13]
                                        ; implicit-def: $vgpr6_vgpr7
                                        ; implicit-def: $vgpr76_vgpr77
	s_and_saveexec_b64 s[0:1], vcc
	s_xor_b64 s[46:47], exec, s[0:1]
	s_cbranch_execz .LBB186_224
; %bb.197:                              ;   in Loop: Header=BB186_162 Depth=1
	v_and_b32_e32 v80, 0x7fffffff, v11
	v_and_b32_e32 v19, 0x7fffffff, v13
	v_mov_b32_e32 v8, v12
	v_cmp_lt_f64_e64 s[0:1], |v[10:11]|, |v[12:13]|
	v_cndmask_b32_e64 v79, v19, v80, s[0:1]
	v_cndmask_b32_e64 v78, v8, v10, s[0:1]
	v_cmp_nlt_f64_e32 vcc, s[8:9], v[78:79]
                                        ; implicit-def: $vgpr6_vgpr7
                                        ; implicit-def: $vgpr76_vgpr77
	s_and_saveexec_b64 s[2:3], vcc
	s_xor_b64 s[4:5], exec, s[2:3]
	s_cbranch_execz .LBB186_221
; %bb.198:                              ;   in Loop: Header=BB186_162 Depth=1
	v_cndmask_b32_e64 v83, v80, v19, s[0:1]
	v_cndmask_b32_e64 v82, v10, v8, s[0:1]
	v_cmp_neq_f64_e32 vcc, 1.0, v[82:83]
                                        ; implicit-def: $vgpr6_vgpr7
                                        ; implicit-def: $vgpr76_vgpr77
	s_and_saveexec_b64 s[2:3], vcc
	s_xor_b64 s[48:49], exec, s[2:3]
	s_cbranch_execz .LBB186_214
; %bb.199:                              ;   in Loop: Header=BB186_162 Depth=1
	v_max_f64 v[6:7], v[78:79], v[78:79]
	v_max_f64 v[76:77], v[82:83], v[82:83]
	v_min_f64 v[80:81], v[76:77], v[6:7]
	v_max_f64 v[6:7], v[76:77], v[6:7]
	v_cmp_ngt_f64_e32 vcc, s[10:11], v[80:81]
	v_cmp_nlt_f64_e64 s[2:3], s[12:13], v[6:7]
	s_and_b64 s[2:3], s[2:3], vcc
                                        ; implicit-def: $vgpr6_vgpr7
                                        ; implicit-def: $vgpr76_vgpr77
	s_and_saveexec_b64 s[50:51], s[2:3]
	s_xor_b64 s[50:51], exec, s[50:51]
	s_cbranch_execz .LBB186_211
; %bb.200:                              ;   in Loop: Header=BB186_162 Depth=1
	v_cmp_le_f64_e32 vcc, 1.0, v[82:83]
                                        ; implicit-def: $vgpr6_vgpr7
                                        ; implicit-def: $vgpr76_vgpr77
	s_and_saveexec_b64 s[2:3], vcc
	s_xor_b64 s[2:3], exec, s[2:3]
	s_cbranch_execz .LBB186_202
; %bb.201:                              ;   in Loop: Header=BB186_162 Depth=1
	v_add_f64 v[6:7], v[82:83], -1.0
	v_add_f64 v[76:77], v[82:83], 1.0
	v_mul_f64 v[76:77], v[6:7], v[76:77]
	v_fmac_f64_e32 v[76:77], v[78:79], v[78:79]
	v_add_f64 v[6:7], v[76:77], 1.0
	v_add_f64 v[78:79], v[6:7], -1.0
	v_add_f64 v[80:81], v[78:79], -v[6:7]
	v_add_f64 v[80:81], v[80:81], 1.0
	v_add_f64 v[78:79], v[76:77], -v[78:79]
	v_add_f64 v[78:79], v[78:79], v[80:81]
	v_frexp_mant_f64_e32 v[80:81], v[6:7]
	v_frexp_exp_i32_f64_e32 v8, v[6:7]
	v_cmp_gt_f64_e32 vcc, s[14:15], v[80:81]
	v_subbrev_co_u32_e32 v8, vcc, 0, v8, vcc
	v_sub_u32_e32 v19, 0, v8
	v_ldexp_f64 v[6:7], v[6:7], v19
	v_add_f64 v[80:81], v[6:7], -1.0
	v_add_f64 v[86:87], v[6:7], 1.0
	v_add_f64 v[82:83], v[80:81], 1.0
	v_add_f64 v[88:89], v[86:87], -1.0
	v_ldexp_f64 v[78:79], v[78:79], v19
	v_add_f64 v[82:83], v[6:7], -v[82:83]
	v_add_f64 v[6:7], v[6:7], -v[88:89]
	v_add_f64 v[6:7], v[78:79], v[6:7]
	v_add_f64 v[82:83], v[78:79], v[82:83]
	;; [unrolled: 1-line block ×3, first 2 shown]
	v_rcp_f64_e32 v[88:89], v[78:79]
	v_add_f64 v[84:85], v[80:81], v[82:83]
	v_add_f64 v[80:81], v[84:85], -v[80:81]
	v_add_f64 v[80:81], v[82:83], -v[80:81]
	;; [unrolled: 1-line block ×4, first 2 shown]
	v_fma_f64 v[82:83], -v[78:79], v[88:89], 1.0
	v_fmac_f64_e32 v[88:89], v[82:83], v[88:89]
	v_fma_f64 v[82:83], -v[78:79], v[88:89], 1.0
	v_fmac_f64_e32 v[88:89], v[82:83], v[88:89]
	v_mul_f64 v[82:83], v[84:85], v[88:89]
	v_mul_f64 v[86:87], v[78:79], v[82:83]
	v_fma_f64 v[90:91], v[82:83], v[78:79], -v[86:87]
	v_fmac_f64_e32 v[90:91], v[82:83], v[6:7]
	v_add_f64 v[92:93], v[86:87], v[90:91]
	v_add_f64 v[94:95], v[84:85], -v[92:93]
	v_add_f64 v[84:85], v[84:85], -v[94:95]
	;; [unrolled: 1-line block ×4, first 2 shown]
	v_add_f64 v[80:81], v[80:81], v[84:85]
	v_add_f64 v[84:85], v[86:87], -v[90:91]
	v_add_f64 v[80:81], v[84:85], v[80:81]
	v_add_f64 v[84:85], v[94:95], v[80:81]
	v_add_f64 v[86:87], v[94:95], -v[84:85]
	v_add_f64 v[80:81], v[80:81], v[86:87]
	v_mul_f64 v[86:87], v[88:89], v[84:85]
	v_mul_f64 v[90:91], v[78:79], v[86:87]
	v_fma_f64 v[78:79], v[86:87], v[78:79], -v[90:91]
	v_fmac_f64_e32 v[78:79], v[86:87], v[6:7]
	v_add_f64 v[6:7], v[90:91], v[78:79]
	v_add_f64 v[92:93], v[84:85], -v[6:7]
	v_add_f64 v[84:85], v[84:85], -v[92:93]
	;; [unrolled: 1-line block ×4, first 2 shown]
	v_add_f64 v[6:7], v[80:81], v[6:7]
	v_add_f64 v[78:79], v[90:91], -v[78:79]
	v_add_f64 v[6:7], v[78:79], v[6:7]
	v_add_f64 v[78:79], v[82:83], v[86:87]
	;; [unrolled: 1-line block ×3, first 2 shown]
	v_add_f64 v[80:81], v[78:79], -v[82:83]
	v_mul_f64 v[6:7], v[88:89], v[6:7]
	v_add_f64 v[80:81], v[86:87], -v[80:81]
	v_add_f64 v[6:7], v[80:81], v[6:7]
	v_add_f64 v[80:81], v[78:79], v[6:7]
	v_add_f64 v[78:79], v[80:81], -v[78:79]
	v_add_f64 v[6:7], v[6:7], -v[78:79]
	v_mul_f64 v[78:79], v[80:81], v[80:81]
	v_pk_mov_b32 v[82:83], v[20:21], v[20:21] op_sel:[0,1]
	v_fmac_f64_e32 v[82:83], s[18:19], v[78:79]
	v_pk_mov_b32 v[84:85], v[22:23], v[22:23] op_sel:[0,1]
	v_fmac_f64_e32 v[84:85], v[78:79], v[82:83]
	;; [unrolled: 2-line block ×6, first 2 shown]
	v_cvt_f64_i32_e32 v[82:83], v8
	v_mul_f64 v[86:87], v[82:83], s[20:21]
	v_fma_f64 v[88:89], v[82:83], s[20:21], -v[86:87]
	v_fmac_f64_e32 v[88:89], s[22:23], v[82:83]
	v_add_f64 v[82:83], v[86:87], v[88:89]
	v_add_f64 v[86:87], v[82:83], -v[86:87]
	v_mul_f64 v[78:79], v[80:81], v[78:79]
	v_add_f64 v[86:87], v[88:89], -v[86:87]
	v_ldexp_f64 v[88:89], v[80:81], 1
	v_mul_f64 v[78:79], v[78:79], v[84:85]
	v_add_f64 v[80:81], v[88:89], v[78:79]
	v_add_f64 v[84:85], v[80:81], -v[88:89]
	v_ldexp_f64 v[6:7], v[6:7], 1
	v_add_f64 v[78:79], v[78:79], -v[84:85]
	v_add_f64 v[6:7], v[6:7], v[78:79]
	v_add_f64 v[78:79], v[80:81], v[6:7]
	v_add_f64 v[80:81], v[78:79], -v[80:81]
	v_add_f64 v[6:7], v[6:7], -v[80:81]
	v_add_f64 v[80:81], v[82:83], v[78:79]
	v_add_f64 v[84:85], v[80:81], -v[82:83]
	v_add_f64 v[88:89], v[80:81], -v[84:85]
	v_add_f64 v[82:83], v[82:83], -v[88:89]
	v_add_f64 v[78:79], v[78:79], -v[84:85]
	v_add_f64 v[78:79], v[78:79], v[82:83]
	v_add_f64 v[82:83], v[86:87], v[6:7]
	v_add_f64 v[84:85], v[82:83], -v[86:87]
	v_add_f64 v[78:79], v[82:83], v[78:79]
	v_add_f64 v[88:89], v[82:83], -v[84:85]
	;; [unrolled: 2-line block ×3, first 2 shown]
	v_add_f64 v[6:7], v[6:7], -v[84:85]
	v_add_f64 v[80:81], v[82:83], -v[80:81]
	v_add_f64 v[6:7], v[6:7], v[86:87]
	v_add_f64 v[78:79], v[78:79], -v[80:81]
	v_add_f64 v[6:7], v[6:7], v[78:79]
	v_max_f64 v[78:79], |v[12:13]|, |v[12:13]|
	v_max_f64 v[80:81], |v[10:11]|, |v[10:11]|
	v_add_f64 v[6:7], v[82:83], v[6:7]
	v_max_f64 v[82:83], v[80:81], v[78:79]
	v_min_f64 v[78:79], v[80:81], v[78:79]
	v_div_scale_f64 v[80:81], s[52:53], v[82:83], v[82:83], v[78:79]
	v_cmp_eq_f64_e32 vcc, s[24:25], v[76:77]
	v_rcp_f64_e32 v[84:85], v[80:81]
	v_cndmask_b32_e32 v7, v7, v77, vcc
	v_cndmask_b32_e32 v6, v6, v76, vcc
	v_mul_f64 v[6:7], v[6:7], 0.5
	v_cmp_ngt_f64_e32 vcc, -1.0, v[76:77]
	v_cndmask_b32_e32 v7, v105, v7, vcc
	v_cmp_nge_f64_e32 vcc, -1.0, v[76:77]
	v_cndmask_b32_e32 v6, 0, v6, vcc
	v_cmp_neq_f64_e32 vcc, -1.0, v[76:77]
	v_fma_f64 v[76:77], -v[80:81], v[84:85], 1.0
	v_fmac_f64_e32 v[84:85], v[84:85], v[76:77]
	v_fma_f64 v[76:77], -v[80:81], v[84:85], 1.0
	v_cndmask_b32_e32 v7, v106, v7, vcc
	v_fmac_f64_e32 v[84:85], v[84:85], v[76:77]
	v_div_scale_f64 v[76:77], vcc, v[78:79], v[82:83], v[78:79]
	v_mul_f64 v[86:87], v[76:77], v[84:85]
	v_fma_f64 v[76:77], -v[80:81], v[86:87], v[76:77]
	v_pk_mov_b32 v[80:81], v[32:33], v[32:33] op_sel:[0,1]
	s_nop 0
	v_div_fmas_f64 v[76:77], v[76:77], v[84:85], v[86:87]
	v_div_fixup_f64 v[76:77], v[76:77], v[82:83], v[78:79]
	v_mul_f64 v[78:79], v[76:77], v[76:77]
	v_fmac_f64_e32 v[80:81], s[26:27], v[78:79]
	v_pk_mov_b32 v[82:83], v[34:35], v[34:35] op_sel:[0,1]
	v_fmac_f64_e32 v[82:83], v[78:79], v[80:81]
	v_pk_mov_b32 v[80:81], v[36:37], v[36:37] op_sel:[0,1]
	;; [unrolled: 2-line block ×18, first 2 shown]
	v_fmac_f64_e32 v[80:81], v[78:79], v[82:83]
	v_cmp_gt_i32_e32 vcc, 0, v11
	v_mul_f64 v[78:79], v[78:79], v[80:81]
	v_cmp_class_f64_e64 s[54:55], v[10:11], s63
	v_cndmask_b32_e32 v10, v109, v110, vcc
	v_fmac_f64_e32 v[76:77], v[76:77], v[78:79]
	v_bfi_b32 v19, s61, v10, v13
	v_ashrrev_i32_e32 v10, 31, v11
	v_and_b32_e32 v78, 0x400921fb, v10
	v_and_b32_e32 v79, 0x54442d18, v10
	v_add_f64 v[10:11], -v[76:77], s[28:29]
	v_cndmask_b32_e64 v11, v77, v11, s[0:1]
	v_cndmask_b32_e64 v10, v76, v10, s[0:1]
	s_mov_b32 s30, s28
	v_add_f64 v[76:77], -v[10:11], s[30:31]
	v_cmp_class_f64_e64 s[52:53], v[12:13], s63
	v_cndmask_b32_e32 v8, v107, v108, vcc
	v_cndmask_b32_e32 v11, v11, v77, vcc
	;; [unrolled: 1-line block ×3, first 2 shown]
	v_cmp_eq_f64_e32 vcc, 0, v[12:13]
	v_cndmask_b32_e32 v10, v10, v79, vcc
	v_cndmask_b32_e32 v11, v11, v78, vcc
	s_and_b64 vcc, s[54:55], s[52:53]
	v_cndmask_b32_e32 v77, v11, v19, vcc
	v_cndmask_b32_e32 v76, v10, v8, vcc
                                        ; implicit-def: $vgpr78_vgpr79
                                        ; implicit-def: $vgpr82_vgpr83
.LBB186_202:                            ;   in Loop: Header=BB186_162 Depth=1
	s_andn2_saveexec_b64 s[52:53], s[2:3]
	s_cbranch_execz .LBB186_210
; %bb.203:                              ;   in Loop: Header=BB186_162 Depth=1
	v_mul_f64 v[80:81], v[78:79], v[78:79]
	v_fmac_f64_e32 v[80:81], v[82:83], v[82:83]
	v_cmp_ge_f64_e32 vcc, s[34:35], v[80:81]
                                        ; implicit-def: $vgpr6_vgpr7
                                        ; implicit-def: $vgpr76_vgpr77
	s_and_saveexec_b64 s[2:3], vcc
	s_xor_b64 s[2:3], exec, s[2:3]
	s_cbranch_execz .LBB186_205
; %bb.204:                              ;   in Loop: Header=BB186_162 Depth=1
	v_frexp_mant_f64_e32 v[6:7], v[80:81]
	v_cmp_gt_f64_e32 vcc, s[14:15], v[6:7]
	v_cndmask_b32_e64 v19, v111, 2.0, vcc
	v_mul_f64 v[6:7], v[6:7], v[18:19]
	v_add_f64 v[76:77], v[6:7], 1.0
	v_rcp_f64_e32 v[78:79], v[76:77]
	v_add_f64 v[84:85], v[76:77], -1.0
	v_add_f64 v[82:83], v[6:7], -1.0
	v_add_f64 v[6:7], v[6:7], -v[84:85]
	v_fma_f64 v[84:85], -v[76:77], v[78:79], 1.0
	v_fmac_f64_e32 v[78:79], v[84:85], v[78:79]
	v_fma_f64 v[84:85], -v[76:77], v[78:79], 1.0
	v_fmac_f64_e32 v[78:79], v[84:85], v[78:79]
	v_mul_f64 v[84:85], v[82:83], v[78:79]
	v_mul_f64 v[86:87], v[76:77], v[84:85]
	v_fma_f64 v[76:77], v[84:85], v[76:77], -v[86:87]
	v_fmac_f64_e32 v[76:77], v[84:85], v[6:7]
	v_add_f64 v[6:7], v[86:87], v[76:77]
	v_add_f64 v[88:89], v[82:83], -v[6:7]
	v_add_f64 v[86:87], v[6:7], -v[86:87]
	;; [unrolled: 1-line block ×5, first 2 shown]
	v_add_f64 v[6:7], v[76:77], v[6:7]
	v_add_f64 v[6:7], v[88:89], v[6:7]
	v_mul_f64 v[6:7], v[78:79], v[6:7]
	v_add_f64 v[76:77], v[84:85], v[6:7]
	v_add_f64 v[78:79], v[76:77], -v[84:85]
	v_add_f64 v[6:7], v[6:7], -v[78:79]
	v_mul_f64 v[78:79], v[76:77], v[76:77]
	v_pk_mov_b32 v[82:83], v[20:21], v[20:21] op_sel:[0,1]
	v_fmac_f64_e32 v[82:83], s[18:19], v[78:79]
	v_pk_mov_b32 v[84:85], v[22:23], v[22:23] op_sel:[0,1]
	v_fmac_f64_e32 v[84:85], v[78:79], v[82:83]
	;; [unrolled: 2-line block ×6, first 2 shown]
	v_ldexp_f64 v[82:83], v[76:77], 1
	v_mul_f64 v[76:77], v[76:77], v[78:79]
	v_mul_f64 v[76:77], v[76:77], v[84:85]
	v_add_f64 v[78:79], v[82:83], v[76:77]
	v_add_f64 v[82:83], v[78:79], -v[82:83]
	v_ldexp_f64 v[6:7], v[6:7], 1
	v_add_f64 v[76:77], v[76:77], -v[82:83]
	v_add_f64 v[6:7], v[6:7], v[76:77]
	v_frexp_exp_i32_f64_e32 v8, v[80:81]
	v_add_f64 v[76:77], v[78:79], v[6:7]
	v_subbrev_co_u32_e32 v8, vcc, 0, v8, vcc
	v_add_f64 v[78:79], v[76:77], -v[78:79]
	v_add_f64 v[6:7], v[6:7], -v[78:79]
	v_cvt_f64_i32_e32 v[78:79], v8
	v_mul_f64 v[82:83], v[78:79], s[20:21]
	v_fma_f64 v[84:85], v[78:79], s[20:21], -v[82:83]
	v_fmac_f64_e32 v[84:85], s[22:23], v[78:79]
	v_add_f64 v[78:79], v[82:83], v[84:85]
	v_add_f64 v[82:83], v[78:79], -v[82:83]
	v_add_f64 v[82:83], v[84:85], -v[82:83]
	v_add_f64 v[84:85], v[78:79], v[76:77]
	v_add_f64 v[86:87], v[84:85], -v[78:79]
	v_add_f64 v[88:89], v[84:85], -v[86:87]
	;; [unrolled: 1-line block ×4, first 2 shown]
	v_add_f64 v[76:77], v[76:77], v[78:79]
	v_add_f64 v[78:79], v[82:83], v[6:7]
	v_add_f64 v[86:87], v[78:79], -v[82:83]
	v_add_f64 v[88:89], v[78:79], -v[86:87]
	v_add_f64 v[76:77], v[78:79], v[76:77]
	v_add_f64 v[82:83], v[82:83], -v[88:89]
	v_add_f64 v[6:7], v[6:7], -v[86:87]
	v_add_f64 v[78:79], v[84:85], v[76:77]
	v_add_f64 v[6:7], v[6:7], v[82:83]
	v_add_f64 v[82:83], v[78:79], -v[84:85]
	v_add_f64 v[76:77], v[76:77], -v[82:83]
	v_add_f64 v[6:7], v[6:7], v[76:77]
	v_add_f64 v[6:7], v[78:79], v[6:7]
	v_max_f64 v[76:77], |v[12:13]|, |v[12:13]|
	v_max_f64 v[78:79], |v[10:11]|, |v[10:11]|
	v_max_f64 v[82:83], v[78:79], v[76:77]
	v_min_f64 v[76:77], v[78:79], v[76:77]
	v_div_scale_f64 v[78:79], s[54:55], v[82:83], v[82:83], v[76:77]
	v_rcp_f64_e32 v[84:85], v[78:79]
	v_cmp_neq_f64_e32 vcc, 0, v[80:81]
	v_mul_f64 v[6:7], v[6:7], 0.5
	v_cndmask_b32_e32 v7, v106, v7, vcc
	v_fma_f64 v[80:81], -v[78:79], v[84:85], 1.0
	v_fmac_f64_e32 v[84:85], v[84:85], v[80:81]
	v_fma_f64 v[80:81], -v[78:79], v[84:85], 1.0
	v_cndmask_b32_e32 v6, 0, v6, vcc
	v_fmac_f64_e32 v[84:85], v[84:85], v[80:81]
	v_div_scale_f64 v[80:81], vcc, v[76:77], v[82:83], v[76:77]
	v_mul_f64 v[86:87], v[80:81], v[84:85]
	v_fma_f64 v[78:79], -v[78:79], v[86:87], v[80:81]
	v_pk_mov_b32 v[80:81], v[32:33], v[32:33] op_sel:[0,1]
	s_nop 0
	v_div_fmas_f64 v[78:79], v[78:79], v[84:85], v[86:87]
	v_div_fixup_f64 v[76:77], v[78:79], v[82:83], v[76:77]
	v_mul_f64 v[78:79], v[76:77], v[76:77]
	v_fmac_f64_e32 v[80:81], s[26:27], v[78:79]
	v_pk_mov_b32 v[82:83], v[34:35], v[34:35] op_sel:[0,1]
	v_fmac_f64_e32 v[82:83], v[78:79], v[80:81]
	v_pk_mov_b32 v[80:81], v[36:37], v[36:37] op_sel:[0,1]
	v_fmac_f64_e32 v[80:81], v[78:79], v[82:83]
	v_pk_mov_b32 v[82:83], v[38:39], v[38:39] op_sel:[0,1]
	v_fmac_f64_e32 v[82:83], v[78:79], v[80:81]
	v_pk_mov_b32 v[80:81], v[40:41], v[40:41] op_sel:[0,1]
	v_fmac_f64_e32 v[80:81], v[78:79], v[82:83]
	v_pk_mov_b32 v[82:83], v[42:43], v[42:43] op_sel:[0,1]
	v_fmac_f64_e32 v[82:83], v[78:79], v[80:81]
	v_pk_mov_b32 v[80:81], v[44:45], v[44:45] op_sel:[0,1]
	v_fmac_f64_e32 v[80:81], v[78:79], v[82:83]
	v_pk_mov_b32 v[82:83], v[46:47], v[46:47] op_sel:[0,1]
	v_fmac_f64_e32 v[82:83], v[78:79], v[80:81]
	v_pk_mov_b32 v[80:81], v[48:49], v[48:49] op_sel:[0,1]
	v_fmac_f64_e32 v[80:81], v[78:79], v[82:83]
	v_pk_mov_b32 v[82:83], v[50:51], v[50:51] op_sel:[0,1]
	v_fmac_f64_e32 v[82:83], v[78:79], v[80:81]
	v_pk_mov_b32 v[80:81], v[52:53], v[52:53] op_sel:[0,1]
	v_fmac_f64_e32 v[80:81], v[78:79], v[82:83]
	v_pk_mov_b32 v[82:83], v[54:55], v[54:55] op_sel:[0,1]
	v_fmac_f64_e32 v[82:83], v[78:79], v[80:81]
	v_pk_mov_b32 v[80:81], v[56:57], v[56:57] op_sel:[0,1]
	v_fmac_f64_e32 v[80:81], v[78:79], v[82:83]
	v_pk_mov_b32 v[82:83], v[58:59], v[58:59] op_sel:[0,1]
	v_fmac_f64_e32 v[82:83], v[78:79], v[80:81]
	v_pk_mov_b32 v[80:81], v[60:61], v[60:61] op_sel:[0,1]
	v_fmac_f64_e32 v[80:81], v[78:79], v[82:83]
	v_pk_mov_b32 v[82:83], v[62:63], v[62:63] op_sel:[0,1]
	v_fmac_f64_e32 v[82:83], v[78:79], v[80:81]
	v_pk_mov_b32 v[80:81], v[64:65], v[64:65] op_sel:[0,1]
	v_fmac_f64_e32 v[80:81], v[78:79], v[82:83]
	v_pk_mov_b32 v[82:83], v[66:67], v[66:67] op_sel:[0,1]
	v_fmac_f64_e32 v[82:83], v[78:79], v[80:81]
	v_pk_mov_b32 v[80:81], v[68:69], v[68:69] op_sel:[0,1]
	v_fmac_f64_e32 v[80:81], v[78:79], v[82:83]
	v_cmp_gt_i32_e32 vcc, 0, v11
	v_mul_f64 v[78:79], v[78:79], v[80:81]
	v_cmp_class_f64_e64 s[56:57], v[10:11], s63
	v_cndmask_b32_e32 v10, v109, v110, vcc
	v_fmac_f64_e32 v[76:77], v[76:77], v[78:79]
	v_bfi_b32 v19, s61, v10, v13
	v_ashrrev_i32_e32 v10, 31, v11
	v_and_b32_e32 v78, 0x400921fb, v10
	v_and_b32_e32 v79, 0x54442d18, v10
	v_add_f64 v[10:11], -v[76:77], s[28:29]
	v_cndmask_b32_e64 v11, v77, v11, s[0:1]
	v_cndmask_b32_e64 v10, v76, v10, s[0:1]
	s_mov_b32 s30, s28
	v_add_f64 v[76:77], -v[10:11], s[30:31]
	v_cmp_class_f64_e64 s[54:55], v[12:13], s63
	v_cndmask_b32_e32 v8, v107, v108, vcc
	v_cndmask_b32_e32 v11, v11, v77, vcc
	;; [unrolled: 1-line block ×3, first 2 shown]
	v_cmp_eq_f64_e32 vcc, 0, v[12:13]
	v_cndmask_b32_e32 v10, v10, v79, vcc
	v_cndmask_b32_e32 v11, v11, v78, vcc
	s_and_b64 vcc, s[56:57], s[54:55]
	v_cndmask_b32_e32 v77, v11, v19, vcc
	v_cndmask_b32_e32 v76, v10, v8, vcc
                                        ; implicit-def: $vgpr82_vgpr83
                                        ; implicit-def: $vgpr78_vgpr79
.LBB186_205:                            ;   in Loop: Header=BB186_162 Depth=1
	s_andn2_saveexec_b64 s[54:55], s[2:3]
	s_cbranch_execz .LBB186_209
; %bb.206:                              ;   in Loop: Header=BB186_162 Depth=1
	v_and_b32_e32 v19, 0x7ffffff8, v83
	v_add_f64 v[6:7], v[82:83], -v[18:19]
	v_and_b32_e32 v91, -8, v7
	v_mov_b32_e32 v90, v18
	v_and_b32_e32 v81, 0x7ffffff8, v79
	v_mov_b32_e32 v80, v18
	v_add_f64 v[94:95], v[6:7], -v[90:91]
	v_add_f64 v[6:7], v[78:79], -v[80:81]
	v_and_b32_e32 v93, -8, v7
	v_mov_b32_e32 v92, v18
	v_add_f64 v[84:85], v[18:19], v[18:19]
	v_add_f64 v[98:99], v[80:81], v[80:81]
	v_add_f64 v[96:97], v[6:7], -v[92:93]
	v_mul_f64 v[76:77], v[80:81], v[80:81]
	v_mul_f64 v[82:83], v[84:85], v[90:91]
	;; [unrolled: 1-line block ×5, first 2 shown]
	v_add_f64 v[90:91], v[90:91], v[90:91]
	v_add_f64 v[92:93], v[92:93], v[92:93]
	v_mul_f64 v[6:7], v[18:19], v[18:19]
	v_mul_f64 v[86:87], v[84:85], v[94:95]
	;; [unrolled: 1-line block ×7, first 2 shown]
	s_mov_b64 s[56:57], 0
.LBB186_207:                            ;   Parent Loop BB186_162 Depth=1
                                        ; =>  This Inner Loop Header: Depth=2
	v_cmp_nlt_f64_e32 vcc, v[6:7], v[76:77]
	v_cndmask_b32_e32 v99, v7, v77, vcc
	v_cndmask_b32_e32 v98, v6, v76, vcc
	v_cmp_nlt_f64_e64 s[2:3], v[98:99], v[82:83]
	v_cndmask_b32_e64 v101, v99, v83, s[2:3]
	v_cndmask_b32_e64 v100, v98, v82, s[2:3]
	v_cndmask_b32_e32 v7, v77, v7, vcc
	v_cndmask_b32_e32 v6, v76, v6, vcc
	s_and_b64 s[58:59], vcc, s[2:3]
	v_cmp_nlt_f64_e32 vcc, v[100:101], v[80:81]
	v_cndmask_b32_e64 v77, v83, v99, s[2:3]
	v_cndmask_b32_e64 v76, v82, v98, s[2:3]
	v_cndmask_b32_e32 v99, v101, v81, vcc
	v_cndmask_b32_e32 v98, v100, v80, vcc
	v_cmp_nlt_f64_e64 s[2:3], v[98:99], v[88:89]
	v_cndmask_b32_e32 v83, v81, v101, vcc
	v_cndmask_b32_e32 v82, v80, v100, vcc
	v_cndmask_b32_e64 v101, v99, v89, s[2:3]
	v_cndmask_b32_e64 v100, v98, v88, s[2:3]
	s_and_b64 s[64:65], vcc, s[2:3]
	v_cmp_nlt_f64_e32 vcc, v[100:101], v[78:79]
	v_cndmask_b32_e64 v81, v89, v99, s[2:3]
	v_cndmask_b32_e64 v80, v88, v98, s[2:3]
	v_cndmask_b32_e32 v99, v101, v79, vcc
	v_cndmask_b32_e32 v98, v100, v78, vcc
	v_cmp_nlt_f64_e64 s[2:3], v[98:99], v[86:87]
	v_cndmask_b32_e32 v89, v79, v101, vcc
	v_cndmask_b32_e32 v88, v78, v100, vcc
	v_cndmask_b32_e64 v101, v99, v87, s[2:3]
	v_cndmask_b32_e64 v100, v98, v86, s[2:3]
	;; [unrolled: 1-line block ×4, first 2 shown]
	s_and_b64 s[2:3], vcc, s[2:3]
	v_cmp_nlt_f64_e32 vcc, v[100:101], v[84:85]
	v_cndmask_b32_e32 v99, v101, v85, vcc
	v_cndmask_b32_e32 v98, v100, v84, vcc
	v_cndmask_b32_e32 v87, v85, v101, vcc
	v_cndmask_b32_e32 v86, v84, v100, vcc
	s_and_b64 s[2:3], s[2:3], vcc
	v_cmp_nlt_f64_e32 vcc, v[98:99], v[90:91]
	v_cndmask_b32_e32 v101, v99, v91, vcc
	v_cndmask_b32_e32 v100, v98, v90, vcc
	v_cndmask_b32_e32 v85, v91, v99, vcc
	v_cndmask_b32_e32 v84, v90, v98, vcc
	s_and_b64 s[2:3], s[2:3], vcc
	;; [unrolled: 6-line block ×4, first 2 shown]
	v_cmp_nlt_f64_e32 vcc, v[100:101], v[96:97]
	s_and_b64 s[2:3], s[2:3], vcc
	s_and_b64 s[2:3], s[2:3], s[64:65]
	s_and_b64 s[2:3], s[2:3], s[58:59]
	v_cndmask_b32_e32 v99, v101, v97, vcc
	v_cndmask_b32_e32 v98, v100, v96, vcc
	s_and_b64 s[2:3], exec, s[2:3]
	v_cndmask_b32_e32 v95, v97, v101, vcc
	v_cndmask_b32_e32 v94, v96, v100, vcc
	s_or_b64 s[56:57], s[2:3], s[56:57]
	v_pk_mov_b32 v[96:97], v[98:99], v[98:99] op_sel:[0,1]
	s_andn2_b64 exec, exec, s[56:57]
	s_cbranch_execnz .LBB186_207
; %bb.208:                              ;   in Loop: Header=BB186_162 Depth=1
	s_or_b64 exec, exec, s[56:57]
	v_add_f64 v[6:7], v[6:7], -1.0
	v_add_f64 v[6:7], v[6:7], v[76:77]
	v_add_f64 v[6:7], v[6:7], v[82:83]
	v_add_f64 v[6:7], v[6:7], v[80:81]
	v_add_f64 v[6:7], v[6:7], v[88:89]
	v_add_f64 v[6:7], v[6:7], v[78:79]
	v_add_f64 v[6:7], v[6:7], v[86:87]
	v_add_f64 v[6:7], v[6:7], v[84:85]
	v_add_f64 v[6:7], v[6:7], v[90:91]
	v_add_f64 v[6:7], v[6:7], v[92:93]
	v_add_f64 v[6:7], v[6:7], v[94:95]
	v_add_f64 v[76:77], v[98:99], v[6:7]
	v_add_f64 v[6:7], v[76:77], 1.0
	v_add_f64 v[78:79], v[6:7], -1.0
	v_add_f64 v[80:81], v[78:79], -v[6:7]
	v_add_f64 v[80:81], v[80:81], 1.0
	v_add_f64 v[78:79], v[76:77], -v[78:79]
	v_add_f64 v[78:79], v[78:79], v[80:81]
	v_frexp_mant_f64_e32 v[80:81], v[6:7]
	v_frexp_exp_i32_f64_e32 v8, v[6:7]
	v_cmp_gt_f64_e32 vcc, s[14:15], v[80:81]
	v_subbrev_co_u32_e32 v8, vcc, 0, v8, vcc
	v_sub_u32_e32 v19, 0, v8
	v_ldexp_f64 v[6:7], v[6:7], v19
	v_add_f64 v[80:81], v[6:7], -1.0
	v_add_f64 v[86:87], v[6:7], 1.0
	v_add_f64 v[82:83], v[80:81], 1.0
	v_add_f64 v[88:89], v[86:87], -1.0
	v_ldexp_f64 v[78:79], v[78:79], v19
	v_add_f64 v[82:83], v[6:7], -v[82:83]
	v_add_f64 v[6:7], v[6:7], -v[88:89]
	v_add_f64 v[6:7], v[78:79], v[6:7]
	v_add_f64 v[82:83], v[78:79], v[82:83]
	;; [unrolled: 1-line block ×3, first 2 shown]
	v_rcp_f64_e32 v[88:89], v[78:79]
	v_add_f64 v[84:85], v[80:81], v[82:83]
	v_add_f64 v[80:81], v[84:85], -v[80:81]
	v_add_f64 v[80:81], v[82:83], -v[80:81]
	;; [unrolled: 1-line block ×4, first 2 shown]
	v_fma_f64 v[82:83], -v[78:79], v[88:89], 1.0
	v_fmac_f64_e32 v[88:89], v[82:83], v[88:89]
	v_fma_f64 v[82:83], -v[78:79], v[88:89], 1.0
	v_fmac_f64_e32 v[88:89], v[82:83], v[88:89]
	v_mul_f64 v[82:83], v[84:85], v[88:89]
	v_mul_f64 v[86:87], v[78:79], v[82:83]
	v_fma_f64 v[90:91], v[82:83], v[78:79], -v[86:87]
	v_fmac_f64_e32 v[90:91], v[82:83], v[6:7]
	v_add_f64 v[92:93], v[86:87], v[90:91]
	v_add_f64 v[94:95], v[84:85], -v[92:93]
	v_add_f64 v[84:85], v[84:85], -v[94:95]
	v_add_f64 v[86:87], v[92:93], -v[86:87]
	v_add_f64 v[84:85], v[84:85], -v[92:93]
	v_add_f64 v[80:81], v[80:81], v[84:85]
	v_add_f64 v[84:85], v[86:87], -v[90:91]
	v_add_f64 v[80:81], v[84:85], v[80:81]
	v_add_f64 v[84:85], v[94:95], v[80:81]
	v_add_f64 v[86:87], v[94:95], -v[84:85]
	v_add_f64 v[80:81], v[80:81], v[86:87]
	v_mul_f64 v[86:87], v[88:89], v[84:85]
	v_mul_f64 v[90:91], v[78:79], v[86:87]
	v_fma_f64 v[78:79], v[86:87], v[78:79], -v[90:91]
	v_fmac_f64_e32 v[78:79], v[86:87], v[6:7]
	v_add_f64 v[6:7], v[90:91], v[78:79]
	v_add_f64 v[92:93], v[84:85], -v[6:7]
	v_add_f64 v[84:85], v[84:85], -v[92:93]
	;; [unrolled: 1-line block ×4, first 2 shown]
	v_add_f64 v[6:7], v[80:81], v[6:7]
	v_add_f64 v[78:79], v[90:91], -v[78:79]
	v_add_f64 v[6:7], v[78:79], v[6:7]
	v_add_f64 v[78:79], v[82:83], v[86:87]
	v_add_f64 v[6:7], v[92:93], v[6:7]
	v_add_f64 v[80:81], v[78:79], -v[82:83]
	v_mul_f64 v[6:7], v[88:89], v[6:7]
	v_add_f64 v[80:81], v[86:87], -v[80:81]
	v_add_f64 v[6:7], v[80:81], v[6:7]
	v_add_f64 v[80:81], v[78:79], v[6:7]
	v_add_f64 v[78:79], v[80:81], -v[78:79]
	v_add_f64 v[6:7], v[6:7], -v[78:79]
	v_mul_f64 v[78:79], v[80:81], v[80:81]
	v_pk_mov_b32 v[82:83], v[20:21], v[20:21] op_sel:[0,1]
	v_fmac_f64_e32 v[82:83], s[18:19], v[78:79]
	v_pk_mov_b32 v[84:85], v[22:23], v[22:23] op_sel:[0,1]
	v_fmac_f64_e32 v[84:85], v[78:79], v[82:83]
	;; [unrolled: 2-line block ×6, first 2 shown]
	v_cvt_f64_i32_e32 v[82:83], v8
	v_mul_f64 v[86:87], v[82:83], s[20:21]
	v_fma_f64 v[88:89], v[82:83], s[20:21], -v[86:87]
	v_fmac_f64_e32 v[88:89], s[22:23], v[82:83]
	v_add_f64 v[82:83], v[86:87], v[88:89]
	v_add_f64 v[86:87], v[82:83], -v[86:87]
	v_mul_f64 v[78:79], v[80:81], v[78:79]
	v_add_f64 v[86:87], v[88:89], -v[86:87]
	v_ldexp_f64 v[88:89], v[80:81], 1
	v_mul_f64 v[78:79], v[78:79], v[84:85]
	v_add_f64 v[80:81], v[88:89], v[78:79]
	v_add_f64 v[84:85], v[80:81], -v[88:89]
	v_ldexp_f64 v[6:7], v[6:7], 1
	v_add_f64 v[78:79], v[78:79], -v[84:85]
	v_add_f64 v[6:7], v[6:7], v[78:79]
	v_add_f64 v[78:79], v[80:81], v[6:7]
	v_add_f64 v[80:81], v[78:79], -v[80:81]
	v_add_f64 v[6:7], v[6:7], -v[80:81]
	v_add_f64 v[80:81], v[82:83], v[78:79]
	v_add_f64 v[84:85], v[80:81], -v[82:83]
	v_add_f64 v[88:89], v[80:81], -v[84:85]
	;; [unrolled: 1-line block ×4, first 2 shown]
	v_add_f64 v[78:79], v[78:79], v[82:83]
	v_add_f64 v[82:83], v[86:87], v[6:7]
	v_add_f64 v[84:85], v[82:83], -v[86:87]
	v_add_f64 v[78:79], v[82:83], v[78:79]
	v_add_f64 v[88:89], v[82:83], -v[84:85]
	;; [unrolled: 2-line block ×3, first 2 shown]
	v_add_f64 v[6:7], v[6:7], -v[84:85]
	v_add_f64 v[80:81], v[82:83], -v[80:81]
	v_add_f64 v[6:7], v[6:7], v[86:87]
	v_add_f64 v[78:79], v[78:79], -v[80:81]
	v_add_f64 v[6:7], v[6:7], v[78:79]
	v_max_f64 v[78:79], |v[12:13]|, |v[12:13]|
	v_max_f64 v[80:81], |v[10:11]|, |v[10:11]|
	v_add_f64 v[6:7], v[82:83], v[6:7]
	v_max_f64 v[82:83], v[80:81], v[78:79]
	v_min_f64 v[78:79], v[80:81], v[78:79]
	v_div_scale_f64 v[80:81], s[2:3], v[82:83], v[82:83], v[78:79]
	v_cmp_eq_f64_e32 vcc, s[24:25], v[76:77]
	v_rcp_f64_e32 v[84:85], v[80:81]
	v_cndmask_b32_e32 v7, v7, v77, vcc
	v_cndmask_b32_e32 v6, v6, v76, vcc
	v_mul_f64 v[6:7], v[6:7], 0.5
	v_cmp_ngt_f64_e32 vcc, -1.0, v[76:77]
	v_cndmask_b32_e32 v7, v105, v7, vcc
	v_cmp_nge_f64_e32 vcc, -1.0, v[76:77]
	v_cndmask_b32_e32 v6, 0, v6, vcc
	v_cmp_neq_f64_e32 vcc, -1.0, v[76:77]
	v_fma_f64 v[76:77], -v[80:81], v[84:85], 1.0
	v_fmac_f64_e32 v[84:85], v[84:85], v[76:77]
	v_fma_f64 v[76:77], -v[80:81], v[84:85], 1.0
	v_cndmask_b32_e32 v7, v106, v7, vcc
	v_fmac_f64_e32 v[84:85], v[84:85], v[76:77]
	v_div_scale_f64 v[76:77], vcc, v[78:79], v[82:83], v[78:79]
	v_mul_f64 v[86:87], v[76:77], v[84:85]
	v_fma_f64 v[76:77], -v[80:81], v[86:87], v[76:77]
	v_pk_mov_b32 v[80:81], v[32:33], v[32:33] op_sel:[0,1]
	s_nop 0
	v_div_fmas_f64 v[76:77], v[76:77], v[84:85], v[86:87]
	v_div_fixup_f64 v[76:77], v[76:77], v[82:83], v[78:79]
	v_mul_f64 v[78:79], v[76:77], v[76:77]
	v_fmac_f64_e32 v[80:81], s[26:27], v[78:79]
	v_pk_mov_b32 v[82:83], v[34:35], v[34:35] op_sel:[0,1]
	v_fmac_f64_e32 v[82:83], v[78:79], v[80:81]
	v_pk_mov_b32 v[80:81], v[36:37], v[36:37] op_sel:[0,1]
	;; [unrolled: 2-line block ×18, first 2 shown]
	v_fmac_f64_e32 v[80:81], v[78:79], v[82:83]
	v_cmp_gt_i32_e32 vcc, 0, v11
	v_mul_f64 v[78:79], v[78:79], v[80:81]
	v_cmp_class_f64_e64 s[56:57], v[10:11], s63
	v_cndmask_b32_e32 v10, v109, v110, vcc
	v_fmac_f64_e32 v[76:77], v[76:77], v[78:79]
	v_bfi_b32 v19, s61, v10, v13
	v_ashrrev_i32_e32 v10, 31, v11
	v_and_b32_e32 v78, 0x400921fb, v10
	v_and_b32_e32 v79, 0x54442d18, v10
	v_add_f64 v[10:11], -v[76:77], s[28:29]
	v_cndmask_b32_e64 v11, v77, v11, s[0:1]
	v_cndmask_b32_e64 v10, v76, v10, s[0:1]
	s_mov_b32 s30, s28
	v_add_f64 v[76:77], -v[10:11], s[30:31]
	v_cmp_class_f64_e64 s[2:3], v[12:13], s63
	v_cndmask_b32_e32 v8, v107, v108, vcc
	v_cndmask_b32_e32 v11, v11, v77, vcc
	;; [unrolled: 1-line block ×3, first 2 shown]
	v_cmp_eq_f64_e32 vcc, 0, v[12:13]
	v_cndmask_b32_e32 v10, v10, v79, vcc
	v_cndmask_b32_e32 v11, v11, v78, vcc
	s_and_b64 vcc, s[56:57], s[2:3]
	v_cndmask_b32_e32 v77, v11, v19, vcc
	v_cndmask_b32_e32 v76, v10, v8, vcc
.LBB186_209:                            ;   in Loop: Header=BB186_162 Depth=1
	s_or_b64 exec, exec, s[54:55]
.LBB186_210:                            ;   in Loop: Header=BB186_162 Depth=1
	s_or_b64 exec, exec, s[52:53]
.LBB186_211:                            ;   in Loop: Header=BB186_162 Depth=1
	s_andn2_saveexec_b64 s[50:51], s[50:51]
	s_cbranch_execz .LBB186_213
; %bb.212:                              ;   in Loop: Header=BB186_162 Depth=1
	v_max_f64 v[6:7], |v[12:13]|, |v[12:13]|
	v_max_f64 v[76:77], |v[10:11]|, |v[10:11]|
	v_max_f64 v[78:79], v[76:77], v[6:7]
	v_frexp_exp_i32_f64_e32 v8, v[78:79]
	v_sub_u32_e32 v19, 0, v8
	v_ldexp_f64 v[82:83], |v[12:13]|, v19
	v_ldexp_f64 v[80:81], |v[10:11]|, v19
	v_mul_f64 v[82:83], v[82:83], v[82:83]
	v_fmac_f64_e32 v[82:83], v[80:81], v[80:81]
	v_rsq_f64_e32 v[80:81], v[82:83]
	v_cmp_eq_f64_e32 vcc, 0, v[82:83]
	v_cmp_class_f64_e64 s[52:53], v[10:11], s63
	v_cmp_class_f64_e64 s[54:55], v[12:13], s63
	v_mul_f64 v[84:85], v[82:83], v[80:81]
	v_mul_f64 v[80:81], v[80:81], 0.5
	v_fma_f64 v[86:87], -v[80:81], v[84:85], 0.5
	v_fmac_f64_e32 v[84:85], v[84:85], v[86:87]
	v_fmac_f64_e32 v[80:81], v[80:81], v[86:87]
	v_fma_f64 v[86:87], -v[84:85], v[84:85], v[82:83]
	v_fmac_f64_e32 v[84:85], v[86:87], v[80:81]
	v_cndmask_b32_e32 v81, v85, v83, vcc
	v_cndmask_b32_e32 v80, v84, v82, vcc
	v_ldexp_f64 v[80:81], v[80:81], v8
	s_or_b64 vcc, s[52:53], s[54:55]
	v_cndmask_b32_e32 v83, v81, v112, vcc
	v_cndmask_b32_e64 v82, v80, 0, vcc
	v_frexp_mant_f64_e32 v[84:85], v[82:83]
	v_cmp_gt_f64_e64 s[2:3], s[14:15], v[84:85]
	v_cndmask_b32_e64 v19, v111, 2.0, s[2:3]
	v_mul_f64 v[84:85], v[84:85], v[18:19]
	v_add_f64 v[86:87], v[84:85], 1.0
	v_rcp_f64_e32 v[88:89], v[86:87]
	v_add_f64 v[92:93], v[86:87], -1.0
	v_add_f64 v[90:91], v[84:85], -1.0
	v_add_f64 v[84:85], v[84:85], -v[92:93]
	v_fma_f64 v[92:93], -v[86:87], v[88:89], 1.0
	v_fmac_f64_e32 v[88:89], v[92:93], v[88:89]
	v_fma_f64 v[92:93], -v[86:87], v[88:89], 1.0
	v_fmac_f64_e32 v[88:89], v[92:93], v[88:89]
	v_mul_f64 v[92:93], v[90:91], v[88:89]
	v_mul_f64 v[94:95], v[86:87], v[92:93]
	v_fma_f64 v[86:87], v[92:93], v[86:87], -v[94:95]
	v_fmac_f64_e32 v[86:87], v[92:93], v[84:85]
	v_add_f64 v[84:85], v[94:95], v[86:87]
	v_add_f64 v[96:97], v[90:91], -v[84:85]
	v_add_f64 v[94:95], v[84:85], -v[94:95]
	v_add_f64 v[90:91], v[90:91], -v[96:97]
	v_add_f64 v[84:85], v[90:91], -v[84:85]
	v_add_f64 v[86:87], v[94:95], -v[86:87]
	v_add_f64 v[84:85], v[86:87], v[84:85]
	v_add_f64 v[84:85], v[96:97], v[84:85]
	v_mul_f64 v[84:85], v[88:89], v[84:85]
	v_add_f64 v[86:87], v[92:93], v[84:85]
	v_add_f64 v[88:89], v[86:87], -v[92:93]
	v_add_f64 v[84:85], v[84:85], -v[88:89]
	v_mul_f64 v[88:89], v[86:87], v[86:87]
	v_pk_mov_b32 v[90:91], v[20:21], v[20:21] op_sel:[0,1]
	v_fmac_f64_e32 v[90:91], s[18:19], v[88:89]
	v_pk_mov_b32 v[92:93], v[22:23], v[22:23] op_sel:[0,1]
	v_fmac_f64_e32 v[92:93], v[88:89], v[90:91]
	v_pk_mov_b32 v[90:91], v[24:25], v[24:25] op_sel:[0,1]
	v_fmac_f64_e32 v[90:91], v[88:89], v[92:93]
	v_pk_mov_b32 v[92:93], v[26:27], v[26:27] op_sel:[0,1]
	v_fmac_f64_e32 v[92:93], v[88:89], v[90:91]
	v_pk_mov_b32 v[90:91], v[28:29], v[28:29] op_sel:[0,1]
	v_fmac_f64_e32 v[90:91], v[88:89], v[92:93]
	v_pk_mov_b32 v[92:93], v[30:31], v[30:31] op_sel:[0,1]
	v_fmac_f64_e32 v[92:93], v[88:89], v[90:91]
	v_ldexp_f64 v[90:91], v[86:87], 1
	v_mul_f64 v[86:87], v[86:87], v[88:89]
	v_mul_f64 v[86:87], v[86:87], v[92:93]
	v_add_f64 v[88:89], v[90:91], v[86:87]
	v_add_f64 v[90:91], v[88:89], -v[90:91]
	v_ldexp_f64 v[84:85], v[84:85], 1
	v_add_f64 v[86:87], v[86:87], -v[90:91]
	v_add_f64 v[84:85], v[84:85], v[86:87]
	v_frexp_exp_i32_f64_e32 v8, v[82:83]
	v_add_f64 v[86:87], v[88:89], v[84:85]
	v_subbrev_co_u32_e64 v8, s[2:3], 0, v8, s[2:3]
	v_add_f64 v[88:89], v[86:87], -v[88:89]
	v_add_f64 v[84:85], v[84:85], -v[88:89]
	v_cvt_f64_i32_e32 v[88:89], v8
	v_mul_f64 v[90:91], v[88:89], s[20:21]
	v_fma_f64 v[92:93], v[88:89], s[20:21], -v[90:91]
	v_fmac_f64_e32 v[92:93], s[22:23], v[88:89]
	v_add_f64 v[88:89], v[90:91], v[92:93]
	v_add_f64 v[90:91], v[88:89], -v[90:91]
	v_add_f64 v[90:91], v[92:93], -v[90:91]
	v_add_f64 v[92:93], v[88:89], v[86:87]
	v_add_f64 v[94:95], v[92:93], -v[88:89]
	v_add_f64 v[96:97], v[92:93], -v[94:95]
	;; [unrolled: 1-line block ×4, first 2 shown]
	v_add_f64 v[86:87], v[86:87], v[88:89]
	v_add_f64 v[88:89], v[90:91], v[84:85]
	v_add_f64 v[94:95], v[88:89], -v[90:91]
	v_add_f64 v[96:97], v[88:89], -v[94:95]
	v_add_f64 v[86:87], v[88:89], v[86:87]
	v_add_f64 v[90:91], v[90:91], -v[96:97]
	v_add_f64 v[84:85], v[84:85], -v[94:95]
	v_add_f64 v[88:89], v[92:93], v[86:87]
	v_add_f64 v[84:85], v[84:85], v[90:91]
	v_add_f64 v[90:91], v[88:89], -v[92:93]
	v_add_f64 v[86:87], v[86:87], -v[90:91]
	v_add_f64 v[84:85], v[84:85], v[86:87]
	v_add_f64 v[84:85], v[88:89], v[84:85]
	v_cmp_class_f64_e64 s[2:3], v[80:81], s63
	v_min_f64 v[76:77], v[76:77], v[6:7]
	v_cndmask_b32_e64 v8, v85, v81, s[2:3]
	v_cndmask_b32_e64 v10, v84, v80, s[2:3]
	v_div_scale_f64 v[80:81], s[2:3], v[78:79], v[78:79], v[76:77]
	v_rcp_f64_e32 v[84:85], v[80:81]
	v_cndmask_b32_e64 v10, v10, 0, vcc
	v_cndmask_b32_e32 v8, v8, v112, vcc
	v_cmp_ngt_f64_e32 vcc, 0, v[82:83]
	v_cndmask_b32_e32 v8, v105, v8, vcc
	v_cmp_nge_f64_e32 vcc, 0, v[82:83]
	v_cndmask_b32_e32 v6, 0, v10, vcc
	v_cmp_neq_f64_e32 vcc, 0, v[82:83]
	v_fma_f64 v[82:83], -v[80:81], v[84:85], 1.0
	v_fmac_f64_e32 v[84:85], v[84:85], v[82:83]
	v_fma_f64 v[82:83], -v[80:81], v[84:85], 1.0
	v_cndmask_b32_e32 v7, v106, v8, vcc
	v_fmac_f64_e32 v[84:85], v[84:85], v[82:83]
	v_div_scale_f64 v[82:83], vcc, v[76:77], v[78:79], v[76:77]
	v_mul_f64 v[86:87], v[82:83], v[84:85]
	v_fma_f64 v[80:81], -v[80:81], v[86:87], v[82:83]
	v_pk_mov_b32 v[82:83], v[34:35], v[34:35] op_sel:[0,1]
	s_nop 0
	v_div_fmas_f64 v[80:81], v[80:81], v[84:85], v[86:87]
	v_div_fixup_f64 v[76:77], v[80:81], v[78:79], v[76:77]
	v_mul_f64 v[78:79], v[76:77], v[76:77]
	v_pk_mov_b32 v[80:81], v[32:33], v[32:33] op_sel:[0,1]
	v_fmac_f64_e32 v[80:81], s[26:27], v[78:79]
	v_fmac_f64_e32 v[82:83], v[78:79], v[80:81]
	v_pk_mov_b32 v[80:81], v[36:37], v[36:37] op_sel:[0,1]
	v_fmac_f64_e32 v[80:81], v[78:79], v[82:83]
	v_pk_mov_b32 v[82:83], v[38:39], v[38:39] op_sel:[0,1]
	;; [unrolled: 2-line block ×17, first 2 shown]
	v_fmac_f64_e32 v[80:81], v[78:79], v[82:83]
	v_cmp_gt_i32_e32 vcc, 0, v11
	v_mul_f64 v[78:79], v[78:79], v[80:81]
	v_cndmask_b32_e32 v10, v109, v110, vcc
	v_fmac_f64_e32 v[76:77], v[76:77], v[78:79]
	v_bfi_b32 v19, s61, v10, v13
	v_ashrrev_i32_e32 v10, 31, v11
	v_and_b32_e32 v78, 0x400921fb, v10
	v_and_b32_e32 v79, 0x54442d18, v10
	v_add_f64 v[10:11], -v[76:77], s[28:29]
	v_cndmask_b32_e64 v11, v77, v11, s[0:1]
	v_cndmask_b32_e64 v10, v76, v10, s[0:1]
	s_mov_b32 s30, s28
	v_add_f64 v[76:77], -v[10:11], s[30:31]
	v_cndmask_b32_e32 v8, v107, v108, vcc
	v_cndmask_b32_e32 v11, v11, v77, vcc
	;; [unrolled: 1-line block ×3, first 2 shown]
	v_cmp_eq_f64_e32 vcc, 0, v[12:13]
	v_cndmask_b32_e32 v10, v10, v79, vcc
	v_cndmask_b32_e32 v11, v11, v78, vcc
	s_and_b64 vcc, s[52:53], s[54:55]
	v_cndmask_b32_e32 v77, v11, v19, vcc
	v_cndmask_b32_e32 v76, v10, v8, vcc
.LBB186_213:                            ;   in Loop: Header=BB186_162 Depth=1
	s_or_b64 exec, exec, s[50:51]
                                        ; implicit-def: $vgpr78_vgpr79
.LBB186_214:                            ;   in Loop: Header=BB186_162 Depth=1
	s_andn2_saveexec_b64 s[2:3], s[48:49]
	s_cbranch_execz .LBB186_220
; %bb.215:                              ;   in Loop: Header=BB186_162 Depth=1
	v_cmp_ngt_f64_e32 vcc, s[36:37], v[78:79]
                                        ; implicit-def: $vgpr6_vgpr7
                                        ; implicit-def: $vgpr76_vgpr77
	s_and_saveexec_b64 s[48:49], vcc
	s_xor_b64 s[48:49], exec, s[48:49]
	s_cbranch_execz .LBB186_217
; %bb.216:                              ;   in Loop: Header=BB186_162 Depth=1
	v_mul_f64 v[6:7], v[78:79], v[78:79]
	v_add_f64 v[76:77], v[6:7], 1.0
	v_add_f64 v[78:79], v[76:77], -1.0
	v_add_f64 v[80:81], v[78:79], -v[76:77]
	v_add_f64 v[80:81], v[80:81], 1.0
	v_add_f64 v[78:79], v[6:7], -v[78:79]
	v_add_f64 v[78:79], v[78:79], v[80:81]
	v_frexp_mant_f64_e32 v[80:81], v[76:77]
	v_frexp_exp_i32_f64_e32 v8, v[76:77]
	v_cmp_gt_f64_e32 vcc, s[14:15], v[80:81]
	v_subbrev_co_u32_e32 v8, vcc, 0, v8, vcc
	v_sub_u32_e32 v19, 0, v8
	v_ldexp_f64 v[76:77], v[76:77], v19
	v_add_f64 v[80:81], v[76:77], -1.0
	v_add_f64 v[86:87], v[76:77], 1.0
	v_add_f64 v[82:83], v[80:81], 1.0
	v_add_f64 v[88:89], v[86:87], -1.0
	v_ldexp_f64 v[78:79], v[78:79], v19
	v_add_f64 v[82:83], v[76:77], -v[82:83]
	v_add_f64 v[76:77], v[76:77], -v[88:89]
	v_add_f64 v[76:77], v[78:79], v[76:77]
	v_add_f64 v[82:83], v[78:79], v[82:83]
	;; [unrolled: 1-line block ×3, first 2 shown]
	v_rcp_f64_e32 v[88:89], v[78:79]
	v_add_f64 v[84:85], v[80:81], v[82:83]
	v_add_f64 v[80:81], v[80:81], -v[84:85]
	v_add_f64 v[80:81], v[82:83], v[80:81]
	v_add_f64 v[82:83], v[86:87], -v[78:79]
	v_add_f64 v[76:77], v[76:77], v[82:83]
	v_fma_f64 v[82:83], -v[78:79], v[88:89], 1.0
	v_fmac_f64_e32 v[88:89], v[82:83], v[88:89]
	v_fma_f64 v[82:83], -v[78:79], v[88:89], 1.0
	v_fmac_f64_e32 v[88:89], v[82:83], v[88:89]
	v_mul_f64 v[82:83], v[84:85], v[88:89]
	v_mul_f64 v[86:87], v[78:79], v[82:83]
	v_fma_f64 v[90:91], v[82:83], v[78:79], -v[86:87]
	v_fmac_f64_e32 v[90:91], v[82:83], v[76:77]
	v_add_f64 v[92:93], v[86:87], v[90:91]
	v_add_f64 v[94:95], v[84:85], -v[92:93]
	v_add_f64 v[84:85], v[84:85], -v[94:95]
	v_add_f64 v[86:87], v[92:93], -v[86:87]
	v_add_f64 v[84:85], v[84:85], -v[92:93]
	v_add_f64 v[80:81], v[80:81], v[84:85]
	v_add_f64 v[84:85], v[86:87], -v[90:91]
	v_add_f64 v[80:81], v[84:85], v[80:81]
	v_add_f64 v[84:85], v[94:95], v[80:81]
	v_add_f64 v[86:87], v[94:95], -v[84:85]
	v_add_f64 v[80:81], v[80:81], v[86:87]
	v_mul_f64 v[86:87], v[88:89], v[84:85]
	v_mul_f64 v[90:91], v[78:79], v[86:87]
	v_fma_f64 v[78:79], v[86:87], v[78:79], -v[90:91]
	v_fmac_f64_e32 v[78:79], v[86:87], v[76:77]
	v_add_f64 v[76:77], v[90:91], v[78:79]
	v_add_f64 v[92:93], v[84:85], -v[76:77]
	v_add_f64 v[84:85], v[84:85], -v[92:93]
	;; [unrolled: 1-line block ×4, first 2 shown]
	v_add_f64 v[76:77], v[80:81], v[76:77]
	v_add_f64 v[78:79], v[90:91], -v[78:79]
	v_add_f64 v[76:77], v[78:79], v[76:77]
	v_add_f64 v[78:79], v[82:83], v[86:87]
	;; [unrolled: 1-line block ×3, first 2 shown]
	v_add_f64 v[80:81], v[78:79], -v[82:83]
	v_mul_f64 v[76:77], v[88:89], v[76:77]
	v_add_f64 v[80:81], v[86:87], -v[80:81]
	v_add_f64 v[76:77], v[80:81], v[76:77]
	v_add_f64 v[80:81], v[78:79], v[76:77]
	v_add_f64 v[78:79], v[80:81], -v[78:79]
	v_add_f64 v[76:77], v[76:77], -v[78:79]
	v_mul_f64 v[78:79], v[80:81], v[80:81]
	v_pk_mov_b32 v[82:83], v[20:21], v[20:21] op_sel:[0,1]
	v_fmac_f64_e32 v[82:83], s[18:19], v[78:79]
	v_pk_mov_b32 v[84:85], v[22:23], v[22:23] op_sel:[0,1]
	v_fmac_f64_e32 v[84:85], v[78:79], v[82:83]
	;; [unrolled: 2-line block ×6, first 2 shown]
	v_cvt_f64_i32_e32 v[82:83], v8
	v_mul_f64 v[86:87], v[82:83], s[20:21]
	v_fma_f64 v[88:89], v[82:83], s[20:21], -v[86:87]
	v_fmac_f64_e32 v[88:89], s[22:23], v[82:83]
	v_add_f64 v[82:83], v[86:87], v[88:89]
	v_add_f64 v[86:87], v[82:83], -v[86:87]
	v_mul_f64 v[78:79], v[80:81], v[78:79]
	v_add_f64 v[86:87], v[88:89], -v[86:87]
	v_ldexp_f64 v[88:89], v[80:81], 1
	v_mul_f64 v[78:79], v[78:79], v[84:85]
	v_add_f64 v[80:81], v[88:89], v[78:79]
	v_add_f64 v[84:85], v[80:81], -v[88:89]
	v_ldexp_f64 v[76:77], v[76:77], 1
	v_add_f64 v[78:79], v[78:79], -v[84:85]
	v_add_f64 v[76:77], v[76:77], v[78:79]
	v_add_f64 v[78:79], v[80:81], v[76:77]
	v_add_f64 v[80:81], v[78:79], -v[80:81]
	v_add_f64 v[76:77], v[76:77], -v[80:81]
	v_add_f64 v[80:81], v[82:83], v[78:79]
	v_add_f64 v[84:85], v[80:81], -v[82:83]
	v_add_f64 v[88:89], v[80:81], -v[84:85]
	;; [unrolled: 1-line block ×4, first 2 shown]
	v_add_f64 v[78:79], v[78:79], v[82:83]
	v_add_f64 v[82:83], v[86:87], v[76:77]
	v_add_f64 v[84:85], v[82:83], -v[86:87]
	v_add_f64 v[78:79], v[82:83], v[78:79]
	v_add_f64 v[88:89], v[82:83], -v[84:85]
	;; [unrolled: 2-line block ×3, first 2 shown]
	v_add_f64 v[76:77], v[76:77], -v[84:85]
	v_add_f64 v[80:81], v[82:83], -v[80:81]
	v_add_f64 v[76:77], v[76:77], v[86:87]
	v_add_f64 v[78:79], v[78:79], -v[80:81]
	v_add_f64 v[76:77], v[76:77], v[78:79]
	v_max_f64 v[78:79], |v[12:13]|, |v[12:13]|
	v_max_f64 v[80:81], |v[10:11]|, |v[10:11]|
	v_add_f64 v[76:77], v[82:83], v[76:77]
	v_max_f64 v[82:83], v[80:81], v[78:79]
	v_min_f64 v[78:79], v[80:81], v[78:79]
	v_div_scale_f64 v[80:81], s[50:51], v[82:83], v[82:83], v[78:79]
	v_rcp_f64_e32 v[84:85], v[80:81]
	v_cmp_eq_f64_e32 vcc, s[24:25], v[6:7]
	v_cndmask_b32_e32 v7, v77, v7, vcc
	v_cndmask_b32_e32 v6, v76, v6, vcc
	v_fma_f64 v[76:77], -v[80:81], v[84:85], 1.0
	v_fmac_f64_e32 v[84:85], v[84:85], v[76:77]
	v_fma_f64 v[76:77], -v[80:81], v[84:85], 1.0
	v_fmac_f64_e32 v[84:85], v[84:85], v[76:77]
	v_div_scale_f64 v[76:77], vcc, v[78:79], v[82:83], v[78:79]
	v_mul_f64 v[86:87], v[76:77], v[84:85]
	v_fma_f64 v[76:77], -v[80:81], v[86:87], v[76:77]
	v_pk_mov_b32 v[80:81], v[32:33], v[32:33] op_sel:[0,1]
	s_nop 0
	v_div_fmas_f64 v[76:77], v[76:77], v[84:85], v[86:87]
	v_div_fixup_f64 v[76:77], v[76:77], v[82:83], v[78:79]
	v_mul_f64 v[78:79], v[76:77], v[76:77]
	v_fmac_f64_e32 v[80:81], s[26:27], v[78:79]
	v_pk_mov_b32 v[82:83], v[34:35], v[34:35] op_sel:[0,1]
	v_fmac_f64_e32 v[82:83], v[78:79], v[80:81]
	v_pk_mov_b32 v[80:81], v[36:37], v[36:37] op_sel:[0,1]
	;; [unrolled: 2-line block ×18, first 2 shown]
	v_fmac_f64_e32 v[80:81], v[78:79], v[82:83]
	v_cmp_gt_i32_e32 vcc, 0, v11
	v_mul_f64 v[78:79], v[78:79], v[80:81]
	v_cmp_class_f64_e64 s[52:53], v[10:11], s63
	v_cndmask_b32_e32 v10, v109, v110, vcc
	v_fmac_f64_e32 v[76:77], v[76:77], v[78:79]
	v_bfi_b32 v19, s61, v10, v13
	v_ashrrev_i32_e32 v10, 31, v11
	v_and_b32_e32 v78, 0x400921fb, v10
	v_and_b32_e32 v79, 0x54442d18, v10
	v_add_f64 v[10:11], -v[76:77], s[28:29]
	v_cndmask_b32_e64 v11, v77, v11, s[0:1]
	v_cndmask_b32_e64 v10, v76, v10, s[0:1]
	s_mov_b32 s30, s28
	v_add_f64 v[76:77], -v[10:11], s[30:31]
	v_cmp_class_f64_e64 s[50:51], v[12:13], s63
	v_cndmask_b32_e32 v8, v107, v108, vcc
	v_cndmask_b32_e32 v11, v11, v77, vcc
	;; [unrolled: 1-line block ×3, first 2 shown]
	v_cmp_eq_f64_e32 vcc, 0, v[12:13]
	v_cndmask_b32_e32 v10, v10, v79, vcc
	v_cndmask_b32_e32 v11, v11, v78, vcc
	s_and_b64 vcc, s[52:53], s[50:51]
	v_mul_f64 v[6:7], v[6:7], 0.5
	v_cndmask_b32_e32 v77, v11, v19, vcc
	v_cndmask_b32_e32 v76, v10, v8, vcc
                                        ; implicit-def: $vgpr78_vgpr79
.LBB186_217:                            ;   in Loop: Header=BB186_162 Depth=1
	s_andn2_saveexec_b64 s[48:49], s[48:49]
	s_cbranch_execz .LBB186_219
; %bb.218:                              ;   in Loop: Header=BB186_162 Depth=1
	v_max_f64 v[6:7], |v[12:13]|, |v[12:13]|
	v_max_f64 v[76:77], |v[10:11]|, |v[10:11]|
	v_max_f64 v[80:81], v[76:77], v[6:7]
	v_min_f64 v[76:77], v[76:77], v[6:7]
	v_div_scale_f64 v[82:83], s[50:51], v[80:81], v[80:81], v[76:77]
	v_rcp_f64_e32 v[84:85], v[82:83]
	v_mul_f64 v[6:7], v[78:79], 0.5
	v_mul_f64 v[6:7], v[78:79], v[6:7]
	v_cmp_class_f64_e64 s[52:53], v[10:11], s63
	v_fma_f64 v[78:79], -v[82:83], v[84:85], 1.0
	v_fmac_f64_e32 v[84:85], v[84:85], v[78:79]
	v_fma_f64 v[78:79], -v[82:83], v[84:85], 1.0
	v_fmac_f64_e32 v[84:85], v[84:85], v[78:79]
	v_div_scale_f64 v[78:79], vcc, v[76:77], v[80:81], v[76:77]
	v_mul_f64 v[86:87], v[78:79], v[84:85]
	v_fma_f64 v[78:79], -v[82:83], v[86:87], v[78:79]
	v_pk_mov_b32 v[82:83], v[34:35], v[34:35] op_sel:[0,1]
	s_nop 0
	v_div_fmas_f64 v[78:79], v[78:79], v[84:85], v[86:87]
	v_div_fixup_f64 v[76:77], v[78:79], v[80:81], v[76:77]
	v_mul_f64 v[78:79], v[76:77], v[76:77]
	v_pk_mov_b32 v[80:81], v[32:33], v[32:33] op_sel:[0,1]
	v_fmac_f64_e32 v[80:81], s[26:27], v[78:79]
	v_fmac_f64_e32 v[82:83], v[78:79], v[80:81]
	v_pk_mov_b32 v[80:81], v[36:37], v[36:37] op_sel:[0,1]
	v_fmac_f64_e32 v[80:81], v[78:79], v[82:83]
	v_pk_mov_b32 v[82:83], v[38:39], v[38:39] op_sel:[0,1]
	;; [unrolled: 2-line block ×17, first 2 shown]
	v_fmac_f64_e32 v[80:81], v[78:79], v[82:83]
	v_cmp_gt_i32_e32 vcc, 0, v11
	v_mul_f64 v[78:79], v[78:79], v[80:81]
	v_cndmask_b32_e32 v10, v109, v110, vcc
	v_fmac_f64_e32 v[76:77], v[76:77], v[78:79]
	v_bfi_b32 v19, s61, v10, v13
	v_ashrrev_i32_e32 v10, 31, v11
	v_and_b32_e32 v78, 0x400921fb, v10
	v_and_b32_e32 v79, 0x54442d18, v10
	v_add_f64 v[10:11], -v[76:77], s[28:29]
	v_cndmask_b32_e64 v11, v77, v11, s[0:1]
	v_cndmask_b32_e64 v10, v76, v10, s[0:1]
	s_mov_b32 s30, s28
	v_add_f64 v[76:77], -v[10:11], s[30:31]
	v_cmp_class_f64_e64 s[50:51], v[12:13], s63
	v_cndmask_b32_e32 v8, v107, v108, vcc
	v_cndmask_b32_e32 v11, v11, v77, vcc
	;; [unrolled: 1-line block ×3, first 2 shown]
	v_cmp_eq_f64_e32 vcc, 0, v[12:13]
	v_cndmask_b32_e32 v10, v10, v79, vcc
	v_cndmask_b32_e32 v11, v11, v78, vcc
	s_and_b64 vcc, s[52:53], s[50:51]
	v_cndmask_b32_e32 v77, v11, v19, vcc
	v_cndmask_b32_e32 v76, v10, v8, vcc
.LBB186_219:                            ;   in Loop: Header=BB186_162 Depth=1
	s_or_b64 exec, exec, s[48:49]
.LBB186_220:                            ;   in Loop: Header=BB186_162 Depth=1
	s_or_b64 exec, exec, s[2:3]
.LBB186_221:                            ;   in Loop: Header=BB186_162 Depth=1
	s_andn2_saveexec_b64 s[48:49], s[4:5]
	s_cbranch_execz .LBB186_223
; %bb.222:                              ;   in Loop: Header=BB186_162 Depth=1
	v_div_scale_f64 v[6:7], s[2:3], s[38:39], s[38:39], v[10:11]
	v_rcp_f64_e32 v[76:77], v[6:7]
	v_div_scale_f64 v[78:79], vcc, v[10:11], s[38:39], v[10:11]
	s_mov_b32 s30, s28
	v_fma_f64 v[80:81], -v[6:7], v[76:77], 1.0
	v_fmac_f64_e32 v[76:77], v[76:77], v[80:81]
	v_fma_f64 v[80:81], -v[6:7], v[76:77], 1.0
	v_fmac_f64_e32 v[76:77], v[76:77], v[80:81]
	v_mul_f64 v[80:81], v[78:79], v[76:77]
	v_fma_f64 v[6:7], -v[6:7], v[80:81], v[78:79]
	v_div_scale_f64 v[78:79], s[2:3], s[38:39], s[38:39], v[12:13]
	v_rcp_f64_e32 v[82:83], v[78:79]
	v_div_fmas_f64 v[6:7], v[6:7], v[76:77], v[80:81]
	v_div_fixup_f64 v[6:7], v[6:7], s[38:39], v[10:11]
	v_cmp_class_f64_e64 s[4:5], v[6:7], s63
	v_fma_f64 v[76:77], -v[78:79], v[82:83], 1.0
	v_fmac_f64_e32 v[82:83], v[82:83], v[76:77]
	v_fma_f64 v[76:77], -v[78:79], v[82:83], 1.0
	v_fmac_f64_e32 v[82:83], v[82:83], v[76:77]
	v_div_scale_f64 v[76:77], vcc, v[12:13], s[38:39], v[12:13]
	v_mul_f64 v[80:81], v[76:77], v[82:83]
	v_fma_f64 v[76:77], -v[78:79], v[80:81], v[76:77]
	s_nop 1
	v_div_fmas_f64 v[76:77], v[76:77], v[82:83], v[80:81]
	v_div_fixup_f64 v[76:77], v[76:77], s[38:39], v[12:13]
	v_max_f64 v[78:79], |v[6:7]|, |v[76:77]|
	v_frexp_exp_i32_f64_e32 v8, v[78:79]
	v_sub_u32_e32 v19, 0, v8
	v_ldexp_f64 v[80:81], |v[76:77]|, v19
	v_ldexp_f64 v[78:79], |v[6:7]|, v19
	v_mul_f64 v[80:81], v[80:81], v[80:81]
	v_fmac_f64_e32 v[80:81], v[78:79], v[78:79]
	v_rsq_f64_e32 v[78:79], v[80:81]
	v_cmp_eq_f64_e32 vcc, 0, v[80:81]
	v_cmp_o_f64_e64 s[2:3], v[6:7], v[76:77]
	v_cmp_class_f64_e64 s[50:51], v[76:77], s63
	v_mul_f64 v[82:83], v[80:81], v[78:79]
	v_mul_f64 v[78:79], v[78:79], 0.5
	v_fma_f64 v[84:85], -v[78:79], v[82:83], 0.5
	v_fmac_f64_e32 v[82:83], v[82:83], v[84:85]
	v_fmac_f64_e32 v[78:79], v[78:79], v[84:85]
	v_fma_f64 v[84:85], -v[82:83], v[82:83], v[80:81]
	v_fmac_f64_e32 v[82:83], v[84:85], v[78:79]
	v_cndmask_b32_e32 v79, v83, v81, vcc
	v_cndmask_b32_e32 v78, v82, v80, vcc
	v_ldexp_f64 v[78:79], v[78:79], v8
	v_cndmask_b32_e64 v8, 0, v78, s[2:3]
	v_cndmask_b32_e64 v92, v105, v79, s[2:3]
	s_or_b64 vcc, s[4:5], s[50:51]
	v_cndmask_b32_e32 v77, v92, v112, vcc
	v_cndmask_b32_e64 v76, v8, 0, vcc
	v_frexp_mant_f64_e32 v[6:7], v[76:77]
	v_cmp_gt_f64_e64 s[4:5], s[14:15], v[6:7]
	v_cndmask_b32_e64 v19, v111, 2.0, s[4:5]
	v_frexp_exp_i32_f64_e32 v80, v[76:77]
	v_mul_f64 v[6:7], v[6:7], v[18:19]
	v_subbrev_co_u32_e64 v19, s[4:5], 0, v80, s[4:5]
	v_add_f64 v[80:81], v[6:7], 1.0
	v_rcp_f64_e32 v[82:83], v[80:81]
	v_add_f64 v[86:87], v[80:81], -1.0
	v_add_f64 v[84:85], v[6:7], -1.0
	v_add_f64 v[6:7], v[6:7], -v[86:87]
	v_fma_f64 v[86:87], -v[80:81], v[82:83], 1.0
	v_fmac_f64_e32 v[82:83], v[86:87], v[82:83]
	v_fma_f64 v[86:87], -v[80:81], v[82:83], 1.0
	v_fmac_f64_e32 v[82:83], v[86:87], v[82:83]
	v_mul_f64 v[86:87], v[84:85], v[82:83]
	v_mul_f64 v[88:89], v[80:81], v[86:87]
	v_fma_f64 v[80:81], v[86:87], v[80:81], -v[88:89]
	v_fmac_f64_e32 v[80:81], v[86:87], v[6:7]
	v_add_f64 v[6:7], v[88:89], v[80:81]
	v_add_f64 v[90:91], v[84:85], -v[6:7]
	v_add_f64 v[88:89], v[6:7], -v[88:89]
	;; [unrolled: 1-line block ×5, first 2 shown]
	v_add_f64 v[6:7], v[80:81], v[6:7]
	v_add_f64 v[6:7], v[90:91], v[6:7]
	v_mul_f64 v[6:7], v[82:83], v[6:7]
	v_add_f64 v[80:81], v[86:87], v[6:7]
	v_add_f64 v[82:83], v[80:81], -v[86:87]
	v_add_f64 v[6:7], v[6:7], -v[82:83]
	v_mul_f64 v[82:83], v[80:81], v[80:81]
	v_pk_mov_b32 v[84:85], v[20:21], v[20:21] op_sel:[0,1]
	v_fmac_f64_e32 v[84:85], s[18:19], v[82:83]
	v_pk_mov_b32 v[86:87], v[22:23], v[22:23] op_sel:[0,1]
	v_fmac_f64_e32 v[86:87], v[82:83], v[84:85]
	;; [unrolled: 2-line block ×6, first 2 shown]
	v_ldexp_f64 v[84:85], v[80:81], 1
	v_mul_f64 v[80:81], v[80:81], v[82:83]
	v_mul_f64 v[80:81], v[80:81], v[86:87]
	v_add_f64 v[82:83], v[84:85], v[80:81]
	v_add_f64 v[84:85], v[82:83], -v[84:85]
	v_ldexp_f64 v[6:7], v[6:7], 1
	v_add_f64 v[80:81], v[80:81], -v[84:85]
	v_add_f64 v[6:7], v[6:7], v[80:81]
	v_add_f64 v[80:81], v[82:83], v[6:7]
	v_add_f64 v[82:83], v[80:81], -v[82:83]
	v_add_f64 v[6:7], v[6:7], -v[82:83]
	v_cvt_f64_i32_e32 v[82:83], v19
	v_mul_f64 v[84:85], v[82:83], s[20:21]
	v_fma_f64 v[86:87], v[82:83], s[20:21], -v[84:85]
	v_fmac_f64_e32 v[86:87], s[22:23], v[82:83]
	v_add_f64 v[82:83], v[84:85], v[86:87]
	v_add_f64 v[84:85], v[82:83], -v[84:85]
	v_add_f64 v[84:85], v[86:87], -v[84:85]
	v_add_f64 v[86:87], v[82:83], v[80:81]
	v_add_f64 v[88:89], v[86:87], -v[82:83]
	v_add_f64 v[90:91], v[86:87], -v[88:89]
	;; [unrolled: 1-line block ×4, first 2 shown]
	v_add_f64 v[80:81], v[80:81], v[82:83]
	v_add_f64 v[82:83], v[84:85], v[6:7]
	v_add_f64 v[88:89], v[82:83], -v[84:85]
	v_add_f64 v[90:91], v[82:83], -v[88:89]
	v_add_f64 v[80:81], v[82:83], v[80:81]
	v_add_f64 v[84:85], v[84:85], -v[90:91]
	v_add_f64 v[6:7], v[6:7], -v[88:89]
	v_add_f64 v[82:83], v[86:87], v[80:81]
	v_add_f64 v[6:7], v[6:7], v[84:85]
	v_add_f64 v[84:85], v[82:83], -v[86:87]
	v_add_f64 v[80:81], v[80:81], -v[84:85]
	v_and_b32_e32 v79, 0x7fffffff, v79
	v_add_f64 v[6:7], v[6:7], v[80:81]
	v_cmp_eq_f64_e64 s[4:5], s[24:25], v[78:79]
	v_add_f64 v[6:7], v[82:83], v[6:7]
	s_and_b64 s[2:3], s[2:3], s[4:5]
	v_cndmask_b32_e64 v7, v7, v92, s[2:3]
	v_cndmask_b32_e64 v6, v6, v8, s[2:3]
	v_add_f64 v[6:7], v[6:7], 1.0
	v_cndmask_b32_e64 v8, v6, 0, vcc
	v_cndmask_b32_e32 v6, v7, v112, vcc
	v_cmp_ngt_f64_e32 vcc, 0, v[76:77]
	v_cndmask_b32_e32 v19, v105, v6, vcc
	v_max_f64 v[6:7], |v[12:13]|, |v[12:13]|
	v_max_f64 v[78:79], |v[10:11]|, |v[10:11]|
	v_max_f64 v[80:81], v[78:79], v[6:7]
	v_min_f64 v[78:79], v[78:79], v[6:7]
	v_div_scale_f64 v[82:83], s[2:3], v[80:81], v[80:81], v[78:79]
	v_rcp_f64_e32 v[84:85], v[82:83]
	v_cmp_nge_f64_e32 vcc, 0, v[76:77]
	v_cndmask_b32_e32 v6, 0, v8, vcc
	v_cmp_neq_f64_e32 vcc, 0, v[76:77]
	v_fma_f64 v[76:77], -v[82:83], v[84:85], 1.0
	v_fmac_f64_e32 v[84:85], v[84:85], v[76:77]
	v_fma_f64 v[76:77], -v[82:83], v[84:85], 1.0
	v_cndmask_b32_e32 v7, v106, v19, vcc
	v_fmac_f64_e32 v[84:85], v[84:85], v[76:77]
	v_div_scale_f64 v[76:77], vcc, v[78:79], v[80:81], v[78:79]
	v_mul_f64 v[86:87], v[76:77], v[84:85]
	v_fma_f64 v[76:77], -v[82:83], v[86:87], v[76:77]
	v_pk_mov_b32 v[82:83], v[34:35], v[34:35] op_sel:[0,1]
	s_nop 0
	v_div_fmas_f64 v[76:77], v[76:77], v[84:85], v[86:87]
	v_div_fixup_f64 v[76:77], v[76:77], v[80:81], v[78:79]
	v_mul_f64 v[78:79], v[76:77], v[76:77]
	v_pk_mov_b32 v[80:81], v[32:33], v[32:33] op_sel:[0,1]
	v_fmac_f64_e32 v[80:81], s[26:27], v[78:79]
	v_fmac_f64_e32 v[82:83], v[78:79], v[80:81]
	v_pk_mov_b32 v[80:81], v[36:37], v[36:37] op_sel:[0,1]
	v_fmac_f64_e32 v[80:81], v[78:79], v[82:83]
	v_pk_mov_b32 v[82:83], v[38:39], v[38:39] op_sel:[0,1]
	;; [unrolled: 2-line block ×17, first 2 shown]
	v_fmac_f64_e32 v[80:81], v[78:79], v[82:83]
	v_cmp_gt_i32_e32 vcc, 0, v11
	v_mul_f64 v[78:79], v[78:79], v[80:81]
	v_cmp_class_f64_e64 s[4:5], v[10:11], s63
	v_cndmask_b32_e32 v10, v109, v110, vcc
	v_fmac_f64_e32 v[76:77], v[76:77], v[78:79]
	v_bfi_b32 v19, s61, v10, v13
	v_ashrrev_i32_e32 v10, 31, v11
	v_and_b32_e32 v78, 0x400921fb, v10
	v_and_b32_e32 v79, 0x54442d18, v10
	v_add_f64 v[10:11], -v[76:77], s[28:29]
	v_cndmask_b32_e64 v11, v77, v11, s[0:1]
	v_cndmask_b32_e64 v10, v76, v10, s[0:1]
	v_add_f64 v[76:77], -v[10:11], s[30:31]
	v_cmp_class_f64_e64 s[2:3], v[12:13], s63
	v_cndmask_b32_e32 v8, v107, v108, vcc
	v_cndmask_b32_e32 v11, v11, v77, vcc
	;; [unrolled: 1-line block ×3, first 2 shown]
	v_cmp_eq_f64_e32 vcc, 0, v[12:13]
	v_cndmask_b32_e32 v10, v10, v79, vcc
	v_cndmask_b32_e32 v11, v11, v78, vcc
	s_and_b64 vcc, s[4:5], s[2:3]
	v_cndmask_b32_e32 v77, v11, v19, vcc
	v_cndmask_b32_e32 v76, v10, v8, vcc
.LBB186_223:                            ;   in Loop: Header=BB186_162 Depth=1
	s_or_b64 exec, exec, s[48:49]
.LBB186_224:                            ;   in Loop: Header=BB186_162 Depth=1
	s_andn2_saveexec_b64 s[0:1], s[46:47]
	s_cbranch_execz .LBB186_230
; %bb.225:                              ;   in Loop: Header=BB186_162 Depth=1
	v_cmp_nlt_f64_e64 s[2:3], |v[10:11]|, s[40:41]
	v_cmp_nlt_f64_e64 s[4:5], |v[12:13]|, s[40:41]
	s_or_b64 s[2:3], s[2:3], s[4:5]
                                        ; implicit-def: $vgpr76_vgpr77
	s_and_saveexec_b64 s[4:5], s[2:3]
	s_xor_b64 s[2:3], exec, s[4:5]
; %bb.226:                              ;   in Loop: Header=BB186_162 Depth=1
	v_mul_f64 v[76:77], v[12:13], v[12:13]
	v_fmac_f64_e32 v[76:77], v[10:11], v[10:11]
; %bb.227:                              ;   in Loop: Header=BB186_162 Depth=1
	s_andn2_saveexec_b64 s[2:3], s[2:3]
; %bb.228:                              ;   in Loop: Header=BB186_162 Depth=1
	v_mul_f64 v[6:7], v[10:11], 4.0
	v_mul_f64 v[10:11], v[12:13], 4.0
	v_mul_f64 v[10:11], v[10:11], v[10:11]
	v_fmac_f64_e32 v[10:11], v[6:7], v[6:7]
	v_ldexp_f64 v[76:77], v[10:11], -4
; %bb.229:                              ;   in Loop: Header=BB186_162 Depth=1
	s_or_b64 exec, exec, s[2:3]
	v_frexp_mant_f64_e32 v[6:7], v[76:77]
	v_cmp_gt_f64_e32 vcc, s[14:15], v[6:7]
	v_cndmask_b32_e64 v19, v111, 2.0, vcc
	v_mul_f64 v[6:7], v[6:7], v[18:19]
	v_add_f64 v[10:11], v[6:7], 1.0
	v_rcp_f64_e32 v[78:79], v[10:11]
	v_add_f64 v[82:83], v[10:11], -1.0
	v_add_f64 v[80:81], v[6:7], -1.0
	v_add_f64 v[6:7], v[6:7], -v[82:83]
	v_fma_f64 v[82:83], -v[10:11], v[78:79], 1.0
	v_fmac_f64_e32 v[78:79], v[82:83], v[78:79]
	v_fma_f64 v[82:83], -v[10:11], v[78:79], 1.0
	v_fmac_f64_e32 v[78:79], v[82:83], v[78:79]
	v_mul_f64 v[82:83], v[80:81], v[78:79]
	v_mul_f64 v[84:85], v[10:11], v[82:83]
	v_fma_f64 v[10:11], v[82:83], v[10:11], -v[84:85]
	v_fmac_f64_e32 v[10:11], v[82:83], v[6:7]
	v_add_f64 v[6:7], v[84:85], v[10:11]
	v_add_f64 v[86:87], v[80:81], -v[6:7]
	v_add_f64 v[84:85], v[6:7], -v[84:85]
	;; [unrolled: 1-line block ×5, first 2 shown]
	v_add_f64 v[6:7], v[10:11], v[6:7]
	v_add_f64 v[6:7], v[86:87], v[6:7]
	v_mul_f64 v[6:7], v[78:79], v[6:7]
	v_add_f64 v[10:11], v[82:83], v[6:7]
	v_add_f64 v[78:79], v[10:11], -v[82:83]
	v_add_f64 v[6:7], v[6:7], -v[78:79]
	v_mul_f64 v[78:79], v[10:11], v[10:11]
	v_pk_mov_b32 v[80:81], v[20:21], v[20:21] op_sel:[0,1]
	v_fmac_f64_e32 v[80:81], s[18:19], v[78:79]
	v_pk_mov_b32 v[82:83], v[22:23], v[22:23] op_sel:[0,1]
	v_fmac_f64_e32 v[82:83], v[78:79], v[80:81]
	;; [unrolled: 2-line block ×6, first 2 shown]
	v_ldexp_f64 v[80:81], v[10:11], 1
	v_mul_f64 v[10:11], v[10:11], v[78:79]
	v_mul_f64 v[10:11], v[10:11], v[82:83]
	v_add_f64 v[78:79], v[80:81], v[10:11]
	v_add_f64 v[80:81], v[78:79], -v[80:81]
	v_ldexp_f64 v[6:7], v[6:7], 1
	v_add_f64 v[10:11], v[10:11], -v[80:81]
	v_add_f64 v[6:7], v[6:7], v[10:11]
	v_frexp_exp_i32_f64_e32 v8, v[76:77]
	v_add_f64 v[10:11], v[78:79], v[6:7]
	v_subbrev_co_u32_e32 v8, vcc, 0, v8, vcc
	v_add_f64 v[78:79], v[10:11], -v[78:79]
	v_add_f64 v[6:7], v[6:7], -v[78:79]
	v_cvt_f64_i32_e32 v[78:79], v8
	v_mul_f64 v[80:81], v[78:79], s[20:21]
	v_fma_f64 v[82:83], v[78:79], s[20:21], -v[80:81]
	v_fmac_f64_e32 v[82:83], s[22:23], v[78:79]
	v_add_f64 v[78:79], v[80:81], v[82:83]
	v_add_f64 v[80:81], v[78:79], -v[80:81]
	v_add_f64 v[80:81], v[82:83], -v[80:81]
	v_add_f64 v[82:83], v[78:79], v[10:11]
	v_add_f64 v[84:85], v[82:83], -v[78:79]
	v_add_f64 v[86:87], v[82:83], -v[84:85]
	;; [unrolled: 1-line block ×4, first 2 shown]
	v_add_f64 v[10:11], v[10:11], v[78:79]
	v_add_f64 v[78:79], v[80:81], v[6:7]
	v_add_f64 v[84:85], v[78:79], -v[80:81]
	v_add_f64 v[86:87], v[78:79], -v[84:85]
	v_add_f64 v[10:11], v[78:79], v[10:11]
	v_add_f64 v[80:81], v[80:81], -v[86:87]
	v_add_f64 v[6:7], v[6:7], -v[84:85]
	v_add_f64 v[78:79], v[82:83], v[10:11]
	v_add_f64 v[6:7], v[6:7], v[80:81]
	v_add_f64 v[80:81], v[78:79], -v[82:83]
	v_add_f64 v[10:11], v[10:11], -v[80:81]
	v_add_f64 v[6:7], v[6:7], v[10:11]
	v_add_f64 v[6:7], v[78:79], v[6:7]
	v_cmp_class_f64_e64 vcc, v[76:77], s63
	v_cndmask_b32_e32 v6, v6, v76, vcc
	v_cndmask_b32_e32 v7, v7, v77, vcc
	v_cmp_ngt_f64_e32 vcc, 0, v[76:77]
	v_cndmask_b32_e32 v7, v105, v7, vcc
	v_cmp_nge_f64_e32 vcc, 0, v[76:77]
	v_cndmask_b32_e32 v6, 0, v6, vcc
	v_cmp_neq_f64_e32 vcc, 0, v[76:77]
	v_mov_b32_e32 v76, 0
	v_cndmask_b32_e32 v7, v106, v7, vcc
	v_mov_b32_e32 v77, 0x7ff80000
.LBB186_230:                            ;   in Loop: Header=BB186_162 Depth=1
	s_or_b64 exec, exec, s[0:1]
	s_waitcnt vmcnt(0)
	v_cmp_o_f64_e32 vcc, v[14:15], v[16:17]
                                        ; implicit-def: $vgpr10_vgpr11
                                        ; implicit-def: $vgpr78_vgpr79
	s_and_saveexec_b64 s[0:1], vcc
	s_xor_b64 s[46:47], exec, s[0:1]
	s_cbranch_execz .LBB186_258
; %bb.231:                              ;   in Loop: Header=BB186_162 Depth=1
	v_and_b32_e32 v12, 0x7fffffff, v15
	v_and_b32_e32 v19, 0x7fffffff, v17
	v_mov_b32_e32 v8, v16
	v_cmp_lt_f64_e64 s[0:1], |v[14:15]|, |v[16:17]|
	v_cndmask_b32_e64 v81, v19, v12, s[0:1]
	v_cndmask_b32_e64 v80, v8, v14, s[0:1]
	v_cmp_nlt_f64_e32 vcc, s[8:9], v[80:81]
                                        ; implicit-def: $vgpr10_vgpr11
                                        ; implicit-def: $vgpr78_vgpr79
	s_and_saveexec_b64 s[2:3], vcc
	s_xor_b64 s[4:5], exec, s[2:3]
	s_cbranch_execz .LBB186_255
; %bb.232:                              ;   in Loop: Header=BB186_162 Depth=1
	v_cndmask_b32_e64 v85, v12, v19, s[0:1]
	v_cndmask_b32_e64 v84, v14, v8, s[0:1]
	v_cmp_neq_f64_e32 vcc, 1.0, v[84:85]
                                        ; implicit-def: $vgpr10_vgpr11
                                        ; implicit-def: $vgpr78_vgpr79
	s_and_saveexec_b64 s[2:3], vcc
	s_xor_b64 s[48:49], exec, s[2:3]
	s_cbranch_execz .LBB186_248
; %bb.233:                              ;   in Loop: Header=BB186_162 Depth=1
	v_max_f64 v[10:11], v[80:81], v[80:81]
	v_max_f64 v[78:79], v[84:85], v[84:85]
	v_min_f64 v[82:83], v[78:79], v[10:11]
	v_max_f64 v[10:11], v[78:79], v[10:11]
	v_cmp_ngt_f64_e32 vcc, s[10:11], v[82:83]
	v_cmp_nlt_f64_e64 s[2:3], s[12:13], v[10:11]
	s_and_b64 s[2:3], s[2:3], vcc
                                        ; implicit-def: $vgpr10_vgpr11
                                        ; implicit-def: $vgpr78_vgpr79
	s_and_saveexec_b64 s[50:51], s[2:3]
	s_xor_b64 s[50:51], exec, s[50:51]
	s_cbranch_execz .LBB186_245
; %bb.234:                              ;   in Loop: Header=BB186_162 Depth=1
	v_cmp_le_f64_e32 vcc, 1.0, v[84:85]
                                        ; implicit-def: $vgpr10_vgpr11
                                        ; implicit-def: $vgpr78_vgpr79
	s_and_saveexec_b64 s[2:3], vcc
	s_xor_b64 s[2:3], exec, s[2:3]
	s_cbranch_execz .LBB186_236
; %bb.235:                              ;   in Loop: Header=BB186_162 Depth=1
	v_add_f64 v[10:11], v[84:85], -1.0
	v_add_f64 v[78:79], v[84:85], 1.0
	v_mul_f64 v[78:79], v[10:11], v[78:79]
	v_fmac_f64_e32 v[78:79], v[80:81], v[80:81]
	v_add_f64 v[10:11], v[78:79], 1.0
	v_add_f64 v[80:81], v[10:11], -1.0
	v_add_f64 v[82:83], v[80:81], -v[10:11]
	v_add_f64 v[82:83], v[82:83], 1.0
	v_add_f64 v[80:81], v[78:79], -v[80:81]
	v_add_f64 v[80:81], v[80:81], v[82:83]
	v_frexp_mant_f64_e32 v[82:83], v[10:11]
	v_frexp_exp_i32_f64_e32 v8, v[10:11]
	v_cmp_gt_f64_e32 vcc, s[14:15], v[82:83]
	v_subbrev_co_u32_e32 v8, vcc, 0, v8, vcc
	v_sub_u32_e32 v12, 0, v8
	v_ldexp_f64 v[10:11], v[10:11], v12
	v_add_f64 v[82:83], v[10:11], -1.0
	v_add_f64 v[88:89], v[10:11], 1.0
	v_add_f64 v[84:85], v[82:83], 1.0
	v_add_f64 v[90:91], v[88:89], -1.0
	v_ldexp_f64 v[80:81], v[80:81], v12
	v_add_f64 v[84:85], v[10:11], -v[84:85]
	v_add_f64 v[10:11], v[10:11], -v[90:91]
	v_add_f64 v[10:11], v[80:81], v[10:11]
	v_add_f64 v[84:85], v[80:81], v[84:85]
	;; [unrolled: 1-line block ×3, first 2 shown]
	v_rcp_f64_e32 v[90:91], v[80:81]
	v_add_f64 v[86:87], v[82:83], v[84:85]
	v_add_f64 v[82:83], v[86:87], -v[82:83]
	v_add_f64 v[82:83], v[84:85], -v[82:83]
	;; [unrolled: 1-line block ×4, first 2 shown]
	v_fma_f64 v[84:85], -v[80:81], v[90:91], 1.0
	v_fmac_f64_e32 v[90:91], v[84:85], v[90:91]
	v_fma_f64 v[84:85], -v[80:81], v[90:91], 1.0
	v_fmac_f64_e32 v[90:91], v[84:85], v[90:91]
	v_mul_f64 v[84:85], v[86:87], v[90:91]
	v_mul_f64 v[88:89], v[80:81], v[84:85]
	v_fma_f64 v[92:93], v[84:85], v[80:81], -v[88:89]
	v_fmac_f64_e32 v[92:93], v[84:85], v[10:11]
	v_add_f64 v[94:95], v[88:89], v[92:93]
	v_add_f64 v[96:97], v[86:87], -v[94:95]
	v_add_f64 v[86:87], v[86:87], -v[96:97]
	v_add_f64 v[88:89], v[94:95], -v[88:89]
	v_add_f64 v[86:87], v[86:87], -v[94:95]
	v_add_f64 v[82:83], v[82:83], v[86:87]
	v_add_f64 v[86:87], v[88:89], -v[92:93]
	v_add_f64 v[82:83], v[86:87], v[82:83]
	v_add_f64 v[86:87], v[96:97], v[82:83]
	v_add_f64 v[88:89], v[96:97], -v[86:87]
	v_add_f64 v[82:83], v[82:83], v[88:89]
	v_mul_f64 v[88:89], v[90:91], v[86:87]
	v_mul_f64 v[92:93], v[80:81], v[88:89]
	v_fma_f64 v[80:81], v[88:89], v[80:81], -v[92:93]
	v_fmac_f64_e32 v[80:81], v[88:89], v[10:11]
	v_add_f64 v[10:11], v[92:93], v[80:81]
	v_add_f64 v[94:95], v[86:87], -v[10:11]
	v_add_f64 v[86:87], v[86:87], -v[94:95]
	;; [unrolled: 1-line block ×4, first 2 shown]
	v_add_f64 v[10:11], v[82:83], v[10:11]
	v_add_f64 v[80:81], v[92:93], -v[80:81]
	v_add_f64 v[10:11], v[80:81], v[10:11]
	v_add_f64 v[80:81], v[84:85], v[88:89]
	;; [unrolled: 1-line block ×3, first 2 shown]
	v_add_f64 v[82:83], v[80:81], -v[84:85]
	v_mul_f64 v[10:11], v[90:91], v[10:11]
	v_add_f64 v[82:83], v[88:89], -v[82:83]
	v_add_f64 v[10:11], v[82:83], v[10:11]
	v_add_f64 v[82:83], v[80:81], v[10:11]
	v_add_f64 v[80:81], v[82:83], -v[80:81]
	v_add_f64 v[10:11], v[10:11], -v[80:81]
	v_mul_f64 v[80:81], v[82:83], v[82:83]
	v_pk_mov_b32 v[84:85], v[20:21], v[20:21] op_sel:[0,1]
	v_fmac_f64_e32 v[84:85], s[18:19], v[80:81]
	v_pk_mov_b32 v[86:87], v[22:23], v[22:23] op_sel:[0,1]
	v_fmac_f64_e32 v[86:87], v[80:81], v[84:85]
	;; [unrolled: 2-line block ×6, first 2 shown]
	v_cvt_f64_i32_e32 v[84:85], v8
	v_mul_f64 v[88:89], v[84:85], s[20:21]
	v_fma_f64 v[90:91], v[84:85], s[20:21], -v[88:89]
	v_fmac_f64_e32 v[90:91], s[22:23], v[84:85]
	v_add_f64 v[84:85], v[88:89], v[90:91]
	v_add_f64 v[88:89], v[84:85], -v[88:89]
	v_mul_f64 v[80:81], v[82:83], v[80:81]
	v_add_f64 v[88:89], v[90:91], -v[88:89]
	v_ldexp_f64 v[90:91], v[82:83], 1
	v_mul_f64 v[80:81], v[80:81], v[86:87]
	v_add_f64 v[82:83], v[90:91], v[80:81]
	v_add_f64 v[86:87], v[82:83], -v[90:91]
	v_ldexp_f64 v[10:11], v[10:11], 1
	v_add_f64 v[80:81], v[80:81], -v[86:87]
	v_add_f64 v[10:11], v[10:11], v[80:81]
	v_add_f64 v[80:81], v[82:83], v[10:11]
	v_add_f64 v[82:83], v[80:81], -v[82:83]
	v_add_f64 v[10:11], v[10:11], -v[82:83]
	v_add_f64 v[82:83], v[84:85], v[80:81]
	v_add_f64 v[86:87], v[82:83], -v[84:85]
	v_add_f64 v[90:91], v[82:83], -v[86:87]
	;; [unrolled: 1-line block ×4, first 2 shown]
	v_add_f64 v[80:81], v[80:81], v[84:85]
	v_add_f64 v[84:85], v[88:89], v[10:11]
	v_add_f64 v[86:87], v[84:85], -v[88:89]
	v_add_f64 v[80:81], v[84:85], v[80:81]
	v_add_f64 v[90:91], v[84:85], -v[86:87]
	;; [unrolled: 2-line block ×3, first 2 shown]
	v_add_f64 v[10:11], v[10:11], -v[86:87]
	v_add_f64 v[82:83], v[84:85], -v[82:83]
	v_add_f64 v[10:11], v[10:11], v[88:89]
	v_add_f64 v[80:81], v[80:81], -v[82:83]
	v_add_f64 v[10:11], v[10:11], v[80:81]
	v_max_f64 v[80:81], |v[16:17]|, |v[16:17]|
	v_max_f64 v[82:83], |v[14:15]|, |v[14:15]|
	v_add_f64 v[10:11], v[84:85], v[10:11]
	v_max_f64 v[84:85], v[82:83], v[80:81]
	v_min_f64 v[80:81], v[82:83], v[80:81]
	v_div_scale_f64 v[82:83], s[52:53], v[84:85], v[84:85], v[80:81]
	v_cmp_eq_f64_e32 vcc, s[24:25], v[78:79]
	v_rcp_f64_e32 v[86:87], v[82:83]
	v_cndmask_b32_e32 v11, v11, v79, vcc
	v_cndmask_b32_e32 v10, v10, v78, vcc
	v_mul_f64 v[10:11], v[10:11], 0.5
	v_cmp_ngt_f64_e32 vcc, -1.0, v[78:79]
	v_cndmask_b32_e32 v8, v105, v11, vcc
	v_cmp_nge_f64_e32 vcc, -1.0, v[78:79]
	v_cndmask_b32_e32 v10, 0, v10, vcc
	v_cmp_neq_f64_e32 vcc, -1.0, v[78:79]
	v_fma_f64 v[78:79], -v[82:83], v[86:87], 1.0
	v_fmac_f64_e32 v[86:87], v[86:87], v[78:79]
	v_fma_f64 v[78:79], -v[82:83], v[86:87], 1.0
	v_cndmask_b32_e32 v11, v106, v8, vcc
	v_fmac_f64_e32 v[86:87], v[86:87], v[78:79]
	v_div_scale_f64 v[78:79], vcc, v[80:81], v[84:85], v[80:81]
	v_mul_f64 v[88:89], v[78:79], v[86:87]
	v_fma_f64 v[78:79], -v[82:83], v[88:89], v[78:79]
	v_pk_mov_b32 v[82:83], v[32:33], v[32:33] op_sel:[0,1]
	s_nop 0
	v_div_fmas_f64 v[78:79], v[78:79], v[86:87], v[88:89]
	v_div_fixup_f64 v[78:79], v[78:79], v[84:85], v[80:81]
	v_mul_f64 v[80:81], v[78:79], v[78:79]
	v_fmac_f64_e32 v[82:83], s[26:27], v[80:81]
	v_pk_mov_b32 v[84:85], v[34:35], v[34:35] op_sel:[0,1]
	v_fmac_f64_e32 v[84:85], v[80:81], v[82:83]
	v_pk_mov_b32 v[82:83], v[36:37], v[36:37] op_sel:[0,1]
	;; [unrolled: 2-line block ×18, first 2 shown]
	v_fmac_f64_e32 v[82:83], v[80:81], v[84:85]
	v_mul_f64 v[80:81], v[80:81], v[82:83]
	v_fmac_f64_e32 v[78:79], v[78:79], v[80:81]
	v_cmp_class_f64_e64 s[54:55], v[14:15], s63
	v_ashrrev_i32_e32 v14, 31, v15
	v_cmp_gt_i32_e32 vcc, 0, v15
	v_and_b32_e32 v19, 0x400921fb, v14
	v_and_b32_e32 v80, 0x54442d18, v14
	v_add_f64 v[14:15], -v[78:79], s[28:29]
	v_cndmask_b32_e64 v15, v79, v15, s[0:1]
	v_cndmask_b32_e64 v14, v78, v14, s[0:1]
	s_mov_b32 s30, s28
	v_add_f64 v[78:79], -v[14:15], s[30:31]
	v_cmp_class_f64_e64 s[52:53], v[16:17], s63
	v_cndmask_b32_e32 v8, v107, v108, vcc
	v_cndmask_b32_e32 v12, v109, v110, vcc
	;; [unrolled: 1-line block ×4, first 2 shown]
	v_cmp_eq_f64_e32 vcc, 0, v[16:17]
	v_bfi_b32 v12, s61, v12, v17
	v_cndmask_b32_e32 v14, v14, v80, vcc
	v_cndmask_b32_e32 v15, v15, v19, vcc
	s_and_b64 vcc, s[54:55], s[52:53]
	v_cndmask_b32_e32 v79, v15, v12, vcc
	v_cndmask_b32_e32 v78, v14, v8, vcc
                                        ; implicit-def: $vgpr80_vgpr81
                                        ; implicit-def: $vgpr84_vgpr85
.LBB186_236:                            ;   in Loop: Header=BB186_162 Depth=1
	s_andn2_saveexec_b64 s[52:53], s[2:3]
	s_cbranch_execz .LBB186_244
; %bb.237:                              ;   in Loop: Header=BB186_162 Depth=1
	v_mul_f64 v[82:83], v[80:81], v[80:81]
	v_fmac_f64_e32 v[82:83], v[84:85], v[84:85]
	v_cmp_ge_f64_e32 vcc, s[34:35], v[82:83]
                                        ; implicit-def: $vgpr10_vgpr11
                                        ; implicit-def: $vgpr78_vgpr79
	s_and_saveexec_b64 s[2:3], vcc
	s_xor_b64 s[2:3], exec, s[2:3]
	s_cbranch_execz .LBB186_239
; %bb.238:                              ;   in Loop: Header=BB186_162 Depth=1
	v_frexp_mant_f64_e32 v[10:11], v[82:83]
	v_cmp_gt_f64_e32 vcc, s[14:15], v[10:11]
	v_cndmask_b32_e64 v19, v111, 2.0, vcc
	v_mul_f64 v[10:11], v[10:11], v[18:19]
	v_add_f64 v[78:79], v[10:11], 1.0
	v_rcp_f64_e32 v[80:81], v[78:79]
	v_add_f64 v[86:87], v[78:79], -1.0
	v_add_f64 v[84:85], v[10:11], -1.0
	v_add_f64 v[10:11], v[10:11], -v[86:87]
	v_fma_f64 v[86:87], -v[78:79], v[80:81], 1.0
	v_fmac_f64_e32 v[80:81], v[86:87], v[80:81]
	v_fma_f64 v[86:87], -v[78:79], v[80:81], 1.0
	v_fmac_f64_e32 v[80:81], v[86:87], v[80:81]
	v_mul_f64 v[86:87], v[84:85], v[80:81]
	v_mul_f64 v[88:89], v[78:79], v[86:87]
	v_fma_f64 v[78:79], v[86:87], v[78:79], -v[88:89]
	v_fmac_f64_e32 v[78:79], v[86:87], v[10:11]
	v_add_f64 v[10:11], v[88:89], v[78:79]
	v_add_f64 v[90:91], v[84:85], -v[10:11]
	v_add_f64 v[88:89], v[10:11], -v[88:89]
	;; [unrolled: 1-line block ×5, first 2 shown]
	v_add_f64 v[10:11], v[78:79], v[10:11]
	v_add_f64 v[10:11], v[90:91], v[10:11]
	v_mul_f64 v[10:11], v[80:81], v[10:11]
	v_add_f64 v[78:79], v[86:87], v[10:11]
	v_add_f64 v[80:81], v[78:79], -v[86:87]
	v_add_f64 v[10:11], v[10:11], -v[80:81]
	v_mul_f64 v[80:81], v[78:79], v[78:79]
	v_pk_mov_b32 v[84:85], v[20:21], v[20:21] op_sel:[0,1]
	v_fmac_f64_e32 v[84:85], s[18:19], v[80:81]
	v_pk_mov_b32 v[86:87], v[22:23], v[22:23] op_sel:[0,1]
	v_fmac_f64_e32 v[86:87], v[80:81], v[84:85]
	;; [unrolled: 2-line block ×6, first 2 shown]
	v_ldexp_f64 v[84:85], v[78:79], 1
	v_mul_f64 v[78:79], v[78:79], v[80:81]
	v_mul_f64 v[78:79], v[78:79], v[86:87]
	v_add_f64 v[80:81], v[84:85], v[78:79]
	v_add_f64 v[84:85], v[80:81], -v[84:85]
	v_ldexp_f64 v[10:11], v[10:11], 1
	v_add_f64 v[78:79], v[78:79], -v[84:85]
	v_add_f64 v[10:11], v[10:11], v[78:79]
	v_frexp_exp_i32_f64_e32 v8, v[82:83]
	v_add_f64 v[78:79], v[80:81], v[10:11]
	v_subbrev_co_u32_e32 v8, vcc, 0, v8, vcc
	v_add_f64 v[80:81], v[78:79], -v[80:81]
	v_add_f64 v[10:11], v[10:11], -v[80:81]
	v_cvt_f64_i32_e32 v[80:81], v8
	v_mul_f64 v[84:85], v[80:81], s[20:21]
	v_fma_f64 v[86:87], v[80:81], s[20:21], -v[84:85]
	v_fmac_f64_e32 v[86:87], s[22:23], v[80:81]
	v_add_f64 v[80:81], v[84:85], v[86:87]
	v_add_f64 v[84:85], v[80:81], -v[84:85]
	v_add_f64 v[84:85], v[86:87], -v[84:85]
	v_add_f64 v[86:87], v[80:81], v[78:79]
	v_add_f64 v[88:89], v[86:87], -v[80:81]
	v_add_f64 v[90:91], v[86:87], -v[88:89]
	;; [unrolled: 1-line block ×4, first 2 shown]
	v_add_f64 v[78:79], v[78:79], v[80:81]
	v_add_f64 v[80:81], v[84:85], v[10:11]
	v_add_f64 v[88:89], v[80:81], -v[84:85]
	v_add_f64 v[90:91], v[80:81], -v[88:89]
	v_add_f64 v[78:79], v[80:81], v[78:79]
	v_add_f64 v[84:85], v[84:85], -v[90:91]
	v_add_f64 v[10:11], v[10:11], -v[88:89]
	v_add_f64 v[80:81], v[86:87], v[78:79]
	v_add_f64 v[10:11], v[10:11], v[84:85]
	v_add_f64 v[84:85], v[80:81], -v[86:87]
	v_add_f64 v[78:79], v[78:79], -v[84:85]
	v_add_f64 v[10:11], v[10:11], v[78:79]
	v_add_f64 v[10:11], v[80:81], v[10:11]
	v_max_f64 v[78:79], |v[16:17]|, |v[16:17]|
	v_max_f64 v[80:81], |v[14:15]|, |v[14:15]|
	v_max_f64 v[84:85], v[80:81], v[78:79]
	v_min_f64 v[78:79], v[80:81], v[78:79]
	v_div_scale_f64 v[80:81], s[54:55], v[84:85], v[84:85], v[78:79]
	v_rcp_f64_e32 v[86:87], v[80:81]
	v_cmp_neq_f64_e32 vcc, 0, v[82:83]
	v_mul_f64 v[10:11], v[10:11], 0.5
	v_cndmask_b32_e32 v11, v106, v11, vcc
	v_fma_f64 v[82:83], -v[80:81], v[86:87], 1.0
	v_fmac_f64_e32 v[86:87], v[86:87], v[82:83]
	v_fma_f64 v[82:83], -v[80:81], v[86:87], 1.0
	v_cndmask_b32_e32 v10, 0, v10, vcc
	v_fmac_f64_e32 v[86:87], v[86:87], v[82:83]
	v_div_scale_f64 v[82:83], vcc, v[78:79], v[84:85], v[78:79]
	v_mul_f64 v[88:89], v[82:83], v[86:87]
	v_fma_f64 v[80:81], -v[80:81], v[88:89], v[82:83]
	v_pk_mov_b32 v[82:83], v[32:33], v[32:33] op_sel:[0,1]
	s_nop 0
	v_div_fmas_f64 v[80:81], v[80:81], v[86:87], v[88:89]
	v_div_fixup_f64 v[78:79], v[80:81], v[84:85], v[78:79]
	v_mul_f64 v[80:81], v[78:79], v[78:79]
	v_fmac_f64_e32 v[82:83], s[26:27], v[80:81]
	v_pk_mov_b32 v[84:85], v[34:35], v[34:35] op_sel:[0,1]
	v_fmac_f64_e32 v[84:85], v[80:81], v[82:83]
	v_pk_mov_b32 v[82:83], v[36:37], v[36:37] op_sel:[0,1]
	;; [unrolled: 2-line block ×18, first 2 shown]
	v_fmac_f64_e32 v[82:83], v[80:81], v[84:85]
	v_mul_f64 v[80:81], v[80:81], v[82:83]
	v_fmac_f64_e32 v[78:79], v[78:79], v[80:81]
	v_cmp_class_f64_e64 s[56:57], v[14:15], s63
	v_ashrrev_i32_e32 v14, 31, v15
	v_cmp_gt_i32_e32 vcc, 0, v15
	v_and_b32_e32 v19, 0x400921fb, v14
	v_and_b32_e32 v80, 0x54442d18, v14
	v_add_f64 v[14:15], -v[78:79], s[28:29]
	v_cndmask_b32_e64 v15, v79, v15, s[0:1]
	v_cndmask_b32_e64 v14, v78, v14, s[0:1]
	s_mov_b32 s30, s28
	v_add_f64 v[78:79], -v[14:15], s[30:31]
	v_cmp_class_f64_e64 s[54:55], v[16:17], s63
	v_cndmask_b32_e32 v8, v107, v108, vcc
	v_cndmask_b32_e32 v12, v109, v110, vcc
	;; [unrolled: 1-line block ×4, first 2 shown]
	v_cmp_eq_f64_e32 vcc, 0, v[16:17]
	v_bfi_b32 v12, s61, v12, v17
	v_cndmask_b32_e32 v14, v14, v80, vcc
	v_cndmask_b32_e32 v15, v15, v19, vcc
	s_and_b64 vcc, s[56:57], s[54:55]
	v_cndmask_b32_e32 v79, v15, v12, vcc
	v_cndmask_b32_e32 v78, v14, v8, vcc
                                        ; implicit-def: $vgpr84_vgpr85
                                        ; implicit-def: $vgpr80_vgpr81
.LBB186_239:                            ;   in Loop: Header=BB186_162 Depth=1
	s_andn2_saveexec_b64 s[54:55], s[2:3]
	s_cbranch_execz .LBB186_243
; %bb.240:                              ;   in Loop: Header=BB186_162 Depth=1
	v_and_b32_e32 v19, 0x7ffffff8, v85
	v_add_f64 v[10:11], v[84:85], -v[18:19]
	v_and_b32_e32 v93, -8, v11
	v_mov_b32_e32 v92, v18
	v_and_b32_e32 v83, 0x7ffffff8, v81
	v_mov_b32_e32 v82, v18
	v_add_f64 v[96:97], v[10:11], -v[92:93]
	v_add_f64 v[10:11], v[80:81], -v[82:83]
	v_and_b32_e32 v95, -8, v11
	v_mov_b32_e32 v94, v18
	v_add_f64 v[86:87], v[18:19], v[18:19]
	v_add_f64 v[100:101], v[82:83], v[82:83]
	v_add_f64 v[98:99], v[10:11], -v[94:95]
	v_mul_f64 v[78:79], v[82:83], v[82:83]
	v_mul_f64 v[84:85], v[86:87], v[92:93]
	;; [unrolled: 1-line block ×5, first 2 shown]
	v_add_f64 v[92:93], v[92:93], v[92:93]
	v_add_f64 v[94:95], v[94:95], v[94:95]
	v_mul_f64 v[10:11], v[18:19], v[18:19]
	v_mul_f64 v[88:89], v[86:87], v[96:97]
	;; [unrolled: 1-line block ×7, first 2 shown]
	s_mov_b64 s[56:57], 0
.LBB186_241:                            ;   Parent Loop BB186_162 Depth=1
                                        ; =>  This Inner Loop Header: Depth=2
	v_cmp_nlt_f64_e32 vcc, v[10:11], v[78:79]
	v_cndmask_b32_e32 v101, v11, v79, vcc
	v_cndmask_b32_e32 v100, v10, v78, vcc
	v_cmp_nlt_f64_e64 s[2:3], v[100:101], v[84:85]
	v_cndmask_b32_e64 v103, v101, v85, s[2:3]
	v_cndmask_b32_e64 v102, v100, v84, s[2:3]
	v_cndmask_b32_e32 v11, v79, v11, vcc
	v_cndmask_b32_e32 v10, v78, v10, vcc
	s_and_b64 s[58:59], vcc, s[2:3]
	v_cmp_nlt_f64_e32 vcc, v[102:103], v[82:83]
	v_cndmask_b32_e64 v79, v85, v101, s[2:3]
	v_cndmask_b32_e64 v78, v84, v100, s[2:3]
	v_cndmask_b32_e32 v101, v103, v83, vcc
	v_cndmask_b32_e32 v100, v102, v82, vcc
	v_cmp_nlt_f64_e64 s[2:3], v[100:101], v[90:91]
	v_cndmask_b32_e32 v85, v83, v103, vcc
	v_cndmask_b32_e32 v84, v82, v102, vcc
	v_cndmask_b32_e64 v103, v101, v91, s[2:3]
	v_cndmask_b32_e64 v102, v100, v90, s[2:3]
	s_and_b64 s[64:65], vcc, s[2:3]
	v_cmp_nlt_f64_e32 vcc, v[102:103], v[80:81]
	v_cndmask_b32_e64 v83, v91, v101, s[2:3]
	v_cndmask_b32_e64 v82, v90, v100, s[2:3]
	v_cndmask_b32_e32 v101, v103, v81, vcc
	v_cndmask_b32_e32 v100, v102, v80, vcc
	v_cmp_nlt_f64_e64 s[2:3], v[100:101], v[88:89]
	v_cndmask_b32_e32 v91, v81, v103, vcc
	v_cndmask_b32_e32 v90, v80, v102, vcc
	v_cndmask_b32_e64 v103, v101, v89, s[2:3]
	v_cndmask_b32_e64 v102, v100, v88, s[2:3]
	;; [unrolled: 1-line block ×4, first 2 shown]
	s_and_b64 s[2:3], vcc, s[2:3]
	v_cmp_nlt_f64_e32 vcc, v[102:103], v[86:87]
	v_cndmask_b32_e32 v101, v103, v87, vcc
	v_cndmask_b32_e32 v100, v102, v86, vcc
	v_cndmask_b32_e32 v89, v87, v103, vcc
	v_cndmask_b32_e32 v88, v86, v102, vcc
	s_and_b64 s[2:3], s[2:3], vcc
	v_cmp_nlt_f64_e32 vcc, v[100:101], v[92:93]
	v_cndmask_b32_e32 v103, v101, v93, vcc
	v_cndmask_b32_e32 v102, v100, v92, vcc
	v_cndmask_b32_e32 v87, v93, v101, vcc
	v_cndmask_b32_e32 v86, v92, v100, vcc
	s_and_b64 s[2:3], s[2:3], vcc
	;; [unrolled: 6-line block ×4, first 2 shown]
	v_cmp_nlt_f64_e32 vcc, v[102:103], v[98:99]
	s_and_b64 s[2:3], s[2:3], vcc
	s_and_b64 s[2:3], s[2:3], s[64:65]
	s_and_b64 s[2:3], s[2:3], s[58:59]
	v_cndmask_b32_e32 v101, v103, v99, vcc
	v_cndmask_b32_e32 v100, v102, v98, vcc
	s_and_b64 s[2:3], exec, s[2:3]
	v_cndmask_b32_e32 v97, v99, v103, vcc
	v_cndmask_b32_e32 v96, v98, v102, vcc
	s_or_b64 s[56:57], s[2:3], s[56:57]
	v_pk_mov_b32 v[98:99], v[100:101], v[100:101] op_sel:[0,1]
	s_andn2_b64 exec, exec, s[56:57]
	s_cbranch_execnz .LBB186_241
; %bb.242:                              ;   in Loop: Header=BB186_162 Depth=1
	s_or_b64 exec, exec, s[56:57]
	v_add_f64 v[10:11], v[10:11], -1.0
	v_add_f64 v[10:11], v[10:11], v[78:79]
	v_add_f64 v[10:11], v[10:11], v[84:85]
	;; [unrolled: 1-line block ×11, first 2 shown]
	v_add_f64 v[10:11], v[78:79], 1.0
	v_add_f64 v[80:81], v[10:11], -1.0
	v_add_f64 v[82:83], v[80:81], -v[10:11]
	v_add_f64 v[82:83], v[82:83], 1.0
	v_add_f64 v[80:81], v[78:79], -v[80:81]
	v_add_f64 v[80:81], v[80:81], v[82:83]
	v_frexp_mant_f64_e32 v[82:83], v[10:11]
	v_frexp_exp_i32_f64_e32 v8, v[10:11]
	v_cmp_gt_f64_e32 vcc, s[14:15], v[82:83]
	v_subbrev_co_u32_e32 v8, vcc, 0, v8, vcc
	v_sub_u32_e32 v12, 0, v8
	v_ldexp_f64 v[10:11], v[10:11], v12
	v_add_f64 v[82:83], v[10:11], -1.0
	v_add_f64 v[88:89], v[10:11], 1.0
	v_add_f64 v[84:85], v[82:83], 1.0
	v_add_f64 v[90:91], v[88:89], -1.0
	v_ldexp_f64 v[80:81], v[80:81], v12
	v_add_f64 v[84:85], v[10:11], -v[84:85]
	v_add_f64 v[10:11], v[10:11], -v[90:91]
	v_add_f64 v[10:11], v[80:81], v[10:11]
	v_add_f64 v[84:85], v[80:81], v[84:85]
	;; [unrolled: 1-line block ×3, first 2 shown]
	v_rcp_f64_e32 v[90:91], v[80:81]
	v_add_f64 v[86:87], v[82:83], v[84:85]
	v_add_f64 v[82:83], v[86:87], -v[82:83]
	v_add_f64 v[82:83], v[84:85], -v[82:83]
	;; [unrolled: 1-line block ×4, first 2 shown]
	v_fma_f64 v[84:85], -v[80:81], v[90:91], 1.0
	v_fmac_f64_e32 v[90:91], v[84:85], v[90:91]
	v_fma_f64 v[84:85], -v[80:81], v[90:91], 1.0
	v_fmac_f64_e32 v[90:91], v[84:85], v[90:91]
	v_mul_f64 v[84:85], v[86:87], v[90:91]
	v_mul_f64 v[88:89], v[80:81], v[84:85]
	v_fma_f64 v[92:93], v[84:85], v[80:81], -v[88:89]
	v_fmac_f64_e32 v[92:93], v[84:85], v[10:11]
	v_add_f64 v[94:95], v[88:89], v[92:93]
	v_add_f64 v[96:97], v[86:87], -v[94:95]
	v_add_f64 v[86:87], v[86:87], -v[96:97]
	;; [unrolled: 1-line block ×4, first 2 shown]
	v_add_f64 v[82:83], v[82:83], v[86:87]
	v_add_f64 v[86:87], v[88:89], -v[92:93]
	v_add_f64 v[82:83], v[86:87], v[82:83]
	v_add_f64 v[86:87], v[96:97], v[82:83]
	v_add_f64 v[88:89], v[96:97], -v[86:87]
	v_add_f64 v[82:83], v[82:83], v[88:89]
	v_mul_f64 v[88:89], v[90:91], v[86:87]
	v_mul_f64 v[92:93], v[80:81], v[88:89]
	v_fma_f64 v[80:81], v[88:89], v[80:81], -v[92:93]
	v_fmac_f64_e32 v[80:81], v[88:89], v[10:11]
	v_add_f64 v[10:11], v[92:93], v[80:81]
	v_add_f64 v[94:95], v[86:87], -v[10:11]
	v_add_f64 v[86:87], v[86:87], -v[94:95]
	;; [unrolled: 1-line block ×4, first 2 shown]
	v_add_f64 v[10:11], v[82:83], v[10:11]
	v_add_f64 v[80:81], v[92:93], -v[80:81]
	v_add_f64 v[10:11], v[80:81], v[10:11]
	v_add_f64 v[80:81], v[84:85], v[88:89]
	;; [unrolled: 1-line block ×3, first 2 shown]
	v_add_f64 v[82:83], v[80:81], -v[84:85]
	v_mul_f64 v[10:11], v[90:91], v[10:11]
	v_add_f64 v[82:83], v[88:89], -v[82:83]
	v_add_f64 v[10:11], v[82:83], v[10:11]
	v_add_f64 v[82:83], v[80:81], v[10:11]
	v_add_f64 v[80:81], v[82:83], -v[80:81]
	v_add_f64 v[10:11], v[10:11], -v[80:81]
	v_mul_f64 v[80:81], v[82:83], v[82:83]
	v_pk_mov_b32 v[84:85], v[20:21], v[20:21] op_sel:[0,1]
	v_fmac_f64_e32 v[84:85], s[18:19], v[80:81]
	v_pk_mov_b32 v[86:87], v[22:23], v[22:23] op_sel:[0,1]
	v_fmac_f64_e32 v[86:87], v[80:81], v[84:85]
	;; [unrolled: 2-line block ×6, first 2 shown]
	v_cvt_f64_i32_e32 v[84:85], v8
	v_mul_f64 v[88:89], v[84:85], s[20:21]
	v_fma_f64 v[90:91], v[84:85], s[20:21], -v[88:89]
	v_fmac_f64_e32 v[90:91], s[22:23], v[84:85]
	v_add_f64 v[84:85], v[88:89], v[90:91]
	v_add_f64 v[88:89], v[84:85], -v[88:89]
	v_mul_f64 v[80:81], v[82:83], v[80:81]
	v_add_f64 v[88:89], v[90:91], -v[88:89]
	v_ldexp_f64 v[90:91], v[82:83], 1
	v_mul_f64 v[80:81], v[80:81], v[86:87]
	v_add_f64 v[82:83], v[90:91], v[80:81]
	v_add_f64 v[86:87], v[82:83], -v[90:91]
	v_ldexp_f64 v[10:11], v[10:11], 1
	v_add_f64 v[80:81], v[80:81], -v[86:87]
	v_add_f64 v[10:11], v[10:11], v[80:81]
	v_add_f64 v[80:81], v[82:83], v[10:11]
	v_add_f64 v[82:83], v[80:81], -v[82:83]
	v_add_f64 v[10:11], v[10:11], -v[82:83]
	v_add_f64 v[82:83], v[84:85], v[80:81]
	v_add_f64 v[86:87], v[82:83], -v[84:85]
	v_add_f64 v[90:91], v[82:83], -v[86:87]
	;; [unrolled: 1-line block ×4, first 2 shown]
	v_add_f64 v[80:81], v[80:81], v[84:85]
	v_add_f64 v[84:85], v[88:89], v[10:11]
	v_add_f64 v[86:87], v[84:85], -v[88:89]
	v_add_f64 v[80:81], v[84:85], v[80:81]
	v_add_f64 v[90:91], v[84:85], -v[86:87]
	;; [unrolled: 2-line block ×3, first 2 shown]
	v_add_f64 v[10:11], v[10:11], -v[86:87]
	v_add_f64 v[82:83], v[84:85], -v[82:83]
	v_add_f64 v[10:11], v[10:11], v[88:89]
	v_add_f64 v[80:81], v[80:81], -v[82:83]
	v_add_f64 v[10:11], v[10:11], v[80:81]
	v_max_f64 v[80:81], |v[16:17]|, |v[16:17]|
	v_max_f64 v[82:83], |v[14:15]|, |v[14:15]|
	v_add_f64 v[10:11], v[84:85], v[10:11]
	v_max_f64 v[84:85], v[82:83], v[80:81]
	v_min_f64 v[80:81], v[82:83], v[80:81]
	v_div_scale_f64 v[82:83], s[2:3], v[84:85], v[84:85], v[80:81]
	v_cmp_eq_f64_e32 vcc, s[24:25], v[78:79]
	v_rcp_f64_e32 v[86:87], v[82:83]
	v_cndmask_b32_e32 v11, v11, v79, vcc
	v_cndmask_b32_e32 v10, v10, v78, vcc
	v_mul_f64 v[10:11], v[10:11], 0.5
	v_cmp_ngt_f64_e32 vcc, -1.0, v[78:79]
	v_cndmask_b32_e32 v8, v105, v11, vcc
	v_cmp_nge_f64_e32 vcc, -1.0, v[78:79]
	v_cndmask_b32_e32 v10, 0, v10, vcc
	v_cmp_neq_f64_e32 vcc, -1.0, v[78:79]
	v_fma_f64 v[78:79], -v[82:83], v[86:87], 1.0
	v_fmac_f64_e32 v[86:87], v[86:87], v[78:79]
	v_fma_f64 v[78:79], -v[82:83], v[86:87], 1.0
	v_cndmask_b32_e32 v11, v106, v8, vcc
	v_fmac_f64_e32 v[86:87], v[86:87], v[78:79]
	v_div_scale_f64 v[78:79], vcc, v[80:81], v[84:85], v[80:81]
	v_mul_f64 v[88:89], v[78:79], v[86:87]
	v_fma_f64 v[78:79], -v[82:83], v[88:89], v[78:79]
	v_pk_mov_b32 v[82:83], v[32:33], v[32:33] op_sel:[0,1]
	s_nop 0
	v_div_fmas_f64 v[78:79], v[78:79], v[86:87], v[88:89]
	v_div_fixup_f64 v[78:79], v[78:79], v[84:85], v[80:81]
	v_mul_f64 v[80:81], v[78:79], v[78:79]
	v_fmac_f64_e32 v[82:83], s[26:27], v[80:81]
	v_pk_mov_b32 v[84:85], v[34:35], v[34:35] op_sel:[0,1]
	v_fmac_f64_e32 v[84:85], v[80:81], v[82:83]
	v_pk_mov_b32 v[82:83], v[36:37], v[36:37] op_sel:[0,1]
	;; [unrolled: 2-line block ×18, first 2 shown]
	v_fmac_f64_e32 v[82:83], v[80:81], v[84:85]
	v_mul_f64 v[80:81], v[80:81], v[82:83]
	v_fmac_f64_e32 v[78:79], v[78:79], v[80:81]
	v_cmp_class_f64_e64 s[56:57], v[14:15], s63
	v_ashrrev_i32_e32 v14, 31, v15
	v_cmp_gt_i32_e32 vcc, 0, v15
	v_and_b32_e32 v19, 0x400921fb, v14
	v_and_b32_e32 v80, 0x54442d18, v14
	v_add_f64 v[14:15], -v[78:79], s[28:29]
	v_cndmask_b32_e64 v15, v79, v15, s[0:1]
	v_cndmask_b32_e64 v14, v78, v14, s[0:1]
	s_mov_b32 s30, s28
	v_add_f64 v[78:79], -v[14:15], s[30:31]
	v_cmp_class_f64_e64 s[2:3], v[16:17], s63
	v_cndmask_b32_e32 v8, v107, v108, vcc
	v_cndmask_b32_e32 v12, v109, v110, vcc
	;; [unrolled: 1-line block ×4, first 2 shown]
	v_cmp_eq_f64_e32 vcc, 0, v[16:17]
	v_bfi_b32 v12, s61, v12, v17
	v_cndmask_b32_e32 v14, v14, v80, vcc
	v_cndmask_b32_e32 v15, v15, v19, vcc
	s_and_b64 vcc, s[56:57], s[2:3]
	v_cndmask_b32_e32 v79, v15, v12, vcc
	v_cndmask_b32_e32 v78, v14, v8, vcc
.LBB186_243:                            ;   in Loop: Header=BB186_162 Depth=1
	s_or_b64 exec, exec, s[54:55]
.LBB186_244:                            ;   in Loop: Header=BB186_162 Depth=1
	s_or_b64 exec, exec, s[52:53]
.LBB186_245:                            ;   in Loop: Header=BB186_162 Depth=1
	s_andn2_saveexec_b64 s[50:51], s[50:51]
	s_cbranch_execz .LBB186_247
; %bb.246:                              ;   in Loop: Header=BB186_162 Depth=1
	v_max_f64 v[10:11], |v[16:17]|, |v[16:17]|
	v_max_f64 v[78:79], |v[14:15]|, |v[14:15]|
	v_max_f64 v[80:81], v[78:79], v[10:11]
	v_frexp_exp_i32_f64_e32 v8, v[80:81]
	v_sub_u32_e32 v12, 0, v8
	v_ldexp_f64 v[84:85], |v[16:17]|, v12
	v_ldexp_f64 v[82:83], |v[14:15]|, v12
	v_mul_f64 v[84:85], v[84:85], v[84:85]
	v_fmac_f64_e32 v[84:85], v[82:83], v[82:83]
	v_rsq_f64_e32 v[82:83], v[84:85]
	v_cmp_eq_f64_e32 vcc, 0, v[84:85]
	v_cmp_class_f64_e64 s[52:53], v[14:15], s63
	v_cmp_class_f64_e64 s[54:55], v[16:17], s63
	v_mul_f64 v[86:87], v[84:85], v[82:83]
	v_mul_f64 v[82:83], v[82:83], 0.5
	v_fma_f64 v[88:89], -v[82:83], v[86:87], 0.5
	v_fmac_f64_e32 v[86:87], v[86:87], v[88:89]
	v_fmac_f64_e32 v[82:83], v[82:83], v[88:89]
	v_fma_f64 v[88:89], -v[86:87], v[86:87], v[84:85]
	v_fmac_f64_e32 v[86:87], v[88:89], v[82:83]
	v_cndmask_b32_e32 v83, v87, v85, vcc
	v_cndmask_b32_e32 v82, v86, v84, vcc
	v_ldexp_f64 v[82:83], v[82:83], v8
	s_or_b64 vcc, s[52:53], s[54:55]
	v_cndmask_b32_e32 v85, v83, v112, vcc
	v_cndmask_b32_e64 v84, v82, 0, vcc
	v_frexp_mant_f64_e32 v[86:87], v[84:85]
	v_cmp_gt_f64_e64 s[2:3], s[14:15], v[86:87]
	v_cndmask_b32_e64 v19, v111, 2.0, s[2:3]
	v_mul_f64 v[86:87], v[86:87], v[18:19]
	v_add_f64 v[88:89], v[86:87], 1.0
	v_rcp_f64_e32 v[90:91], v[88:89]
	v_add_f64 v[94:95], v[88:89], -1.0
	v_add_f64 v[92:93], v[86:87], -1.0
	v_add_f64 v[86:87], v[86:87], -v[94:95]
	v_fma_f64 v[94:95], -v[88:89], v[90:91], 1.0
	v_fmac_f64_e32 v[90:91], v[94:95], v[90:91]
	v_fma_f64 v[94:95], -v[88:89], v[90:91], 1.0
	v_fmac_f64_e32 v[90:91], v[94:95], v[90:91]
	v_mul_f64 v[94:95], v[92:93], v[90:91]
	v_mul_f64 v[96:97], v[88:89], v[94:95]
	v_fma_f64 v[88:89], v[94:95], v[88:89], -v[96:97]
	v_fmac_f64_e32 v[88:89], v[94:95], v[86:87]
	v_add_f64 v[86:87], v[96:97], v[88:89]
	v_add_f64 v[98:99], v[92:93], -v[86:87]
	v_add_f64 v[96:97], v[86:87], -v[96:97]
	;; [unrolled: 1-line block ×5, first 2 shown]
	v_add_f64 v[86:87], v[88:89], v[86:87]
	v_add_f64 v[86:87], v[98:99], v[86:87]
	v_mul_f64 v[86:87], v[90:91], v[86:87]
	v_add_f64 v[88:89], v[94:95], v[86:87]
	v_add_f64 v[90:91], v[88:89], -v[94:95]
	v_add_f64 v[86:87], v[86:87], -v[90:91]
	v_mul_f64 v[90:91], v[88:89], v[88:89]
	v_pk_mov_b32 v[92:93], v[20:21], v[20:21] op_sel:[0,1]
	v_fmac_f64_e32 v[92:93], s[18:19], v[90:91]
	v_pk_mov_b32 v[94:95], v[22:23], v[22:23] op_sel:[0,1]
	v_fmac_f64_e32 v[94:95], v[90:91], v[92:93]
	;; [unrolled: 2-line block ×6, first 2 shown]
	v_ldexp_f64 v[92:93], v[88:89], 1
	v_mul_f64 v[88:89], v[88:89], v[90:91]
	v_mul_f64 v[88:89], v[88:89], v[94:95]
	v_add_f64 v[90:91], v[92:93], v[88:89]
	v_add_f64 v[92:93], v[90:91], -v[92:93]
	v_ldexp_f64 v[86:87], v[86:87], 1
	v_add_f64 v[88:89], v[88:89], -v[92:93]
	v_add_f64 v[86:87], v[86:87], v[88:89]
	v_frexp_exp_i32_f64_e32 v8, v[84:85]
	v_add_f64 v[88:89], v[90:91], v[86:87]
	v_subbrev_co_u32_e64 v8, s[2:3], 0, v8, s[2:3]
	v_add_f64 v[90:91], v[88:89], -v[90:91]
	v_add_f64 v[86:87], v[86:87], -v[90:91]
	v_cvt_f64_i32_e32 v[90:91], v8
	v_mul_f64 v[92:93], v[90:91], s[20:21]
	v_fma_f64 v[94:95], v[90:91], s[20:21], -v[92:93]
	v_fmac_f64_e32 v[94:95], s[22:23], v[90:91]
	v_add_f64 v[90:91], v[92:93], v[94:95]
	v_add_f64 v[92:93], v[90:91], -v[92:93]
	v_add_f64 v[92:93], v[94:95], -v[92:93]
	v_add_f64 v[94:95], v[90:91], v[88:89]
	v_add_f64 v[96:97], v[94:95], -v[90:91]
	v_add_f64 v[98:99], v[94:95], -v[96:97]
	;; [unrolled: 1-line block ×4, first 2 shown]
	v_add_f64 v[88:89], v[88:89], v[90:91]
	v_add_f64 v[90:91], v[92:93], v[86:87]
	v_add_f64 v[96:97], v[90:91], -v[92:93]
	v_add_f64 v[98:99], v[90:91], -v[96:97]
	v_add_f64 v[88:89], v[90:91], v[88:89]
	v_add_f64 v[92:93], v[92:93], -v[98:99]
	v_add_f64 v[86:87], v[86:87], -v[96:97]
	v_add_f64 v[90:91], v[94:95], v[88:89]
	v_add_f64 v[86:87], v[86:87], v[92:93]
	v_add_f64 v[92:93], v[90:91], -v[94:95]
	v_add_f64 v[88:89], v[88:89], -v[92:93]
	v_add_f64 v[86:87], v[86:87], v[88:89]
	v_add_f64 v[86:87], v[90:91], v[86:87]
	v_cmp_class_f64_e64 s[2:3], v[82:83], s63
	v_min_f64 v[78:79], v[78:79], v[10:11]
	v_cndmask_b32_e64 v8, v87, v83, s[2:3]
	v_cndmask_b32_e64 v12, v86, v82, s[2:3]
	v_div_scale_f64 v[82:83], s[2:3], v[80:81], v[80:81], v[78:79]
	v_rcp_f64_e32 v[86:87], v[82:83]
	v_cndmask_b32_e64 v12, v12, 0, vcc
	v_cndmask_b32_e32 v8, v8, v112, vcc
	v_cmp_ngt_f64_e32 vcc, 0, v[84:85]
	v_cndmask_b32_e32 v8, v105, v8, vcc
	v_cmp_nge_f64_e32 vcc, 0, v[84:85]
	v_cndmask_b32_e32 v10, 0, v12, vcc
	v_cmp_neq_f64_e32 vcc, 0, v[84:85]
	v_fma_f64 v[84:85], -v[82:83], v[86:87], 1.0
	v_fmac_f64_e32 v[86:87], v[86:87], v[84:85]
	v_fma_f64 v[84:85], -v[82:83], v[86:87], 1.0
	v_cndmask_b32_e32 v11, v106, v8, vcc
	v_fmac_f64_e32 v[86:87], v[86:87], v[84:85]
	v_div_scale_f64 v[84:85], vcc, v[78:79], v[80:81], v[78:79]
	v_mul_f64 v[88:89], v[84:85], v[86:87]
	v_fma_f64 v[82:83], -v[82:83], v[88:89], v[84:85]
	v_pk_mov_b32 v[84:85], v[34:35], v[34:35] op_sel:[0,1]
	s_nop 0
	v_div_fmas_f64 v[82:83], v[82:83], v[86:87], v[88:89]
	v_div_fixup_f64 v[78:79], v[82:83], v[80:81], v[78:79]
	v_mul_f64 v[80:81], v[78:79], v[78:79]
	v_pk_mov_b32 v[82:83], v[32:33], v[32:33] op_sel:[0,1]
	v_fmac_f64_e32 v[82:83], s[26:27], v[80:81]
	v_fmac_f64_e32 v[84:85], v[80:81], v[82:83]
	v_pk_mov_b32 v[82:83], v[36:37], v[36:37] op_sel:[0,1]
	v_fmac_f64_e32 v[82:83], v[80:81], v[84:85]
	v_pk_mov_b32 v[84:85], v[38:39], v[38:39] op_sel:[0,1]
	;; [unrolled: 2-line block ×17, first 2 shown]
	v_fmac_f64_e32 v[82:83], v[80:81], v[84:85]
	v_mul_f64 v[80:81], v[80:81], v[82:83]
	v_fmac_f64_e32 v[78:79], v[78:79], v[80:81]
	v_ashrrev_i32_e32 v14, 31, v15
	v_cmp_gt_i32_e32 vcc, 0, v15
	v_and_b32_e32 v19, 0x400921fb, v14
	v_and_b32_e32 v80, 0x54442d18, v14
	v_add_f64 v[14:15], -v[78:79], s[28:29]
	v_cndmask_b32_e64 v15, v79, v15, s[0:1]
	v_cndmask_b32_e64 v14, v78, v14, s[0:1]
	s_mov_b32 s30, s28
	v_add_f64 v[78:79], -v[14:15], s[30:31]
	v_cndmask_b32_e32 v8, v107, v108, vcc
	v_cndmask_b32_e32 v12, v109, v110, vcc
	;; [unrolled: 1-line block ×4, first 2 shown]
	v_cmp_eq_f64_e32 vcc, 0, v[16:17]
	v_bfi_b32 v12, s61, v12, v17
	v_cndmask_b32_e32 v14, v14, v80, vcc
	v_cndmask_b32_e32 v15, v15, v19, vcc
	s_and_b64 vcc, s[52:53], s[54:55]
	v_cndmask_b32_e32 v79, v15, v12, vcc
	v_cndmask_b32_e32 v78, v14, v8, vcc
.LBB186_247:                            ;   in Loop: Header=BB186_162 Depth=1
	s_or_b64 exec, exec, s[50:51]
                                        ; implicit-def: $vgpr80_vgpr81
.LBB186_248:                            ;   in Loop: Header=BB186_162 Depth=1
	s_andn2_saveexec_b64 s[2:3], s[48:49]
	s_cbranch_execz .LBB186_254
; %bb.249:                              ;   in Loop: Header=BB186_162 Depth=1
	v_cmp_ngt_f64_e32 vcc, s[36:37], v[80:81]
                                        ; implicit-def: $vgpr10_vgpr11
                                        ; implicit-def: $vgpr78_vgpr79
	s_and_saveexec_b64 s[48:49], vcc
	s_xor_b64 s[48:49], exec, s[48:49]
	s_cbranch_execz .LBB186_251
; %bb.250:                              ;   in Loop: Header=BB186_162 Depth=1
	v_mul_f64 v[10:11], v[80:81], v[80:81]
	v_add_f64 v[78:79], v[10:11], 1.0
	v_add_f64 v[80:81], v[78:79], -1.0
	v_add_f64 v[82:83], v[80:81], -v[78:79]
	v_add_f64 v[82:83], v[82:83], 1.0
	v_add_f64 v[80:81], v[10:11], -v[80:81]
	v_add_f64 v[80:81], v[80:81], v[82:83]
	v_frexp_mant_f64_e32 v[82:83], v[78:79]
	v_frexp_exp_i32_f64_e32 v8, v[78:79]
	v_cmp_gt_f64_e32 vcc, s[14:15], v[82:83]
	v_subbrev_co_u32_e32 v8, vcc, 0, v8, vcc
	v_sub_u32_e32 v12, 0, v8
	v_ldexp_f64 v[78:79], v[78:79], v12
	v_add_f64 v[82:83], v[78:79], -1.0
	v_add_f64 v[88:89], v[78:79], 1.0
	v_add_f64 v[84:85], v[82:83], 1.0
	v_add_f64 v[90:91], v[88:89], -1.0
	v_ldexp_f64 v[80:81], v[80:81], v12
	v_add_f64 v[84:85], v[78:79], -v[84:85]
	v_add_f64 v[78:79], v[78:79], -v[90:91]
	v_add_f64 v[78:79], v[80:81], v[78:79]
	v_add_f64 v[84:85], v[80:81], v[84:85]
	;; [unrolled: 1-line block ×3, first 2 shown]
	v_rcp_f64_e32 v[90:91], v[80:81]
	v_add_f64 v[86:87], v[82:83], v[84:85]
	v_add_f64 v[82:83], v[82:83], -v[86:87]
	v_add_f64 v[82:83], v[84:85], v[82:83]
	v_add_f64 v[84:85], v[88:89], -v[80:81]
	v_add_f64 v[78:79], v[78:79], v[84:85]
	v_fma_f64 v[84:85], -v[80:81], v[90:91], 1.0
	v_fmac_f64_e32 v[90:91], v[84:85], v[90:91]
	v_fma_f64 v[84:85], -v[80:81], v[90:91], 1.0
	v_fmac_f64_e32 v[90:91], v[84:85], v[90:91]
	v_mul_f64 v[84:85], v[86:87], v[90:91]
	v_mul_f64 v[88:89], v[80:81], v[84:85]
	v_fma_f64 v[92:93], v[84:85], v[80:81], -v[88:89]
	v_fmac_f64_e32 v[92:93], v[84:85], v[78:79]
	v_add_f64 v[94:95], v[88:89], v[92:93]
	v_add_f64 v[96:97], v[86:87], -v[94:95]
	v_add_f64 v[86:87], v[86:87], -v[96:97]
	;; [unrolled: 1-line block ×4, first 2 shown]
	v_add_f64 v[82:83], v[82:83], v[86:87]
	v_add_f64 v[86:87], v[88:89], -v[92:93]
	v_add_f64 v[82:83], v[86:87], v[82:83]
	v_add_f64 v[86:87], v[96:97], v[82:83]
	v_add_f64 v[88:89], v[96:97], -v[86:87]
	v_add_f64 v[82:83], v[82:83], v[88:89]
	v_mul_f64 v[88:89], v[90:91], v[86:87]
	v_mul_f64 v[92:93], v[80:81], v[88:89]
	v_fma_f64 v[80:81], v[88:89], v[80:81], -v[92:93]
	v_fmac_f64_e32 v[80:81], v[88:89], v[78:79]
	v_add_f64 v[78:79], v[92:93], v[80:81]
	v_add_f64 v[94:95], v[86:87], -v[78:79]
	v_add_f64 v[86:87], v[86:87], -v[94:95]
	;; [unrolled: 1-line block ×4, first 2 shown]
	v_add_f64 v[78:79], v[82:83], v[78:79]
	v_add_f64 v[80:81], v[92:93], -v[80:81]
	v_add_f64 v[78:79], v[80:81], v[78:79]
	v_add_f64 v[80:81], v[84:85], v[88:89]
	v_add_f64 v[78:79], v[94:95], v[78:79]
	v_add_f64 v[82:83], v[80:81], -v[84:85]
	v_mul_f64 v[78:79], v[90:91], v[78:79]
	v_add_f64 v[82:83], v[88:89], -v[82:83]
	v_add_f64 v[78:79], v[82:83], v[78:79]
	v_add_f64 v[82:83], v[80:81], v[78:79]
	v_add_f64 v[80:81], v[82:83], -v[80:81]
	v_add_f64 v[78:79], v[78:79], -v[80:81]
	v_mul_f64 v[80:81], v[82:83], v[82:83]
	v_pk_mov_b32 v[84:85], v[20:21], v[20:21] op_sel:[0,1]
	v_fmac_f64_e32 v[84:85], s[18:19], v[80:81]
	v_pk_mov_b32 v[86:87], v[22:23], v[22:23] op_sel:[0,1]
	v_fmac_f64_e32 v[86:87], v[80:81], v[84:85]
	;; [unrolled: 2-line block ×6, first 2 shown]
	v_cvt_f64_i32_e32 v[84:85], v8
	v_mul_f64 v[88:89], v[84:85], s[20:21]
	v_fma_f64 v[90:91], v[84:85], s[20:21], -v[88:89]
	v_fmac_f64_e32 v[90:91], s[22:23], v[84:85]
	v_add_f64 v[84:85], v[88:89], v[90:91]
	v_add_f64 v[88:89], v[84:85], -v[88:89]
	v_mul_f64 v[80:81], v[82:83], v[80:81]
	v_add_f64 v[88:89], v[90:91], -v[88:89]
	v_ldexp_f64 v[90:91], v[82:83], 1
	v_mul_f64 v[80:81], v[80:81], v[86:87]
	v_add_f64 v[82:83], v[90:91], v[80:81]
	v_add_f64 v[86:87], v[82:83], -v[90:91]
	v_ldexp_f64 v[78:79], v[78:79], 1
	v_add_f64 v[80:81], v[80:81], -v[86:87]
	v_add_f64 v[78:79], v[78:79], v[80:81]
	v_add_f64 v[80:81], v[82:83], v[78:79]
	v_add_f64 v[82:83], v[80:81], -v[82:83]
	v_add_f64 v[78:79], v[78:79], -v[82:83]
	v_add_f64 v[82:83], v[84:85], v[80:81]
	v_add_f64 v[86:87], v[82:83], -v[84:85]
	v_add_f64 v[90:91], v[82:83], -v[86:87]
	;; [unrolled: 1-line block ×4, first 2 shown]
	v_add_f64 v[80:81], v[80:81], v[84:85]
	v_add_f64 v[84:85], v[88:89], v[78:79]
	v_add_f64 v[86:87], v[84:85], -v[88:89]
	v_add_f64 v[80:81], v[84:85], v[80:81]
	v_add_f64 v[90:91], v[84:85], -v[86:87]
	v_add_f64 v[84:85], v[82:83], v[80:81]
	v_add_f64 v[88:89], v[88:89], -v[90:91]
	v_add_f64 v[78:79], v[78:79], -v[86:87]
	v_add_f64 v[82:83], v[84:85], -v[82:83]
	v_add_f64 v[78:79], v[78:79], v[88:89]
	v_add_f64 v[80:81], v[80:81], -v[82:83]
	v_add_f64 v[78:79], v[78:79], v[80:81]
	v_max_f64 v[80:81], |v[16:17]|, |v[16:17]|
	v_max_f64 v[82:83], |v[14:15]|, |v[14:15]|
	v_add_f64 v[78:79], v[84:85], v[78:79]
	v_max_f64 v[84:85], v[82:83], v[80:81]
	v_min_f64 v[80:81], v[82:83], v[80:81]
	v_div_scale_f64 v[82:83], s[50:51], v[84:85], v[84:85], v[80:81]
	v_rcp_f64_e32 v[86:87], v[82:83]
	v_cmp_eq_f64_e32 vcc, s[24:25], v[10:11]
	v_cndmask_b32_e32 v11, v79, v11, vcc
	v_cndmask_b32_e32 v10, v78, v10, vcc
	v_fma_f64 v[78:79], -v[82:83], v[86:87], 1.0
	v_fmac_f64_e32 v[86:87], v[86:87], v[78:79]
	v_fma_f64 v[78:79], -v[82:83], v[86:87], 1.0
	v_fmac_f64_e32 v[86:87], v[86:87], v[78:79]
	v_div_scale_f64 v[78:79], vcc, v[80:81], v[84:85], v[80:81]
	v_mul_f64 v[88:89], v[78:79], v[86:87]
	v_fma_f64 v[78:79], -v[82:83], v[88:89], v[78:79]
	v_pk_mov_b32 v[82:83], v[32:33], v[32:33] op_sel:[0,1]
	s_nop 0
	v_div_fmas_f64 v[78:79], v[78:79], v[86:87], v[88:89]
	v_div_fixup_f64 v[78:79], v[78:79], v[84:85], v[80:81]
	v_mul_f64 v[80:81], v[78:79], v[78:79]
	v_fmac_f64_e32 v[82:83], s[26:27], v[80:81]
	v_pk_mov_b32 v[84:85], v[34:35], v[34:35] op_sel:[0,1]
	v_fmac_f64_e32 v[84:85], v[80:81], v[82:83]
	v_pk_mov_b32 v[82:83], v[36:37], v[36:37] op_sel:[0,1]
	v_fmac_f64_e32 v[82:83], v[80:81], v[84:85]
	v_pk_mov_b32 v[84:85], v[38:39], v[38:39] op_sel:[0,1]
	v_fmac_f64_e32 v[84:85], v[80:81], v[82:83]
	v_pk_mov_b32 v[82:83], v[40:41], v[40:41] op_sel:[0,1]
	v_fmac_f64_e32 v[82:83], v[80:81], v[84:85]
	v_pk_mov_b32 v[84:85], v[42:43], v[42:43] op_sel:[0,1]
	v_fmac_f64_e32 v[84:85], v[80:81], v[82:83]
	v_pk_mov_b32 v[82:83], v[44:45], v[44:45] op_sel:[0,1]
	v_fmac_f64_e32 v[82:83], v[80:81], v[84:85]
	v_pk_mov_b32 v[84:85], v[46:47], v[46:47] op_sel:[0,1]
	v_fmac_f64_e32 v[84:85], v[80:81], v[82:83]
	v_pk_mov_b32 v[82:83], v[48:49], v[48:49] op_sel:[0,1]
	v_fmac_f64_e32 v[82:83], v[80:81], v[84:85]
	v_pk_mov_b32 v[84:85], v[50:51], v[50:51] op_sel:[0,1]
	v_fmac_f64_e32 v[84:85], v[80:81], v[82:83]
	v_pk_mov_b32 v[82:83], v[52:53], v[52:53] op_sel:[0,1]
	v_fmac_f64_e32 v[82:83], v[80:81], v[84:85]
	v_pk_mov_b32 v[84:85], v[54:55], v[54:55] op_sel:[0,1]
	v_fmac_f64_e32 v[84:85], v[80:81], v[82:83]
	v_pk_mov_b32 v[82:83], v[56:57], v[56:57] op_sel:[0,1]
	v_fmac_f64_e32 v[82:83], v[80:81], v[84:85]
	v_pk_mov_b32 v[84:85], v[58:59], v[58:59] op_sel:[0,1]
	v_fmac_f64_e32 v[84:85], v[80:81], v[82:83]
	v_pk_mov_b32 v[82:83], v[60:61], v[60:61] op_sel:[0,1]
	v_fmac_f64_e32 v[82:83], v[80:81], v[84:85]
	v_pk_mov_b32 v[84:85], v[62:63], v[62:63] op_sel:[0,1]
	v_fmac_f64_e32 v[84:85], v[80:81], v[82:83]
	v_pk_mov_b32 v[82:83], v[64:65], v[64:65] op_sel:[0,1]
	v_fmac_f64_e32 v[82:83], v[80:81], v[84:85]
	v_pk_mov_b32 v[84:85], v[66:67], v[66:67] op_sel:[0,1]
	v_fmac_f64_e32 v[84:85], v[80:81], v[82:83]
	v_pk_mov_b32 v[82:83], v[68:69], v[68:69] op_sel:[0,1]
	v_fmac_f64_e32 v[82:83], v[80:81], v[84:85]
	v_mul_f64 v[80:81], v[80:81], v[82:83]
	v_fmac_f64_e32 v[78:79], v[78:79], v[80:81]
	v_cmp_class_f64_e64 s[52:53], v[14:15], s63
	v_ashrrev_i32_e32 v14, 31, v15
	v_cmp_gt_i32_e32 vcc, 0, v15
	v_and_b32_e32 v19, 0x400921fb, v14
	v_and_b32_e32 v80, 0x54442d18, v14
	v_add_f64 v[14:15], -v[78:79], s[28:29]
	v_cndmask_b32_e64 v15, v79, v15, s[0:1]
	v_cndmask_b32_e64 v14, v78, v14, s[0:1]
	s_mov_b32 s30, s28
	v_add_f64 v[78:79], -v[14:15], s[30:31]
	v_cmp_class_f64_e64 s[50:51], v[16:17], s63
	v_cndmask_b32_e32 v8, v107, v108, vcc
	v_cndmask_b32_e32 v12, v109, v110, vcc
	;; [unrolled: 1-line block ×4, first 2 shown]
	v_cmp_eq_f64_e32 vcc, 0, v[16:17]
	v_bfi_b32 v12, s61, v12, v17
	v_cndmask_b32_e32 v14, v14, v80, vcc
	v_cndmask_b32_e32 v15, v15, v19, vcc
	s_and_b64 vcc, s[52:53], s[50:51]
	v_mul_f64 v[10:11], v[10:11], 0.5
	v_cndmask_b32_e32 v79, v15, v12, vcc
	v_cndmask_b32_e32 v78, v14, v8, vcc
                                        ; implicit-def: $vgpr80_vgpr81
.LBB186_251:                            ;   in Loop: Header=BB186_162 Depth=1
	s_andn2_saveexec_b64 s[48:49], s[48:49]
	s_cbranch_execz .LBB186_253
; %bb.252:                              ;   in Loop: Header=BB186_162 Depth=1
	v_max_f64 v[10:11], |v[16:17]|, |v[16:17]|
	v_max_f64 v[78:79], |v[14:15]|, |v[14:15]|
	v_max_f64 v[82:83], v[78:79], v[10:11]
	v_min_f64 v[78:79], v[78:79], v[10:11]
	v_div_scale_f64 v[84:85], s[50:51], v[82:83], v[82:83], v[78:79]
	v_rcp_f64_e32 v[86:87], v[84:85]
	v_mul_f64 v[10:11], v[80:81], 0.5
	v_mul_f64 v[10:11], v[80:81], v[10:11]
	v_cmp_class_f64_e64 s[52:53], v[14:15], s63
	v_fma_f64 v[80:81], -v[84:85], v[86:87], 1.0
	v_fmac_f64_e32 v[86:87], v[86:87], v[80:81]
	v_fma_f64 v[80:81], -v[84:85], v[86:87], 1.0
	v_fmac_f64_e32 v[86:87], v[86:87], v[80:81]
	v_div_scale_f64 v[80:81], vcc, v[78:79], v[82:83], v[78:79]
	v_mul_f64 v[88:89], v[80:81], v[86:87]
	v_fma_f64 v[80:81], -v[84:85], v[88:89], v[80:81]
	v_pk_mov_b32 v[84:85], v[34:35], v[34:35] op_sel:[0,1]
	s_nop 0
	v_div_fmas_f64 v[80:81], v[80:81], v[86:87], v[88:89]
	v_div_fixup_f64 v[78:79], v[80:81], v[82:83], v[78:79]
	v_mul_f64 v[80:81], v[78:79], v[78:79]
	v_pk_mov_b32 v[82:83], v[32:33], v[32:33] op_sel:[0,1]
	v_fmac_f64_e32 v[82:83], s[26:27], v[80:81]
	v_fmac_f64_e32 v[84:85], v[80:81], v[82:83]
	v_pk_mov_b32 v[82:83], v[36:37], v[36:37] op_sel:[0,1]
	v_fmac_f64_e32 v[82:83], v[80:81], v[84:85]
	v_pk_mov_b32 v[84:85], v[38:39], v[38:39] op_sel:[0,1]
	v_fmac_f64_e32 v[84:85], v[80:81], v[82:83]
	v_pk_mov_b32 v[82:83], v[40:41], v[40:41] op_sel:[0,1]
	v_fmac_f64_e32 v[82:83], v[80:81], v[84:85]
	v_pk_mov_b32 v[84:85], v[42:43], v[42:43] op_sel:[0,1]
	v_fmac_f64_e32 v[84:85], v[80:81], v[82:83]
	v_pk_mov_b32 v[82:83], v[44:45], v[44:45] op_sel:[0,1]
	v_fmac_f64_e32 v[82:83], v[80:81], v[84:85]
	v_pk_mov_b32 v[84:85], v[46:47], v[46:47] op_sel:[0,1]
	v_fmac_f64_e32 v[84:85], v[80:81], v[82:83]
	v_pk_mov_b32 v[82:83], v[48:49], v[48:49] op_sel:[0,1]
	v_fmac_f64_e32 v[82:83], v[80:81], v[84:85]
	v_pk_mov_b32 v[84:85], v[50:51], v[50:51] op_sel:[0,1]
	v_fmac_f64_e32 v[84:85], v[80:81], v[82:83]
	v_pk_mov_b32 v[82:83], v[52:53], v[52:53] op_sel:[0,1]
	v_fmac_f64_e32 v[82:83], v[80:81], v[84:85]
	v_pk_mov_b32 v[84:85], v[54:55], v[54:55] op_sel:[0,1]
	v_fmac_f64_e32 v[84:85], v[80:81], v[82:83]
	v_pk_mov_b32 v[82:83], v[56:57], v[56:57] op_sel:[0,1]
	v_fmac_f64_e32 v[82:83], v[80:81], v[84:85]
	v_pk_mov_b32 v[84:85], v[58:59], v[58:59] op_sel:[0,1]
	v_fmac_f64_e32 v[84:85], v[80:81], v[82:83]
	v_pk_mov_b32 v[82:83], v[60:61], v[60:61] op_sel:[0,1]
	v_fmac_f64_e32 v[82:83], v[80:81], v[84:85]
	v_pk_mov_b32 v[84:85], v[62:63], v[62:63] op_sel:[0,1]
	v_fmac_f64_e32 v[84:85], v[80:81], v[82:83]
	v_pk_mov_b32 v[82:83], v[64:65], v[64:65] op_sel:[0,1]
	v_fmac_f64_e32 v[82:83], v[80:81], v[84:85]
	v_pk_mov_b32 v[84:85], v[66:67], v[66:67] op_sel:[0,1]
	v_fmac_f64_e32 v[84:85], v[80:81], v[82:83]
	v_pk_mov_b32 v[82:83], v[68:69], v[68:69] op_sel:[0,1]
	v_fmac_f64_e32 v[82:83], v[80:81], v[84:85]
	v_mul_f64 v[80:81], v[80:81], v[82:83]
	v_fmac_f64_e32 v[78:79], v[78:79], v[80:81]
	v_ashrrev_i32_e32 v14, 31, v15
	v_cmp_gt_i32_e32 vcc, 0, v15
	v_and_b32_e32 v19, 0x400921fb, v14
	v_and_b32_e32 v80, 0x54442d18, v14
	v_add_f64 v[14:15], -v[78:79], s[28:29]
	v_cndmask_b32_e64 v15, v79, v15, s[0:1]
	v_cndmask_b32_e64 v14, v78, v14, s[0:1]
	s_mov_b32 s30, s28
	v_add_f64 v[78:79], -v[14:15], s[30:31]
	v_cmp_class_f64_e64 s[50:51], v[16:17], s63
	v_cndmask_b32_e32 v8, v107, v108, vcc
	v_cndmask_b32_e32 v12, v109, v110, vcc
	;; [unrolled: 1-line block ×4, first 2 shown]
	v_cmp_eq_f64_e32 vcc, 0, v[16:17]
	v_bfi_b32 v12, s61, v12, v17
	v_cndmask_b32_e32 v14, v14, v80, vcc
	v_cndmask_b32_e32 v15, v15, v19, vcc
	s_and_b64 vcc, s[52:53], s[50:51]
	v_cndmask_b32_e32 v79, v15, v12, vcc
	v_cndmask_b32_e32 v78, v14, v8, vcc
.LBB186_253:                            ;   in Loop: Header=BB186_162 Depth=1
	s_or_b64 exec, exec, s[48:49]
.LBB186_254:                            ;   in Loop: Header=BB186_162 Depth=1
	s_or_b64 exec, exec, s[2:3]
.LBB186_255:                            ;   in Loop: Header=BB186_162 Depth=1
	s_andn2_saveexec_b64 s[48:49], s[4:5]
	s_cbranch_execz .LBB186_257
; %bb.256:                              ;   in Loop: Header=BB186_162 Depth=1
	v_div_scale_f64 v[10:11], s[2:3], s[38:39], s[38:39], v[14:15]
	v_rcp_f64_e32 v[78:79], v[10:11]
	v_div_scale_f64 v[80:81], vcc, v[14:15], s[38:39], v[14:15]
	s_mov_b32 s30, s28
	v_fma_f64 v[82:83], -v[10:11], v[78:79], 1.0
	v_fmac_f64_e32 v[78:79], v[78:79], v[82:83]
	v_fma_f64 v[82:83], -v[10:11], v[78:79], 1.0
	v_fmac_f64_e32 v[78:79], v[78:79], v[82:83]
	v_mul_f64 v[82:83], v[80:81], v[78:79]
	v_fma_f64 v[10:11], -v[10:11], v[82:83], v[80:81]
	v_div_scale_f64 v[80:81], s[2:3], s[38:39], s[38:39], v[16:17]
	v_rcp_f64_e32 v[84:85], v[80:81]
	v_div_fmas_f64 v[10:11], v[10:11], v[78:79], v[82:83]
	v_div_fixup_f64 v[10:11], v[10:11], s[38:39], v[14:15]
	v_cmp_class_f64_e64 s[4:5], v[10:11], s63
	v_fma_f64 v[78:79], -v[80:81], v[84:85], 1.0
	v_fmac_f64_e32 v[84:85], v[84:85], v[78:79]
	v_fma_f64 v[78:79], -v[80:81], v[84:85], 1.0
	v_fmac_f64_e32 v[84:85], v[84:85], v[78:79]
	v_div_scale_f64 v[78:79], vcc, v[16:17], s[38:39], v[16:17]
	v_mul_f64 v[82:83], v[78:79], v[84:85]
	v_fma_f64 v[78:79], -v[80:81], v[82:83], v[78:79]
	s_nop 1
	v_div_fmas_f64 v[78:79], v[78:79], v[84:85], v[82:83]
	v_div_fixup_f64 v[78:79], v[78:79], s[38:39], v[16:17]
	v_max_f64 v[80:81], |v[10:11]|, |v[78:79]|
	v_frexp_exp_i32_f64_e32 v8, v[80:81]
	v_sub_u32_e32 v12, 0, v8
	v_ldexp_f64 v[82:83], |v[78:79]|, v12
	v_ldexp_f64 v[80:81], |v[10:11]|, v12
	v_mul_f64 v[82:83], v[82:83], v[82:83]
	v_fmac_f64_e32 v[82:83], v[80:81], v[80:81]
	v_rsq_f64_e32 v[80:81], v[82:83]
	v_cmp_eq_f64_e32 vcc, 0, v[82:83]
	v_cmp_o_f64_e64 s[2:3], v[10:11], v[78:79]
	v_cmp_class_f64_e64 s[50:51], v[78:79], s63
	v_mul_f64 v[84:85], v[82:83], v[80:81]
	v_mul_f64 v[80:81], v[80:81], 0.5
	v_fma_f64 v[86:87], -v[80:81], v[84:85], 0.5
	v_fmac_f64_e32 v[84:85], v[84:85], v[86:87]
	v_fmac_f64_e32 v[80:81], v[80:81], v[86:87]
	v_fma_f64 v[86:87], -v[84:85], v[84:85], v[82:83]
	v_fmac_f64_e32 v[84:85], v[86:87], v[80:81]
	v_cndmask_b32_e32 v81, v85, v83, vcc
	v_cndmask_b32_e32 v80, v84, v82, vcc
	v_ldexp_f64 v[80:81], v[80:81], v8
	v_cndmask_b32_e64 v8, 0, v80, s[2:3]
	v_cndmask_b32_e64 v12, v105, v81, s[2:3]
	s_or_b64 vcc, s[4:5], s[50:51]
	v_cndmask_b32_e32 v79, v12, v112, vcc
	v_cndmask_b32_e64 v78, v8, 0, vcc
	v_frexp_mant_f64_e32 v[10:11], v[78:79]
	v_cmp_gt_f64_e64 s[4:5], s[14:15], v[10:11]
	v_cndmask_b32_e64 v19, v111, 2.0, s[4:5]
	v_frexp_exp_i32_f64_e32 v82, v[78:79]
	v_mul_f64 v[10:11], v[10:11], v[18:19]
	v_subbrev_co_u32_e64 v19, s[4:5], 0, v82, s[4:5]
	v_add_f64 v[82:83], v[10:11], 1.0
	v_rcp_f64_e32 v[84:85], v[82:83]
	v_add_f64 v[88:89], v[82:83], -1.0
	v_add_f64 v[86:87], v[10:11], -1.0
	v_add_f64 v[10:11], v[10:11], -v[88:89]
	v_fma_f64 v[88:89], -v[82:83], v[84:85], 1.0
	v_fmac_f64_e32 v[84:85], v[88:89], v[84:85]
	v_fma_f64 v[88:89], -v[82:83], v[84:85], 1.0
	v_fmac_f64_e32 v[84:85], v[88:89], v[84:85]
	v_mul_f64 v[88:89], v[86:87], v[84:85]
	v_mul_f64 v[90:91], v[82:83], v[88:89]
	v_fma_f64 v[82:83], v[88:89], v[82:83], -v[90:91]
	v_fmac_f64_e32 v[82:83], v[88:89], v[10:11]
	v_add_f64 v[10:11], v[90:91], v[82:83]
	v_add_f64 v[92:93], v[86:87], -v[10:11]
	v_add_f64 v[90:91], v[10:11], -v[90:91]
	;; [unrolled: 1-line block ×5, first 2 shown]
	v_add_f64 v[10:11], v[82:83], v[10:11]
	v_add_f64 v[10:11], v[92:93], v[10:11]
	v_mul_f64 v[10:11], v[84:85], v[10:11]
	v_add_f64 v[82:83], v[88:89], v[10:11]
	v_add_f64 v[84:85], v[82:83], -v[88:89]
	v_add_f64 v[10:11], v[10:11], -v[84:85]
	v_mul_f64 v[84:85], v[82:83], v[82:83]
	v_pk_mov_b32 v[86:87], v[20:21], v[20:21] op_sel:[0,1]
	v_fmac_f64_e32 v[86:87], s[18:19], v[84:85]
	v_pk_mov_b32 v[88:89], v[22:23], v[22:23] op_sel:[0,1]
	v_fmac_f64_e32 v[88:89], v[84:85], v[86:87]
	;; [unrolled: 2-line block ×6, first 2 shown]
	v_ldexp_f64 v[86:87], v[82:83], 1
	v_mul_f64 v[82:83], v[82:83], v[84:85]
	v_mul_f64 v[82:83], v[82:83], v[88:89]
	v_add_f64 v[84:85], v[86:87], v[82:83]
	v_add_f64 v[86:87], v[84:85], -v[86:87]
	v_ldexp_f64 v[10:11], v[10:11], 1
	v_add_f64 v[82:83], v[82:83], -v[86:87]
	v_add_f64 v[10:11], v[10:11], v[82:83]
	v_add_f64 v[82:83], v[84:85], v[10:11]
	v_add_f64 v[84:85], v[82:83], -v[84:85]
	v_add_f64 v[10:11], v[10:11], -v[84:85]
	v_cvt_f64_i32_e32 v[84:85], v19
	v_mul_f64 v[86:87], v[84:85], s[20:21]
	v_fma_f64 v[88:89], v[84:85], s[20:21], -v[86:87]
	v_fmac_f64_e32 v[88:89], s[22:23], v[84:85]
	v_add_f64 v[84:85], v[86:87], v[88:89]
	v_add_f64 v[86:87], v[84:85], -v[86:87]
	v_add_f64 v[86:87], v[88:89], -v[86:87]
	v_add_f64 v[88:89], v[84:85], v[82:83]
	v_add_f64 v[90:91], v[88:89], -v[84:85]
	v_add_f64 v[92:93], v[88:89], -v[90:91]
	;; [unrolled: 1-line block ×4, first 2 shown]
	v_add_f64 v[82:83], v[82:83], v[84:85]
	v_add_f64 v[84:85], v[86:87], v[10:11]
	v_add_f64 v[90:91], v[84:85], -v[86:87]
	v_add_f64 v[92:93], v[84:85], -v[90:91]
	v_add_f64 v[82:83], v[84:85], v[82:83]
	v_add_f64 v[86:87], v[86:87], -v[92:93]
	v_add_f64 v[10:11], v[10:11], -v[90:91]
	v_add_f64 v[84:85], v[88:89], v[82:83]
	v_add_f64 v[10:11], v[10:11], v[86:87]
	v_add_f64 v[86:87], v[84:85], -v[88:89]
	v_add_f64 v[82:83], v[82:83], -v[86:87]
	v_and_b32_e32 v81, 0x7fffffff, v81
	v_add_f64 v[10:11], v[10:11], v[82:83]
	v_cmp_eq_f64_e64 s[4:5], s[24:25], v[80:81]
	v_add_f64 v[10:11], v[84:85], v[10:11]
	s_and_b64 s[2:3], s[2:3], s[4:5]
	v_cndmask_b32_e64 v11, v11, v12, s[2:3]
	v_cndmask_b32_e64 v10, v10, v8, s[2:3]
	v_add_f64 v[10:11], v[10:11], 1.0
	v_cndmask_b32_e64 v8, v10, 0, vcc
	v_cndmask_b32_e32 v10, v11, v112, vcc
	v_cmp_ngt_f64_e32 vcc, 0, v[78:79]
	v_cndmask_b32_e32 v12, v105, v10, vcc
	v_max_f64 v[10:11], |v[16:17]|, |v[16:17]|
	v_max_f64 v[80:81], |v[14:15]|, |v[14:15]|
	v_max_f64 v[82:83], v[80:81], v[10:11]
	v_min_f64 v[80:81], v[80:81], v[10:11]
	v_div_scale_f64 v[84:85], s[2:3], v[82:83], v[82:83], v[80:81]
	v_rcp_f64_e32 v[86:87], v[84:85]
	v_cmp_nge_f64_e32 vcc, 0, v[78:79]
	v_cndmask_b32_e32 v10, 0, v8, vcc
	v_cmp_neq_f64_e32 vcc, 0, v[78:79]
	v_fma_f64 v[78:79], -v[84:85], v[86:87], 1.0
	v_fmac_f64_e32 v[86:87], v[86:87], v[78:79]
	v_fma_f64 v[78:79], -v[84:85], v[86:87], 1.0
	v_cndmask_b32_e32 v11, v106, v12, vcc
	v_fmac_f64_e32 v[86:87], v[86:87], v[78:79]
	v_div_scale_f64 v[78:79], vcc, v[80:81], v[82:83], v[80:81]
	v_mul_f64 v[88:89], v[78:79], v[86:87]
	v_fma_f64 v[78:79], -v[84:85], v[88:89], v[78:79]
	v_pk_mov_b32 v[84:85], v[34:35], v[34:35] op_sel:[0,1]
	s_nop 0
	v_div_fmas_f64 v[78:79], v[78:79], v[86:87], v[88:89]
	v_div_fixup_f64 v[78:79], v[78:79], v[82:83], v[80:81]
	v_mul_f64 v[80:81], v[78:79], v[78:79]
	v_pk_mov_b32 v[82:83], v[32:33], v[32:33] op_sel:[0,1]
	v_fmac_f64_e32 v[82:83], s[26:27], v[80:81]
	v_fmac_f64_e32 v[84:85], v[80:81], v[82:83]
	v_pk_mov_b32 v[82:83], v[36:37], v[36:37] op_sel:[0,1]
	v_fmac_f64_e32 v[82:83], v[80:81], v[84:85]
	v_pk_mov_b32 v[84:85], v[38:39], v[38:39] op_sel:[0,1]
	;; [unrolled: 2-line block ×17, first 2 shown]
	v_fmac_f64_e32 v[82:83], v[80:81], v[84:85]
	v_mul_f64 v[80:81], v[80:81], v[82:83]
	v_fmac_f64_e32 v[78:79], v[78:79], v[80:81]
	v_cmp_class_f64_e64 s[4:5], v[14:15], s63
	v_ashrrev_i32_e32 v14, 31, v15
	v_cmp_gt_i32_e32 vcc, 0, v15
	v_and_b32_e32 v19, 0x400921fb, v14
	v_and_b32_e32 v80, 0x54442d18, v14
	v_add_f64 v[14:15], -v[78:79], s[28:29]
	v_cndmask_b32_e64 v15, v79, v15, s[0:1]
	v_cndmask_b32_e64 v14, v78, v14, s[0:1]
	v_add_f64 v[78:79], -v[14:15], s[30:31]
	v_cmp_class_f64_e64 s[2:3], v[16:17], s63
	v_cndmask_b32_e32 v8, v107, v108, vcc
	v_cndmask_b32_e32 v12, v109, v110, vcc
	v_cndmask_b32_e32 v15, v15, v79, vcc
	v_cndmask_b32_e32 v14, v14, v78, vcc
	v_cmp_eq_f64_e32 vcc, 0, v[16:17]
	v_bfi_b32 v12, s61, v12, v17
	v_cndmask_b32_e32 v14, v14, v80, vcc
	v_cndmask_b32_e32 v15, v15, v19, vcc
	s_and_b64 vcc, s[4:5], s[2:3]
	v_cndmask_b32_e32 v79, v15, v12, vcc
	v_cndmask_b32_e32 v78, v14, v8, vcc
.LBB186_257:                            ;   in Loop: Header=BB186_162 Depth=1
	s_or_b64 exec, exec, s[48:49]
.LBB186_258:                            ;   in Loop: Header=BB186_162 Depth=1
	s_andn2_saveexec_b64 s[0:1], s[46:47]
	s_cbranch_execz .LBB186_264
; %bb.259:                              ;   in Loop: Header=BB186_162 Depth=1
	v_cmp_nlt_f64_e64 s[2:3], |v[14:15]|, s[40:41]
	v_cmp_nlt_f64_e64 s[4:5], |v[16:17]|, s[40:41]
	s_or_b64 s[2:3], s[2:3], s[4:5]
                                        ; implicit-def: $vgpr78_vgpr79
	s_and_saveexec_b64 s[4:5], s[2:3]
	s_xor_b64 s[2:3], exec, s[4:5]
; %bb.260:                              ;   in Loop: Header=BB186_162 Depth=1
	v_mul_f64 v[78:79], v[16:17], v[16:17]
	v_fmac_f64_e32 v[78:79], v[14:15], v[14:15]
; %bb.261:                              ;   in Loop: Header=BB186_162 Depth=1
	s_andn2_saveexec_b64 s[2:3], s[2:3]
; %bb.262:                              ;   in Loop: Header=BB186_162 Depth=1
	v_mul_f64 v[10:11], v[14:15], 4.0
	v_mul_f64 v[14:15], v[16:17], 4.0
	v_mul_f64 v[14:15], v[14:15], v[14:15]
	v_fmac_f64_e32 v[14:15], v[10:11], v[10:11]
	v_ldexp_f64 v[78:79], v[14:15], -4
; %bb.263:                              ;   in Loop: Header=BB186_162 Depth=1
	s_or_b64 exec, exec, s[2:3]
	v_frexp_mant_f64_e32 v[10:11], v[78:79]
	v_cmp_gt_f64_e32 vcc, s[14:15], v[10:11]
	v_cndmask_b32_e64 v19, v111, 2.0, vcc
	v_mul_f64 v[10:11], v[10:11], v[18:19]
	v_add_f64 v[14:15], v[10:11], 1.0
	v_rcp_f64_e32 v[80:81], v[14:15]
	v_add_f64 v[84:85], v[14:15], -1.0
	v_add_f64 v[82:83], v[10:11], -1.0
	v_add_f64 v[10:11], v[10:11], -v[84:85]
	v_fma_f64 v[84:85], -v[14:15], v[80:81], 1.0
	v_fmac_f64_e32 v[80:81], v[84:85], v[80:81]
	v_fma_f64 v[84:85], -v[14:15], v[80:81], 1.0
	v_fmac_f64_e32 v[80:81], v[84:85], v[80:81]
	v_mul_f64 v[84:85], v[82:83], v[80:81]
	v_mul_f64 v[86:87], v[14:15], v[84:85]
	v_fma_f64 v[14:15], v[84:85], v[14:15], -v[86:87]
	v_fmac_f64_e32 v[14:15], v[84:85], v[10:11]
	v_add_f64 v[10:11], v[86:87], v[14:15]
	v_add_f64 v[88:89], v[82:83], -v[10:11]
	v_add_f64 v[86:87], v[10:11], -v[86:87]
	;; [unrolled: 1-line block ×5, first 2 shown]
	v_add_f64 v[10:11], v[14:15], v[10:11]
	v_add_f64 v[10:11], v[88:89], v[10:11]
	v_mul_f64 v[10:11], v[80:81], v[10:11]
	v_add_f64 v[14:15], v[84:85], v[10:11]
	v_add_f64 v[80:81], v[14:15], -v[84:85]
	v_add_f64 v[10:11], v[10:11], -v[80:81]
	v_mul_f64 v[80:81], v[14:15], v[14:15]
	v_pk_mov_b32 v[82:83], v[20:21], v[20:21] op_sel:[0,1]
	v_fmac_f64_e32 v[82:83], s[18:19], v[80:81]
	v_pk_mov_b32 v[84:85], v[22:23], v[22:23] op_sel:[0,1]
	v_fmac_f64_e32 v[84:85], v[80:81], v[82:83]
	;; [unrolled: 2-line block ×6, first 2 shown]
	v_ldexp_f64 v[82:83], v[14:15], 1
	v_mul_f64 v[14:15], v[14:15], v[80:81]
	v_mul_f64 v[14:15], v[14:15], v[84:85]
	v_add_f64 v[80:81], v[82:83], v[14:15]
	v_add_f64 v[82:83], v[80:81], -v[82:83]
	v_ldexp_f64 v[10:11], v[10:11], 1
	v_add_f64 v[14:15], v[14:15], -v[82:83]
	v_add_f64 v[10:11], v[10:11], v[14:15]
	v_frexp_exp_i32_f64_e32 v8, v[78:79]
	v_add_f64 v[14:15], v[80:81], v[10:11]
	v_subbrev_co_u32_e32 v8, vcc, 0, v8, vcc
	v_add_f64 v[80:81], v[14:15], -v[80:81]
	v_add_f64 v[10:11], v[10:11], -v[80:81]
	v_cvt_f64_i32_e32 v[80:81], v8
	v_mul_f64 v[82:83], v[80:81], s[20:21]
	v_fma_f64 v[84:85], v[80:81], s[20:21], -v[82:83]
	v_fmac_f64_e32 v[84:85], s[22:23], v[80:81]
	v_add_f64 v[80:81], v[82:83], v[84:85]
	v_add_f64 v[82:83], v[80:81], -v[82:83]
	v_add_f64 v[82:83], v[84:85], -v[82:83]
	v_add_f64 v[84:85], v[80:81], v[14:15]
	v_add_f64 v[86:87], v[84:85], -v[80:81]
	v_add_f64 v[88:89], v[84:85], -v[86:87]
	;; [unrolled: 1-line block ×4, first 2 shown]
	v_add_f64 v[14:15], v[14:15], v[80:81]
	v_add_f64 v[80:81], v[82:83], v[10:11]
	v_add_f64 v[86:87], v[80:81], -v[82:83]
	v_add_f64 v[88:89], v[80:81], -v[86:87]
	v_add_f64 v[14:15], v[80:81], v[14:15]
	v_add_f64 v[82:83], v[82:83], -v[88:89]
	v_add_f64 v[10:11], v[10:11], -v[86:87]
	v_add_f64 v[80:81], v[84:85], v[14:15]
	v_add_f64 v[10:11], v[10:11], v[82:83]
	v_add_f64 v[82:83], v[80:81], -v[84:85]
	v_add_f64 v[14:15], v[14:15], -v[82:83]
	v_add_f64 v[10:11], v[10:11], v[14:15]
	v_add_f64 v[10:11], v[80:81], v[10:11]
	v_cmp_class_f64_e64 vcc, v[78:79], s63
	v_cndmask_b32_e32 v8, v10, v78, vcc
	v_cndmask_b32_e32 v10, v11, v79, vcc
	v_cmp_ngt_f64_e32 vcc, 0, v[78:79]
	v_cndmask_b32_e32 v11, v105, v10, vcc
	v_cmp_nge_f64_e32 vcc, 0, v[78:79]
	v_cndmask_b32_e32 v10, 0, v8, vcc
	v_cmp_neq_f64_e32 vcc, 0, v[78:79]
	v_mov_b32_e32 v78, 0
	v_cndmask_b32_e32 v11, v106, v11, vcc
	v_mov_b32_e32 v79, 0x7ff80000
.LBB186_264:                            ;   in Loop: Header=BB186_162 Depth=1
	s_or_b64 exec, exec, s[0:1]
	v_cmp_o_f64_e32 vcc, v[2:3], v[4:5]
                                        ; implicit-def: $vgpr14_vgpr15
                                        ; implicit-def: $vgpr80_vgpr81
	s_and_saveexec_b64 s[0:1], vcc
	s_xor_b64 s[46:47], exec, s[0:1]
	s_cbranch_execz .LBB186_292
; %bb.265:                              ;   in Loop: Header=BB186_162 Depth=1
	v_and_b32_e32 v12, 0x7fffffff, v3
	v_and_b32_e32 v19, 0x7fffffff, v5
	v_mov_b32_e32 v8, v4
	v_cmp_lt_f64_e64 s[0:1], |v[2:3]|, |v[4:5]|
	v_cndmask_b32_e64 v83, v19, v12, s[0:1]
	v_cndmask_b32_e64 v82, v8, v2, s[0:1]
	v_cmp_nlt_f64_e32 vcc, s[8:9], v[82:83]
                                        ; implicit-def: $vgpr14_vgpr15
                                        ; implicit-def: $vgpr80_vgpr81
	s_and_saveexec_b64 s[2:3], vcc
	s_xor_b64 s[4:5], exec, s[2:3]
	s_cbranch_execz .LBB186_289
; %bb.266:                              ;   in Loop: Header=BB186_162 Depth=1
	v_cndmask_b32_e64 v87, v12, v19, s[0:1]
	v_cndmask_b32_e64 v86, v2, v8, s[0:1]
	v_cmp_neq_f64_e32 vcc, 1.0, v[86:87]
                                        ; implicit-def: $vgpr14_vgpr15
                                        ; implicit-def: $vgpr80_vgpr81
	s_and_saveexec_b64 s[2:3], vcc
	s_xor_b64 s[48:49], exec, s[2:3]
	s_cbranch_execz .LBB186_282
; %bb.267:                              ;   in Loop: Header=BB186_162 Depth=1
	v_max_f64 v[14:15], v[82:83], v[82:83]
	v_max_f64 v[80:81], v[86:87], v[86:87]
	v_min_f64 v[84:85], v[80:81], v[14:15]
	v_max_f64 v[14:15], v[80:81], v[14:15]
	v_cmp_ngt_f64_e32 vcc, s[10:11], v[84:85]
	v_cmp_nlt_f64_e64 s[2:3], s[12:13], v[14:15]
	s_and_b64 s[2:3], s[2:3], vcc
                                        ; implicit-def: $vgpr14_vgpr15
                                        ; implicit-def: $vgpr80_vgpr81
	s_and_saveexec_b64 s[50:51], s[2:3]
	s_xor_b64 s[50:51], exec, s[50:51]
	s_cbranch_execz .LBB186_279
; %bb.268:                              ;   in Loop: Header=BB186_162 Depth=1
	v_cmp_le_f64_e32 vcc, 1.0, v[86:87]
                                        ; implicit-def: $vgpr14_vgpr15
                                        ; implicit-def: $vgpr80_vgpr81
	s_and_saveexec_b64 s[2:3], vcc
	s_xor_b64 s[2:3], exec, s[2:3]
	s_cbranch_execz .LBB186_270
; %bb.269:                              ;   in Loop: Header=BB186_162 Depth=1
	v_add_f64 v[14:15], v[86:87], -1.0
	v_add_f64 v[80:81], v[86:87], 1.0
	v_mul_f64 v[80:81], v[14:15], v[80:81]
	v_fmac_f64_e32 v[80:81], v[82:83], v[82:83]
	v_add_f64 v[14:15], v[80:81], 1.0
	v_add_f64 v[82:83], v[14:15], -1.0
	v_add_f64 v[84:85], v[82:83], -v[14:15]
	v_add_f64 v[84:85], v[84:85], 1.0
	v_add_f64 v[82:83], v[80:81], -v[82:83]
	v_add_f64 v[82:83], v[82:83], v[84:85]
	v_frexp_mant_f64_e32 v[84:85], v[14:15]
	v_frexp_exp_i32_f64_e32 v8, v[14:15]
	v_cmp_gt_f64_e32 vcc, s[14:15], v[84:85]
	v_subbrev_co_u32_e32 v8, vcc, 0, v8, vcc
	v_sub_u32_e32 v12, 0, v8
	v_ldexp_f64 v[14:15], v[14:15], v12
	v_add_f64 v[84:85], v[14:15], -1.0
	v_add_f64 v[90:91], v[14:15], 1.0
	v_add_f64 v[86:87], v[84:85], 1.0
	v_add_f64 v[92:93], v[90:91], -1.0
	v_ldexp_f64 v[82:83], v[82:83], v12
	v_add_f64 v[86:87], v[14:15], -v[86:87]
	v_add_f64 v[14:15], v[14:15], -v[92:93]
	v_add_f64 v[14:15], v[82:83], v[14:15]
	v_add_f64 v[86:87], v[82:83], v[86:87]
	;; [unrolled: 1-line block ×3, first 2 shown]
	v_rcp_f64_e32 v[92:93], v[82:83]
	v_add_f64 v[88:89], v[84:85], v[86:87]
	v_add_f64 v[84:85], v[88:89], -v[84:85]
	v_add_f64 v[84:85], v[86:87], -v[84:85]
	;; [unrolled: 1-line block ×4, first 2 shown]
	v_fma_f64 v[86:87], -v[82:83], v[92:93], 1.0
	v_fmac_f64_e32 v[92:93], v[86:87], v[92:93]
	v_fma_f64 v[86:87], -v[82:83], v[92:93], 1.0
	v_fmac_f64_e32 v[92:93], v[86:87], v[92:93]
	v_mul_f64 v[86:87], v[88:89], v[92:93]
	v_mul_f64 v[90:91], v[82:83], v[86:87]
	v_fma_f64 v[94:95], v[86:87], v[82:83], -v[90:91]
	v_fmac_f64_e32 v[94:95], v[86:87], v[14:15]
	v_add_f64 v[96:97], v[90:91], v[94:95]
	v_add_f64 v[98:99], v[88:89], -v[96:97]
	v_add_f64 v[88:89], v[88:89], -v[98:99]
	;; [unrolled: 1-line block ×4, first 2 shown]
	v_add_f64 v[84:85], v[84:85], v[88:89]
	v_add_f64 v[88:89], v[90:91], -v[94:95]
	v_add_f64 v[84:85], v[88:89], v[84:85]
	v_add_f64 v[88:89], v[98:99], v[84:85]
	v_add_f64 v[90:91], v[98:99], -v[88:89]
	v_add_f64 v[84:85], v[84:85], v[90:91]
	v_mul_f64 v[90:91], v[92:93], v[88:89]
	v_mul_f64 v[94:95], v[82:83], v[90:91]
	v_fma_f64 v[82:83], v[90:91], v[82:83], -v[94:95]
	v_fmac_f64_e32 v[82:83], v[90:91], v[14:15]
	v_add_f64 v[14:15], v[94:95], v[82:83]
	v_add_f64 v[96:97], v[88:89], -v[14:15]
	v_add_f64 v[88:89], v[88:89], -v[96:97]
	;; [unrolled: 1-line block ×4, first 2 shown]
	v_add_f64 v[14:15], v[84:85], v[14:15]
	v_add_f64 v[82:83], v[94:95], -v[82:83]
	v_add_f64 v[14:15], v[82:83], v[14:15]
	v_add_f64 v[82:83], v[86:87], v[90:91]
	;; [unrolled: 1-line block ×3, first 2 shown]
	v_add_f64 v[84:85], v[82:83], -v[86:87]
	v_mul_f64 v[14:15], v[92:93], v[14:15]
	v_add_f64 v[84:85], v[90:91], -v[84:85]
	v_add_f64 v[14:15], v[84:85], v[14:15]
	v_add_f64 v[84:85], v[82:83], v[14:15]
	v_add_f64 v[82:83], v[84:85], -v[82:83]
	v_add_f64 v[14:15], v[14:15], -v[82:83]
	v_mul_f64 v[82:83], v[84:85], v[84:85]
	v_pk_mov_b32 v[86:87], v[20:21], v[20:21] op_sel:[0,1]
	v_fmac_f64_e32 v[86:87], s[18:19], v[82:83]
	v_pk_mov_b32 v[88:89], v[22:23], v[22:23] op_sel:[0,1]
	v_fmac_f64_e32 v[88:89], v[82:83], v[86:87]
	;; [unrolled: 2-line block ×6, first 2 shown]
	v_cvt_f64_i32_e32 v[86:87], v8
	v_mul_f64 v[90:91], v[86:87], s[20:21]
	v_fma_f64 v[92:93], v[86:87], s[20:21], -v[90:91]
	v_fmac_f64_e32 v[92:93], s[22:23], v[86:87]
	v_add_f64 v[86:87], v[90:91], v[92:93]
	v_add_f64 v[90:91], v[86:87], -v[90:91]
	v_mul_f64 v[82:83], v[84:85], v[82:83]
	v_add_f64 v[90:91], v[92:93], -v[90:91]
	v_ldexp_f64 v[92:93], v[84:85], 1
	v_mul_f64 v[82:83], v[82:83], v[88:89]
	v_add_f64 v[84:85], v[92:93], v[82:83]
	v_add_f64 v[88:89], v[84:85], -v[92:93]
	v_ldexp_f64 v[14:15], v[14:15], 1
	v_add_f64 v[82:83], v[82:83], -v[88:89]
	v_add_f64 v[14:15], v[14:15], v[82:83]
	v_add_f64 v[82:83], v[84:85], v[14:15]
	v_add_f64 v[84:85], v[82:83], -v[84:85]
	v_add_f64 v[14:15], v[14:15], -v[84:85]
	v_add_f64 v[84:85], v[86:87], v[82:83]
	v_add_f64 v[88:89], v[84:85], -v[86:87]
	v_add_f64 v[92:93], v[84:85], -v[88:89]
	;; [unrolled: 1-line block ×4, first 2 shown]
	v_add_f64 v[82:83], v[82:83], v[86:87]
	v_add_f64 v[86:87], v[90:91], v[14:15]
	v_add_f64 v[88:89], v[86:87], -v[90:91]
	v_add_f64 v[82:83], v[86:87], v[82:83]
	v_add_f64 v[92:93], v[86:87], -v[88:89]
	;; [unrolled: 2-line block ×3, first 2 shown]
	v_add_f64 v[14:15], v[14:15], -v[88:89]
	v_add_f64 v[84:85], v[86:87], -v[84:85]
	v_add_f64 v[14:15], v[14:15], v[90:91]
	v_add_f64 v[82:83], v[82:83], -v[84:85]
	v_add_f64 v[14:15], v[14:15], v[82:83]
	v_max_f64 v[82:83], |v[4:5]|, |v[4:5]|
	v_max_f64 v[84:85], |v[2:3]|, |v[2:3]|
	v_add_f64 v[14:15], v[86:87], v[14:15]
	v_max_f64 v[86:87], v[84:85], v[82:83]
	v_min_f64 v[82:83], v[84:85], v[82:83]
	v_div_scale_f64 v[84:85], s[52:53], v[86:87], v[86:87], v[82:83]
	v_cmp_eq_f64_e32 vcc, s[24:25], v[80:81]
	v_rcp_f64_e32 v[88:89], v[84:85]
	v_cndmask_b32_e32 v15, v15, v81, vcc
	v_cndmask_b32_e32 v14, v14, v80, vcc
	v_mul_f64 v[14:15], v[14:15], 0.5
	v_cmp_ngt_f64_e32 vcc, -1.0, v[80:81]
	v_cndmask_b32_e32 v8, v105, v15, vcc
	v_cmp_nge_f64_e32 vcc, -1.0, v[80:81]
	v_cndmask_b32_e32 v14, 0, v14, vcc
	v_cmp_neq_f64_e32 vcc, -1.0, v[80:81]
	v_fma_f64 v[80:81], -v[84:85], v[88:89], 1.0
	v_fmac_f64_e32 v[88:89], v[88:89], v[80:81]
	v_fma_f64 v[80:81], -v[84:85], v[88:89], 1.0
	v_cndmask_b32_e32 v15, v106, v8, vcc
	v_fmac_f64_e32 v[88:89], v[88:89], v[80:81]
	v_div_scale_f64 v[80:81], vcc, v[82:83], v[86:87], v[82:83]
	v_mul_f64 v[90:91], v[80:81], v[88:89]
	v_fma_f64 v[80:81], -v[84:85], v[90:91], v[80:81]
	v_pk_mov_b32 v[84:85], v[32:33], v[32:33] op_sel:[0,1]
	s_nop 0
	v_div_fmas_f64 v[80:81], v[80:81], v[88:89], v[90:91]
	v_div_fixup_f64 v[80:81], v[80:81], v[86:87], v[82:83]
	v_mul_f64 v[82:83], v[80:81], v[80:81]
	v_fmac_f64_e32 v[84:85], s[26:27], v[82:83]
	v_pk_mov_b32 v[86:87], v[34:35], v[34:35] op_sel:[0,1]
	v_fmac_f64_e32 v[86:87], v[82:83], v[84:85]
	v_pk_mov_b32 v[84:85], v[36:37], v[36:37] op_sel:[0,1]
	v_fmac_f64_e32 v[84:85], v[82:83], v[86:87]
	v_pk_mov_b32 v[86:87], v[38:39], v[38:39] op_sel:[0,1]
	v_fmac_f64_e32 v[86:87], v[82:83], v[84:85]
	v_pk_mov_b32 v[84:85], v[40:41], v[40:41] op_sel:[0,1]
	v_fmac_f64_e32 v[84:85], v[82:83], v[86:87]
	v_pk_mov_b32 v[86:87], v[42:43], v[42:43] op_sel:[0,1]
	v_fmac_f64_e32 v[86:87], v[82:83], v[84:85]
	v_pk_mov_b32 v[84:85], v[44:45], v[44:45] op_sel:[0,1]
	v_fmac_f64_e32 v[84:85], v[82:83], v[86:87]
	v_pk_mov_b32 v[86:87], v[46:47], v[46:47] op_sel:[0,1]
	v_fmac_f64_e32 v[86:87], v[82:83], v[84:85]
	v_pk_mov_b32 v[84:85], v[48:49], v[48:49] op_sel:[0,1]
	v_fmac_f64_e32 v[84:85], v[82:83], v[86:87]
	v_pk_mov_b32 v[86:87], v[50:51], v[50:51] op_sel:[0,1]
	v_fmac_f64_e32 v[86:87], v[82:83], v[84:85]
	v_pk_mov_b32 v[84:85], v[52:53], v[52:53] op_sel:[0,1]
	v_fmac_f64_e32 v[84:85], v[82:83], v[86:87]
	v_pk_mov_b32 v[86:87], v[54:55], v[54:55] op_sel:[0,1]
	v_fmac_f64_e32 v[86:87], v[82:83], v[84:85]
	v_pk_mov_b32 v[84:85], v[56:57], v[56:57] op_sel:[0,1]
	v_fmac_f64_e32 v[84:85], v[82:83], v[86:87]
	v_pk_mov_b32 v[86:87], v[58:59], v[58:59] op_sel:[0,1]
	v_fmac_f64_e32 v[86:87], v[82:83], v[84:85]
	v_pk_mov_b32 v[84:85], v[60:61], v[60:61] op_sel:[0,1]
	v_fmac_f64_e32 v[84:85], v[82:83], v[86:87]
	v_pk_mov_b32 v[86:87], v[62:63], v[62:63] op_sel:[0,1]
	v_fmac_f64_e32 v[86:87], v[82:83], v[84:85]
	v_pk_mov_b32 v[84:85], v[64:65], v[64:65] op_sel:[0,1]
	v_fmac_f64_e32 v[84:85], v[82:83], v[86:87]
	v_pk_mov_b32 v[86:87], v[66:67], v[66:67] op_sel:[0,1]
	v_fmac_f64_e32 v[86:87], v[82:83], v[84:85]
	v_pk_mov_b32 v[84:85], v[68:69], v[68:69] op_sel:[0,1]
	v_fmac_f64_e32 v[84:85], v[82:83], v[86:87]
	v_cmp_gt_i32_e32 vcc, 0, v3
	v_mul_f64 v[82:83], v[82:83], v[84:85]
	v_cmp_class_f64_e64 s[54:55], v[2:3], s63
	v_cndmask_b32_e32 v2, v109, v110, vcc
	v_fmac_f64_e32 v[80:81], v[80:81], v[82:83]
	v_bfi_b32 v12, s61, v2, v5
	v_ashrrev_i32_e32 v2, 31, v3
	v_and_b32_e32 v16, 0x400921fb, v2
	v_and_b32_e32 v19, 0x54442d18, v2
	v_add_f64 v[2:3], -v[80:81], s[28:29]
	v_cndmask_b32_e64 v3, v81, v3, s[0:1]
	v_cndmask_b32_e64 v2, v80, v2, s[0:1]
	s_mov_b32 s30, s28
	v_add_f64 v[80:81], -v[2:3], s[30:31]
	v_cmp_class_f64_e64 s[52:53], v[4:5], s63
	v_cndmask_b32_e32 v8, v107, v108, vcc
	v_cndmask_b32_e32 v3, v3, v81, vcc
	;; [unrolled: 1-line block ×3, first 2 shown]
	v_cmp_eq_f64_e32 vcc, 0, v[4:5]
	v_cndmask_b32_e32 v2, v2, v19, vcc
	v_cndmask_b32_e32 v3, v3, v16, vcc
	s_and_b64 vcc, s[54:55], s[52:53]
	v_cndmask_b32_e32 v81, v3, v12, vcc
	v_cndmask_b32_e32 v80, v2, v8, vcc
                                        ; implicit-def: $vgpr82_vgpr83
                                        ; implicit-def: $vgpr86_vgpr87
.LBB186_270:                            ;   in Loop: Header=BB186_162 Depth=1
	s_andn2_saveexec_b64 s[52:53], s[2:3]
	s_cbranch_execz .LBB186_278
; %bb.271:                              ;   in Loop: Header=BB186_162 Depth=1
	v_mul_f64 v[84:85], v[82:83], v[82:83]
	v_fmac_f64_e32 v[84:85], v[86:87], v[86:87]
	v_cmp_ge_f64_e32 vcc, s[34:35], v[84:85]
                                        ; implicit-def: $vgpr14_vgpr15
                                        ; implicit-def: $vgpr80_vgpr81
	s_and_saveexec_b64 s[2:3], vcc
	s_xor_b64 s[2:3], exec, s[2:3]
	s_cbranch_execz .LBB186_273
; %bb.272:                              ;   in Loop: Header=BB186_162 Depth=1
	v_frexp_mant_f64_e32 v[14:15], v[84:85]
	v_cmp_gt_f64_e32 vcc, s[14:15], v[14:15]
	v_cndmask_b32_e64 v19, v111, 2.0, vcc
	v_mul_f64 v[14:15], v[14:15], v[18:19]
	v_add_f64 v[80:81], v[14:15], 1.0
	v_rcp_f64_e32 v[82:83], v[80:81]
	v_add_f64 v[88:89], v[80:81], -1.0
	v_add_f64 v[86:87], v[14:15], -1.0
	v_add_f64 v[14:15], v[14:15], -v[88:89]
	v_fma_f64 v[88:89], -v[80:81], v[82:83], 1.0
	v_fmac_f64_e32 v[82:83], v[88:89], v[82:83]
	v_fma_f64 v[88:89], -v[80:81], v[82:83], 1.0
	v_fmac_f64_e32 v[82:83], v[88:89], v[82:83]
	v_mul_f64 v[88:89], v[86:87], v[82:83]
	v_mul_f64 v[90:91], v[80:81], v[88:89]
	v_fma_f64 v[80:81], v[88:89], v[80:81], -v[90:91]
	v_fmac_f64_e32 v[80:81], v[88:89], v[14:15]
	v_add_f64 v[14:15], v[90:91], v[80:81]
	v_add_f64 v[92:93], v[86:87], -v[14:15]
	v_add_f64 v[90:91], v[14:15], -v[90:91]
	;; [unrolled: 1-line block ×5, first 2 shown]
	v_add_f64 v[14:15], v[80:81], v[14:15]
	v_add_f64 v[14:15], v[92:93], v[14:15]
	v_mul_f64 v[14:15], v[82:83], v[14:15]
	v_add_f64 v[80:81], v[88:89], v[14:15]
	v_add_f64 v[82:83], v[80:81], -v[88:89]
	v_add_f64 v[14:15], v[14:15], -v[82:83]
	v_mul_f64 v[82:83], v[80:81], v[80:81]
	v_pk_mov_b32 v[86:87], v[20:21], v[20:21] op_sel:[0,1]
	v_fmac_f64_e32 v[86:87], s[18:19], v[82:83]
	v_pk_mov_b32 v[88:89], v[22:23], v[22:23] op_sel:[0,1]
	v_fmac_f64_e32 v[88:89], v[82:83], v[86:87]
	;; [unrolled: 2-line block ×6, first 2 shown]
	v_ldexp_f64 v[86:87], v[80:81], 1
	v_mul_f64 v[80:81], v[80:81], v[82:83]
	v_mul_f64 v[80:81], v[80:81], v[88:89]
	v_add_f64 v[82:83], v[86:87], v[80:81]
	v_add_f64 v[86:87], v[82:83], -v[86:87]
	v_ldexp_f64 v[14:15], v[14:15], 1
	v_add_f64 v[80:81], v[80:81], -v[86:87]
	v_add_f64 v[14:15], v[14:15], v[80:81]
	v_frexp_exp_i32_f64_e32 v8, v[84:85]
	v_add_f64 v[80:81], v[82:83], v[14:15]
	v_subbrev_co_u32_e32 v8, vcc, 0, v8, vcc
	v_add_f64 v[82:83], v[80:81], -v[82:83]
	v_add_f64 v[14:15], v[14:15], -v[82:83]
	v_cvt_f64_i32_e32 v[82:83], v8
	v_mul_f64 v[86:87], v[82:83], s[20:21]
	v_fma_f64 v[88:89], v[82:83], s[20:21], -v[86:87]
	v_fmac_f64_e32 v[88:89], s[22:23], v[82:83]
	v_add_f64 v[82:83], v[86:87], v[88:89]
	v_add_f64 v[86:87], v[82:83], -v[86:87]
	v_add_f64 v[86:87], v[88:89], -v[86:87]
	v_add_f64 v[88:89], v[82:83], v[80:81]
	v_add_f64 v[90:91], v[88:89], -v[82:83]
	v_add_f64 v[92:93], v[88:89], -v[90:91]
	;; [unrolled: 1-line block ×4, first 2 shown]
	v_add_f64 v[80:81], v[80:81], v[82:83]
	v_add_f64 v[82:83], v[86:87], v[14:15]
	v_add_f64 v[90:91], v[82:83], -v[86:87]
	v_add_f64 v[92:93], v[82:83], -v[90:91]
	v_add_f64 v[80:81], v[82:83], v[80:81]
	v_add_f64 v[86:87], v[86:87], -v[92:93]
	v_add_f64 v[14:15], v[14:15], -v[90:91]
	v_add_f64 v[82:83], v[88:89], v[80:81]
	v_add_f64 v[14:15], v[14:15], v[86:87]
	v_add_f64 v[86:87], v[82:83], -v[88:89]
	v_add_f64 v[80:81], v[80:81], -v[86:87]
	v_add_f64 v[14:15], v[14:15], v[80:81]
	v_add_f64 v[14:15], v[82:83], v[14:15]
	v_max_f64 v[80:81], |v[4:5]|, |v[4:5]|
	v_max_f64 v[82:83], |v[2:3]|, |v[2:3]|
	v_max_f64 v[86:87], v[82:83], v[80:81]
	v_min_f64 v[80:81], v[82:83], v[80:81]
	v_div_scale_f64 v[82:83], s[54:55], v[86:87], v[86:87], v[80:81]
	v_rcp_f64_e32 v[88:89], v[82:83]
	v_cmp_neq_f64_e32 vcc, 0, v[84:85]
	v_mul_f64 v[14:15], v[14:15], 0.5
	v_cndmask_b32_e32 v15, v106, v15, vcc
	v_fma_f64 v[84:85], -v[82:83], v[88:89], 1.0
	v_fmac_f64_e32 v[88:89], v[88:89], v[84:85]
	v_fma_f64 v[84:85], -v[82:83], v[88:89], 1.0
	v_cndmask_b32_e32 v14, 0, v14, vcc
	v_fmac_f64_e32 v[88:89], v[88:89], v[84:85]
	v_div_scale_f64 v[84:85], vcc, v[80:81], v[86:87], v[80:81]
	v_mul_f64 v[90:91], v[84:85], v[88:89]
	v_fma_f64 v[82:83], -v[82:83], v[90:91], v[84:85]
	v_pk_mov_b32 v[84:85], v[32:33], v[32:33] op_sel:[0,1]
	s_nop 0
	v_div_fmas_f64 v[82:83], v[82:83], v[88:89], v[90:91]
	v_div_fixup_f64 v[80:81], v[82:83], v[86:87], v[80:81]
	v_mul_f64 v[82:83], v[80:81], v[80:81]
	v_fmac_f64_e32 v[84:85], s[26:27], v[82:83]
	v_pk_mov_b32 v[86:87], v[34:35], v[34:35] op_sel:[0,1]
	v_fmac_f64_e32 v[86:87], v[82:83], v[84:85]
	v_pk_mov_b32 v[84:85], v[36:37], v[36:37] op_sel:[0,1]
	;; [unrolled: 2-line block ×18, first 2 shown]
	v_fmac_f64_e32 v[84:85], v[82:83], v[86:87]
	v_cmp_gt_i32_e32 vcc, 0, v3
	v_mul_f64 v[82:83], v[82:83], v[84:85]
	v_cmp_class_f64_e64 s[56:57], v[2:3], s63
	v_cndmask_b32_e32 v2, v109, v110, vcc
	v_fmac_f64_e32 v[80:81], v[80:81], v[82:83]
	v_bfi_b32 v12, s61, v2, v5
	v_ashrrev_i32_e32 v2, 31, v3
	v_and_b32_e32 v16, 0x400921fb, v2
	v_and_b32_e32 v19, 0x54442d18, v2
	v_add_f64 v[2:3], -v[80:81], s[28:29]
	v_cndmask_b32_e64 v3, v81, v3, s[0:1]
	v_cndmask_b32_e64 v2, v80, v2, s[0:1]
	s_mov_b32 s30, s28
	v_add_f64 v[80:81], -v[2:3], s[30:31]
	v_cmp_class_f64_e64 s[54:55], v[4:5], s63
	v_cndmask_b32_e32 v8, v107, v108, vcc
	v_cndmask_b32_e32 v3, v3, v81, vcc
	;; [unrolled: 1-line block ×3, first 2 shown]
	v_cmp_eq_f64_e32 vcc, 0, v[4:5]
	v_cndmask_b32_e32 v2, v2, v19, vcc
	v_cndmask_b32_e32 v3, v3, v16, vcc
	s_and_b64 vcc, s[56:57], s[54:55]
	v_cndmask_b32_e32 v81, v3, v12, vcc
	v_cndmask_b32_e32 v80, v2, v8, vcc
                                        ; implicit-def: $vgpr86_vgpr87
                                        ; implicit-def: $vgpr82_vgpr83
.LBB186_273:                            ;   in Loop: Header=BB186_162 Depth=1
	s_andn2_saveexec_b64 s[54:55], s[2:3]
	s_cbranch_execz .LBB186_277
; %bb.274:                              ;   in Loop: Header=BB186_162 Depth=1
	v_and_b32_e32 v19, 0x7ffffff8, v87
	v_add_f64 v[14:15], v[86:87], -v[18:19]
	v_and_b32_e32 v95, -8, v15
	v_mov_b32_e32 v94, v18
	v_and_b32_e32 v85, 0x7ffffff8, v83
	v_mov_b32_e32 v84, v18
	v_add_f64 v[98:99], v[14:15], -v[94:95]
	v_add_f64 v[14:15], v[82:83], -v[84:85]
	v_and_b32_e32 v97, -8, v15
	v_mov_b32_e32 v96, v18
	v_add_f64 v[88:89], v[18:19], v[18:19]
	v_add_f64 v[102:103], v[84:85], v[84:85]
	v_add_f64 v[100:101], v[14:15], -v[96:97]
	v_mul_f64 v[80:81], v[84:85], v[84:85]
	v_mul_f64 v[86:87], v[88:89], v[94:95]
	;; [unrolled: 1-line block ×5, first 2 shown]
	v_add_f64 v[94:95], v[94:95], v[94:95]
	v_add_f64 v[96:97], v[96:97], v[96:97]
	v_mul_f64 v[14:15], v[18:19], v[18:19]
	v_mul_f64 v[90:91], v[88:89], v[98:99]
	;; [unrolled: 1-line block ×7, first 2 shown]
	s_mov_b64 s[56:57], 0
.LBB186_275:                            ;   Parent Loop BB186_162 Depth=1
                                        ; =>  This Inner Loop Header: Depth=2
	v_cmp_nlt_f64_e32 vcc, v[14:15], v[80:81]
	v_cndmask_b32_e32 v103, v15, v81, vcc
	v_cndmask_b32_e32 v102, v14, v80, vcc
	v_cmp_nlt_f64_e64 s[2:3], v[102:103], v[86:87]
	v_cndmask_b32_e64 v115, v103, v87, s[2:3]
	v_cndmask_b32_e64 v114, v102, v86, s[2:3]
	v_cndmask_b32_e32 v15, v81, v15, vcc
	v_cndmask_b32_e32 v14, v80, v14, vcc
	s_and_b64 s[58:59], vcc, s[2:3]
	v_cmp_nlt_f64_e32 vcc, v[114:115], v[84:85]
	v_cndmask_b32_e64 v81, v87, v103, s[2:3]
	v_cndmask_b32_e64 v80, v86, v102, s[2:3]
	v_cndmask_b32_e32 v103, v115, v85, vcc
	v_cndmask_b32_e32 v102, v114, v84, vcc
	v_cmp_nlt_f64_e64 s[2:3], v[102:103], v[92:93]
	v_cndmask_b32_e32 v87, v85, v115, vcc
	v_cndmask_b32_e32 v86, v84, v114, vcc
	v_cndmask_b32_e64 v115, v103, v93, s[2:3]
	v_cndmask_b32_e64 v114, v102, v92, s[2:3]
	s_and_b64 s[64:65], vcc, s[2:3]
	v_cmp_nlt_f64_e32 vcc, v[114:115], v[82:83]
	v_cndmask_b32_e64 v85, v93, v103, s[2:3]
	v_cndmask_b32_e64 v84, v92, v102, s[2:3]
	v_cndmask_b32_e32 v103, v115, v83, vcc
	v_cndmask_b32_e32 v102, v114, v82, vcc
	v_cmp_nlt_f64_e64 s[2:3], v[102:103], v[90:91]
	v_cndmask_b32_e32 v93, v83, v115, vcc
	v_cndmask_b32_e32 v92, v82, v114, vcc
	v_cndmask_b32_e64 v115, v103, v91, s[2:3]
	v_cndmask_b32_e64 v114, v102, v90, s[2:3]
	;; [unrolled: 1-line block ×4, first 2 shown]
	s_and_b64 s[2:3], vcc, s[2:3]
	v_cmp_nlt_f64_e32 vcc, v[114:115], v[88:89]
	v_cndmask_b32_e32 v103, v115, v89, vcc
	v_cndmask_b32_e32 v102, v114, v88, vcc
	v_cndmask_b32_e32 v91, v89, v115, vcc
	v_cndmask_b32_e32 v90, v88, v114, vcc
	s_and_b64 s[2:3], s[2:3], vcc
	v_cmp_nlt_f64_e32 vcc, v[102:103], v[94:95]
	v_cndmask_b32_e32 v115, v103, v95, vcc
	v_cndmask_b32_e32 v114, v102, v94, vcc
	v_cndmask_b32_e32 v89, v95, v103, vcc
	v_cndmask_b32_e32 v88, v94, v102, vcc
	s_and_b64 s[2:3], s[2:3], vcc
	;; [unrolled: 6-line block ×4, first 2 shown]
	v_cmp_nlt_f64_e32 vcc, v[114:115], v[100:101]
	s_and_b64 s[2:3], s[2:3], vcc
	s_and_b64 s[2:3], s[2:3], s[64:65]
	s_and_b64 s[2:3], s[2:3], s[58:59]
	v_cndmask_b32_e32 v103, v115, v101, vcc
	v_cndmask_b32_e32 v102, v114, v100, vcc
	s_and_b64 s[2:3], exec, s[2:3]
	v_cndmask_b32_e32 v99, v101, v115, vcc
	v_cndmask_b32_e32 v98, v100, v114, vcc
	s_or_b64 s[56:57], s[2:3], s[56:57]
	v_pk_mov_b32 v[100:101], v[102:103], v[102:103] op_sel:[0,1]
	s_andn2_b64 exec, exec, s[56:57]
	s_cbranch_execnz .LBB186_275
; %bb.276:                              ;   in Loop: Header=BB186_162 Depth=1
	s_or_b64 exec, exec, s[56:57]
	v_add_f64 v[14:15], v[14:15], -1.0
	v_add_f64 v[14:15], v[14:15], v[80:81]
	v_add_f64 v[14:15], v[14:15], v[86:87]
	;; [unrolled: 1-line block ×11, first 2 shown]
	v_add_f64 v[14:15], v[80:81], 1.0
	v_add_f64 v[82:83], v[14:15], -1.0
	v_add_f64 v[84:85], v[82:83], -v[14:15]
	v_add_f64 v[84:85], v[84:85], 1.0
	v_add_f64 v[82:83], v[80:81], -v[82:83]
	v_add_f64 v[82:83], v[82:83], v[84:85]
	v_frexp_mant_f64_e32 v[84:85], v[14:15]
	v_frexp_exp_i32_f64_e32 v8, v[14:15]
	v_cmp_gt_f64_e32 vcc, s[14:15], v[84:85]
	v_subbrev_co_u32_e32 v8, vcc, 0, v8, vcc
	v_sub_u32_e32 v12, 0, v8
	v_ldexp_f64 v[14:15], v[14:15], v12
	v_add_f64 v[84:85], v[14:15], -1.0
	v_add_f64 v[90:91], v[14:15], 1.0
	v_add_f64 v[86:87], v[84:85], 1.0
	v_add_f64 v[92:93], v[90:91], -1.0
	v_ldexp_f64 v[82:83], v[82:83], v12
	v_add_f64 v[86:87], v[14:15], -v[86:87]
	v_add_f64 v[14:15], v[14:15], -v[92:93]
	v_add_f64 v[14:15], v[82:83], v[14:15]
	v_add_f64 v[86:87], v[82:83], v[86:87]
	;; [unrolled: 1-line block ×3, first 2 shown]
	v_rcp_f64_e32 v[92:93], v[82:83]
	v_add_f64 v[88:89], v[84:85], v[86:87]
	v_add_f64 v[84:85], v[88:89], -v[84:85]
	v_add_f64 v[84:85], v[86:87], -v[84:85]
	;; [unrolled: 1-line block ×4, first 2 shown]
	v_fma_f64 v[86:87], -v[82:83], v[92:93], 1.0
	v_fmac_f64_e32 v[92:93], v[86:87], v[92:93]
	v_fma_f64 v[86:87], -v[82:83], v[92:93], 1.0
	v_fmac_f64_e32 v[92:93], v[86:87], v[92:93]
	v_mul_f64 v[86:87], v[88:89], v[92:93]
	v_mul_f64 v[90:91], v[82:83], v[86:87]
	v_fma_f64 v[94:95], v[86:87], v[82:83], -v[90:91]
	v_fmac_f64_e32 v[94:95], v[86:87], v[14:15]
	v_add_f64 v[96:97], v[90:91], v[94:95]
	v_add_f64 v[98:99], v[88:89], -v[96:97]
	v_add_f64 v[88:89], v[88:89], -v[98:99]
	;; [unrolled: 1-line block ×4, first 2 shown]
	v_add_f64 v[84:85], v[84:85], v[88:89]
	v_add_f64 v[88:89], v[90:91], -v[94:95]
	v_add_f64 v[84:85], v[88:89], v[84:85]
	v_add_f64 v[88:89], v[98:99], v[84:85]
	v_add_f64 v[90:91], v[98:99], -v[88:89]
	v_add_f64 v[84:85], v[84:85], v[90:91]
	v_mul_f64 v[90:91], v[92:93], v[88:89]
	v_mul_f64 v[94:95], v[82:83], v[90:91]
	v_fma_f64 v[82:83], v[90:91], v[82:83], -v[94:95]
	v_fmac_f64_e32 v[82:83], v[90:91], v[14:15]
	v_add_f64 v[14:15], v[94:95], v[82:83]
	v_add_f64 v[96:97], v[88:89], -v[14:15]
	v_add_f64 v[88:89], v[88:89], -v[96:97]
	;; [unrolled: 1-line block ×4, first 2 shown]
	v_add_f64 v[14:15], v[84:85], v[14:15]
	v_add_f64 v[82:83], v[94:95], -v[82:83]
	v_add_f64 v[14:15], v[82:83], v[14:15]
	v_add_f64 v[82:83], v[86:87], v[90:91]
	v_add_f64 v[14:15], v[96:97], v[14:15]
	v_add_f64 v[84:85], v[82:83], -v[86:87]
	v_mul_f64 v[14:15], v[92:93], v[14:15]
	v_add_f64 v[84:85], v[90:91], -v[84:85]
	v_add_f64 v[14:15], v[84:85], v[14:15]
	v_add_f64 v[84:85], v[82:83], v[14:15]
	v_add_f64 v[82:83], v[84:85], -v[82:83]
	v_add_f64 v[14:15], v[14:15], -v[82:83]
	v_mul_f64 v[82:83], v[84:85], v[84:85]
	v_pk_mov_b32 v[86:87], v[20:21], v[20:21] op_sel:[0,1]
	v_fmac_f64_e32 v[86:87], s[18:19], v[82:83]
	v_pk_mov_b32 v[88:89], v[22:23], v[22:23] op_sel:[0,1]
	v_fmac_f64_e32 v[88:89], v[82:83], v[86:87]
	;; [unrolled: 2-line block ×6, first 2 shown]
	v_cvt_f64_i32_e32 v[86:87], v8
	v_mul_f64 v[90:91], v[86:87], s[20:21]
	v_fma_f64 v[92:93], v[86:87], s[20:21], -v[90:91]
	v_fmac_f64_e32 v[92:93], s[22:23], v[86:87]
	v_add_f64 v[86:87], v[90:91], v[92:93]
	v_add_f64 v[90:91], v[86:87], -v[90:91]
	v_mul_f64 v[82:83], v[84:85], v[82:83]
	v_add_f64 v[90:91], v[92:93], -v[90:91]
	v_ldexp_f64 v[92:93], v[84:85], 1
	v_mul_f64 v[82:83], v[82:83], v[88:89]
	v_add_f64 v[84:85], v[92:93], v[82:83]
	v_add_f64 v[88:89], v[84:85], -v[92:93]
	v_ldexp_f64 v[14:15], v[14:15], 1
	v_add_f64 v[82:83], v[82:83], -v[88:89]
	v_add_f64 v[14:15], v[14:15], v[82:83]
	v_add_f64 v[82:83], v[84:85], v[14:15]
	v_add_f64 v[84:85], v[82:83], -v[84:85]
	v_add_f64 v[14:15], v[14:15], -v[84:85]
	v_add_f64 v[84:85], v[86:87], v[82:83]
	v_add_f64 v[88:89], v[84:85], -v[86:87]
	v_add_f64 v[92:93], v[84:85], -v[88:89]
	;; [unrolled: 1-line block ×4, first 2 shown]
	v_add_f64 v[82:83], v[82:83], v[86:87]
	v_add_f64 v[86:87], v[90:91], v[14:15]
	v_add_f64 v[88:89], v[86:87], -v[90:91]
	v_add_f64 v[82:83], v[86:87], v[82:83]
	v_add_f64 v[92:93], v[86:87], -v[88:89]
	;; [unrolled: 2-line block ×3, first 2 shown]
	v_add_f64 v[14:15], v[14:15], -v[88:89]
	v_add_f64 v[84:85], v[86:87], -v[84:85]
	v_add_f64 v[14:15], v[14:15], v[90:91]
	v_add_f64 v[82:83], v[82:83], -v[84:85]
	v_add_f64 v[14:15], v[14:15], v[82:83]
	v_max_f64 v[82:83], |v[4:5]|, |v[4:5]|
	v_max_f64 v[84:85], |v[2:3]|, |v[2:3]|
	v_add_f64 v[14:15], v[86:87], v[14:15]
	v_max_f64 v[86:87], v[84:85], v[82:83]
	v_min_f64 v[82:83], v[84:85], v[82:83]
	v_div_scale_f64 v[84:85], s[2:3], v[86:87], v[86:87], v[82:83]
	v_cmp_eq_f64_e32 vcc, s[24:25], v[80:81]
	v_rcp_f64_e32 v[88:89], v[84:85]
	v_cndmask_b32_e32 v15, v15, v81, vcc
	v_cndmask_b32_e32 v14, v14, v80, vcc
	v_mul_f64 v[14:15], v[14:15], 0.5
	v_cmp_ngt_f64_e32 vcc, -1.0, v[80:81]
	v_cndmask_b32_e32 v8, v105, v15, vcc
	v_cmp_nge_f64_e32 vcc, -1.0, v[80:81]
	v_cndmask_b32_e32 v14, 0, v14, vcc
	v_cmp_neq_f64_e32 vcc, -1.0, v[80:81]
	v_fma_f64 v[80:81], -v[84:85], v[88:89], 1.0
	v_fmac_f64_e32 v[88:89], v[88:89], v[80:81]
	v_fma_f64 v[80:81], -v[84:85], v[88:89], 1.0
	v_cndmask_b32_e32 v15, v106, v8, vcc
	v_fmac_f64_e32 v[88:89], v[88:89], v[80:81]
	v_div_scale_f64 v[80:81], vcc, v[82:83], v[86:87], v[82:83]
	v_mul_f64 v[90:91], v[80:81], v[88:89]
	v_fma_f64 v[80:81], -v[84:85], v[90:91], v[80:81]
	v_pk_mov_b32 v[84:85], v[32:33], v[32:33] op_sel:[0,1]
	s_nop 0
	v_div_fmas_f64 v[80:81], v[80:81], v[88:89], v[90:91]
	v_div_fixup_f64 v[80:81], v[80:81], v[86:87], v[82:83]
	v_mul_f64 v[82:83], v[80:81], v[80:81]
	v_fmac_f64_e32 v[84:85], s[26:27], v[82:83]
	v_pk_mov_b32 v[86:87], v[34:35], v[34:35] op_sel:[0,1]
	v_fmac_f64_e32 v[86:87], v[82:83], v[84:85]
	v_pk_mov_b32 v[84:85], v[36:37], v[36:37] op_sel:[0,1]
	;; [unrolled: 2-line block ×18, first 2 shown]
	v_fmac_f64_e32 v[84:85], v[82:83], v[86:87]
	v_cmp_gt_i32_e32 vcc, 0, v3
	v_mul_f64 v[82:83], v[82:83], v[84:85]
	v_cmp_class_f64_e64 s[56:57], v[2:3], s63
	v_cndmask_b32_e32 v2, v109, v110, vcc
	v_fmac_f64_e32 v[80:81], v[80:81], v[82:83]
	v_bfi_b32 v12, s61, v2, v5
	v_ashrrev_i32_e32 v2, 31, v3
	v_and_b32_e32 v16, 0x400921fb, v2
	v_and_b32_e32 v19, 0x54442d18, v2
	v_add_f64 v[2:3], -v[80:81], s[28:29]
	v_cndmask_b32_e64 v3, v81, v3, s[0:1]
	v_cndmask_b32_e64 v2, v80, v2, s[0:1]
	s_mov_b32 s30, s28
	v_add_f64 v[80:81], -v[2:3], s[30:31]
	v_cmp_class_f64_e64 s[2:3], v[4:5], s63
	v_cndmask_b32_e32 v8, v107, v108, vcc
	v_cndmask_b32_e32 v3, v3, v81, vcc
	;; [unrolled: 1-line block ×3, first 2 shown]
	v_cmp_eq_f64_e32 vcc, 0, v[4:5]
	v_cndmask_b32_e32 v2, v2, v19, vcc
	v_cndmask_b32_e32 v3, v3, v16, vcc
	s_and_b64 vcc, s[56:57], s[2:3]
	v_cndmask_b32_e32 v81, v3, v12, vcc
	v_cndmask_b32_e32 v80, v2, v8, vcc
.LBB186_277:                            ;   in Loop: Header=BB186_162 Depth=1
	s_or_b64 exec, exec, s[54:55]
.LBB186_278:                            ;   in Loop: Header=BB186_162 Depth=1
	s_or_b64 exec, exec, s[52:53]
.LBB186_279:                            ;   in Loop: Header=BB186_162 Depth=1
	s_andn2_saveexec_b64 s[50:51], s[50:51]
	s_cbranch_execz .LBB186_281
; %bb.280:                              ;   in Loop: Header=BB186_162 Depth=1
	v_max_f64 v[14:15], |v[4:5]|, |v[4:5]|
	v_max_f64 v[80:81], |v[2:3]|, |v[2:3]|
	v_max_f64 v[82:83], v[80:81], v[14:15]
	v_frexp_exp_i32_f64_e32 v8, v[82:83]
	v_sub_u32_e32 v12, 0, v8
	v_ldexp_f64 v[86:87], |v[4:5]|, v12
	v_ldexp_f64 v[84:85], |v[2:3]|, v12
	v_mul_f64 v[86:87], v[86:87], v[86:87]
	v_fmac_f64_e32 v[86:87], v[84:85], v[84:85]
	v_rsq_f64_e32 v[84:85], v[86:87]
	v_cmp_eq_f64_e32 vcc, 0, v[86:87]
	v_cmp_class_f64_e64 s[52:53], v[2:3], s63
	v_cmp_class_f64_e64 s[54:55], v[4:5], s63
	v_mul_f64 v[88:89], v[86:87], v[84:85]
	v_mul_f64 v[84:85], v[84:85], 0.5
	v_fma_f64 v[90:91], -v[84:85], v[88:89], 0.5
	v_fmac_f64_e32 v[88:89], v[88:89], v[90:91]
	v_fmac_f64_e32 v[84:85], v[84:85], v[90:91]
	v_fma_f64 v[90:91], -v[88:89], v[88:89], v[86:87]
	v_fmac_f64_e32 v[88:89], v[90:91], v[84:85]
	v_cndmask_b32_e32 v85, v89, v87, vcc
	v_cndmask_b32_e32 v84, v88, v86, vcc
	v_ldexp_f64 v[84:85], v[84:85], v8
	s_or_b64 vcc, s[52:53], s[54:55]
	v_cndmask_b32_e32 v87, v85, v112, vcc
	v_cndmask_b32_e64 v86, v84, 0, vcc
	v_frexp_mant_f64_e32 v[88:89], v[86:87]
	v_cmp_gt_f64_e64 s[2:3], s[14:15], v[88:89]
	v_cndmask_b32_e64 v19, v111, 2.0, s[2:3]
	v_mul_f64 v[88:89], v[88:89], v[18:19]
	v_add_f64 v[90:91], v[88:89], 1.0
	v_rcp_f64_e32 v[92:93], v[90:91]
	v_add_f64 v[96:97], v[90:91], -1.0
	v_add_f64 v[94:95], v[88:89], -1.0
	v_add_f64 v[88:89], v[88:89], -v[96:97]
	v_fma_f64 v[96:97], -v[90:91], v[92:93], 1.0
	v_fmac_f64_e32 v[92:93], v[96:97], v[92:93]
	v_fma_f64 v[96:97], -v[90:91], v[92:93], 1.0
	v_fmac_f64_e32 v[92:93], v[96:97], v[92:93]
	v_mul_f64 v[96:97], v[94:95], v[92:93]
	v_mul_f64 v[98:99], v[90:91], v[96:97]
	v_fma_f64 v[90:91], v[96:97], v[90:91], -v[98:99]
	v_fmac_f64_e32 v[90:91], v[96:97], v[88:89]
	v_add_f64 v[88:89], v[98:99], v[90:91]
	v_add_f64 v[100:101], v[94:95], -v[88:89]
	v_add_f64 v[98:99], v[88:89], -v[98:99]
	;; [unrolled: 1-line block ×5, first 2 shown]
	v_add_f64 v[88:89], v[90:91], v[88:89]
	v_add_f64 v[88:89], v[100:101], v[88:89]
	v_mul_f64 v[88:89], v[92:93], v[88:89]
	v_add_f64 v[90:91], v[96:97], v[88:89]
	v_add_f64 v[92:93], v[90:91], -v[96:97]
	v_add_f64 v[88:89], v[88:89], -v[92:93]
	v_mul_f64 v[92:93], v[90:91], v[90:91]
	v_pk_mov_b32 v[94:95], v[20:21], v[20:21] op_sel:[0,1]
	v_fmac_f64_e32 v[94:95], s[18:19], v[92:93]
	v_pk_mov_b32 v[96:97], v[22:23], v[22:23] op_sel:[0,1]
	v_fmac_f64_e32 v[96:97], v[92:93], v[94:95]
	;; [unrolled: 2-line block ×6, first 2 shown]
	v_ldexp_f64 v[94:95], v[90:91], 1
	v_mul_f64 v[90:91], v[90:91], v[92:93]
	v_mul_f64 v[90:91], v[90:91], v[96:97]
	v_add_f64 v[92:93], v[94:95], v[90:91]
	v_add_f64 v[94:95], v[92:93], -v[94:95]
	v_ldexp_f64 v[88:89], v[88:89], 1
	v_add_f64 v[90:91], v[90:91], -v[94:95]
	v_add_f64 v[88:89], v[88:89], v[90:91]
	v_frexp_exp_i32_f64_e32 v2, v[86:87]
	v_add_f64 v[90:91], v[92:93], v[88:89]
	v_subbrev_co_u32_e64 v2, s[2:3], 0, v2, s[2:3]
	v_add_f64 v[92:93], v[90:91], -v[92:93]
	v_add_f64 v[88:89], v[88:89], -v[92:93]
	v_cvt_f64_i32_e32 v[92:93], v2
	v_mul_f64 v[94:95], v[92:93], s[20:21]
	v_fma_f64 v[96:97], v[92:93], s[20:21], -v[94:95]
	v_fmac_f64_e32 v[96:97], s[22:23], v[92:93]
	v_add_f64 v[92:93], v[94:95], v[96:97]
	v_add_f64 v[94:95], v[92:93], -v[94:95]
	v_add_f64 v[94:95], v[96:97], -v[94:95]
	v_add_f64 v[96:97], v[92:93], v[90:91]
	v_add_f64 v[98:99], v[96:97], -v[92:93]
	v_add_f64 v[100:101], v[96:97], -v[98:99]
	;; [unrolled: 1-line block ×4, first 2 shown]
	v_add_f64 v[90:91], v[90:91], v[92:93]
	v_add_f64 v[92:93], v[94:95], v[88:89]
	v_add_f64 v[98:99], v[92:93], -v[94:95]
	v_add_f64 v[100:101], v[92:93], -v[98:99]
	v_add_f64 v[90:91], v[92:93], v[90:91]
	v_add_f64 v[94:95], v[94:95], -v[100:101]
	v_add_f64 v[88:89], v[88:89], -v[98:99]
	v_add_f64 v[92:93], v[96:97], v[90:91]
	v_add_f64 v[88:89], v[88:89], v[94:95]
	v_add_f64 v[94:95], v[92:93], -v[96:97]
	v_add_f64 v[90:91], v[90:91], -v[94:95]
	v_add_f64 v[88:89], v[88:89], v[90:91]
	v_add_f64 v[88:89], v[92:93], v[88:89]
	v_cmp_class_f64_e64 s[2:3], v[84:85], s63
	v_min_f64 v[80:81], v[80:81], v[14:15]
	v_cndmask_b32_e64 v2, v89, v85, s[2:3]
	v_cndmask_b32_e64 v8, v88, v84, s[2:3]
	v_div_scale_f64 v[84:85], s[2:3], v[82:83], v[82:83], v[80:81]
	v_rcp_f64_e32 v[88:89], v[84:85]
	v_cndmask_b32_e64 v8, v8, 0, vcc
	v_cndmask_b32_e32 v2, v2, v112, vcc
	v_cmp_ngt_f64_e32 vcc, 0, v[86:87]
	v_cndmask_b32_e32 v2, v105, v2, vcc
	v_cmp_nge_f64_e32 vcc, 0, v[86:87]
	v_cndmask_b32_e32 v14, 0, v8, vcc
	v_cmp_neq_f64_e32 vcc, 0, v[86:87]
	v_fma_f64 v[86:87], -v[84:85], v[88:89], 1.0
	v_fmac_f64_e32 v[88:89], v[88:89], v[86:87]
	v_fma_f64 v[86:87], -v[84:85], v[88:89], 1.0
	v_cndmask_b32_e32 v15, v106, v2, vcc
	v_fmac_f64_e32 v[88:89], v[88:89], v[86:87]
	v_div_scale_f64 v[86:87], vcc, v[80:81], v[82:83], v[80:81]
	v_mul_f64 v[90:91], v[86:87], v[88:89]
	v_fma_f64 v[84:85], -v[84:85], v[90:91], v[86:87]
	v_pk_mov_b32 v[86:87], v[34:35], v[34:35] op_sel:[0,1]
	s_nop 0
	v_div_fmas_f64 v[84:85], v[84:85], v[88:89], v[90:91]
	v_div_fixup_f64 v[80:81], v[84:85], v[82:83], v[80:81]
	v_mul_f64 v[82:83], v[80:81], v[80:81]
	v_pk_mov_b32 v[84:85], v[32:33], v[32:33] op_sel:[0,1]
	v_fmac_f64_e32 v[84:85], s[26:27], v[82:83]
	v_fmac_f64_e32 v[86:87], v[82:83], v[84:85]
	v_pk_mov_b32 v[84:85], v[36:37], v[36:37] op_sel:[0,1]
	v_fmac_f64_e32 v[84:85], v[82:83], v[86:87]
	v_pk_mov_b32 v[86:87], v[38:39], v[38:39] op_sel:[0,1]
	v_fmac_f64_e32 v[86:87], v[82:83], v[84:85]
	v_pk_mov_b32 v[84:85], v[40:41], v[40:41] op_sel:[0,1]
	v_fmac_f64_e32 v[84:85], v[82:83], v[86:87]
	v_pk_mov_b32 v[86:87], v[42:43], v[42:43] op_sel:[0,1]
	v_fmac_f64_e32 v[86:87], v[82:83], v[84:85]
	v_pk_mov_b32 v[84:85], v[44:45], v[44:45] op_sel:[0,1]
	v_fmac_f64_e32 v[84:85], v[82:83], v[86:87]
	v_pk_mov_b32 v[86:87], v[46:47], v[46:47] op_sel:[0,1]
	v_fmac_f64_e32 v[86:87], v[82:83], v[84:85]
	v_pk_mov_b32 v[84:85], v[48:49], v[48:49] op_sel:[0,1]
	v_fmac_f64_e32 v[84:85], v[82:83], v[86:87]
	v_pk_mov_b32 v[86:87], v[50:51], v[50:51] op_sel:[0,1]
	v_fmac_f64_e32 v[86:87], v[82:83], v[84:85]
	v_pk_mov_b32 v[84:85], v[52:53], v[52:53] op_sel:[0,1]
	v_fmac_f64_e32 v[84:85], v[82:83], v[86:87]
	v_pk_mov_b32 v[86:87], v[54:55], v[54:55] op_sel:[0,1]
	v_fmac_f64_e32 v[86:87], v[82:83], v[84:85]
	v_pk_mov_b32 v[84:85], v[56:57], v[56:57] op_sel:[0,1]
	v_fmac_f64_e32 v[84:85], v[82:83], v[86:87]
	v_pk_mov_b32 v[86:87], v[58:59], v[58:59] op_sel:[0,1]
	v_fmac_f64_e32 v[86:87], v[82:83], v[84:85]
	v_pk_mov_b32 v[84:85], v[60:61], v[60:61] op_sel:[0,1]
	v_fmac_f64_e32 v[84:85], v[82:83], v[86:87]
	v_pk_mov_b32 v[86:87], v[62:63], v[62:63] op_sel:[0,1]
	v_fmac_f64_e32 v[86:87], v[82:83], v[84:85]
	v_pk_mov_b32 v[84:85], v[64:65], v[64:65] op_sel:[0,1]
	v_fmac_f64_e32 v[84:85], v[82:83], v[86:87]
	v_pk_mov_b32 v[86:87], v[66:67], v[66:67] op_sel:[0,1]
	v_fmac_f64_e32 v[86:87], v[82:83], v[84:85]
	v_pk_mov_b32 v[84:85], v[68:69], v[68:69] op_sel:[0,1]
	v_fmac_f64_e32 v[84:85], v[82:83], v[86:87]
	v_cmp_gt_i32_e32 vcc, 0, v3
	v_mul_f64 v[82:83], v[82:83], v[84:85]
	v_cndmask_b32_e32 v2, v109, v110, vcc
	v_fmac_f64_e32 v[80:81], v[80:81], v[82:83]
	v_bfi_b32 v12, s61, v2, v5
	v_ashrrev_i32_e32 v2, 31, v3
	v_and_b32_e32 v16, 0x400921fb, v2
	v_and_b32_e32 v19, 0x54442d18, v2
	v_add_f64 v[2:3], -v[80:81], s[28:29]
	v_cndmask_b32_e64 v3, v81, v3, s[0:1]
	v_cndmask_b32_e64 v2, v80, v2, s[0:1]
	s_mov_b32 s30, s28
	v_add_f64 v[80:81], -v[2:3], s[30:31]
	v_cndmask_b32_e32 v8, v107, v108, vcc
	v_cndmask_b32_e32 v3, v3, v81, vcc
	;; [unrolled: 1-line block ×3, first 2 shown]
	v_cmp_eq_f64_e32 vcc, 0, v[4:5]
	v_cndmask_b32_e32 v2, v2, v19, vcc
	v_cndmask_b32_e32 v3, v3, v16, vcc
	s_and_b64 vcc, s[52:53], s[54:55]
	v_cndmask_b32_e32 v81, v3, v12, vcc
	v_cndmask_b32_e32 v80, v2, v8, vcc
.LBB186_281:                            ;   in Loop: Header=BB186_162 Depth=1
	s_or_b64 exec, exec, s[50:51]
                                        ; implicit-def: $vgpr82_vgpr83
.LBB186_282:                            ;   in Loop: Header=BB186_162 Depth=1
	s_andn2_saveexec_b64 s[2:3], s[48:49]
	s_cbranch_execz .LBB186_288
; %bb.283:                              ;   in Loop: Header=BB186_162 Depth=1
	v_cmp_ngt_f64_e32 vcc, s[36:37], v[82:83]
                                        ; implicit-def: $vgpr14_vgpr15
                                        ; implicit-def: $vgpr80_vgpr81
	s_and_saveexec_b64 s[48:49], vcc
	s_xor_b64 s[48:49], exec, s[48:49]
	s_cbranch_execz .LBB186_285
; %bb.284:                              ;   in Loop: Header=BB186_162 Depth=1
	v_mul_f64 v[14:15], v[82:83], v[82:83]
	v_add_f64 v[80:81], v[14:15], 1.0
	v_add_f64 v[82:83], v[80:81], -1.0
	v_add_f64 v[84:85], v[82:83], -v[80:81]
	v_add_f64 v[84:85], v[84:85], 1.0
	v_add_f64 v[82:83], v[14:15], -v[82:83]
	v_add_f64 v[82:83], v[82:83], v[84:85]
	v_frexp_mant_f64_e32 v[84:85], v[80:81]
	v_frexp_exp_i32_f64_e32 v8, v[80:81]
	v_cmp_gt_f64_e32 vcc, s[14:15], v[84:85]
	v_subbrev_co_u32_e32 v8, vcc, 0, v8, vcc
	v_sub_u32_e32 v12, 0, v8
	v_ldexp_f64 v[80:81], v[80:81], v12
	v_add_f64 v[84:85], v[80:81], -1.0
	v_add_f64 v[90:91], v[80:81], 1.0
	v_add_f64 v[86:87], v[84:85], 1.0
	v_add_f64 v[92:93], v[90:91], -1.0
	v_ldexp_f64 v[82:83], v[82:83], v12
	v_add_f64 v[86:87], v[80:81], -v[86:87]
	v_add_f64 v[80:81], v[80:81], -v[92:93]
	v_add_f64 v[80:81], v[82:83], v[80:81]
	v_add_f64 v[86:87], v[82:83], v[86:87]
	;; [unrolled: 1-line block ×3, first 2 shown]
	v_rcp_f64_e32 v[92:93], v[82:83]
	v_add_f64 v[88:89], v[84:85], v[86:87]
	v_add_f64 v[84:85], v[84:85], -v[88:89]
	v_add_f64 v[84:85], v[86:87], v[84:85]
	v_add_f64 v[86:87], v[90:91], -v[82:83]
	v_add_f64 v[80:81], v[80:81], v[86:87]
	v_fma_f64 v[86:87], -v[82:83], v[92:93], 1.0
	v_fmac_f64_e32 v[92:93], v[86:87], v[92:93]
	v_fma_f64 v[86:87], -v[82:83], v[92:93], 1.0
	v_fmac_f64_e32 v[92:93], v[86:87], v[92:93]
	v_mul_f64 v[86:87], v[88:89], v[92:93]
	v_mul_f64 v[90:91], v[82:83], v[86:87]
	v_fma_f64 v[94:95], v[86:87], v[82:83], -v[90:91]
	v_fmac_f64_e32 v[94:95], v[86:87], v[80:81]
	v_add_f64 v[96:97], v[90:91], v[94:95]
	v_add_f64 v[98:99], v[88:89], -v[96:97]
	v_add_f64 v[88:89], v[88:89], -v[98:99]
	;; [unrolled: 1-line block ×4, first 2 shown]
	v_add_f64 v[84:85], v[84:85], v[88:89]
	v_add_f64 v[88:89], v[90:91], -v[94:95]
	v_add_f64 v[84:85], v[88:89], v[84:85]
	v_add_f64 v[88:89], v[98:99], v[84:85]
	v_add_f64 v[90:91], v[98:99], -v[88:89]
	v_add_f64 v[84:85], v[84:85], v[90:91]
	v_mul_f64 v[90:91], v[92:93], v[88:89]
	v_mul_f64 v[94:95], v[82:83], v[90:91]
	v_fma_f64 v[82:83], v[90:91], v[82:83], -v[94:95]
	v_fmac_f64_e32 v[82:83], v[90:91], v[80:81]
	v_add_f64 v[80:81], v[94:95], v[82:83]
	v_add_f64 v[96:97], v[88:89], -v[80:81]
	v_add_f64 v[88:89], v[88:89], -v[96:97]
	;; [unrolled: 1-line block ×4, first 2 shown]
	v_add_f64 v[80:81], v[84:85], v[80:81]
	v_add_f64 v[82:83], v[94:95], -v[82:83]
	v_add_f64 v[80:81], v[82:83], v[80:81]
	v_add_f64 v[82:83], v[86:87], v[90:91]
	;; [unrolled: 1-line block ×3, first 2 shown]
	v_add_f64 v[84:85], v[82:83], -v[86:87]
	v_mul_f64 v[80:81], v[92:93], v[80:81]
	v_add_f64 v[84:85], v[90:91], -v[84:85]
	v_add_f64 v[80:81], v[84:85], v[80:81]
	v_add_f64 v[84:85], v[82:83], v[80:81]
	v_add_f64 v[82:83], v[84:85], -v[82:83]
	v_add_f64 v[80:81], v[80:81], -v[82:83]
	v_mul_f64 v[82:83], v[84:85], v[84:85]
	v_pk_mov_b32 v[86:87], v[20:21], v[20:21] op_sel:[0,1]
	v_fmac_f64_e32 v[86:87], s[18:19], v[82:83]
	v_pk_mov_b32 v[88:89], v[22:23], v[22:23] op_sel:[0,1]
	v_fmac_f64_e32 v[88:89], v[82:83], v[86:87]
	;; [unrolled: 2-line block ×6, first 2 shown]
	v_cvt_f64_i32_e32 v[86:87], v8
	v_mul_f64 v[90:91], v[86:87], s[20:21]
	v_fma_f64 v[92:93], v[86:87], s[20:21], -v[90:91]
	v_fmac_f64_e32 v[92:93], s[22:23], v[86:87]
	v_add_f64 v[86:87], v[90:91], v[92:93]
	v_add_f64 v[90:91], v[86:87], -v[90:91]
	v_mul_f64 v[82:83], v[84:85], v[82:83]
	v_add_f64 v[90:91], v[92:93], -v[90:91]
	v_ldexp_f64 v[92:93], v[84:85], 1
	v_mul_f64 v[82:83], v[82:83], v[88:89]
	v_add_f64 v[84:85], v[92:93], v[82:83]
	v_add_f64 v[88:89], v[84:85], -v[92:93]
	v_ldexp_f64 v[80:81], v[80:81], 1
	v_add_f64 v[82:83], v[82:83], -v[88:89]
	v_add_f64 v[80:81], v[80:81], v[82:83]
	v_add_f64 v[82:83], v[84:85], v[80:81]
	v_add_f64 v[84:85], v[82:83], -v[84:85]
	v_add_f64 v[80:81], v[80:81], -v[84:85]
	v_add_f64 v[84:85], v[86:87], v[82:83]
	v_add_f64 v[88:89], v[84:85], -v[86:87]
	v_add_f64 v[92:93], v[84:85], -v[88:89]
	v_add_f64 v[86:87], v[86:87], -v[92:93]
	v_add_f64 v[82:83], v[82:83], -v[88:89]
	v_add_f64 v[82:83], v[82:83], v[86:87]
	v_add_f64 v[86:87], v[90:91], v[80:81]
	v_add_f64 v[88:89], v[86:87], -v[90:91]
	v_add_f64 v[82:83], v[86:87], v[82:83]
	v_add_f64 v[92:93], v[86:87], -v[88:89]
	;; [unrolled: 2-line block ×3, first 2 shown]
	v_add_f64 v[80:81], v[80:81], -v[88:89]
	v_add_f64 v[84:85], v[86:87], -v[84:85]
	v_add_f64 v[80:81], v[80:81], v[90:91]
	v_add_f64 v[82:83], v[82:83], -v[84:85]
	v_add_f64 v[80:81], v[80:81], v[82:83]
	v_max_f64 v[82:83], |v[4:5]|, |v[4:5]|
	v_max_f64 v[84:85], |v[2:3]|, |v[2:3]|
	v_add_f64 v[80:81], v[86:87], v[80:81]
	v_max_f64 v[86:87], v[84:85], v[82:83]
	v_min_f64 v[82:83], v[84:85], v[82:83]
	v_div_scale_f64 v[84:85], s[50:51], v[86:87], v[86:87], v[82:83]
	v_rcp_f64_e32 v[88:89], v[84:85]
	v_cmp_eq_f64_e32 vcc, s[24:25], v[14:15]
	v_cndmask_b32_e32 v15, v81, v15, vcc
	v_cndmask_b32_e32 v14, v80, v14, vcc
	v_fma_f64 v[80:81], -v[84:85], v[88:89], 1.0
	v_fmac_f64_e32 v[88:89], v[88:89], v[80:81]
	v_fma_f64 v[80:81], -v[84:85], v[88:89], 1.0
	v_fmac_f64_e32 v[88:89], v[88:89], v[80:81]
	v_div_scale_f64 v[80:81], vcc, v[82:83], v[86:87], v[82:83]
	v_mul_f64 v[90:91], v[80:81], v[88:89]
	v_fma_f64 v[80:81], -v[84:85], v[90:91], v[80:81]
	v_pk_mov_b32 v[84:85], v[32:33], v[32:33] op_sel:[0,1]
	s_nop 0
	v_div_fmas_f64 v[80:81], v[80:81], v[88:89], v[90:91]
	v_div_fixup_f64 v[80:81], v[80:81], v[86:87], v[82:83]
	v_mul_f64 v[82:83], v[80:81], v[80:81]
	v_fmac_f64_e32 v[84:85], s[26:27], v[82:83]
	v_pk_mov_b32 v[86:87], v[34:35], v[34:35] op_sel:[0,1]
	v_fmac_f64_e32 v[86:87], v[82:83], v[84:85]
	v_pk_mov_b32 v[84:85], v[36:37], v[36:37] op_sel:[0,1]
	;; [unrolled: 2-line block ×18, first 2 shown]
	v_fmac_f64_e32 v[84:85], v[82:83], v[86:87]
	v_cmp_gt_i32_e32 vcc, 0, v3
	v_mul_f64 v[82:83], v[82:83], v[84:85]
	v_cmp_class_f64_e64 s[52:53], v[2:3], s63
	v_cndmask_b32_e32 v2, v109, v110, vcc
	v_fmac_f64_e32 v[80:81], v[80:81], v[82:83]
	v_bfi_b32 v12, s61, v2, v5
	v_ashrrev_i32_e32 v2, 31, v3
	v_and_b32_e32 v16, 0x400921fb, v2
	v_and_b32_e32 v19, 0x54442d18, v2
	v_add_f64 v[2:3], -v[80:81], s[28:29]
	v_cndmask_b32_e64 v3, v81, v3, s[0:1]
	v_cndmask_b32_e64 v2, v80, v2, s[0:1]
	s_mov_b32 s30, s28
	v_add_f64 v[80:81], -v[2:3], s[30:31]
	v_cmp_class_f64_e64 s[50:51], v[4:5], s63
	v_cndmask_b32_e32 v8, v107, v108, vcc
	v_cndmask_b32_e32 v3, v3, v81, vcc
	;; [unrolled: 1-line block ×3, first 2 shown]
	v_cmp_eq_f64_e32 vcc, 0, v[4:5]
	v_cndmask_b32_e32 v2, v2, v19, vcc
	v_cndmask_b32_e32 v3, v3, v16, vcc
	s_and_b64 vcc, s[52:53], s[50:51]
	v_mul_f64 v[14:15], v[14:15], 0.5
	v_cndmask_b32_e32 v81, v3, v12, vcc
	v_cndmask_b32_e32 v80, v2, v8, vcc
                                        ; implicit-def: $vgpr82_vgpr83
.LBB186_285:                            ;   in Loop: Header=BB186_162 Depth=1
	s_andn2_saveexec_b64 s[48:49], s[48:49]
	s_cbranch_execz .LBB186_287
; %bb.286:                              ;   in Loop: Header=BB186_162 Depth=1
	v_max_f64 v[14:15], |v[4:5]|, |v[4:5]|
	v_max_f64 v[80:81], |v[2:3]|, |v[2:3]|
	v_max_f64 v[84:85], v[80:81], v[14:15]
	v_min_f64 v[80:81], v[80:81], v[14:15]
	v_div_scale_f64 v[86:87], s[50:51], v[84:85], v[84:85], v[80:81]
	v_rcp_f64_e32 v[88:89], v[86:87]
	v_mul_f64 v[14:15], v[82:83], 0.5
	v_mul_f64 v[14:15], v[82:83], v[14:15]
	v_cmp_class_f64_e64 s[52:53], v[2:3], s63
	v_fma_f64 v[82:83], -v[86:87], v[88:89], 1.0
	v_fmac_f64_e32 v[88:89], v[88:89], v[82:83]
	v_fma_f64 v[82:83], -v[86:87], v[88:89], 1.0
	v_fmac_f64_e32 v[88:89], v[88:89], v[82:83]
	v_div_scale_f64 v[82:83], vcc, v[80:81], v[84:85], v[80:81]
	v_mul_f64 v[90:91], v[82:83], v[88:89]
	v_fma_f64 v[82:83], -v[86:87], v[90:91], v[82:83]
	v_pk_mov_b32 v[86:87], v[34:35], v[34:35] op_sel:[0,1]
	s_nop 0
	v_div_fmas_f64 v[82:83], v[82:83], v[88:89], v[90:91]
	v_div_fixup_f64 v[80:81], v[82:83], v[84:85], v[80:81]
	v_mul_f64 v[82:83], v[80:81], v[80:81]
	v_pk_mov_b32 v[84:85], v[32:33], v[32:33] op_sel:[0,1]
	v_fmac_f64_e32 v[84:85], s[26:27], v[82:83]
	v_fmac_f64_e32 v[86:87], v[82:83], v[84:85]
	v_pk_mov_b32 v[84:85], v[36:37], v[36:37] op_sel:[0,1]
	v_fmac_f64_e32 v[84:85], v[82:83], v[86:87]
	v_pk_mov_b32 v[86:87], v[38:39], v[38:39] op_sel:[0,1]
	v_fmac_f64_e32 v[86:87], v[82:83], v[84:85]
	v_pk_mov_b32 v[84:85], v[40:41], v[40:41] op_sel:[0,1]
	v_fmac_f64_e32 v[84:85], v[82:83], v[86:87]
	v_pk_mov_b32 v[86:87], v[42:43], v[42:43] op_sel:[0,1]
	v_fmac_f64_e32 v[86:87], v[82:83], v[84:85]
	v_pk_mov_b32 v[84:85], v[44:45], v[44:45] op_sel:[0,1]
	v_fmac_f64_e32 v[84:85], v[82:83], v[86:87]
	v_pk_mov_b32 v[86:87], v[46:47], v[46:47] op_sel:[0,1]
	v_fmac_f64_e32 v[86:87], v[82:83], v[84:85]
	v_pk_mov_b32 v[84:85], v[48:49], v[48:49] op_sel:[0,1]
	v_fmac_f64_e32 v[84:85], v[82:83], v[86:87]
	v_pk_mov_b32 v[86:87], v[50:51], v[50:51] op_sel:[0,1]
	v_fmac_f64_e32 v[86:87], v[82:83], v[84:85]
	v_pk_mov_b32 v[84:85], v[52:53], v[52:53] op_sel:[0,1]
	v_fmac_f64_e32 v[84:85], v[82:83], v[86:87]
	v_pk_mov_b32 v[86:87], v[54:55], v[54:55] op_sel:[0,1]
	v_fmac_f64_e32 v[86:87], v[82:83], v[84:85]
	v_pk_mov_b32 v[84:85], v[56:57], v[56:57] op_sel:[0,1]
	v_fmac_f64_e32 v[84:85], v[82:83], v[86:87]
	v_pk_mov_b32 v[86:87], v[58:59], v[58:59] op_sel:[0,1]
	v_fmac_f64_e32 v[86:87], v[82:83], v[84:85]
	v_pk_mov_b32 v[84:85], v[60:61], v[60:61] op_sel:[0,1]
	v_fmac_f64_e32 v[84:85], v[82:83], v[86:87]
	v_pk_mov_b32 v[86:87], v[62:63], v[62:63] op_sel:[0,1]
	v_fmac_f64_e32 v[86:87], v[82:83], v[84:85]
	v_pk_mov_b32 v[84:85], v[64:65], v[64:65] op_sel:[0,1]
	v_fmac_f64_e32 v[84:85], v[82:83], v[86:87]
	v_pk_mov_b32 v[86:87], v[66:67], v[66:67] op_sel:[0,1]
	v_fmac_f64_e32 v[86:87], v[82:83], v[84:85]
	v_pk_mov_b32 v[84:85], v[68:69], v[68:69] op_sel:[0,1]
	v_fmac_f64_e32 v[84:85], v[82:83], v[86:87]
	v_cmp_gt_i32_e32 vcc, 0, v3
	v_mul_f64 v[82:83], v[82:83], v[84:85]
	v_cndmask_b32_e32 v2, v109, v110, vcc
	v_fmac_f64_e32 v[80:81], v[80:81], v[82:83]
	v_bfi_b32 v12, s61, v2, v5
	v_ashrrev_i32_e32 v2, 31, v3
	v_and_b32_e32 v16, 0x400921fb, v2
	v_and_b32_e32 v19, 0x54442d18, v2
	v_add_f64 v[2:3], -v[80:81], s[28:29]
	v_cndmask_b32_e64 v3, v81, v3, s[0:1]
	v_cndmask_b32_e64 v2, v80, v2, s[0:1]
	s_mov_b32 s30, s28
	v_add_f64 v[80:81], -v[2:3], s[30:31]
	v_cmp_class_f64_e64 s[50:51], v[4:5], s63
	v_cndmask_b32_e32 v8, v107, v108, vcc
	v_cndmask_b32_e32 v3, v3, v81, vcc
	v_cndmask_b32_e32 v2, v2, v80, vcc
	v_cmp_eq_f64_e32 vcc, 0, v[4:5]
	v_cndmask_b32_e32 v2, v2, v19, vcc
	v_cndmask_b32_e32 v3, v3, v16, vcc
	s_and_b64 vcc, s[52:53], s[50:51]
	v_cndmask_b32_e32 v81, v3, v12, vcc
	v_cndmask_b32_e32 v80, v2, v8, vcc
.LBB186_287:                            ;   in Loop: Header=BB186_162 Depth=1
	s_or_b64 exec, exec, s[48:49]
.LBB186_288:                            ;   in Loop: Header=BB186_162 Depth=1
	s_or_b64 exec, exec, s[2:3]
.LBB186_289:                            ;   in Loop: Header=BB186_162 Depth=1
	s_andn2_saveexec_b64 s[48:49], s[4:5]
	s_cbranch_execz .LBB186_291
; %bb.290:                              ;   in Loop: Header=BB186_162 Depth=1
	v_div_scale_f64 v[14:15], s[2:3], s[38:39], s[38:39], v[2:3]
	v_rcp_f64_e32 v[80:81], v[14:15]
	v_div_scale_f64 v[82:83], vcc, v[2:3], s[38:39], v[2:3]
	s_mov_b32 s30, s28
	v_fma_f64 v[84:85], -v[14:15], v[80:81], 1.0
	v_fmac_f64_e32 v[80:81], v[80:81], v[84:85]
	v_fma_f64 v[84:85], -v[14:15], v[80:81], 1.0
	v_fmac_f64_e32 v[80:81], v[80:81], v[84:85]
	v_mul_f64 v[84:85], v[82:83], v[80:81]
	v_fma_f64 v[14:15], -v[14:15], v[84:85], v[82:83]
	v_div_scale_f64 v[82:83], s[2:3], s[38:39], s[38:39], v[4:5]
	v_rcp_f64_e32 v[86:87], v[82:83]
	v_div_fmas_f64 v[14:15], v[14:15], v[80:81], v[84:85]
	v_div_fixup_f64 v[14:15], v[14:15], s[38:39], v[2:3]
	v_cmp_class_f64_e64 s[4:5], v[14:15], s63
	v_fma_f64 v[80:81], -v[82:83], v[86:87], 1.0
	v_fmac_f64_e32 v[86:87], v[86:87], v[80:81]
	v_fma_f64 v[80:81], -v[82:83], v[86:87], 1.0
	v_fmac_f64_e32 v[86:87], v[86:87], v[80:81]
	v_div_scale_f64 v[80:81], vcc, v[4:5], s[38:39], v[4:5]
	v_mul_f64 v[84:85], v[80:81], v[86:87]
	v_fma_f64 v[80:81], -v[82:83], v[84:85], v[80:81]
	s_nop 1
	v_div_fmas_f64 v[80:81], v[80:81], v[86:87], v[84:85]
	v_div_fixup_f64 v[80:81], v[80:81], s[38:39], v[4:5]
	v_max_f64 v[82:83], |v[14:15]|, |v[80:81]|
	v_frexp_exp_i32_f64_e32 v8, v[82:83]
	v_sub_u32_e32 v12, 0, v8
	v_ldexp_f64 v[84:85], |v[80:81]|, v12
	v_ldexp_f64 v[82:83], |v[14:15]|, v12
	v_mul_f64 v[84:85], v[84:85], v[84:85]
	v_fmac_f64_e32 v[84:85], v[82:83], v[82:83]
	v_rsq_f64_e32 v[82:83], v[84:85]
	v_cmp_eq_f64_e32 vcc, 0, v[84:85]
	v_cmp_o_f64_e64 s[2:3], v[14:15], v[80:81]
	v_cmp_class_f64_e64 s[50:51], v[80:81], s63
	v_mul_f64 v[86:87], v[84:85], v[82:83]
	v_mul_f64 v[82:83], v[82:83], 0.5
	v_fma_f64 v[88:89], -v[82:83], v[86:87], 0.5
	v_fmac_f64_e32 v[86:87], v[86:87], v[88:89]
	v_fmac_f64_e32 v[82:83], v[82:83], v[88:89]
	v_fma_f64 v[88:89], -v[86:87], v[86:87], v[84:85]
	v_fmac_f64_e32 v[86:87], v[88:89], v[82:83]
	v_cndmask_b32_e32 v83, v87, v85, vcc
	v_cndmask_b32_e32 v82, v86, v84, vcc
	v_ldexp_f64 v[82:83], v[82:83], v8
	v_cndmask_b32_e64 v8, 0, v82, s[2:3]
	v_cndmask_b32_e64 v12, v105, v83, s[2:3]
	s_or_b64 vcc, s[4:5], s[50:51]
	v_cndmask_b32_e32 v81, v12, v112, vcc
	v_cndmask_b32_e64 v80, v8, 0, vcc
	v_frexp_mant_f64_e32 v[14:15], v[80:81]
	v_cmp_gt_f64_e64 s[4:5], s[14:15], v[14:15]
	v_cndmask_b32_e64 v19, v111, 2.0, s[4:5]
	v_mul_f64 v[14:15], v[14:15], v[18:19]
	v_add_f64 v[84:85], v[14:15], 1.0
	v_rcp_f64_e32 v[86:87], v[84:85]
	v_add_f64 v[90:91], v[84:85], -1.0
	v_add_f64 v[88:89], v[14:15], -1.0
	v_add_f64 v[14:15], v[14:15], -v[90:91]
	v_fma_f64 v[90:91], -v[84:85], v[86:87], 1.0
	v_fmac_f64_e32 v[86:87], v[90:91], v[86:87]
	v_fma_f64 v[90:91], -v[84:85], v[86:87], 1.0
	v_fmac_f64_e32 v[86:87], v[90:91], v[86:87]
	v_mul_f64 v[90:91], v[88:89], v[86:87]
	v_mul_f64 v[92:93], v[84:85], v[90:91]
	v_fma_f64 v[84:85], v[90:91], v[84:85], -v[92:93]
	v_fmac_f64_e32 v[84:85], v[90:91], v[14:15]
	v_add_f64 v[14:15], v[92:93], v[84:85]
	v_add_f64 v[94:95], v[88:89], -v[14:15]
	v_add_f64 v[92:93], v[14:15], -v[92:93]
	;; [unrolled: 1-line block ×5, first 2 shown]
	v_add_f64 v[14:15], v[84:85], v[14:15]
	v_add_f64 v[14:15], v[94:95], v[14:15]
	v_mul_f64 v[14:15], v[86:87], v[14:15]
	v_add_f64 v[84:85], v[90:91], v[14:15]
	v_add_f64 v[86:87], v[84:85], -v[90:91]
	v_add_f64 v[14:15], v[14:15], -v[86:87]
	v_mul_f64 v[86:87], v[84:85], v[84:85]
	v_pk_mov_b32 v[88:89], v[20:21], v[20:21] op_sel:[0,1]
	v_fmac_f64_e32 v[88:89], s[18:19], v[86:87]
	v_pk_mov_b32 v[90:91], v[22:23], v[22:23] op_sel:[0,1]
	v_fmac_f64_e32 v[90:91], v[86:87], v[88:89]
	;; [unrolled: 2-line block ×6, first 2 shown]
	v_ldexp_f64 v[88:89], v[84:85], 1
	v_mul_f64 v[84:85], v[84:85], v[86:87]
	v_mul_f64 v[84:85], v[84:85], v[90:91]
	v_add_f64 v[86:87], v[88:89], v[84:85]
	v_add_f64 v[88:89], v[86:87], -v[88:89]
	v_ldexp_f64 v[14:15], v[14:15], 1
	v_add_f64 v[84:85], v[84:85], -v[88:89]
	v_add_f64 v[14:15], v[14:15], v[84:85]
	v_frexp_exp_i32_f64_e32 v16, v[80:81]
	v_add_f64 v[84:85], v[86:87], v[14:15]
	v_subbrev_co_u32_e64 v16, s[4:5], 0, v16, s[4:5]
	v_add_f64 v[86:87], v[84:85], -v[86:87]
	v_add_f64 v[14:15], v[14:15], -v[86:87]
	v_cvt_f64_i32_e32 v[86:87], v16
	v_mul_f64 v[88:89], v[86:87], s[20:21]
	v_fma_f64 v[90:91], v[86:87], s[20:21], -v[88:89]
	v_fmac_f64_e32 v[90:91], s[22:23], v[86:87]
	v_add_f64 v[86:87], v[88:89], v[90:91]
	v_add_f64 v[88:89], v[86:87], -v[88:89]
	v_add_f64 v[88:89], v[90:91], -v[88:89]
	v_add_f64 v[90:91], v[86:87], v[84:85]
	v_add_f64 v[92:93], v[90:91], -v[86:87]
	v_add_f64 v[94:95], v[90:91], -v[92:93]
	;; [unrolled: 1-line block ×4, first 2 shown]
	v_add_f64 v[84:85], v[84:85], v[86:87]
	v_add_f64 v[86:87], v[88:89], v[14:15]
	v_add_f64 v[92:93], v[86:87], -v[88:89]
	v_add_f64 v[94:95], v[86:87], -v[92:93]
	v_add_f64 v[84:85], v[86:87], v[84:85]
	v_add_f64 v[88:89], v[88:89], -v[94:95]
	v_add_f64 v[14:15], v[14:15], -v[92:93]
	v_add_f64 v[86:87], v[90:91], v[84:85]
	v_add_f64 v[14:15], v[14:15], v[88:89]
	v_add_f64 v[88:89], v[86:87], -v[90:91]
	v_add_f64 v[84:85], v[84:85], -v[88:89]
	v_and_b32_e32 v83, 0x7fffffff, v83
	v_add_f64 v[14:15], v[14:15], v[84:85]
	v_cmp_eq_f64_e64 s[4:5], s[24:25], v[82:83]
	v_add_f64 v[14:15], v[86:87], v[14:15]
	s_and_b64 s[2:3], s[2:3], s[4:5]
	v_cndmask_b32_e64 v15, v15, v12, s[2:3]
	v_cndmask_b32_e64 v14, v14, v8, s[2:3]
	v_add_f64 v[14:15], v[14:15], 1.0
	v_cndmask_b32_e64 v8, v14, 0, vcc
	v_cndmask_b32_e32 v12, v15, v112, vcc
	v_max_f64 v[14:15], |v[4:5]|, |v[4:5]|
	v_max_f64 v[82:83], |v[2:3]|, |v[2:3]|
	v_max_f64 v[84:85], v[82:83], v[14:15]
	v_min_f64 v[82:83], v[82:83], v[14:15]
	v_div_scale_f64 v[86:87], s[2:3], v[84:85], v[84:85], v[82:83]
	v_rcp_f64_e32 v[88:89], v[86:87]
	v_cmp_ngt_f64_e32 vcc, 0, v[80:81]
	v_cndmask_b32_e32 v12, v105, v12, vcc
	v_cmp_nge_f64_e32 vcc, 0, v[80:81]
	v_cndmask_b32_e32 v14, 0, v8, vcc
	v_cmp_neq_f64_e32 vcc, 0, v[80:81]
	v_fma_f64 v[80:81], -v[86:87], v[88:89], 1.0
	v_fmac_f64_e32 v[88:89], v[88:89], v[80:81]
	v_fma_f64 v[80:81], -v[86:87], v[88:89], 1.0
	v_cndmask_b32_e32 v15, v106, v12, vcc
	v_fmac_f64_e32 v[88:89], v[88:89], v[80:81]
	v_div_scale_f64 v[80:81], vcc, v[82:83], v[84:85], v[82:83]
	v_mul_f64 v[90:91], v[80:81], v[88:89]
	v_fma_f64 v[80:81], -v[86:87], v[90:91], v[80:81]
	v_pk_mov_b32 v[86:87], v[34:35], v[34:35] op_sel:[0,1]
	s_nop 0
	v_div_fmas_f64 v[80:81], v[80:81], v[88:89], v[90:91]
	v_div_fixup_f64 v[80:81], v[80:81], v[84:85], v[82:83]
	v_mul_f64 v[82:83], v[80:81], v[80:81]
	v_pk_mov_b32 v[84:85], v[32:33], v[32:33] op_sel:[0,1]
	v_fmac_f64_e32 v[84:85], s[26:27], v[82:83]
	v_fmac_f64_e32 v[86:87], v[82:83], v[84:85]
	v_pk_mov_b32 v[84:85], v[36:37], v[36:37] op_sel:[0,1]
	v_fmac_f64_e32 v[84:85], v[82:83], v[86:87]
	v_pk_mov_b32 v[86:87], v[38:39], v[38:39] op_sel:[0,1]
	;; [unrolled: 2-line block ×17, first 2 shown]
	v_fmac_f64_e32 v[84:85], v[82:83], v[86:87]
	v_cmp_gt_i32_e32 vcc, 0, v3
	v_mul_f64 v[82:83], v[82:83], v[84:85]
	v_cmp_class_f64_e64 s[4:5], v[2:3], s63
	v_cndmask_b32_e32 v2, v109, v110, vcc
	v_fmac_f64_e32 v[80:81], v[80:81], v[82:83]
	v_bfi_b32 v12, s61, v2, v5
	v_ashrrev_i32_e32 v2, 31, v3
	v_and_b32_e32 v16, 0x400921fb, v2
	v_and_b32_e32 v19, 0x54442d18, v2
	v_add_f64 v[2:3], -v[80:81], s[28:29]
	v_cndmask_b32_e64 v3, v81, v3, s[0:1]
	v_cndmask_b32_e64 v2, v80, v2, s[0:1]
	v_add_f64 v[80:81], -v[2:3], s[30:31]
	v_cmp_class_f64_e64 s[2:3], v[4:5], s63
	v_cndmask_b32_e32 v8, v107, v108, vcc
	v_cndmask_b32_e32 v3, v3, v81, vcc
	;; [unrolled: 1-line block ×3, first 2 shown]
	v_cmp_eq_f64_e32 vcc, 0, v[4:5]
	v_cndmask_b32_e32 v2, v2, v19, vcc
	v_cndmask_b32_e32 v3, v3, v16, vcc
	s_and_b64 vcc, s[4:5], s[2:3]
	v_cndmask_b32_e32 v81, v3, v12, vcc
	v_cndmask_b32_e32 v80, v2, v8, vcc
.LBB186_291:                            ;   in Loop: Header=BB186_162 Depth=1
	s_or_b64 exec, exec, s[48:49]
.LBB186_292:                            ;   in Loop: Header=BB186_162 Depth=1
	s_andn2_saveexec_b64 s[0:1], s[46:47]
	s_cbranch_execz .LBB186_161
; %bb.293:                              ;   in Loop: Header=BB186_162 Depth=1
	v_cmp_nlt_f64_e64 s[2:3], |v[2:3]|, s[40:41]
	v_cmp_nlt_f64_e64 s[4:5], |v[4:5]|, s[40:41]
	s_or_b64 s[2:3], s[2:3], s[4:5]
                                        ; implicit-def: $vgpr80_vgpr81
	s_and_saveexec_b64 s[4:5], s[2:3]
	s_xor_b64 s[2:3], exec, s[4:5]
; %bb.294:                              ;   in Loop: Header=BB186_162 Depth=1
	v_mul_f64 v[80:81], v[4:5], v[4:5]
	v_fmac_f64_e32 v[80:81], v[2:3], v[2:3]
; %bb.295:                              ;   in Loop: Header=BB186_162 Depth=1
	s_andn2_saveexec_b64 s[2:3], s[2:3]
	s_cbranch_execz .LBB186_160
; %bb.296:                              ;   in Loop: Header=BB186_162 Depth=1
	v_mul_f64 v[14:15], v[4:5], 4.0
	v_mul_f64 v[2:3], v[2:3], 4.0
	v_mul_f64 v[14:15], v[14:15], v[14:15]
	v_fmac_f64_e32 v[14:15], v[2:3], v[2:3]
	v_ldexp_f64 v[80:81], v[14:15], -4
	s_branch .LBB186_160
.LBB186_297:
	s_endpgm
	.section	.rodata,"a",@progbits
	.p2align	6, 0x0
	.amdhsa_kernel _ZN2at6native12_GLOBAL__N_125multi_tensor_apply_kernelINS1_18TensorListMetadataILi1EEENS1_14UnaryOpFunctorIN3c107complexIdEELi1ELi1ELi0EEEJNS0_5Log10IS8_EEEEEvT_T0_DpT1_
		.amdhsa_group_segment_fixed_size 0
		.amdhsa_private_segment_fixed_size 0
		.amdhsa_kernarg_size 3632
		.amdhsa_user_sgpr_count 6
		.amdhsa_user_sgpr_private_segment_buffer 1
		.amdhsa_user_sgpr_dispatch_ptr 0
		.amdhsa_user_sgpr_queue_ptr 0
		.amdhsa_user_sgpr_kernarg_segment_ptr 1
		.amdhsa_user_sgpr_dispatch_id 0
		.amdhsa_user_sgpr_flat_scratch_init 0
		.amdhsa_user_sgpr_kernarg_preload_length 0
		.amdhsa_user_sgpr_kernarg_preload_offset 0
		.amdhsa_user_sgpr_private_segment_size 0
		.amdhsa_uses_dynamic_stack 0
		.amdhsa_system_sgpr_private_segment_wavefront_offset 0
		.amdhsa_system_sgpr_workgroup_id_x 1
		.amdhsa_system_sgpr_workgroup_id_y 0
		.amdhsa_system_sgpr_workgroup_id_z 0
		.amdhsa_system_sgpr_workgroup_info 0
		.amdhsa_system_vgpr_workitem_id 0
		.amdhsa_next_free_vgpr 122
		.amdhsa_next_free_sgpr 80
		.amdhsa_accum_offset 124
		.amdhsa_reserve_vcc 1
		.amdhsa_reserve_flat_scratch 0
		.amdhsa_float_round_mode_32 0
		.amdhsa_float_round_mode_16_64 0
		.amdhsa_float_denorm_mode_32 3
		.amdhsa_float_denorm_mode_16_64 3
		.amdhsa_dx10_clamp 1
		.amdhsa_ieee_mode 1
		.amdhsa_fp16_overflow 0
		.amdhsa_tg_split 0
		.amdhsa_exception_fp_ieee_invalid_op 0
		.amdhsa_exception_fp_denorm_src 0
		.amdhsa_exception_fp_ieee_div_zero 0
		.amdhsa_exception_fp_ieee_overflow 0
		.amdhsa_exception_fp_ieee_underflow 0
		.amdhsa_exception_fp_ieee_inexact 0
		.amdhsa_exception_int_div_zero 0
	.end_amdhsa_kernel
	.section	.text._ZN2at6native12_GLOBAL__N_125multi_tensor_apply_kernelINS1_18TensorListMetadataILi1EEENS1_14UnaryOpFunctorIN3c107complexIdEELi1ELi1ELi0EEEJNS0_5Log10IS8_EEEEEvT_T0_DpT1_,"axG",@progbits,_ZN2at6native12_GLOBAL__N_125multi_tensor_apply_kernelINS1_18TensorListMetadataILi1EEENS1_14UnaryOpFunctorIN3c107complexIdEELi1ELi1ELi0EEEJNS0_5Log10IS8_EEEEEvT_T0_DpT1_,comdat
.Lfunc_end186:
	.size	_ZN2at6native12_GLOBAL__N_125multi_tensor_apply_kernelINS1_18TensorListMetadataILi1EEENS1_14UnaryOpFunctorIN3c107complexIdEELi1ELi1ELi0EEEJNS0_5Log10IS8_EEEEEvT_T0_DpT1_, .Lfunc_end186-_ZN2at6native12_GLOBAL__N_125multi_tensor_apply_kernelINS1_18TensorListMetadataILi1EEENS1_14UnaryOpFunctorIN3c107complexIdEELi1ELi1ELi0EEEJNS0_5Log10IS8_EEEEEvT_T0_DpT1_
                                        ; -- End function
	.section	.AMDGPU.csdata,"",@progbits
; Kernel info:
; codeLenInByte = 85004
; NumSgprs: 84
; NumVgprs: 122
; NumAgprs: 0
; TotalNumVgprs: 122
; ScratchSize: 0
; MemoryBound: 1
; FloatMode: 240
; IeeeMode: 1
; LDSByteSize: 0 bytes/workgroup (compile time only)
; SGPRBlocks: 10
; VGPRBlocks: 15
; NumSGPRsForWavesPerEU: 84
; NumVGPRsForWavesPerEU: 122
; AccumOffset: 124
; Occupancy: 4
; WaveLimiterHint : 0
; COMPUTE_PGM_RSRC2:SCRATCH_EN: 0
; COMPUTE_PGM_RSRC2:USER_SGPR: 6
; COMPUTE_PGM_RSRC2:TRAP_HANDLER: 0
; COMPUTE_PGM_RSRC2:TGID_X_EN: 1
; COMPUTE_PGM_RSRC2:TGID_Y_EN: 0
; COMPUTE_PGM_RSRC2:TGID_Z_EN: 0
; COMPUTE_PGM_RSRC2:TIDIG_COMP_CNT: 0
; COMPUTE_PGM_RSRC3_GFX90A:ACCUM_OFFSET: 30
; COMPUTE_PGM_RSRC3_GFX90A:TG_SPLIT: 0
	.section	.text._ZN2at6native12_GLOBAL__N_125multi_tensor_apply_kernelINS1_18TensorListMetadataILi1EEENS1_14UnaryOpFunctorIN3c107complexIfEELi1ELi1ELi0EEEJNS0_5Log10IS8_EEEEEvT_T0_DpT1_,"axG",@progbits,_ZN2at6native12_GLOBAL__N_125multi_tensor_apply_kernelINS1_18TensorListMetadataILi1EEENS1_14UnaryOpFunctorIN3c107complexIfEELi1ELi1ELi0EEEJNS0_5Log10IS8_EEEEEvT_T0_DpT1_,comdat
	.globl	_ZN2at6native12_GLOBAL__N_125multi_tensor_apply_kernelINS1_18TensorListMetadataILi1EEENS1_14UnaryOpFunctorIN3c107complexIfEELi1ELi1ELi0EEEJNS0_5Log10IS8_EEEEEvT_T0_DpT1_ ; -- Begin function _ZN2at6native12_GLOBAL__N_125multi_tensor_apply_kernelINS1_18TensorListMetadataILi1EEENS1_14UnaryOpFunctorIN3c107complexIfEELi1ELi1ELi0EEEJNS0_5Log10IS8_EEEEEvT_T0_DpT1_
	.p2align	8
	.type	_ZN2at6native12_GLOBAL__N_125multi_tensor_apply_kernelINS1_18TensorListMetadataILi1EEENS1_14UnaryOpFunctorIN3c107complexIfEELi1ELi1ELi0EEEJNS0_5Log10IS8_EEEEEvT_T0_DpT1_,@function
_ZN2at6native12_GLOBAL__N_125multi_tensor_apply_kernelINS1_18TensorListMetadataILi1EEENS1_14UnaryOpFunctorIN3c107complexIfEELi1ELi1ELi0EEEJNS0_5Log10IS8_EEEEEvT_T0_DpT1_: ; @_ZN2at6native12_GLOBAL__N_125multi_tensor_apply_kernelINS1_18TensorListMetadataILi1EEENS1_14UnaryOpFunctorIN3c107complexIfEELi1ELi1ELi0EEEJNS0_5Log10IS8_EEEEEvT_T0_DpT1_
; %bb.0:
	v_mov_b32_e32 v1, s6
	global_load_ubyte v1, v1, s[4:5] offset:1760
	s_add_u32 s0, s4, s6
	s_mul_hi_u32 s1, s6, 3
	s_mul_i32 s6, s6, 3
	s_addc_u32 s2, s5, 0
	s_add_u32 s0, s0, s6
	s_addc_u32 s1, s2, s1
	s_load_dword s0, s[0:1], 0x820
	s_mov_b32 s9, 0
	s_waitcnt vmcnt(0)
	v_readfirstlane_b32 s1, v1
	s_lshl_b32 s1, s1, 3
	s_load_dwordx2 s[2:3], s[4:5], s1 offset:0x0
	s_load_dwordx2 s[6:7], s[4:5], s1 offset:0x370
	s_waitcnt lgkmcnt(0)
	s_ashr_i32 s1, s0, 31
	s_lshl_b64 s[10:11], s[0:1], 19
	s_add_u32 s33, s2, s10
	s_addc_u32 s38, s3, s11
	s_lshl_b64 s[0:1], s[0:1], 16
	s_and_b32 s8, s33, 31
	s_sub_u32 s14, s6, s0
	s_subb_u32 s15, s7, s1
	s_and_b32 s0, s6, 3
	s_mov_b32 s1, s9
	s_or_b64 s[0:1], s[8:9], s[0:1]
	s_cmp_eq_u64 s[0:1], 0
	s_cbranch_scc1 .LBB187_157
; %bb.1:
	v_cmp_lt_i64_e64 s[0:1], s[14:15], 1
	s_and_b64 vcc, exec, s[0:1]
	s_cbranch_vccnz .LBB187_156
; %bb.2:
	s_load_dword s0, s[4:5], 0xd3c
	v_mov_b32_e32 v2, 0x10000
	v_mov_b32_e32 v3, 0
	v_cmp_lt_u64_e32 vcc, s[14:15], v[2:3]
	s_mov_b32 s2, 0
	s_waitcnt lgkmcnt(0)
	s_and_b32 s39, s0, 0xffff
	s_and_b64 s[0:1], vcc, exec
	s_mov_b32 s20, -1.0
	s_cselect_b32 s17, s15, 0
	s_cselect_b32 s16, s14, 0x10000
	s_lshl_b32 s40, s39, 1
	s_mul_i32 s41, s39, 3
	s_lshl_b32 s42, s39, 2
	s_mov_b64 s[18:19], 0
	v_mov_b32_e32 v1, s2
	v_mov_b32_e32 v26, s2
	;; [unrolled: 1-line block ×3, first 2 shown]
	s_brev_b32 s43, -2
	s_mov_b32 s44, 0x77f684df
	s_mov_b32 s21, 1.0
	s_mov_b32 s45, 0x358637bd
	s_mov_b32 s46, 0x49742400
	;; [unrolled: 1-line block ×3, first 2 shown]
	v_mov_b32_e32 v28, 0x3f2aaada
	s_mov_b32 s48, 0x3f317218
	s_mov_b32 s49, 0x7f800000
	;; [unrolled: 1-line block ×3, first 2 shown]
	v_mov_b32_e32 v29, 0x3d29fb3f
	v_mov_b32_e32 v30, 0xbd97d4d7
	;; [unrolled: 1-line block ×6, first 2 shown]
	s_movk_i32 s51, 0x204
	s_mov_b32 s52, 0x3f333333
	s_mov_b32 s53, 0x800000
	;; [unrolled: 1-line block ×5, first 2 shown]
	s_brev_b32 s57, 4
	s_mov_b32 s58, 0x40135d8e
	v_mov_b32_e32 v2, 0x3f317218
	v_mov_b32_e32 v35, 0x7fc00000
	;; [unrolled: 1-line block ×9, first 2 shown]
	s_branch .LBB187_4
.LBB187_3:                              ;   in Loop: Header=BB187_4 Depth=1
	s_or_b64 exec, exec, s[2:3]
	s_add_u32 s18, s18, s42
	s_addc_u32 s19, s19, 0
	v_pk_mov_b32 v[4:5], s[14:15], s[14:15] op_sel:[0,1]
	v_cmp_ge_i64_e32 vcc, s[18:19], v[4:5]
	v_mov_b32_e32 v4, 0xffff
	v_mov_b32_e32 v5, 0
	v_cmp_gt_u64_e64 s[0:1], s[18:19], v[4:5]
	s_or_b64 s[0:1], vcc, s[0:1]
	s_and_b64 vcc, exec, s[0:1]
	s_cbranch_vccnz .LBB187_156
.LBB187_4:                              ; =>This Loop Header: Depth=1
                                        ;     Child Loop BB187_23 Depth 2
                                        ;     Child Loop BB187_57 Depth 2
	;; [unrolled: 1-line block ×4, first 2 shown]
	v_mov_b32_e32 v3, s19
	v_add_co_u32_e32 v4, vcc, s18, v0
	v_addc_co_u32_e32 v5, vcc, 0, v3, vcc
	v_cmp_gt_u64_e64 s[8:9], s[16:17], v[4:5]
	v_lshlrev_b64 v[14:15], 3, v[4:5]
	v_mov_b32_e32 v18, 0
	v_mov_b32_e32 v19, 0
	s_and_saveexec_b64 s[0:1], s[8:9]
	s_cbranch_execz .LBB187_6
; %bb.5:                                ;   in Loop: Header=BB187_4 Depth=1
	v_mov_b32_e32 v3, s38
	v_add_co_u32_e32 v6, vcc, s33, v14
	v_addc_co_u32_e32 v7, vcc, v3, v15, vcc
	global_load_dwordx2 v[18:19], v[6:7], off
.LBB187_6:                              ;   in Loop: Header=BB187_4 Depth=1
	s_or_b64 exec, exec, s[0:1]
	v_add_co_u32_e32 v6, vcc, s39, v4
	v_addc_co_u32_e32 v7, vcc, v5, v1, vcc
	v_cmp_gt_u64_e64 s[6:7], s[16:17], v[6:7]
	v_mov_b32_e32 v8, 0
	v_lshlrev_b64 v[10:11], 3, v[6:7]
	v_mov_b32_e32 v16, 0
	v_mov_b32_e32 v17, 0
	s_and_saveexec_b64 s[0:1], s[6:7]
	s_cbranch_execz .LBB187_8
; %bb.7:                                ;   in Loop: Header=BB187_4 Depth=1
	v_mov_b32_e32 v3, s38
	v_add_co_u32_e32 v6, vcc, s33, v10
	v_addc_co_u32_e32 v7, vcc, v3, v11, vcc
	global_load_dwordx2 v[16:17], v[6:7], off
.LBB187_8:                              ;   in Loop: Header=BB187_4 Depth=1
	s_or_b64 exec, exec, s[0:1]
	v_add_co_u32_e32 v6, vcc, s40, v4
	v_addc_co_u32_e32 v7, vcc, v5, v26, vcc
	v_cmp_gt_u64_e64 s[2:3], s[16:17], v[6:7]
	v_lshlrev_b64 v[6:7], 3, v[6:7]
	v_mov_b32_e32 v9, 0
	s_and_saveexec_b64 s[0:1], s[2:3]
	s_cbranch_execz .LBB187_10
; %bb.9:                                ;   in Loop: Header=BB187_4 Depth=1
	v_mov_b32_e32 v3, s38
	v_add_co_u32_e32 v8, vcc, s33, v6
	v_addc_co_u32_e32 v9, vcc, v3, v7, vcc
	global_load_dwordx2 v[8:9], v[8:9], off
.LBB187_10:                             ;   in Loop: Header=BB187_4 Depth=1
	s_or_b64 exec, exec, s[0:1]
	v_add_co_u32_e32 v4, vcc, s41, v4
	v_addc_co_u32_e32 v5, vcc, v5, v27, vcc
	v_mov_b32_e32 v12, 0
	v_cmp_gt_u64_e64 s[0:1], s[16:17], v[4:5]
	v_lshlrev_b64 v[4:5], 3, v[4:5]
	v_mov_b32_e32 v13, v12
	s_and_saveexec_b64 s[10:11], s[0:1]
	s_cbranch_execz .LBB187_12
; %bb.11:                               ;   in Loop: Header=BB187_4 Depth=1
	v_mov_b32_e32 v3, s38
	v_add_co_u32_e32 v12, vcc, s33, v4
	v_addc_co_u32_e32 v13, vcc, v3, v5, vcc
	global_load_dwordx2 v[12:13], v[12:13], off
.LBB187_12:                             ;   in Loop: Header=BB187_4 Depth=1
	s_or_b64 exec, exec, s[10:11]
	s_waitcnt vmcnt(0)
	v_cmp_o_f32_e32 vcc, v19, v18
                                        ; implicit-def: $vgpr43
                                        ; implicit-def: $vgpr44
	s_and_saveexec_b64 s[10:11], vcc
	s_xor_b64 s[22:23], exec, s[10:11]
	s_cbranch_execz .LBB187_40
; %bb.13:                               ;   in Loop: Header=BB187_4 Depth=1
	v_cmp_lt_f32_e64 s[10:11], |v18|, |v19|
	v_cndmask_b32_e64 v3, v19, v18, s[10:11]
	v_cmp_ngt_f32_e64 s[12:13], |v3|, s44
                                        ; implicit-def: $vgpr43
                                        ; implicit-def: $vgpr44
	s_and_saveexec_b64 s[24:25], s[12:13]
	s_xor_b64 s[24:25], exec, s[24:25]
	s_cbranch_execz .LBB187_37
; %bb.14:                               ;   in Loop: Header=BB187_4 Depth=1
	v_cndmask_b32_e64 v20, v18, v19, s[10:11]
	v_and_b32_e32 v21, 0x7fffffff, v20
	v_and_b32_e32 v20, 0x7fffffff, v3
	v_cmp_neq_f32_e32 vcc, 1.0, v21
                                        ; implicit-def: $vgpr43
                                        ; implicit-def: $vgpr44
	s_and_saveexec_b64 s[12:13], vcc
	s_xor_b64 s[26:27], exec, s[12:13]
	s_cbranch_execz .LBB187_30
; %bb.15:                               ;   in Loop: Header=BB187_4 Depth=1
	v_max_f32_e32 v3, v20, v20
	v_max_f32_e32 v22, v21, v21
	v_min_f32_e32 v23, v22, v3
	v_max_f32_e32 v3, v22, v3
	v_cmp_ngt_f32_e32 vcc, s45, v23
	v_cmp_nlt_f32_e64 s[12:13], s46, v3
	s_and_b64 s[12:13], s[12:13], vcc
                                        ; implicit-def: $vgpr43
                                        ; implicit-def: $vgpr44
	s_and_saveexec_b64 s[28:29], s[12:13]
	s_xor_b64 s[28:29], exec, s[28:29]
	s_cbranch_execz .LBB187_27
; %bb.16:                               ;   in Loop: Header=BB187_4 Depth=1
	v_cmp_le_f32_e32 vcc, 1.0, v21
                                        ; implicit-def: $vgpr43
                                        ; implicit-def: $vgpr44
	s_and_saveexec_b64 s[12:13], vcc
	s_xor_b64 s[30:31], exec, s[12:13]
	s_cbranch_execz .LBB187_18
; %bb.17:                               ;   in Loop: Header=BB187_4 Depth=1
	v_pk_add_f32 v[22:23], v[20:21], s[20:21] op_sel:[1,0]
	v_mov_b32_e32 v24, v23
	v_pk_mul_f32 v[22:23], v[22:23], v[24:25]
	v_pk_fma_f32 v[20:21], v[20:21], v[20:21], v[22:23]
	v_add_f32_e32 v23, 1.0, v20
	v_add_f32_e32 v21, -1.0, v23
	v_mov_b32_e32 v22, v21
	v_pk_add_f32 v[24:25], v[20:21], v[22:23] neg_lo:[0,1] neg_hi:[0,1]
	v_add_f32_e32 v3, 1.0, v25
	v_add_f32_e32 v3, v24, v3
	v_frexp_mant_f32_e32 v21, v23
	v_cvt_f64_f32_e32 v[24:25], v23
	v_frexp_exp_i32_f64_e32 v22, v[24:25]
	v_cmp_gt_f32_e32 vcc, s47, v21
	v_subbrev_co_u32_e32 v21, vcc, 0, v22, vcc
	v_sub_u32_e32 v22, 0, v21
	v_ldexp_f32 v23, v23, v22
	v_ldexp_f32 v3, v3, v22
	v_add_f32_e32 v22, -1.0, v23
	v_add_f32_e32 v25, 1.0, v23
	v_add_f32_e32 v24, 1.0, v22
	v_add_f32_e32 v43, -1.0, v25
	v_sub_f32_e32 v24, v23, v24
	v_sub_f32_e32 v23, v23, v43
	v_add_f32_e32 v24, v3, v24
	v_add_f32_e32 v3, v3, v23
	;; [unrolled: 1-line block ×3, first 2 shown]
	v_rcp_f32_e32 v48, v43
	v_sub_f32_e32 v23, v43, v25
	v_sub_f32_e32 v3, v3, v23
	v_add_f32_e32 v23, v22, v24
	v_sub_f32_e32 v22, v23, v22
	v_mul_f32_e32 v50, v23, v48
	v_sub_f32_e32 v49, v24, v22
	v_mul_f32_e32 v24, v43, v50
	v_fma_f32 v44, v50, v43, -v24
	v_fmac_f32_e32 v44, v50, v3
	v_add_f32_e32 v22, v24, v44
	v_sub_f32_e32 v25, v23, v22
	v_pk_add_f32 v[46:47], v[22:23], v[24:25] neg_lo:[0,1] neg_hi:[0,1]
	v_mov_b32_e32 v45, v22
	v_pk_add_f32 v[22:23], v[46:47], v[44:45] neg_lo:[0,1] neg_hi:[0,1]
	v_add_f32_e32 v23, v49, v23
	v_add_f32_e32 v22, v22, v23
	;; [unrolled: 1-line block ×3, first 2 shown]
	v_mul_f32_e32 v49, v48, v23
	v_mul_f32_e32 v24, v43, v49
	v_fma_f32 v44, v49, v43, -v24
	v_fmac_f32_e32 v44, v49, v3
	v_sub_f32_e32 v3, v25, v23
	v_add_f32_e32 v3, v22, v3
	v_add_f32_e32 v22, v24, v44
	v_sub_f32_e32 v25, v23, v22
	v_pk_add_f32 v[46:47], v[22:23], v[24:25] neg_lo:[0,1] neg_hi:[0,1]
	v_mov_b32_e32 v45, v22
	v_pk_add_f32 v[22:23], v[46:47], v[44:45] neg_lo:[0,1] neg_hi:[0,1]
	v_add_f32_e32 v3, v3, v23
	v_add_f32_e32 v3, v22, v3
	;; [unrolled: 1-line block ×4, first 2 shown]
	v_sub_f32_e32 v22, v23, v50
	v_mul_f32_e32 v3, v48, v3
	v_sub_f32_e32 v22, v49, v22
	v_add_f32_e32 v24, v22, v3
	v_add_f32_e32 v43, v23, v24
	v_cvt_f32_i32_e32 v22, v21
	v_mul_f32_e32 v44, v43, v43
	v_mov_b32_e32 v3, 0x3ecc95a3
	v_fmac_f32_e32 v3, 0x3e9b6dac, v44
	v_fma_f32 v3, v44, v3, v28
	v_sub_f32_e32 v21, v43, v23
	v_mul_f32_e32 v23, v43, v44
	v_pk_mul_f32 v[44:45], v[22:23], v[2:3]
	v_sub_f32_e32 v21, v24, v21
	v_fma_f32 v24, v22, s48, -v44
	v_ldexp_f32 v25, v43, 1
	v_fmac_f32_e32 v24, 0xb102e308, v22
	v_pk_add_f32 v[22:23], v[44:45], v[24:25]
	v_sub_f32_e32 v3, v23, v25
	v_ldexp_f32 v21, v21, 1
	v_sub_f32_e32 v3, v45, v3
	v_add_f32_e32 v47, v21, v3
	v_mov_b32_e32 v46, v44
	v_pk_add_f32 v[44:45], v[22:23], v[44:45] neg_lo:[0,1] neg_hi:[0,1]
	v_pk_add_f32 v[48:49], v[22:23], v[46:47]
	v_mov_b32_e32 v45, v49
	v_mov_b32_e32 v25, v22
	v_pk_add_f32 v[50:51], v[24:25], v[44:45] neg_lo:[0,1] neg_hi:[0,1]
	v_pk_add_f32 v[24:25], v[24:25], v[44:45]
	v_mov_b32_e32 v44, v25
	v_pk_add_f32 v[52:53], v[44:45], v[22:23] neg_lo:[0,1] neg_hi:[0,1]
	v_mov_b32_e32 v3, v52
	v_pk_add_f32 v[54:55], v[48:49], v[2:3] neg_lo:[0,1] neg_hi:[0,1]
	v_mov_b32_e32 v24, v49
	v_mov_b32_e32 v48, v23
	;; [unrolled: 1-line block ×4, first 2 shown]
	v_pk_add_f32 v[24:25], v[24:25], v[48:49] neg_lo:[0,1] neg_hi:[0,1]
	v_mov_b32_e32 v46, v47
	v_mov_b32_e32 v47, v22
	v_pk_add_f32 v[22:23], v[46:47], v[24:25] neg_lo:[0,1] neg_hi:[0,1]
	v_mov_b32_e32 v54, v50
	v_pk_add_f32 v[24:25], v[54:55], v[22:23]
	v_mov_b32_e32 v46, v25
	v_pk_add_f32 v[46:47], v[24:25], v[46:47]
	v_pk_add_f32 v[44:45], v[44:45], v[46:47]
	v_mov_b32_e32 v25, v44
	v_pk_add_f32 v[48:49], v[24:25], v[50:51] neg_lo:[0,1] neg_hi:[0,1]
	v_mov_b32_e32 v23, v46
	v_sub_f32_e32 v3, v24, v48
	v_pk_add_f32 v[22:23], v[22:23], v[48:49] neg_lo:[0,1] neg_hi:[0,1]
	v_sub_f32_e32 v3, v50, v3
	v_add_f32_e32 v3, v22, v3
	v_add_f32_e32 v3, v3, v23
	;; [unrolled: 1-line block ×3, first 2 shown]
	v_cmp_eq_f32_e32 vcc, s49, v20
	v_cndmask_b32_e32 v3, v3, v20, vcc
	v_cmp_ngt_f32_e32 vcc, -1.0, v20
	v_cndmask_b32_e32 v3, v35, v3, vcc
	v_cmp_neq_f32_e32 vcc, -1.0, v20
	v_cndmask_b32_e32 v3, v36, v3, vcc
	v_cmp_lt_f32_e64 vcc, |v20|, s50
	v_cndmask_b32_e32 v3, v3, v20, vcc
	v_mul_f32_e32 v43, 0.5, v3
	v_max_f32_e64 v3, |v19|, |v19|
	v_max_f32_e64 v20, |v18|, |v18|
	v_min_f32_e32 v21, v20, v3
	v_max_f32_e32 v3, v20, v3
	v_frexp_mant_f32_e32 v20, v3
	v_rcp_f32_e32 v20, v20
	v_frexp_exp_i32_f32_e32 v3, v3
	v_frexp_exp_i32_f32_e32 v22, v21
	v_frexp_mant_f32_e32 v21, v21
	v_mul_f32_e32 v20, v21, v20
	v_sub_u32_e32 v3, v22, v3
	v_ldexp_f32 v3, v20, v3
	v_mul_f32_e32 v20, v3, v3
	v_mov_b32_e32 v21, 0xbc7a590c
	v_fmac_f32_e32 v21, 0x3b2d2a58, v20
	v_fma_f32 v21, v20, v21, v29
	v_fma_f32 v21, v20, v21, v30
	;; [unrolled: 1-line block ×6, first 2 shown]
	v_mul_f32_e32 v20, v20, v21
	v_fmac_f32_e32 v3, v3, v20
	v_sub_f32_e32 v20, 0x3fc90fdb, v3
	v_cndmask_b32_e64 v3, v3, v20, s[10:11]
	v_sub_f32_e32 v20, 0x40490fdb, v3
	v_cmp_gt_f32_e32 vcc, 0, v18
	v_cmp_gt_i32_e64 s[12:13], 0, v18
	v_cndmask_b32_e32 v3, v3, v20, vcc
	v_cndmask_b32_e64 v20, 0, v37, s[12:13]
	v_cmp_eq_f32_e64 s[12:13], 0, v19
	v_cndmask_b32_e64 v3, v3, v20, s[12:13]
	v_cmp_class_f32_e64 s[12:13], v18, s51
	v_cmp_class_f32_e64 s[34:35], v19, s51
	v_cndmask_b32_e32 v20, v38, v39, vcc
	s_and_b64 vcc, s[34:35], s[12:13]
	v_cndmask_b32_e32 v44, v3, v20, vcc
                                        ; implicit-def: $vgpr20_vgpr21
.LBB187_18:                             ;   in Loop: Header=BB187_4 Depth=1
	s_andn2_saveexec_b64 s[30:31], s[30:31]
	s_cbranch_execz .LBB187_26
; %bb.19:                               ;   in Loop: Header=BB187_4 Depth=1
	v_pk_mul_f32 v[22:23], v[20:21], v[20:21]
	v_add_f32_e32 v3, v23, v22
	v_cmp_ge_f32_e32 vcc, s52, v3
                                        ; implicit-def: $vgpr43
                                        ; implicit-def: $vgpr44
	s_and_saveexec_b64 s[12:13], vcc
	s_xor_b64 s[34:35], exec, s[12:13]
	s_cbranch_execz .LBB187_21
; %bb.20:                               ;   in Loop: Header=BB187_4 Depth=1
	v_cmp_gt_f32_e32 vcc, s53, v3
	v_cndmask_b32_e32 v20, 1.0, v40, vcc
	v_mul_f32_e32 v3, v3, v20
	v_log_f32_e32 v3, v3
	v_cndmask_b32_e32 v20, 0, v41, vcc
	v_cmp_gt_i32_e64 s[12:13], 0, v18
	v_cmp_class_f32_e64 s[36:37], v19, s51
	v_mul_f32_e32 v21, 0x3f317217, v3
	v_fma_f32 v22, v3, s54, -v21
	v_fmac_f32_e32 v22, 0x3377d1cf, v3
	v_add_f32_e32 v21, v21, v22
	v_cmp_lt_f32_e64 vcc, |v3|, s49
	v_cndmask_b32_e32 v3, v3, v21, vcc
	v_sub_f32_e32 v3, v3, v20
	v_mul_f32_e32 v43, 0.5, v3
	v_max_f32_e64 v3, |v19|, |v19|
	v_max_f32_e64 v20, |v18|, |v18|
	v_min_f32_e32 v21, v20, v3
	v_max_f32_e32 v3, v20, v3
	v_frexp_mant_f32_e32 v20, v3
	v_rcp_f32_e32 v20, v20
	v_frexp_exp_i32_f32_e32 v3, v3
	v_frexp_exp_i32_f32_e32 v22, v21
	v_frexp_mant_f32_e32 v21, v21
	v_mul_f32_e32 v20, v21, v20
	v_sub_u32_e32 v3, v22, v3
	v_ldexp_f32 v3, v20, v3
	v_mul_f32_e32 v20, v3, v3
	v_mov_b32_e32 v21, 0xbc7a590c
	v_fmac_f32_e32 v21, 0x3b2d2a58, v20
	v_fma_f32 v21, v20, v21, v29
	v_fma_f32 v21, v20, v21, v30
	;; [unrolled: 1-line block ×6, first 2 shown]
	v_mul_f32_e32 v20, v20, v21
	v_fmac_f32_e32 v3, v3, v20
	v_sub_f32_e32 v20, 0x3fc90fdb, v3
	v_cndmask_b32_e64 v3, v3, v20, s[10:11]
	v_sub_f32_e32 v20, 0x40490fdb, v3
	v_cmp_gt_f32_e32 vcc, 0, v18
	v_cndmask_b32_e32 v3, v3, v20, vcc
	v_cndmask_b32_e64 v20, 0, v37, s[12:13]
	v_cmp_eq_f32_e64 s[12:13], 0, v19
	v_cndmask_b32_e64 v3, v3, v20, s[12:13]
	v_cmp_class_f32_e64 s[12:13], v18, s51
	v_cndmask_b32_e32 v20, v38, v39, vcc
	s_and_b64 vcc, s[36:37], s[12:13]
	v_cndmask_b32_e32 v44, v3, v20, vcc
                                        ; implicit-def: $vgpr20_vgpr21
.LBB187_21:                             ;   in Loop: Header=BB187_4 Depth=1
	s_andn2_saveexec_b64 s[34:35], s[34:35]
	s_cbranch_execz .LBB187_25
; %bb.22:                               ;   in Loop: Header=BB187_4 Depth=1
	v_and_b32_e32 v23, 0x7fff0000, v20
	v_and_b32_e32 v22, 0x7fff0000, v21
	v_pk_add_f32 v[20:21], v[20:21], v[22:23] op_sel:[1,0] op_sel_hi:[0,1] neg_lo:[0,1] neg_hi:[0,1]
	v_and_b32_e32 v25, 0xffff0000, v21
	v_and_b32_e32 v24, 0xffff0000, v20
	v_add_f32_e32 v44, v22, v22
	v_pk_add_f32 v[48:49], v[20:21], v[24:25] neg_lo:[0,1] neg_hi:[0,1]
	v_pk_mul_f32 v[20:21], v[22:23], v[22:23]
	v_mul_f32_e32 v43, v44, v24
	v_add_f32_e32 v46, v23, v23
	v_pk_mul_f32 v[22:23], v[24:25], v[24:25]
	v_add_f32_e32 v24, v24, v24
	v_mul_f32_e32 v3, v46, v25
	v_mul_f32_e32 v45, v44, v48
	;; [unrolled: 1-line block ×4, first 2 shown]
	v_add_f32_e32 v24, v25, v25
	v_mul_f32_e32 v47, v24, v49
	v_pk_mul_f32 v[24:25], v[48:49], v[48:49]
	s_mov_b64 s[36:37], 0
.LBB187_23:                             ;   Parent Loop BB187_4 Depth=1
                                        ; =>  This Inner Loop Header: Depth=2
	v_cmp_nlt_f32_e32 vcc, v20, v21
	v_cndmask_b32_e32 v48, v20, v21, vcc
	v_cmp_nlt_f32_e64 s[12:13], v48, v43
	v_cndmask_b32_e64 v49, v48, v43, s[12:13]
	v_cndmask_b32_e32 v20, v21, v20, vcc
	s_and_b64 s[60:61], vcc, s[12:13]
	v_cmp_nlt_f32_e32 vcc, v49, v3
	v_cndmask_b32_e64 v21, v43, v48, s[12:13]
	v_cndmask_b32_e32 v48, v49, v3, vcc
	v_cmp_nlt_f32_e64 s[12:13], v48, v22
	v_cndmask_b32_e32 v43, v3, v49, vcc
	v_cndmask_b32_e64 v49, v48, v22, s[12:13]
	s_and_b64 s[62:63], vcc, s[12:13]
	v_cmp_nlt_f32_e32 vcc, v49, v23
	v_cndmask_b32_e64 v3, v22, v48, s[12:13]
	v_cndmask_b32_e32 v48, v49, v23, vcc
	v_cmp_nlt_f32_e64 s[12:13], v48, v45
	v_cndmask_b32_e32 v22, v23, v49, vcc
	v_cndmask_b32_e64 v49, v48, v45, s[12:13]
	v_cndmask_b32_e64 v23, v45, v48, s[12:13]
	s_and_b64 s[12:13], vcc, s[12:13]
	v_cmp_nlt_f32_e32 vcc, v49, v44
	v_cndmask_b32_e32 v48, v49, v44, vcc
	v_cndmask_b32_e32 v45, v44, v49, vcc
	s_and_b64 s[12:13], s[12:13], vcc
	v_cmp_nlt_f32_e32 vcc, v48, v46
	v_cndmask_b32_e32 v49, v48, v46, vcc
	v_cndmask_b32_e32 v44, v46, v48, vcc
	s_and_b64 s[12:13], s[12:13], vcc
	;; [unrolled: 4-line block ×4, first 2 shown]
	v_cmp_nlt_f32_e32 vcc, v49, v25
	s_and_b64 s[12:13], s[12:13], vcc
	s_and_b64 s[12:13], s[12:13], s[62:63]
	s_and_b64 s[12:13], s[12:13], s[60:61]
	s_and_b64 s[12:13], exec, s[12:13]
	v_cndmask_b32_e32 v24, v25, v49, vcc
	s_or_b64 s[36:37], s[12:13], s[36:37]
	v_cndmask_b32_e32 v25, v49, v25, vcc
	s_andn2_b64 exec, exec, s[36:37]
	s_cbranch_execnz .LBB187_23
; %bb.24:                               ;   in Loop: Header=BB187_4 Depth=1
	s_or_b64 exec, exec, s[36:37]
	v_add_f32_e32 v20, -1.0, v20
	v_add_f32_e32 v20, v20, v21
	v_add_f32_e32 v20, v20, v43
	;; [unrolled: 1-line block ×11, first 2 shown]
	v_add_f32_e32 v23, 1.0, v20
	v_add_f32_e32 v21, -1.0, v23
	v_mov_b32_e32 v22, v21
	v_pk_add_f32 v[24:25], v[20:21], v[22:23] neg_lo:[0,1] neg_hi:[0,1]
	v_add_f32_e32 v3, 1.0, v25
	v_add_f32_e32 v3, v24, v3
	v_frexp_mant_f32_e32 v21, v23
	v_cvt_f64_f32_e32 v[24:25], v23
	v_frexp_exp_i32_f64_e32 v22, v[24:25]
	v_cmp_gt_f32_e32 vcc, s47, v21
	v_subbrev_co_u32_e32 v21, vcc, 0, v22, vcc
	v_sub_u32_e32 v22, 0, v21
	v_ldexp_f32 v23, v23, v22
	v_ldexp_f32 v3, v3, v22
	v_add_f32_e32 v22, -1.0, v23
	v_add_f32_e32 v25, 1.0, v23
	v_add_f32_e32 v24, 1.0, v22
	v_add_f32_e32 v43, -1.0, v25
	v_sub_f32_e32 v24, v23, v24
	v_sub_f32_e32 v23, v23, v43
	v_add_f32_e32 v24, v3, v24
	v_add_f32_e32 v3, v3, v23
	;; [unrolled: 1-line block ×3, first 2 shown]
	v_rcp_f32_e32 v48, v43
	v_sub_f32_e32 v23, v43, v25
	v_sub_f32_e32 v3, v3, v23
	v_add_f32_e32 v23, v22, v24
	v_sub_f32_e32 v22, v23, v22
	v_mul_f32_e32 v50, v23, v48
	v_sub_f32_e32 v49, v24, v22
	v_mul_f32_e32 v24, v43, v50
	v_fma_f32 v44, v50, v43, -v24
	v_fmac_f32_e32 v44, v50, v3
	v_add_f32_e32 v22, v24, v44
	v_sub_f32_e32 v25, v23, v22
	v_pk_add_f32 v[46:47], v[22:23], v[24:25] neg_lo:[0,1] neg_hi:[0,1]
	v_mov_b32_e32 v45, v22
	v_pk_add_f32 v[22:23], v[46:47], v[44:45] neg_lo:[0,1] neg_hi:[0,1]
	v_add_f32_e32 v23, v49, v23
	v_add_f32_e32 v22, v22, v23
	;; [unrolled: 1-line block ×3, first 2 shown]
	v_mul_f32_e32 v49, v48, v23
	v_mul_f32_e32 v24, v43, v49
	v_fma_f32 v44, v49, v43, -v24
	v_fmac_f32_e32 v44, v49, v3
	v_sub_f32_e32 v3, v25, v23
	v_add_f32_e32 v3, v22, v3
	v_add_f32_e32 v22, v24, v44
	v_sub_f32_e32 v25, v23, v22
	v_pk_add_f32 v[46:47], v[22:23], v[24:25] neg_lo:[0,1] neg_hi:[0,1]
	v_mov_b32_e32 v45, v22
	v_pk_add_f32 v[22:23], v[46:47], v[44:45] neg_lo:[0,1] neg_hi:[0,1]
	v_add_f32_e32 v3, v3, v23
	v_add_f32_e32 v3, v22, v3
	;; [unrolled: 1-line block ×4, first 2 shown]
	v_sub_f32_e32 v22, v23, v50
	v_mul_f32_e32 v3, v48, v3
	v_sub_f32_e32 v22, v49, v22
	v_add_f32_e32 v24, v22, v3
	v_add_f32_e32 v43, v23, v24
	v_cvt_f32_i32_e32 v22, v21
	v_mul_f32_e32 v44, v43, v43
	v_mov_b32_e32 v3, 0x3ecc95a3
	v_fmac_f32_e32 v3, 0x3e9b6dac, v44
	v_fma_f32 v3, v44, v3, v28
	v_sub_f32_e32 v21, v43, v23
	v_mul_f32_e32 v23, v43, v44
	v_pk_mul_f32 v[44:45], v[22:23], v[2:3]
	v_sub_f32_e32 v21, v24, v21
	v_fma_f32 v24, v22, s48, -v44
	v_ldexp_f32 v25, v43, 1
	v_fmac_f32_e32 v24, 0xb102e308, v22
	v_pk_add_f32 v[22:23], v[44:45], v[24:25]
	v_sub_f32_e32 v3, v23, v25
	v_ldexp_f32 v21, v21, 1
	v_sub_f32_e32 v3, v45, v3
	v_add_f32_e32 v47, v21, v3
	v_mov_b32_e32 v46, v44
	v_pk_add_f32 v[44:45], v[22:23], v[44:45] neg_lo:[0,1] neg_hi:[0,1]
	v_pk_add_f32 v[48:49], v[22:23], v[46:47]
	v_mov_b32_e32 v45, v49
	v_mov_b32_e32 v25, v22
	v_pk_add_f32 v[50:51], v[24:25], v[44:45] neg_lo:[0,1] neg_hi:[0,1]
	v_pk_add_f32 v[24:25], v[24:25], v[44:45]
	v_mov_b32_e32 v44, v25
	v_pk_add_f32 v[52:53], v[44:45], v[22:23] neg_lo:[0,1] neg_hi:[0,1]
	v_mov_b32_e32 v3, v52
	v_pk_add_f32 v[54:55], v[48:49], v[2:3] neg_lo:[0,1] neg_hi:[0,1]
	v_mov_b32_e32 v24, v49
	v_mov_b32_e32 v48, v23
	;; [unrolled: 1-line block ×4, first 2 shown]
	v_pk_add_f32 v[24:25], v[24:25], v[48:49] neg_lo:[0,1] neg_hi:[0,1]
	v_mov_b32_e32 v46, v47
	v_mov_b32_e32 v47, v22
	v_pk_add_f32 v[22:23], v[46:47], v[24:25] neg_lo:[0,1] neg_hi:[0,1]
	v_mov_b32_e32 v54, v50
	v_pk_add_f32 v[24:25], v[54:55], v[22:23]
	v_mov_b32_e32 v46, v25
	v_pk_add_f32 v[46:47], v[24:25], v[46:47]
	v_pk_add_f32 v[44:45], v[44:45], v[46:47]
	v_mov_b32_e32 v25, v44
	v_pk_add_f32 v[48:49], v[24:25], v[50:51] neg_lo:[0,1] neg_hi:[0,1]
	v_mov_b32_e32 v23, v46
	v_sub_f32_e32 v3, v24, v48
	v_pk_add_f32 v[22:23], v[22:23], v[48:49] neg_lo:[0,1] neg_hi:[0,1]
	v_sub_f32_e32 v3, v50, v3
	v_add_f32_e32 v3, v22, v3
	v_add_f32_e32 v3, v3, v23
	;; [unrolled: 1-line block ×3, first 2 shown]
	v_cmp_eq_f32_e32 vcc, s49, v20
	v_cndmask_b32_e32 v3, v3, v20, vcc
	v_cmp_ngt_f32_e32 vcc, -1.0, v20
	v_cndmask_b32_e32 v3, v35, v3, vcc
	v_cmp_neq_f32_e32 vcc, -1.0, v20
	v_cndmask_b32_e32 v3, v36, v3, vcc
	v_cmp_lt_f32_e64 vcc, |v20|, s50
	v_cndmask_b32_e32 v3, v3, v20, vcc
	v_mul_f32_e32 v43, 0.5, v3
	v_max_f32_e64 v3, |v19|, |v19|
	v_max_f32_e64 v20, |v18|, |v18|
	v_min_f32_e32 v21, v20, v3
	v_max_f32_e32 v3, v20, v3
	v_frexp_mant_f32_e32 v20, v3
	v_rcp_f32_e32 v20, v20
	v_frexp_exp_i32_f32_e32 v3, v3
	v_frexp_exp_i32_f32_e32 v22, v21
	v_frexp_mant_f32_e32 v21, v21
	v_mul_f32_e32 v20, v21, v20
	v_sub_u32_e32 v3, v22, v3
	v_ldexp_f32 v3, v20, v3
	v_mul_f32_e32 v20, v3, v3
	v_mov_b32_e32 v21, 0xbc7a590c
	v_fmac_f32_e32 v21, 0x3b2d2a58, v20
	v_fma_f32 v21, v20, v21, v29
	v_fma_f32 v21, v20, v21, v30
	;; [unrolled: 1-line block ×6, first 2 shown]
	v_mul_f32_e32 v20, v20, v21
	v_fmac_f32_e32 v3, v3, v20
	v_sub_f32_e32 v20, 0x3fc90fdb, v3
	v_cndmask_b32_e64 v3, v3, v20, s[10:11]
	v_sub_f32_e32 v20, 0x40490fdb, v3
	v_cmp_gt_f32_e32 vcc, 0, v18
	v_cmp_gt_i32_e64 s[12:13], 0, v18
	v_cndmask_b32_e32 v3, v3, v20, vcc
	v_cndmask_b32_e64 v20, 0, v37, s[12:13]
	v_cmp_eq_f32_e64 s[12:13], 0, v19
	v_cndmask_b32_e64 v3, v3, v20, s[12:13]
	v_cmp_class_f32_e64 s[12:13], v18, s51
	v_cmp_class_f32_e64 s[36:37], v19, s51
	v_cndmask_b32_e32 v20, v38, v39, vcc
	s_and_b64 vcc, s[36:37], s[12:13]
	v_cndmask_b32_e32 v44, v3, v20, vcc
.LBB187_25:                             ;   in Loop: Header=BB187_4 Depth=1
	s_or_b64 exec, exec, s[34:35]
.LBB187_26:                             ;   in Loop: Header=BB187_4 Depth=1
	s_or_b64 exec, exec, s[30:31]
.LBB187_27:                             ;   in Loop: Header=BB187_4 Depth=1
	s_andn2_saveexec_b64 s[28:29], s[28:29]
	s_cbranch_execz .LBB187_29
; %bb.28:                               ;   in Loop: Header=BB187_4 Depth=1
	v_max_f32_e64 v3, |v19|, |v19|
	v_max_f32_e64 v22, |v18|, |v18|
	v_max_f32_e32 v23, v22, v3
	v_cvt_f64_f32_e32 v[20:21], v23
	v_frexp_exp_i32_f64_e32 v20, v[20:21]
	v_sub_u32_e32 v21, 0, v20
	v_ldexp_f32 v24, |v18|, v21
	v_ldexp_f32 v21, |v19|, v21
	v_mul_f32_e32 v21, v21, v21
	v_fmac_f32_e32 v21, v24, v24
	v_sqrt_f32_e32 v21, v21
	v_cmp_neq_f32_e32 vcc, s49, v23
	v_min_f32_e32 v3, v22, v3
	v_frexp_exp_i32_f32_e32 v22, v3
	v_ldexp_f32 v20, v21, v20
	v_cndmask_b32_e32 v20, v42, v20, vcc
	v_cmp_gt_f32_e32 vcc, s53, v20
	v_cndmask_b32_e32 v21, 1.0, v40, vcc
	v_mul_f32_e32 v20, v20, v21
	v_log_f32_e32 v20, v20
	v_cndmask_b32_e32 v21, 0, v41, vcc
	v_frexp_mant_f32_e32 v3, v3
	v_cmp_gt_i32_e64 s[12:13], 0, v18
	v_mul_f32_e32 v24, 0x3f317217, v20
	v_fma_f32 v25, v20, s54, -v24
	v_fmac_f32_e32 v25, 0x3377d1cf, v20
	v_add_f32_e32 v24, v24, v25
	v_cmp_lt_f32_e64 vcc, |v20|, s49
	v_cndmask_b32_e32 v20, v20, v24, vcc
	v_sub_f32_e32 v43, v20, v21
	v_frexp_mant_f32_e32 v20, v23
	v_rcp_f32_e32 v20, v20
	v_frexp_exp_i32_f32_e32 v21, v23
	v_cmp_gt_f32_e32 vcc, 0, v18
	v_cmp_class_f32_e64 s[30:31], v19, s51
	v_mul_f32_e32 v3, v3, v20
	v_sub_u32_e32 v20, v22, v21
	v_ldexp_f32 v3, v3, v20
	v_mul_f32_e32 v20, v3, v3
	v_mov_b32_e32 v21, 0xbc7a590c
	v_fmac_f32_e32 v21, 0x3b2d2a58, v20
	v_fma_f32 v21, v20, v21, v29
	v_fma_f32 v21, v20, v21, v30
	;; [unrolled: 1-line block ×6, first 2 shown]
	v_mul_f32_e32 v20, v20, v21
	v_fmac_f32_e32 v3, v3, v20
	v_sub_f32_e32 v20, 0x3fc90fdb, v3
	v_cndmask_b32_e64 v3, v3, v20, s[10:11]
	v_sub_f32_e32 v20, 0x40490fdb, v3
	v_cndmask_b32_e32 v3, v3, v20, vcc
	v_cndmask_b32_e64 v20, 0, v37, s[12:13]
	v_cmp_eq_f32_e64 s[12:13], 0, v19
	v_cndmask_b32_e64 v3, v3, v20, s[12:13]
	v_cmp_class_f32_e64 s[12:13], v18, s51
	v_cndmask_b32_e32 v20, v38, v39, vcc
	s_and_b64 vcc, s[30:31], s[12:13]
	v_cndmask_b32_e32 v44, v3, v20, vcc
.LBB187_29:                             ;   in Loop: Header=BB187_4 Depth=1
	s_or_b64 exec, exec, s[28:29]
                                        ; implicit-def: $vgpr20
.LBB187_30:                             ;   in Loop: Header=BB187_4 Depth=1
	s_andn2_saveexec_b64 s[26:27], s[26:27]
	s_cbranch_execz .LBB187_36
; %bb.31:                               ;   in Loop: Header=BB187_4 Depth=1
	v_cmp_ngt_f32_e32 vcc, s55, v20
                                        ; implicit-def: $vgpr43
                                        ; implicit-def: $vgpr44
	s_and_saveexec_b64 s[12:13], vcc
	s_xor_b64 s[28:29], exec, s[12:13]
	s_cbranch_execz .LBB187_33
; %bb.32:                               ;   in Loop: Header=BB187_4 Depth=1
	v_pk_mul_f32 v[20:21], v[20:21], v[20:21]
	v_add_f32_e32 v23, 1.0, v20
	v_add_f32_e32 v21, -1.0, v23
	v_mov_b32_e32 v22, v21
	v_pk_add_f32 v[24:25], v[20:21], v[22:23] neg_lo:[0,1] neg_hi:[0,1]
	v_add_f32_e32 v3, 1.0, v25
	v_add_f32_e32 v3, v24, v3
	v_frexp_mant_f32_e32 v21, v23
	v_cvt_f64_f32_e32 v[24:25], v23
	v_frexp_exp_i32_f64_e32 v22, v[24:25]
	v_cmp_gt_f32_e32 vcc, s47, v21
	v_subbrev_co_u32_e32 v21, vcc, 0, v22, vcc
	v_sub_u32_e32 v22, 0, v21
	v_ldexp_f32 v23, v23, v22
	v_ldexp_f32 v3, v3, v22
	v_add_f32_e32 v22, -1.0, v23
	v_add_f32_e32 v25, 1.0, v23
	v_add_f32_e32 v24, 1.0, v22
	v_add_f32_e32 v43, -1.0, v25
	v_sub_f32_e32 v24, v23, v24
	v_sub_f32_e32 v23, v23, v43
	v_add_f32_e32 v24, v3, v24
	v_add_f32_e32 v3, v3, v23
	;; [unrolled: 1-line block ×3, first 2 shown]
	v_rcp_f32_e32 v48, v43
	v_sub_f32_e32 v23, v25, v43
	v_add_f32_e32 v3, v3, v23
	v_add_f32_e32 v23, v22, v24
	v_sub_f32_e32 v22, v22, v23
	v_mul_f32_e32 v50, v23, v48
	v_add_f32_e32 v49, v24, v22
	v_mul_f32_e32 v24, v43, v50
	v_fma_f32 v44, v50, v43, -v24
	v_fmac_f32_e32 v44, v50, v3
	v_add_f32_e32 v22, v24, v44
	v_sub_f32_e32 v25, v23, v22
	v_pk_add_f32 v[46:47], v[22:23], v[24:25] neg_lo:[0,1] neg_hi:[0,1]
	v_mov_b32_e32 v45, v22
	v_pk_add_f32 v[22:23], v[46:47], v[44:45] neg_lo:[0,1] neg_hi:[0,1]
	v_add_f32_e32 v23, v49, v23
	v_add_f32_e32 v22, v22, v23
	;; [unrolled: 1-line block ×3, first 2 shown]
	v_mul_f32_e32 v49, v48, v23
	v_mul_f32_e32 v24, v43, v49
	v_fma_f32 v44, v49, v43, -v24
	v_fmac_f32_e32 v44, v49, v3
	v_sub_f32_e32 v3, v25, v23
	v_add_f32_e32 v3, v22, v3
	v_add_f32_e32 v22, v24, v44
	v_sub_f32_e32 v25, v23, v22
	v_pk_add_f32 v[46:47], v[22:23], v[24:25] neg_lo:[0,1] neg_hi:[0,1]
	v_mov_b32_e32 v45, v22
	v_pk_add_f32 v[22:23], v[46:47], v[44:45] neg_lo:[0,1] neg_hi:[0,1]
	v_add_f32_e32 v3, v3, v23
	v_add_f32_e32 v3, v22, v3
	;; [unrolled: 1-line block ×4, first 2 shown]
	v_sub_f32_e32 v22, v23, v50
	v_mul_f32_e32 v3, v48, v3
	v_sub_f32_e32 v22, v49, v22
	v_add_f32_e32 v24, v22, v3
	v_add_f32_e32 v43, v23, v24
	v_cvt_f32_i32_e32 v22, v21
	v_mul_f32_e32 v44, v43, v43
	v_mov_b32_e32 v3, 0x3ecc95a3
	v_fmac_f32_e32 v3, 0x3e9b6dac, v44
	v_fma_f32 v3, v44, v3, v28
	v_sub_f32_e32 v21, v43, v23
	v_mul_f32_e32 v23, v43, v44
	v_pk_mul_f32 v[44:45], v[22:23], v[2:3]
	v_sub_f32_e32 v21, v24, v21
	v_fma_f32 v24, v22, s48, -v44
	v_ldexp_f32 v25, v43, 1
	v_fmac_f32_e32 v24, 0xb102e308, v22
	v_pk_add_f32 v[22:23], v[44:45], v[24:25]
	v_sub_f32_e32 v3, v23, v25
	v_ldexp_f32 v21, v21, 1
	v_sub_f32_e32 v3, v45, v3
	v_add_f32_e32 v47, v21, v3
	v_mov_b32_e32 v46, v44
	v_pk_add_f32 v[44:45], v[22:23], v[44:45] neg_lo:[0,1] neg_hi:[0,1]
	v_pk_add_f32 v[48:49], v[22:23], v[46:47]
	v_mov_b32_e32 v45, v49
	v_mov_b32_e32 v25, v22
	v_pk_add_f32 v[50:51], v[24:25], v[44:45] neg_lo:[0,1] neg_hi:[0,1]
	v_pk_add_f32 v[24:25], v[24:25], v[44:45]
	v_mov_b32_e32 v44, v25
	v_pk_add_f32 v[52:53], v[44:45], v[22:23] neg_lo:[0,1] neg_hi:[0,1]
	v_mov_b32_e32 v3, v52
	v_pk_add_f32 v[54:55], v[48:49], v[2:3] neg_lo:[0,1] neg_hi:[0,1]
	v_mov_b32_e32 v24, v49
	v_mov_b32_e32 v48, v23
	;; [unrolled: 1-line block ×4, first 2 shown]
	v_pk_add_f32 v[24:25], v[24:25], v[48:49] neg_lo:[0,1] neg_hi:[0,1]
	v_mov_b32_e32 v46, v47
	v_mov_b32_e32 v47, v22
	v_pk_add_f32 v[22:23], v[46:47], v[24:25] neg_lo:[0,1] neg_hi:[0,1]
	v_mov_b32_e32 v54, v50
	v_pk_add_f32 v[24:25], v[54:55], v[22:23]
	v_mov_b32_e32 v46, v25
	v_pk_add_f32 v[46:47], v[24:25], v[46:47]
	v_pk_add_f32 v[44:45], v[44:45], v[46:47]
	v_mov_b32_e32 v25, v44
	v_pk_add_f32 v[48:49], v[24:25], v[50:51] neg_lo:[0,1] neg_hi:[0,1]
	v_mov_b32_e32 v23, v46
	v_sub_f32_e32 v3, v24, v48
	v_pk_add_f32 v[22:23], v[22:23], v[48:49] neg_lo:[0,1] neg_hi:[0,1]
	v_sub_f32_e32 v3, v50, v3
	v_add_f32_e32 v3, v22, v3
	v_add_f32_e32 v3, v3, v23
	v_cmp_eq_f32_e32 vcc, s49, v20
	v_cmp_lt_f32_e64 s[12:13], |v20|, s50
	v_add_f32_e32 v3, v44, v3
	s_or_b64 vcc, vcc, s[12:13]
	v_cndmask_b32_e32 v3, v3, v20, vcc
	v_mul_f32_e32 v43, 0.5, v3
	v_max_f32_e64 v3, |v19|, |v19|
	v_max_f32_e64 v20, |v18|, |v18|
	v_min_f32_e32 v21, v20, v3
	v_max_f32_e32 v3, v20, v3
	v_frexp_mant_f32_e32 v20, v3
	v_rcp_f32_e32 v20, v20
	v_frexp_exp_i32_f32_e32 v3, v3
	v_frexp_exp_i32_f32_e32 v22, v21
	v_frexp_mant_f32_e32 v21, v21
	v_mul_f32_e32 v20, v21, v20
	v_sub_u32_e32 v3, v22, v3
	v_ldexp_f32 v3, v20, v3
	v_mul_f32_e32 v20, v3, v3
	v_mov_b32_e32 v21, 0xbc7a590c
	v_fmac_f32_e32 v21, 0x3b2d2a58, v20
	v_fma_f32 v21, v20, v21, v29
	v_fma_f32 v21, v20, v21, v30
	;; [unrolled: 1-line block ×6, first 2 shown]
	v_mul_f32_e32 v20, v20, v21
	v_fmac_f32_e32 v3, v3, v20
	v_sub_f32_e32 v20, 0x3fc90fdb, v3
	v_cndmask_b32_e64 v3, v3, v20, s[10:11]
	v_sub_f32_e32 v20, 0x40490fdb, v3
	v_cmp_gt_f32_e32 vcc, 0, v18
	v_cmp_gt_i32_e64 s[12:13], 0, v18
	v_cndmask_b32_e32 v3, v3, v20, vcc
	v_cndmask_b32_e64 v20, 0, v37, s[12:13]
	v_cmp_eq_f32_e64 s[12:13], 0, v19
	v_cndmask_b32_e64 v3, v3, v20, s[12:13]
	v_cmp_class_f32_e64 s[12:13], v18, s51
	v_cmp_class_f32_e64 s[30:31], v19, s51
	v_cndmask_b32_e32 v20, v38, v39, vcc
	s_and_b64 vcc, s[30:31], s[12:13]
	v_cndmask_b32_e32 v44, v3, v20, vcc
                                        ; implicit-def: $vgpr20
.LBB187_33:                             ;   in Loop: Header=BB187_4 Depth=1
	s_andn2_saveexec_b64 s[28:29], s[28:29]
	s_cbranch_execz .LBB187_35
; %bb.34:                               ;   in Loop: Header=BB187_4 Depth=1
	v_mul_f32_e32 v3, 0.5, v20
	v_mul_f32_e32 v43, v20, v3
	v_max_f32_e64 v3, |v19|, |v19|
	v_max_f32_e64 v20, |v18|, |v18|
	v_min_f32_e32 v21, v20, v3
	v_max_f32_e32 v3, v20, v3
	v_frexp_mant_f32_e32 v20, v3
	v_rcp_f32_e32 v20, v20
	v_frexp_exp_i32_f32_e32 v3, v3
	v_frexp_exp_i32_f32_e32 v22, v21
	v_frexp_mant_f32_e32 v21, v21
	v_mul_f32_e32 v20, v21, v20
	v_sub_u32_e32 v3, v22, v3
	v_ldexp_f32 v3, v20, v3
	v_mul_f32_e32 v20, v3, v3
	v_mov_b32_e32 v21, 0xbc7a590c
	v_fmac_f32_e32 v21, 0x3b2d2a58, v20
	v_fma_f32 v21, v20, v21, v29
	v_fma_f32 v21, v20, v21, v30
	;; [unrolled: 1-line block ×6, first 2 shown]
	v_mul_f32_e32 v20, v20, v21
	v_fmac_f32_e32 v3, v3, v20
	v_sub_f32_e32 v20, 0x3fc90fdb, v3
	v_cndmask_b32_e64 v3, v3, v20, s[10:11]
	v_sub_f32_e32 v20, 0x40490fdb, v3
	v_cmp_gt_f32_e32 vcc, 0, v18
	v_cmp_gt_i32_e64 s[12:13], 0, v18
	v_cndmask_b32_e32 v3, v3, v20, vcc
	v_cndmask_b32_e64 v20, 0, v37, s[12:13]
	v_cmp_eq_f32_e64 s[12:13], 0, v19
	v_cndmask_b32_e64 v3, v3, v20, s[12:13]
	v_cmp_class_f32_e64 s[12:13], v18, s51
	v_cmp_class_f32_e64 s[30:31], v19, s51
	v_cndmask_b32_e32 v20, v38, v39, vcc
	s_and_b64 vcc, s[30:31], s[12:13]
	v_cndmask_b32_e32 v44, v3, v20, vcc
.LBB187_35:                             ;   in Loop: Header=BB187_4 Depth=1
	s_or_b64 exec, exec, s[28:29]
.LBB187_36:                             ;   in Loop: Header=BB187_4 Depth=1
	s_or_b64 exec, exec, s[26:27]
.LBB187_37:                             ;   in Loop: Header=BB187_4 Depth=1
	s_andn2_saveexec_b64 s[24:25], s[24:25]
	s_cbranch_execz .LBB187_39
; %bb.38:                               ;   in Loop: Header=BB187_4 Depth=1
	v_div_scale_f32 v3, s[12:13], s56, s56, v18
	v_rcp_f32_e32 v20, v3
	v_div_scale_f32 v21, vcc, v18, s56, v18
	v_fma_f32 v22, -v3, v20, 1.0
	v_fmac_f32_e32 v20, v22, v20
	v_mul_f32_e32 v22, v21, v20
	v_fma_f32 v23, -v3, v22, v21
	v_fmac_f32_e32 v22, v23, v20
	v_fma_f32 v3, -v3, v22, v21
	v_div_scale_f32 v21, s[12:13], s56, s56, v19
	v_rcp_f32_e32 v23, v21
	v_div_fmas_f32 v3, v3, v20, v22
	v_div_fixup_f32 v3, v3, s56, v18
	v_fma_f32 v20, -v21, v23, 1.0
	v_fmac_f32_e32 v23, v20, v23
	v_div_scale_f32 v20, vcc, v19, s56, v19
	v_mul_f32_e32 v22, v20, v23
	v_fma_f32 v24, -v21, v22, v20
	v_fmac_f32_e32 v22, v24, v23
	v_fma_f32 v20, -v21, v22, v20
	v_div_fmas_f32 v20, v20, v23, v22
	v_div_fixup_f32 v22, v20, s56, v19
	v_max_f32_e64 v23, |v3|, |v22|
	v_cvt_f64_f32_e32 v[20:21], v23
	v_frexp_exp_i32_f64_e32 v20, v[20:21]
	v_sub_u32_e32 v21, 0, v20
	v_ldexp_f32 v3, |v3|, v21
	v_ldexp_f32 v21, |v22|, v21
	v_mul_f32_e32 v21, v21, v21
	v_fmac_f32_e32 v21, v3, v3
	v_sqrt_f32_e32 v3, v21
	v_cmp_neq_f32_e32 vcc, s49, v23
	v_ldexp_f32 v3, v3, v20
	v_cndmask_b32_e32 v3, v42, v3, vcc
	v_cmp_gt_f32_e32 vcc, s53, v3
	v_cndmask_b32_e32 v20, 1.0, v40, vcc
	v_mul_f32_e32 v3, v3, v20
	v_log_f32_e32 v3, v3
	v_mul_f32_e32 v20, 0x3f317217, v3
	v_fma_f32 v21, v3, s54, -v20
	v_fmac_f32_e32 v21, 0x3377d1cf, v3
	v_add_f32_e32 v20, v20, v21
	v_cmp_lt_f32_e64 s[12:13], |v3|, s49
	v_cndmask_b32_e64 v3, v3, v20, s[12:13]
	v_cndmask_b32_e32 v20, 0, v41, vcc
	v_sub_f32_e32 v3, v3, v20
	v_add_f32_e32 v43, 1.0, v3
	v_max_f32_e64 v3, |v19|, |v19|
	v_max_f32_e64 v20, |v18|, |v18|
	v_min_f32_e32 v21, v20, v3
	v_max_f32_e32 v3, v20, v3
	v_frexp_mant_f32_e32 v20, v3
	v_rcp_f32_e32 v20, v20
	v_frexp_exp_i32_f32_e32 v3, v3
	v_frexp_exp_i32_f32_e32 v22, v21
	v_frexp_mant_f32_e32 v21, v21
	v_mul_f32_e32 v20, v21, v20
	v_sub_u32_e32 v3, v22, v3
	v_ldexp_f32 v3, v20, v3
	v_mul_f32_e32 v20, v3, v3
	v_mov_b32_e32 v21, 0xbc7a590c
	v_fmac_f32_e32 v21, 0x3b2d2a58, v20
	v_fma_f32 v21, v20, v21, v29
	v_fma_f32 v21, v20, v21, v30
	;; [unrolled: 1-line block ×6, first 2 shown]
	v_mul_f32_e32 v20, v20, v21
	v_fmac_f32_e32 v3, v3, v20
	v_sub_f32_e32 v20, 0x3fc90fdb, v3
	v_cndmask_b32_e64 v3, v3, v20, s[10:11]
	v_sub_f32_e32 v20, 0x40490fdb, v3
	v_cmp_gt_f32_e32 vcc, 0, v18
	v_cmp_gt_i32_e64 s[10:11], 0, v18
	v_cndmask_b32_e32 v3, v3, v20, vcc
	v_cndmask_b32_e64 v20, 0, v37, s[10:11]
	v_cmp_eq_f32_e64 s[10:11], 0, v19
	v_cndmask_b32_e64 v3, v3, v20, s[10:11]
	v_cmp_class_f32_e64 s[10:11], v18, s51
	v_cmp_class_f32_e64 s[12:13], v19, s51
	v_cndmask_b32_e32 v20, v38, v39, vcc
	s_and_b64 vcc, s[12:13], s[10:11]
	v_cndmask_b32_e32 v44, v3, v20, vcc
.LBB187_39:                             ;   in Loop: Header=BB187_4 Depth=1
	s_or_b64 exec, exec, s[24:25]
.LBB187_40:                             ;   in Loop: Header=BB187_4 Depth=1
	s_andn2_saveexec_b64 s[10:11], s[22:23]
	s_cbranch_execz .LBB187_46
; %bb.41:                               ;   in Loop: Header=BB187_4 Depth=1
	v_cmp_nlt_f32_e64 s[12:13], |v18|, s57
	v_cmp_nlt_f32_e64 s[22:23], |v19|, s57
	s_or_b64 s[12:13], s[22:23], s[12:13]
                                        ; implicit-def: $vgpr3
	s_and_saveexec_b64 s[22:23], s[12:13]
	s_xor_b64 s[12:13], exec, s[22:23]
; %bb.42:                               ;   in Loop: Header=BB187_4 Depth=1
	v_pk_mul_f32 v[20:21], v[18:19], v[18:19]
	v_add_f32_e32 v3, v21, v20
; %bb.43:                               ;   in Loop: Header=BB187_4 Depth=1
	s_andn2_saveexec_b64 s[12:13], s[12:13]
; %bb.44:                               ;   in Loop: Header=BB187_4 Depth=1
	v_pk_mul_f32 v[20:21], v[18:19], 4.0 op_sel_hi:[1,0]
	v_pk_mul_f32 v[20:21], v[20:21], v[20:21]
	v_add_f32_e32 v3, v21, v20
	v_mul_f32_e32 v3, 0x3d800000, v3
; %bb.45:                               ;   in Loop: Header=BB187_4 Depth=1
	s_or_b64 exec, exec, s[12:13]
	v_cmp_gt_f32_e32 vcc, s53, v3
	v_cndmask_b32_e32 v18, 1.0, v40, vcc
	v_mul_f32_e32 v3, v3, v18
	v_log_f32_e32 v3, v3
	v_cndmask_b32_e32 v18, 0, v41, vcc
	v_mov_b32_e32 v44, 0x7fc00000
	v_mul_f32_e32 v20, 0x3f317217, v3
	v_fma_f32 v21, v3, s54, -v20
	v_fmac_f32_e32 v21, 0x3377d1cf, v3
	v_add_f32_e32 v20, v20, v21
	v_cmp_lt_f32_e64 vcc, |v3|, s49
	v_cndmask_b32_e32 v3, v3, v20, vcc
	v_sub_f32_e32 v43, v3, v18
.LBB187_46:                             ;   in Loop: Header=BB187_4 Depth=1
	s_or_b64 exec, exec, s[10:11]
	v_cmp_o_f32_e32 vcc, v17, v16
                                        ; implicit-def: $vgpr18
                                        ; implicit-def: $vgpr45
	s_and_saveexec_b64 s[10:11], vcc
	s_xor_b64 s[22:23], exec, s[10:11]
	s_cbranch_execz .LBB187_74
; %bb.47:                               ;   in Loop: Header=BB187_4 Depth=1
	v_cmp_lt_f32_e64 s[10:11], |v16|, |v17|
	v_cndmask_b32_e64 v3, v17, v16, s[10:11]
	v_cmp_ngt_f32_e64 s[12:13], |v3|, s44
                                        ; implicit-def: $vgpr18
                                        ; implicit-def: $vgpr45
	s_and_saveexec_b64 s[24:25], s[12:13]
	s_xor_b64 s[24:25], exec, s[24:25]
	s_cbranch_execz .LBB187_71
; %bb.48:                               ;   in Loop: Header=BB187_4 Depth=1
	v_cndmask_b32_e64 v18, v16, v17, s[10:11]
	v_and_b32_e32 v21, 0x7fffffff, v18
	v_and_b32_e32 v20, 0x7fffffff, v3
	v_cmp_neq_f32_e32 vcc, 1.0, v21
                                        ; implicit-def: $vgpr18
                                        ; implicit-def: $vgpr45
	s_and_saveexec_b64 s[12:13], vcc
	s_xor_b64 s[26:27], exec, s[12:13]
	s_cbranch_execz .LBB187_64
; %bb.49:                               ;   in Loop: Header=BB187_4 Depth=1
	v_max_f32_e32 v3, v20, v20
	v_max_f32_e32 v18, v21, v21
	v_min_f32_e32 v22, v18, v3
	v_max_f32_e32 v3, v18, v3
	v_cmp_ngt_f32_e32 vcc, s45, v22
	v_cmp_nlt_f32_e64 s[12:13], s46, v3
	s_and_b64 s[12:13], s[12:13], vcc
                                        ; implicit-def: $vgpr18
                                        ; implicit-def: $vgpr45
	s_and_saveexec_b64 s[28:29], s[12:13]
	s_xor_b64 s[28:29], exec, s[28:29]
	s_cbranch_execz .LBB187_61
; %bb.50:                               ;   in Loop: Header=BB187_4 Depth=1
	v_cmp_le_f32_e32 vcc, 1.0, v21
                                        ; implicit-def: $vgpr18
                                        ; implicit-def: $vgpr45
	s_and_saveexec_b64 s[12:13], vcc
	s_xor_b64 s[30:31], exec, s[12:13]
	s_cbranch_execz .LBB187_52
; %bb.51:                               ;   in Loop: Header=BB187_4 Depth=1
	v_pk_add_f32 v[22:23], v[20:21], s[20:21] op_sel:[1,0]
	v_mov_b32_e32 v18, v23
	v_pk_mul_f32 v[22:23], v[22:23], v[18:19]
	v_pk_fma_f32 v[20:21], v[20:21], v[20:21], v[22:23]
	v_add_f32_e32 v23, 1.0, v20
	v_add_f32_e32 v21, -1.0, v23
	v_mov_b32_e32 v22, v21
	v_pk_add_f32 v[24:25], v[20:21], v[22:23] neg_lo:[0,1] neg_hi:[0,1]
	v_add_f32_e32 v3, 1.0, v25
	v_add_f32_e32 v3, v24, v3
	v_frexp_mant_f32_e32 v18, v23
	v_cvt_f64_f32_e32 v[24:25], v23
	v_frexp_exp_i32_f64_e32 v21, v[24:25]
	v_cmp_gt_f32_e32 vcc, s47, v18
	v_subbrev_co_u32_e32 v18, vcc, 0, v21, vcc
	v_sub_u32_e32 v21, 0, v18
	v_ldexp_f32 v22, v23, v21
	v_ldexp_f32 v3, v3, v21
	v_add_f32_e32 v21, -1.0, v22
	v_add_f32_e32 v23, 1.0, v21
	v_sub_f32_e32 v23, v22, v23
	v_add_f32_e32 v24, v3, v23
	v_add_f32_e32 v23, 1.0, v22
	v_add_f32_e32 v25, -1.0, v23
	v_sub_f32_e32 v22, v22, v25
	v_add_f32_e32 v3, v3, v22
	v_add_f32_e32 v45, v23, v3
	v_rcp_f32_e32 v50, v45
	v_sub_f32_e32 v22, v45, v23
	v_add_f32_e32 v23, v21, v24
	v_sub_f32_e32 v21, v23, v21
	v_mul_f32_e32 v51, v23, v50
	v_sub_f32_e32 v21, v24, v21
	v_mul_f32_e32 v24, v45, v51
	v_sub_f32_e32 v3, v3, v22
	v_fma_f32 v46, v51, v45, -v24
	v_fmac_f32_e32 v46, v51, v3
	v_add_f32_e32 v22, v24, v46
	v_sub_f32_e32 v25, v23, v22
	v_pk_add_f32 v[48:49], v[22:23], v[24:25] neg_lo:[0,1] neg_hi:[0,1]
	v_mov_b32_e32 v47, v22
	v_pk_add_f32 v[22:23], v[48:49], v[46:47] neg_lo:[0,1] neg_hi:[0,1]
	v_add_f32_e32 v21, v21, v23
	v_add_f32_e32 v21, v22, v21
	;; [unrolled: 1-line block ×3, first 2 shown]
	v_mul_f32_e32 v52, v50, v23
	v_mul_f32_e32 v24, v45, v52
	v_fma_f32 v46, v52, v45, -v24
	v_fmac_f32_e32 v46, v52, v3
	v_add_f32_e32 v22, v24, v46
	v_sub_f32_e32 v3, v25, v23
	v_sub_f32_e32 v25, v23, v22
	v_pk_add_f32 v[48:49], v[22:23], v[24:25] neg_lo:[0,1] neg_hi:[0,1]
	v_mov_b32_e32 v47, v22
	v_add_f32_e32 v3, v21, v3
	v_pk_add_f32 v[22:23], v[48:49], v[46:47] neg_lo:[0,1] neg_hi:[0,1]
	v_add_f32_e32 v3, v3, v23
	v_add_f32_e32 v3, v22, v3
	;; [unrolled: 1-line block ×4, first 2 shown]
	v_sub_f32_e32 v22, v21, v51
	v_mul_f32_e32 v3, v50, v3
	v_sub_f32_e32 v22, v52, v22
	v_add_f32_e32 v23, v22, v3
	v_add_f32_e32 v24, v21, v23
	v_cvt_f32_i32_e32 v22, v18
	v_mul_f32_e32 v45, v24, v24
	v_mov_b32_e32 v3, 0x3ecc95a3
	v_fmac_f32_e32 v3, 0x3e9b6dac, v45
	v_sub_f32_e32 v18, v24, v21
	v_fma_f32 v3, v45, v3, v28
	v_sub_f32_e32 v18, v23, v18
	v_mul_f32_e32 v23, v24, v45
	v_pk_mul_f32 v[46:47], v[22:23], v[2:3]
	v_ldexp_f32 v25, v24, 1
	v_fma_f32 v24, v22, s48, -v46
	v_fmac_f32_e32 v24, 0xb102e308, v22
	v_pk_add_f32 v[22:23], v[46:47], v[24:25]
	v_sub_f32_e32 v3, v23, v25
	v_ldexp_f32 v18, v18, 1
	v_sub_f32_e32 v3, v47, v3
	v_add_f32_e32 v49, v18, v3
	v_mov_b32_e32 v48, v46
	v_pk_add_f32 v[46:47], v[22:23], v[46:47] neg_lo:[0,1] neg_hi:[0,1]
	v_pk_add_f32 v[50:51], v[22:23], v[48:49]
	v_mov_b32_e32 v47, v51
	v_mov_b32_e32 v25, v22
	v_pk_add_f32 v[52:53], v[24:25], v[46:47] neg_lo:[0,1] neg_hi:[0,1]
	v_pk_add_f32 v[24:25], v[24:25], v[46:47]
	v_mov_b32_e32 v18, v25
	v_pk_add_f32 v[46:47], v[18:19], v[22:23] neg_lo:[0,1] neg_hi:[0,1]
	v_mov_b32_e32 v3, v46
	v_pk_add_f32 v[54:55], v[50:51], v[2:3] neg_lo:[0,1] neg_hi:[0,1]
	v_mov_b32_e32 v24, v51
	v_mov_b32_e32 v50, v23
	;; [unrolled: 1-line block ×4, first 2 shown]
	v_pk_add_f32 v[24:25], v[24:25], v[50:51] neg_lo:[0,1] neg_hi:[0,1]
	v_mov_b32_e32 v46, v49
	v_mov_b32_e32 v47, v22
	v_pk_add_f32 v[22:23], v[46:47], v[24:25] neg_lo:[0,1] neg_hi:[0,1]
	v_mov_b32_e32 v54, v52
	v_pk_add_f32 v[24:25], v[54:55], v[22:23]
	v_mov_b32_e32 v46, v25
	v_pk_add_f32 v[46:47], v[24:25], v[46:47]
	v_pk_add_f32 v[48:49], v[18:19], v[46:47]
	v_mov_b32_e32 v25, v48
	v_pk_add_f32 v[50:51], v[24:25], v[52:53] neg_lo:[0,1] neg_hi:[0,1]
	v_mov_b32_e32 v23, v46
	v_sub_f32_e32 v3, v24, v50
	v_pk_add_f32 v[22:23], v[22:23], v[50:51] neg_lo:[0,1] neg_hi:[0,1]
	v_sub_f32_e32 v3, v52, v3
	v_add_f32_e32 v3, v22, v3
	v_add_f32_e32 v3, v3, v23
	;; [unrolled: 1-line block ×3, first 2 shown]
	v_cmp_eq_f32_e32 vcc, s49, v20
	v_cndmask_b32_e32 v3, v3, v20, vcc
	v_cmp_ngt_f32_e32 vcc, -1.0, v20
	v_cndmask_b32_e32 v3, v35, v3, vcc
	v_cmp_neq_f32_e32 vcc, -1.0, v20
	v_cndmask_b32_e32 v3, v36, v3, vcc
	v_cmp_lt_f32_e64 vcc, |v20|, s50
	v_cndmask_b32_e32 v3, v3, v20, vcc
	v_mul_f32_e32 v18, 0.5, v3
	v_max_f32_e64 v3, |v17|, |v17|
	v_max_f32_e64 v20, |v16|, |v16|
	v_min_f32_e32 v21, v20, v3
	v_max_f32_e32 v3, v20, v3
	v_frexp_mant_f32_e32 v20, v3
	v_rcp_f32_e32 v20, v20
	v_frexp_exp_i32_f32_e32 v3, v3
	v_frexp_exp_i32_f32_e32 v22, v21
	v_frexp_mant_f32_e32 v21, v21
	v_mul_f32_e32 v20, v21, v20
	v_sub_u32_e32 v3, v22, v3
	v_ldexp_f32 v3, v20, v3
	v_mul_f32_e32 v20, v3, v3
	v_mov_b32_e32 v21, 0xbc7a590c
	v_fmac_f32_e32 v21, 0x3b2d2a58, v20
	v_fma_f32 v21, v20, v21, v29
	v_fma_f32 v21, v20, v21, v30
	;; [unrolled: 1-line block ×6, first 2 shown]
	v_mul_f32_e32 v20, v20, v21
	v_fmac_f32_e32 v3, v3, v20
	v_sub_f32_e32 v20, 0x3fc90fdb, v3
	v_cndmask_b32_e64 v3, v3, v20, s[10:11]
	v_sub_f32_e32 v20, 0x40490fdb, v3
	v_cmp_gt_f32_e32 vcc, 0, v16
	v_cmp_gt_i32_e64 s[12:13], 0, v16
	v_cndmask_b32_e32 v3, v3, v20, vcc
	v_cndmask_b32_e64 v20, 0, v37, s[12:13]
	v_cmp_eq_f32_e64 s[12:13], 0, v17
	v_cndmask_b32_e64 v3, v3, v20, s[12:13]
	v_cmp_class_f32_e64 s[12:13], v16, s51
	v_cmp_class_f32_e64 s[34:35], v17, s51
	v_cndmask_b32_e32 v20, v38, v39, vcc
	s_and_b64 vcc, s[34:35], s[12:13]
	v_cndmask_b32_e32 v45, v3, v20, vcc
                                        ; implicit-def: $vgpr20_vgpr21
.LBB187_52:                             ;   in Loop: Header=BB187_4 Depth=1
	s_andn2_saveexec_b64 s[30:31], s[30:31]
	s_cbranch_execz .LBB187_60
; %bb.53:                               ;   in Loop: Header=BB187_4 Depth=1
	v_pk_mul_f32 v[22:23], v[20:21], v[20:21]
	v_add_f32_e32 v3, v23, v22
	v_cmp_ge_f32_e32 vcc, s52, v3
                                        ; implicit-def: $vgpr18
                                        ; implicit-def: $vgpr45
	s_and_saveexec_b64 s[12:13], vcc
	s_xor_b64 s[34:35], exec, s[12:13]
	s_cbranch_execz .LBB187_55
; %bb.54:                               ;   in Loop: Header=BB187_4 Depth=1
	v_cmp_gt_f32_e32 vcc, s53, v3
	v_cndmask_b32_e32 v18, 1.0, v40, vcc
	v_mul_f32_e32 v3, v3, v18
	v_log_f32_e32 v3, v3
	v_cndmask_b32_e32 v18, 0, v41, vcc
	v_cmp_gt_i32_e64 s[12:13], 0, v16
	v_cmp_class_f32_e64 s[36:37], v17, s51
	v_mul_f32_e32 v20, 0x3f317217, v3
	v_fma_f32 v21, v3, s54, -v20
	v_fmac_f32_e32 v21, 0x3377d1cf, v3
	v_add_f32_e32 v20, v20, v21
	v_cmp_lt_f32_e64 vcc, |v3|, s49
	v_cndmask_b32_e32 v3, v3, v20, vcc
	v_sub_f32_e32 v3, v3, v18
	v_mul_f32_e32 v18, 0.5, v3
	v_max_f32_e64 v3, |v17|, |v17|
	v_max_f32_e64 v20, |v16|, |v16|
	v_min_f32_e32 v21, v20, v3
	v_max_f32_e32 v3, v20, v3
	v_frexp_mant_f32_e32 v20, v3
	v_rcp_f32_e32 v20, v20
	v_frexp_exp_i32_f32_e32 v3, v3
	v_frexp_exp_i32_f32_e32 v22, v21
	v_frexp_mant_f32_e32 v21, v21
	v_mul_f32_e32 v20, v21, v20
	v_sub_u32_e32 v3, v22, v3
	v_ldexp_f32 v3, v20, v3
	v_mul_f32_e32 v20, v3, v3
	v_mov_b32_e32 v21, 0xbc7a590c
	v_fmac_f32_e32 v21, 0x3b2d2a58, v20
	v_fma_f32 v21, v20, v21, v29
	v_fma_f32 v21, v20, v21, v30
	;; [unrolled: 1-line block ×6, first 2 shown]
	v_mul_f32_e32 v20, v20, v21
	v_fmac_f32_e32 v3, v3, v20
	v_sub_f32_e32 v20, 0x3fc90fdb, v3
	v_cndmask_b32_e64 v3, v3, v20, s[10:11]
	v_sub_f32_e32 v20, 0x40490fdb, v3
	v_cmp_gt_f32_e32 vcc, 0, v16
	v_cndmask_b32_e32 v3, v3, v20, vcc
	v_cndmask_b32_e64 v20, 0, v37, s[12:13]
	v_cmp_eq_f32_e64 s[12:13], 0, v17
	v_cndmask_b32_e64 v3, v3, v20, s[12:13]
	v_cmp_class_f32_e64 s[12:13], v16, s51
	v_cndmask_b32_e32 v20, v38, v39, vcc
	s_and_b64 vcc, s[36:37], s[12:13]
	v_cndmask_b32_e32 v45, v3, v20, vcc
                                        ; implicit-def: $vgpr20_vgpr21
.LBB187_55:                             ;   in Loop: Header=BB187_4 Depth=1
	s_andn2_saveexec_b64 s[34:35], s[34:35]
	s_cbranch_execz .LBB187_59
; %bb.56:                               ;   in Loop: Header=BB187_4 Depth=1
	v_and_b32_e32 v23, 0x7fff0000, v20
	v_and_b32_e32 v22, 0x7fff0000, v21
	v_pk_add_f32 v[20:21], v[20:21], v[22:23] op_sel:[1,0] op_sel_hi:[0,1] neg_lo:[0,1] neg_hi:[0,1]
	v_and_b32_e32 v25, 0xffff0000, v21
	v_and_b32_e32 v24, 0xffff0000, v20
	v_add_f32_e32 v45, v22, v22
	v_pk_add_f32 v[50:51], v[20:21], v[24:25] neg_lo:[0,1] neg_hi:[0,1]
	v_pk_mul_f32 v[20:21], v[22:23], v[22:23]
	v_mul_f32_e32 v18, v45, v24
	v_add_f32_e32 v47, v23, v23
	v_pk_mul_f32 v[22:23], v[24:25], v[24:25]
	v_add_f32_e32 v24, v24, v24
	v_mul_f32_e32 v3, v47, v25
	v_mul_f32_e32 v46, v45, v50
	;; [unrolled: 1-line block ×4, first 2 shown]
	v_add_f32_e32 v24, v25, v25
	v_mul_f32_e32 v48, v24, v51
	v_pk_mul_f32 v[24:25], v[50:51], v[50:51]
	s_mov_b64 s[36:37], 0
.LBB187_57:                             ;   Parent Loop BB187_4 Depth=1
                                        ; =>  This Inner Loop Header: Depth=2
	v_cmp_nlt_f32_e32 vcc, v20, v21
	v_cndmask_b32_e32 v49, v20, v21, vcc
	v_cmp_nlt_f32_e64 s[12:13], v49, v18
	v_cndmask_b32_e64 v50, v49, v18, s[12:13]
	v_cndmask_b32_e32 v20, v21, v20, vcc
	s_and_b64 s[60:61], vcc, s[12:13]
	v_cmp_nlt_f32_e32 vcc, v50, v3
	v_cndmask_b32_e64 v21, v18, v49, s[12:13]
	v_cndmask_b32_e32 v49, v50, v3, vcc
	v_cmp_nlt_f32_e64 s[12:13], v49, v22
	v_cndmask_b32_e32 v18, v3, v50, vcc
	v_cndmask_b32_e64 v50, v49, v22, s[12:13]
	s_and_b64 s[62:63], vcc, s[12:13]
	v_cmp_nlt_f32_e32 vcc, v50, v23
	v_cndmask_b32_e64 v3, v22, v49, s[12:13]
	v_cndmask_b32_e32 v49, v50, v23, vcc
	v_cmp_nlt_f32_e64 s[12:13], v49, v46
	v_cndmask_b32_e32 v22, v23, v50, vcc
	v_cndmask_b32_e64 v50, v49, v46, s[12:13]
	v_cndmask_b32_e64 v23, v46, v49, s[12:13]
	s_and_b64 s[12:13], vcc, s[12:13]
	v_cmp_nlt_f32_e32 vcc, v50, v45
	v_cndmask_b32_e32 v49, v50, v45, vcc
	v_cndmask_b32_e32 v46, v45, v50, vcc
	s_and_b64 s[12:13], s[12:13], vcc
	v_cmp_nlt_f32_e32 vcc, v49, v47
	v_cndmask_b32_e32 v50, v49, v47, vcc
	v_cndmask_b32_e32 v45, v47, v49, vcc
	s_and_b64 s[12:13], s[12:13], vcc
	;; [unrolled: 4-line block ×4, first 2 shown]
	v_cmp_nlt_f32_e32 vcc, v50, v25
	s_and_b64 s[12:13], s[12:13], vcc
	s_and_b64 s[12:13], s[12:13], s[62:63]
	s_and_b64 s[12:13], s[12:13], s[60:61]
	s_and_b64 s[12:13], exec, s[12:13]
	v_cndmask_b32_e32 v24, v25, v50, vcc
	s_or_b64 s[36:37], s[12:13], s[36:37]
	v_cndmask_b32_e32 v25, v50, v25, vcc
	s_andn2_b64 exec, exec, s[36:37]
	s_cbranch_execnz .LBB187_57
; %bb.58:                               ;   in Loop: Header=BB187_4 Depth=1
	s_or_b64 exec, exec, s[36:37]
	v_add_f32_e32 v20, -1.0, v20
	v_add_f32_e32 v20, v20, v21
	v_add_f32_e32 v18, v20, v18
	;; [unrolled: 1-line block ×11, first 2 shown]
	v_add_f32_e32 v23, 1.0, v20
	v_add_f32_e32 v21, -1.0, v23
	v_mov_b32_e32 v22, v21
	v_pk_add_f32 v[24:25], v[20:21], v[22:23] neg_lo:[0,1] neg_hi:[0,1]
	v_add_f32_e32 v3, 1.0, v25
	v_add_f32_e32 v3, v24, v3
	v_frexp_mant_f32_e32 v18, v23
	v_cvt_f64_f32_e32 v[24:25], v23
	v_frexp_exp_i32_f64_e32 v21, v[24:25]
	v_cmp_gt_f32_e32 vcc, s47, v18
	v_subbrev_co_u32_e32 v18, vcc, 0, v21, vcc
	v_sub_u32_e32 v21, 0, v18
	v_ldexp_f32 v22, v23, v21
	v_ldexp_f32 v3, v3, v21
	v_add_f32_e32 v21, -1.0, v22
	v_add_f32_e32 v23, 1.0, v21
	v_sub_f32_e32 v23, v22, v23
	v_add_f32_e32 v24, v3, v23
	v_add_f32_e32 v23, 1.0, v22
	v_add_f32_e32 v25, -1.0, v23
	v_sub_f32_e32 v22, v22, v25
	v_add_f32_e32 v3, v3, v22
	v_add_f32_e32 v45, v23, v3
	v_rcp_f32_e32 v50, v45
	v_sub_f32_e32 v22, v45, v23
	v_add_f32_e32 v23, v21, v24
	v_sub_f32_e32 v21, v23, v21
	v_mul_f32_e32 v51, v23, v50
	v_sub_f32_e32 v21, v24, v21
	v_mul_f32_e32 v24, v45, v51
	v_sub_f32_e32 v3, v3, v22
	v_fma_f32 v46, v51, v45, -v24
	v_fmac_f32_e32 v46, v51, v3
	v_add_f32_e32 v22, v24, v46
	v_sub_f32_e32 v25, v23, v22
	v_pk_add_f32 v[48:49], v[22:23], v[24:25] neg_lo:[0,1] neg_hi:[0,1]
	v_mov_b32_e32 v47, v22
	v_pk_add_f32 v[22:23], v[48:49], v[46:47] neg_lo:[0,1] neg_hi:[0,1]
	v_add_f32_e32 v21, v21, v23
	v_add_f32_e32 v21, v22, v21
	;; [unrolled: 1-line block ×3, first 2 shown]
	v_mul_f32_e32 v52, v50, v23
	v_mul_f32_e32 v24, v45, v52
	v_fma_f32 v46, v52, v45, -v24
	v_fmac_f32_e32 v46, v52, v3
	v_add_f32_e32 v22, v24, v46
	v_sub_f32_e32 v3, v25, v23
	v_sub_f32_e32 v25, v23, v22
	v_pk_add_f32 v[48:49], v[22:23], v[24:25] neg_lo:[0,1] neg_hi:[0,1]
	v_mov_b32_e32 v47, v22
	v_add_f32_e32 v3, v21, v3
	v_pk_add_f32 v[22:23], v[48:49], v[46:47] neg_lo:[0,1] neg_hi:[0,1]
	v_add_f32_e32 v3, v3, v23
	v_add_f32_e32 v3, v22, v3
	;; [unrolled: 1-line block ×4, first 2 shown]
	v_sub_f32_e32 v22, v21, v51
	v_mul_f32_e32 v3, v50, v3
	v_sub_f32_e32 v22, v52, v22
	v_add_f32_e32 v23, v22, v3
	v_add_f32_e32 v24, v21, v23
	v_cvt_f32_i32_e32 v22, v18
	v_mul_f32_e32 v45, v24, v24
	v_mov_b32_e32 v3, 0x3ecc95a3
	v_fmac_f32_e32 v3, 0x3e9b6dac, v45
	v_sub_f32_e32 v18, v24, v21
	v_fma_f32 v3, v45, v3, v28
	v_sub_f32_e32 v18, v23, v18
	v_mul_f32_e32 v23, v24, v45
	v_pk_mul_f32 v[46:47], v[22:23], v[2:3]
	v_ldexp_f32 v25, v24, 1
	v_fma_f32 v24, v22, s48, -v46
	v_fmac_f32_e32 v24, 0xb102e308, v22
	v_pk_add_f32 v[22:23], v[46:47], v[24:25]
	v_sub_f32_e32 v3, v23, v25
	v_ldexp_f32 v18, v18, 1
	v_sub_f32_e32 v3, v47, v3
	v_add_f32_e32 v49, v18, v3
	v_mov_b32_e32 v48, v46
	v_pk_add_f32 v[46:47], v[22:23], v[46:47] neg_lo:[0,1] neg_hi:[0,1]
	v_pk_add_f32 v[50:51], v[22:23], v[48:49]
	v_mov_b32_e32 v47, v51
	v_mov_b32_e32 v25, v22
	v_pk_add_f32 v[52:53], v[24:25], v[46:47] neg_lo:[0,1] neg_hi:[0,1]
	v_pk_add_f32 v[24:25], v[24:25], v[46:47]
	v_mov_b32_e32 v18, v25
	v_pk_add_f32 v[46:47], v[18:19], v[22:23] neg_lo:[0,1] neg_hi:[0,1]
	v_mov_b32_e32 v3, v46
	v_pk_add_f32 v[54:55], v[50:51], v[2:3] neg_lo:[0,1] neg_hi:[0,1]
	v_mov_b32_e32 v24, v51
	v_mov_b32_e32 v50, v23
	;; [unrolled: 1-line block ×4, first 2 shown]
	v_pk_add_f32 v[24:25], v[24:25], v[50:51] neg_lo:[0,1] neg_hi:[0,1]
	v_mov_b32_e32 v46, v49
	v_mov_b32_e32 v47, v22
	v_pk_add_f32 v[22:23], v[46:47], v[24:25] neg_lo:[0,1] neg_hi:[0,1]
	v_mov_b32_e32 v54, v52
	v_pk_add_f32 v[24:25], v[54:55], v[22:23]
	v_mov_b32_e32 v46, v25
	v_pk_add_f32 v[46:47], v[24:25], v[46:47]
	v_pk_add_f32 v[48:49], v[18:19], v[46:47]
	v_mov_b32_e32 v25, v48
	v_pk_add_f32 v[50:51], v[24:25], v[52:53] neg_lo:[0,1] neg_hi:[0,1]
	v_mov_b32_e32 v23, v46
	v_sub_f32_e32 v3, v24, v50
	v_pk_add_f32 v[22:23], v[22:23], v[50:51] neg_lo:[0,1] neg_hi:[0,1]
	v_sub_f32_e32 v3, v52, v3
	v_add_f32_e32 v3, v22, v3
	v_add_f32_e32 v3, v3, v23
	;; [unrolled: 1-line block ×3, first 2 shown]
	v_cmp_eq_f32_e32 vcc, s49, v20
	v_cndmask_b32_e32 v3, v3, v20, vcc
	v_cmp_ngt_f32_e32 vcc, -1.0, v20
	v_cndmask_b32_e32 v3, v35, v3, vcc
	v_cmp_neq_f32_e32 vcc, -1.0, v20
	v_cndmask_b32_e32 v3, v36, v3, vcc
	v_cmp_lt_f32_e64 vcc, |v20|, s50
	v_cndmask_b32_e32 v3, v3, v20, vcc
	v_mul_f32_e32 v18, 0.5, v3
	v_max_f32_e64 v3, |v17|, |v17|
	v_max_f32_e64 v20, |v16|, |v16|
	v_min_f32_e32 v21, v20, v3
	v_max_f32_e32 v3, v20, v3
	v_frexp_mant_f32_e32 v20, v3
	v_rcp_f32_e32 v20, v20
	v_frexp_exp_i32_f32_e32 v3, v3
	v_frexp_exp_i32_f32_e32 v22, v21
	v_frexp_mant_f32_e32 v21, v21
	v_mul_f32_e32 v20, v21, v20
	v_sub_u32_e32 v3, v22, v3
	v_ldexp_f32 v3, v20, v3
	v_mul_f32_e32 v20, v3, v3
	v_mov_b32_e32 v21, 0xbc7a590c
	v_fmac_f32_e32 v21, 0x3b2d2a58, v20
	v_fma_f32 v21, v20, v21, v29
	v_fma_f32 v21, v20, v21, v30
	;; [unrolled: 1-line block ×6, first 2 shown]
	v_mul_f32_e32 v20, v20, v21
	v_fmac_f32_e32 v3, v3, v20
	v_sub_f32_e32 v20, 0x3fc90fdb, v3
	v_cndmask_b32_e64 v3, v3, v20, s[10:11]
	v_sub_f32_e32 v20, 0x40490fdb, v3
	v_cmp_gt_f32_e32 vcc, 0, v16
	v_cmp_gt_i32_e64 s[12:13], 0, v16
	v_cndmask_b32_e32 v3, v3, v20, vcc
	v_cndmask_b32_e64 v20, 0, v37, s[12:13]
	v_cmp_eq_f32_e64 s[12:13], 0, v17
	v_cndmask_b32_e64 v3, v3, v20, s[12:13]
	v_cmp_class_f32_e64 s[12:13], v16, s51
	v_cmp_class_f32_e64 s[36:37], v17, s51
	v_cndmask_b32_e32 v20, v38, v39, vcc
	s_and_b64 vcc, s[36:37], s[12:13]
	v_cndmask_b32_e32 v45, v3, v20, vcc
.LBB187_59:                             ;   in Loop: Header=BB187_4 Depth=1
	s_or_b64 exec, exec, s[34:35]
.LBB187_60:                             ;   in Loop: Header=BB187_4 Depth=1
	s_or_b64 exec, exec, s[30:31]
.LBB187_61:                             ;   in Loop: Header=BB187_4 Depth=1
	s_andn2_saveexec_b64 s[28:29], s[28:29]
	s_cbranch_execz .LBB187_63
; %bb.62:                               ;   in Loop: Header=BB187_4 Depth=1
	v_max_f32_e64 v3, |v17|, |v17|
	v_max_f32_e64 v22, |v16|, |v16|
	v_max_f32_e32 v23, v22, v3
	v_cvt_f64_f32_e32 v[20:21], v23
	v_frexp_exp_i32_f64_e32 v18, v[20:21]
	v_sub_u32_e32 v20, 0, v18
	v_ldexp_f32 v21, |v16|, v20
	v_ldexp_f32 v20, |v17|, v20
	v_mul_f32_e32 v20, v20, v20
	v_fmac_f32_e32 v20, v21, v21
	v_sqrt_f32_e32 v20, v20
	v_cmp_neq_f32_e32 vcc, s49, v23
	v_min_f32_e32 v3, v22, v3
	v_frexp_exp_i32_f32_e32 v22, v3
	v_ldexp_f32 v18, v20, v18
	v_cndmask_b32_e32 v18, v42, v18, vcc
	v_cmp_gt_f32_e32 vcc, s53, v18
	v_cndmask_b32_e32 v20, 1.0, v40, vcc
	v_mul_f32_e32 v18, v18, v20
	v_log_f32_e32 v18, v18
	v_cndmask_b32_e32 v20, 0, v41, vcc
	v_frexp_mant_f32_e32 v3, v3
	v_cmp_gt_i32_e64 s[12:13], 0, v16
	v_mul_f32_e32 v21, 0x3f317217, v18
	v_fma_f32 v24, v18, s54, -v21
	v_fmac_f32_e32 v24, 0x3377d1cf, v18
	v_add_f32_e32 v21, v21, v24
	v_cmp_lt_f32_e64 vcc, |v18|, s49
	v_cndmask_b32_e32 v18, v18, v21, vcc
	v_sub_f32_e32 v18, v18, v20
	v_frexp_mant_f32_e32 v20, v23
	v_rcp_f32_e32 v20, v20
	v_frexp_exp_i32_f32_e32 v21, v23
	v_cmp_gt_f32_e32 vcc, 0, v16
	v_cmp_class_f32_e64 s[30:31], v17, s51
	v_mul_f32_e32 v3, v3, v20
	v_sub_u32_e32 v20, v22, v21
	v_ldexp_f32 v3, v3, v20
	v_mul_f32_e32 v20, v3, v3
	v_mov_b32_e32 v21, 0xbc7a590c
	v_fmac_f32_e32 v21, 0x3b2d2a58, v20
	v_fma_f32 v21, v20, v21, v29
	v_fma_f32 v21, v20, v21, v30
	;; [unrolled: 1-line block ×6, first 2 shown]
	v_mul_f32_e32 v20, v20, v21
	v_fmac_f32_e32 v3, v3, v20
	v_sub_f32_e32 v20, 0x3fc90fdb, v3
	v_cndmask_b32_e64 v3, v3, v20, s[10:11]
	v_sub_f32_e32 v20, 0x40490fdb, v3
	v_cndmask_b32_e32 v3, v3, v20, vcc
	v_cndmask_b32_e64 v20, 0, v37, s[12:13]
	v_cmp_eq_f32_e64 s[12:13], 0, v17
	v_cndmask_b32_e64 v3, v3, v20, s[12:13]
	v_cmp_class_f32_e64 s[12:13], v16, s51
	v_cndmask_b32_e32 v20, v38, v39, vcc
	s_and_b64 vcc, s[30:31], s[12:13]
	v_cndmask_b32_e32 v45, v3, v20, vcc
.LBB187_63:                             ;   in Loop: Header=BB187_4 Depth=1
	s_or_b64 exec, exec, s[28:29]
                                        ; implicit-def: $vgpr20
.LBB187_64:                             ;   in Loop: Header=BB187_4 Depth=1
	s_andn2_saveexec_b64 s[26:27], s[26:27]
	s_cbranch_execz .LBB187_70
; %bb.65:                               ;   in Loop: Header=BB187_4 Depth=1
	v_cmp_ngt_f32_e32 vcc, s55, v20
                                        ; implicit-def: $vgpr18
                                        ; implicit-def: $vgpr45
	s_and_saveexec_b64 s[12:13], vcc
	s_xor_b64 s[28:29], exec, s[12:13]
	s_cbranch_execz .LBB187_67
; %bb.66:                               ;   in Loop: Header=BB187_4 Depth=1
	v_pk_mul_f32 v[20:21], v[20:21], v[20:21]
	v_add_f32_e32 v23, 1.0, v20
	v_add_f32_e32 v21, -1.0, v23
	v_mov_b32_e32 v22, v21
	v_pk_add_f32 v[24:25], v[20:21], v[22:23] neg_lo:[0,1] neg_hi:[0,1]
	v_add_f32_e32 v3, 1.0, v25
	v_add_f32_e32 v3, v24, v3
	v_frexp_mant_f32_e32 v18, v23
	v_cvt_f64_f32_e32 v[24:25], v23
	v_frexp_exp_i32_f64_e32 v21, v[24:25]
	v_cmp_gt_f32_e32 vcc, s47, v18
	v_subbrev_co_u32_e32 v18, vcc, 0, v21, vcc
	v_sub_u32_e32 v21, 0, v18
	v_ldexp_f32 v22, v23, v21
	v_ldexp_f32 v3, v3, v21
	v_add_f32_e32 v21, -1.0, v22
	v_add_f32_e32 v23, 1.0, v21
	v_sub_f32_e32 v23, v22, v23
	v_add_f32_e32 v24, v3, v23
	v_add_f32_e32 v23, 1.0, v22
	v_add_f32_e32 v25, -1.0, v23
	v_sub_f32_e32 v22, v22, v25
	v_add_f32_e32 v3, v3, v22
	v_add_f32_e32 v45, v23, v3
	v_rcp_f32_e32 v50, v45
	v_sub_f32_e32 v22, v23, v45
	v_add_f32_e32 v23, v21, v24
	v_sub_f32_e32 v21, v21, v23
	v_mul_f32_e32 v51, v23, v50
	v_add_f32_e32 v21, v24, v21
	v_mul_f32_e32 v24, v45, v51
	v_add_f32_e32 v3, v3, v22
	v_fma_f32 v46, v51, v45, -v24
	v_fmac_f32_e32 v46, v51, v3
	v_add_f32_e32 v22, v24, v46
	v_sub_f32_e32 v25, v23, v22
	v_pk_add_f32 v[48:49], v[22:23], v[24:25] neg_lo:[0,1] neg_hi:[0,1]
	v_mov_b32_e32 v47, v22
	v_pk_add_f32 v[22:23], v[48:49], v[46:47] neg_lo:[0,1] neg_hi:[0,1]
	v_add_f32_e32 v21, v21, v23
	v_add_f32_e32 v21, v22, v21
	;; [unrolled: 1-line block ×3, first 2 shown]
	v_mul_f32_e32 v52, v50, v23
	v_mul_f32_e32 v24, v45, v52
	v_fma_f32 v46, v52, v45, -v24
	v_fmac_f32_e32 v46, v52, v3
	v_add_f32_e32 v22, v24, v46
	v_sub_f32_e32 v3, v25, v23
	v_sub_f32_e32 v25, v23, v22
	v_pk_add_f32 v[48:49], v[22:23], v[24:25] neg_lo:[0,1] neg_hi:[0,1]
	v_mov_b32_e32 v47, v22
	v_add_f32_e32 v3, v21, v3
	v_pk_add_f32 v[22:23], v[48:49], v[46:47] neg_lo:[0,1] neg_hi:[0,1]
	v_add_f32_e32 v3, v3, v23
	v_add_f32_e32 v3, v22, v3
	;; [unrolled: 1-line block ×4, first 2 shown]
	v_sub_f32_e32 v22, v21, v51
	v_mul_f32_e32 v3, v50, v3
	v_sub_f32_e32 v22, v52, v22
	v_add_f32_e32 v23, v22, v3
	v_add_f32_e32 v24, v21, v23
	v_cvt_f32_i32_e32 v22, v18
	v_mul_f32_e32 v45, v24, v24
	v_mov_b32_e32 v3, 0x3ecc95a3
	v_fmac_f32_e32 v3, 0x3e9b6dac, v45
	v_sub_f32_e32 v18, v24, v21
	v_fma_f32 v3, v45, v3, v28
	v_sub_f32_e32 v18, v23, v18
	v_mul_f32_e32 v23, v24, v45
	v_pk_mul_f32 v[46:47], v[22:23], v[2:3]
	v_ldexp_f32 v25, v24, 1
	v_fma_f32 v24, v22, s48, -v46
	v_fmac_f32_e32 v24, 0xb102e308, v22
	v_pk_add_f32 v[22:23], v[46:47], v[24:25]
	v_sub_f32_e32 v3, v23, v25
	v_ldexp_f32 v18, v18, 1
	v_sub_f32_e32 v3, v47, v3
	v_add_f32_e32 v49, v18, v3
	v_mov_b32_e32 v48, v46
	v_pk_add_f32 v[46:47], v[22:23], v[46:47] neg_lo:[0,1] neg_hi:[0,1]
	v_pk_add_f32 v[50:51], v[22:23], v[48:49]
	v_mov_b32_e32 v47, v51
	v_mov_b32_e32 v25, v22
	v_pk_add_f32 v[52:53], v[24:25], v[46:47] neg_lo:[0,1] neg_hi:[0,1]
	v_pk_add_f32 v[24:25], v[24:25], v[46:47]
	v_mov_b32_e32 v18, v25
	v_pk_add_f32 v[46:47], v[18:19], v[22:23] neg_lo:[0,1] neg_hi:[0,1]
	v_mov_b32_e32 v3, v46
	v_pk_add_f32 v[54:55], v[50:51], v[2:3] neg_lo:[0,1] neg_hi:[0,1]
	v_mov_b32_e32 v24, v51
	v_mov_b32_e32 v50, v23
	v_mov_b32_e32 v51, v46
	v_mov_b32_e32 v53, v25
	v_pk_add_f32 v[24:25], v[24:25], v[50:51] neg_lo:[0,1] neg_hi:[0,1]
	v_mov_b32_e32 v46, v49
	v_mov_b32_e32 v47, v22
	v_pk_add_f32 v[22:23], v[46:47], v[24:25] neg_lo:[0,1] neg_hi:[0,1]
	v_mov_b32_e32 v54, v52
	v_pk_add_f32 v[24:25], v[54:55], v[22:23]
	v_mov_b32_e32 v46, v25
	v_pk_add_f32 v[46:47], v[24:25], v[46:47]
	v_pk_add_f32 v[48:49], v[18:19], v[46:47]
	v_mov_b32_e32 v25, v48
	v_pk_add_f32 v[50:51], v[24:25], v[52:53] neg_lo:[0,1] neg_hi:[0,1]
	v_mov_b32_e32 v23, v46
	v_sub_f32_e32 v3, v24, v50
	v_pk_add_f32 v[22:23], v[22:23], v[50:51] neg_lo:[0,1] neg_hi:[0,1]
	v_sub_f32_e32 v3, v52, v3
	v_add_f32_e32 v3, v22, v3
	v_add_f32_e32 v3, v3, v23
	v_cmp_eq_f32_e32 vcc, s49, v20
	v_cmp_lt_f32_e64 s[12:13], |v20|, s50
	v_add_f32_e32 v3, v48, v3
	s_or_b64 vcc, vcc, s[12:13]
	v_cndmask_b32_e32 v3, v3, v20, vcc
	v_mul_f32_e32 v18, 0.5, v3
	v_max_f32_e64 v3, |v17|, |v17|
	v_max_f32_e64 v20, |v16|, |v16|
	v_min_f32_e32 v21, v20, v3
	v_max_f32_e32 v3, v20, v3
	v_frexp_mant_f32_e32 v20, v3
	v_rcp_f32_e32 v20, v20
	v_frexp_exp_i32_f32_e32 v3, v3
	v_frexp_exp_i32_f32_e32 v22, v21
	v_frexp_mant_f32_e32 v21, v21
	v_mul_f32_e32 v20, v21, v20
	v_sub_u32_e32 v3, v22, v3
	v_ldexp_f32 v3, v20, v3
	v_mul_f32_e32 v20, v3, v3
	v_mov_b32_e32 v21, 0xbc7a590c
	v_fmac_f32_e32 v21, 0x3b2d2a58, v20
	v_fma_f32 v21, v20, v21, v29
	v_fma_f32 v21, v20, v21, v30
	;; [unrolled: 1-line block ×6, first 2 shown]
	v_mul_f32_e32 v20, v20, v21
	v_fmac_f32_e32 v3, v3, v20
	v_sub_f32_e32 v20, 0x3fc90fdb, v3
	v_cndmask_b32_e64 v3, v3, v20, s[10:11]
	v_sub_f32_e32 v20, 0x40490fdb, v3
	v_cmp_gt_f32_e32 vcc, 0, v16
	v_cmp_gt_i32_e64 s[12:13], 0, v16
	v_cndmask_b32_e32 v3, v3, v20, vcc
	v_cndmask_b32_e64 v20, 0, v37, s[12:13]
	v_cmp_eq_f32_e64 s[12:13], 0, v17
	v_cndmask_b32_e64 v3, v3, v20, s[12:13]
	v_cmp_class_f32_e64 s[12:13], v16, s51
	v_cmp_class_f32_e64 s[30:31], v17, s51
	v_cndmask_b32_e32 v20, v38, v39, vcc
	s_and_b64 vcc, s[30:31], s[12:13]
	v_cndmask_b32_e32 v45, v3, v20, vcc
                                        ; implicit-def: $vgpr20
.LBB187_67:                             ;   in Loop: Header=BB187_4 Depth=1
	s_andn2_saveexec_b64 s[28:29], s[28:29]
	s_cbranch_execz .LBB187_69
; %bb.68:                               ;   in Loop: Header=BB187_4 Depth=1
	v_mul_f32_e32 v3, 0.5, v20
	v_mul_f32_e32 v18, v20, v3
	v_max_f32_e64 v3, |v17|, |v17|
	v_max_f32_e64 v20, |v16|, |v16|
	v_min_f32_e32 v21, v20, v3
	v_max_f32_e32 v3, v20, v3
	v_frexp_mant_f32_e32 v20, v3
	v_rcp_f32_e32 v20, v20
	v_frexp_exp_i32_f32_e32 v3, v3
	v_frexp_exp_i32_f32_e32 v22, v21
	v_frexp_mant_f32_e32 v21, v21
	v_mul_f32_e32 v20, v21, v20
	v_sub_u32_e32 v3, v22, v3
	v_ldexp_f32 v3, v20, v3
	v_mul_f32_e32 v20, v3, v3
	v_mov_b32_e32 v21, 0xbc7a590c
	v_fmac_f32_e32 v21, 0x3b2d2a58, v20
	v_fma_f32 v21, v20, v21, v29
	v_fma_f32 v21, v20, v21, v30
	;; [unrolled: 1-line block ×6, first 2 shown]
	v_mul_f32_e32 v20, v20, v21
	v_fmac_f32_e32 v3, v3, v20
	v_sub_f32_e32 v20, 0x3fc90fdb, v3
	v_cndmask_b32_e64 v3, v3, v20, s[10:11]
	v_sub_f32_e32 v20, 0x40490fdb, v3
	v_cmp_gt_f32_e32 vcc, 0, v16
	v_cmp_gt_i32_e64 s[12:13], 0, v16
	v_cndmask_b32_e32 v3, v3, v20, vcc
	v_cndmask_b32_e64 v20, 0, v37, s[12:13]
	v_cmp_eq_f32_e64 s[12:13], 0, v17
	v_cndmask_b32_e64 v3, v3, v20, s[12:13]
	v_cmp_class_f32_e64 s[12:13], v16, s51
	v_cmp_class_f32_e64 s[30:31], v17, s51
	v_cndmask_b32_e32 v20, v38, v39, vcc
	s_and_b64 vcc, s[30:31], s[12:13]
	v_cndmask_b32_e32 v45, v3, v20, vcc
.LBB187_69:                             ;   in Loop: Header=BB187_4 Depth=1
	s_or_b64 exec, exec, s[28:29]
.LBB187_70:                             ;   in Loop: Header=BB187_4 Depth=1
	s_or_b64 exec, exec, s[26:27]
.LBB187_71:                             ;   in Loop: Header=BB187_4 Depth=1
	s_andn2_saveexec_b64 s[24:25], s[24:25]
	s_cbranch_execz .LBB187_73
; %bb.72:                               ;   in Loop: Header=BB187_4 Depth=1
	v_div_scale_f32 v3, s[12:13], s56, s56, v16
	v_rcp_f32_e32 v18, v3
	v_div_scale_f32 v20, vcc, v16, s56, v16
	v_fma_f32 v21, -v3, v18, 1.0
	v_fmac_f32_e32 v18, v21, v18
	v_mul_f32_e32 v21, v20, v18
	v_fma_f32 v22, -v3, v21, v20
	v_fmac_f32_e32 v21, v22, v18
	v_fma_f32 v3, -v3, v21, v20
	v_div_scale_f32 v20, s[12:13], s56, s56, v17
	v_rcp_f32_e32 v22, v20
	v_div_fmas_f32 v3, v3, v18, v21
	v_div_fixup_f32 v3, v3, s56, v16
	v_fma_f32 v18, -v20, v22, 1.0
	v_fmac_f32_e32 v22, v18, v22
	v_div_scale_f32 v18, vcc, v17, s56, v17
	v_mul_f32_e32 v21, v18, v22
	v_fma_f32 v23, -v20, v21, v18
	v_fmac_f32_e32 v21, v23, v22
	v_fma_f32 v18, -v20, v21, v18
	v_div_fmas_f32 v18, v18, v22, v21
	v_div_fixup_f32 v18, v18, s56, v17
	v_max_f32_e64 v22, |v3|, |v18|
	v_cvt_f64_f32_e32 v[20:21], v22
	v_frexp_exp_i32_f64_e32 v20, v[20:21]
	v_sub_u32_e32 v21, 0, v20
	v_ldexp_f32 v18, |v18|, v21
	v_ldexp_f32 v3, |v3|, v21
	v_mul_f32_e32 v18, v18, v18
	v_fmac_f32_e32 v18, v3, v3
	v_sqrt_f32_e32 v3, v18
	v_cmp_neq_f32_e32 vcc, s49, v22
	v_ldexp_f32 v3, v3, v20
	v_cndmask_b32_e32 v3, v42, v3, vcc
	v_cmp_gt_f32_e32 vcc, s53, v3
	v_cndmask_b32_e32 v18, 1.0, v40, vcc
	v_mul_f32_e32 v3, v3, v18
	v_log_f32_e32 v3, v3
	v_mul_f32_e32 v18, 0x3f317217, v3
	v_fma_f32 v20, v3, s54, -v18
	v_fmac_f32_e32 v20, 0x3377d1cf, v3
	v_add_f32_e32 v18, v18, v20
	v_cmp_lt_f32_e64 s[12:13], |v3|, s49
	v_cndmask_b32_e64 v3, v3, v18, s[12:13]
	v_cndmask_b32_e32 v18, 0, v41, vcc
	v_sub_f32_e32 v3, v3, v18
	v_add_f32_e32 v18, 1.0, v3
	v_max_f32_e64 v3, |v17|, |v17|
	v_max_f32_e64 v20, |v16|, |v16|
	v_min_f32_e32 v21, v20, v3
	v_max_f32_e32 v3, v20, v3
	v_frexp_mant_f32_e32 v20, v3
	v_rcp_f32_e32 v20, v20
	v_frexp_exp_i32_f32_e32 v3, v3
	v_frexp_exp_i32_f32_e32 v22, v21
	v_frexp_mant_f32_e32 v21, v21
	v_mul_f32_e32 v20, v21, v20
	v_sub_u32_e32 v3, v22, v3
	v_ldexp_f32 v3, v20, v3
	v_mul_f32_e32 v20, v3, v3
	v_mov_b32_e32 v21, 0xbc7a590c
	v_fmac_f32_e32 v21, 0x3b2d2a58, v20
	v_fma_f32 v21, v20, v21, v29
	v_fma_f32 v21, v20, v21, v30
	;; [unrolled: 1-line block ×6, first 2 shown]
	v_mul_f32_e32 v20, v20, v21
	v_fmac_f32_e32 v3, v3, v20
	v_sub_f32_e32 v20, 0x3fc90fdb, v3
	v_cndmask_b32_e64 v3, v3, v20, s[10:11]
	v_sub_f32_e32 v20, 0x40490fdb, v3
	v_cmp_gt_f32_e32 vcc, 0, v16
	v_cmp_gt_i32_e64 s[10:11], 0, v16
	v_cndmask_b32_e32 v3, v3, v20, vcc
	v_cndmask_b32_e64 v20, 0, v37, s[10:11]
	v_cmp_eq_f32_e64 s[10:11], 0, v17
	v_cndmask_b32_e64 v3, v3, v20, s[10:11]
	v_cmp_class_f32_e64 s[10:11], v16, s51
	v_cmp_class_f32_e64 s[12:13], v17, s51
	v_cndmask_b32_e32 v20, v38, v39, vcc
	s_and_b64 vcc, s[12:13], s[10:11]
	v_cndmask_b32_e32 v45, v3, v20, vcc
.LBB187_73:                             ;   in Loop: Header=BB187_4 Depth=1
	s_or_b64 exec, exec, s[24:25]
.LBB187_74:                             ;   in Loop: Header=BB187_4 Depth=1
	s_andn2_saveexec_b64 s[10:11], s[22:23]
	s_cbranch_execz .LBB187_80
; %bb.75:                               ;   in Loop: Header=BB187_4 Depth=1
	v_cmp_nlt_f32_e64 s[12:13], |v16|, s57
	v_cmp_nlt_f32_e64 s[22:23], |v17|, s57
	s_or_b64 s[12:13], s[22:23], s[12:13]
                                        ; implicit-def: $vgpr3
	s_and_saveexec_b64 s[22:23], s[12:13]
	s_xor_b64 s[12:13], exec, s[22:23]
; %bb.76:                               ;   in Loop: Header=BB187_4 Depth=1
	v_pk_mul_f32 v[20:21], v[16:17], v[16:17]
	v_add_f32_e32 v3, v21, v20
; %bb.77:                               ;   in Loop: Header=BB187_4 Depth=1
	s_andn2_saveexec_b64 s[12:13], s[12:13]
; %bb.78:                               ;   in Loop: Header=BB187_4 Depth=1
	v_pk_mul_f32 v[20:21], v[16:17], 4.0 op_sel_hi:[1,0]
	v_pk_mul_f32 v[20:21], v[20:21], v[20:21]
	v_add_f32_e32 v3, v21, v20
	v_mul_f32_e32 v3, 0x3d800000, v3
; %bb.79:                               ;   in Loop: Header=BB187_4 Depth=1
	s_or_b64 exec, exec, s[12:13]
	v_cmp_gt_f32_e32 vcc, s53, v3
	v_cndmask_b32_e32 v16, 1.0, v40, vcc
	v_mul_f32_e32 v3, v3, v16
	v_log_f32_e32 v3, v3
	v_cndmask_b32_e32 v16, 0, v41, vcc
	v_mov_b32_e32 v45, 0x7fc00000
	v_mul_f32_e32 v18, 0x3f317217, v3
	v_fma_f32 v20, v3, s54, -v18
	v_fmac_f32_e32 v20, 0x3377d1cf, v3
	v_add_f32_e32 v18, v18, v20
	v_cmp_lt_f32_e64 vcc, |v3|, s49
	v_cndmask_b32_e32 v3, v3, v18, vcc
	v_sub_f32_e32 v18, v3, v16
.LBB187_80:                             ;   in Loop: Header=BB187_4 Depth=1
	s_or_b64 exec, exec, s[10:11]
	v_cmp_o_f32_e32 vcc, v9, v8
                                        ; implicit-def: $vgpr16
                                        ; implicit-def: $vgpr46
	s_and_saveexec_b64 s[10:11], vcc
	s_xor_b64 s[22:23], exec, s[10:11]
	s_cbranch_execz .LBB187_108
; %bb.81:                               ;   in Loop: Header=BB187_4 Depth=1
	v_cmp_lt_f32_e64 s[10:11], |v8|, |v9|
	v_cndmask_b32_e64 v3, v9, v8, s[10:11]
	v_cmp_ngt_f32_e64 s[12:13], |v3|, s44
                                        ; implicit-def: $vgpr16
                                        ; implicit-def: $vgpr46
	s_and_saveexec_b64 s[24:25], s[12:13]
	s_xor_b64 s[24:25], exec, s[24:25]
	s_cbranch_execz .LBB187_105
; %bb.82:                               ;   in Loop: Header=BB187_4 Depth=1
	v_cndmask_b32_e64 v16, v8, v9, s[10:11]
	v_and_b32_e32 v21, 0x7fffffff, v16
	v_and_b32_e32 v20, 0x7fffffff, v3
	v_cmp_neq_f32_e32 vcc, 1.0, v21
                                        ; implicit-def: $vgpr16
                                        ; implicit-def: $vgpr46
	s_and_saveexec_b64 s[12:13], vcc
	s_xor_b64 s[26:27], exec, s[12:13]
	s_cbranch_execz .LBB187_98
; %bb.83:                               ;   in Loop: Header=BB187_4 Depth=1
	v_max_f32_e32 v3, v20, v20
	v_max_f32_e32 v16, v21, v21
	v_min_f32_e32 v22, v16, v3
	v_max_f32_e32 v3, v16, v3
	v_cmp_ngt_f32_e32 vcc, s45, v22
	v_cmp_nlt_f32_e64 s[12:13], s46, v3
	s_and_b64 s[12:13], s[12:13], vcc
                                        ; implicit-def: $vgpr16
                                        ; implicit-def: $vgpr46
	s_and_saveexec_b64 s[28:29], s[12:13]
	s_xor_b64 s[28:29], exec, s[28:29]
	s_cbranch_execz .LBB187_95
; %bb.84:                               ;   in Loop: Header=BB187_4 Depth=1
	v_cmp_le_f32_e32 vcc, 1.0, v21
                                        ; implicit-def: $vgpr16
                                        ; implicit-def: $vgpr46
	s_and_saveexec_b64 s[12:13], vcc
	s_xor_b64 s[30:31], exec, s[12:13]
	s_cbranch_execz .LBB187_86
; %bb.85:                               ;   in Loop: Header=BB187_4 Depth=1
	v_pk_add_f32 v[22:23], v[20:21], s[20:21] op_sel:[1,0]
	v_mov_b32_e32 v16, v23
	v_pk_mul_f32 v[22:23], v[22:23], v[16:17]
	v_pk_fma_f32 v[20:21], v[20:21], v[20:21], v[22:23]
	v_add_f32_e32 v23, 1.0, v20
	v_add_f32_e32 v21, -1.0, v23
	v_mov_b32_e32 v22, v21
	v_pk_add_f32 v[24:25], v[20:21], v[22:23] neg_lo:[0,1] neg_hi:[0,1]
	v_add_f32_e32 v3, 1.0, v25
	v_add_f32_e32 v3, v24, v3
	v_frexp_mant_f32_e32 v16, v23
	v_cvt_f64_f32_e32 v[24:25], v23
	v_frexp_exp_i32_f64_e32 v21, v[24:25]
	v_cmp_gt_f32_e32 vcc, s47, v16
	v_subbrev_co_u32_e32 v16, vcc, 0, v21, vcc
	v_sub_u32_e32 v21, 0, v16
	v_ldexp_f32 v22, v23, v21
	v_ldexp_f32 v3, v3, v21
	v_add_f32_e32 v21, -1.0, v22
	v_add_f32_e32 v23, 1.0, v21
	v_sub_f32_e32 v23, v22, v23
	v_add_f32_e32 v24, v3, v23
	v_add_f32_e32 v23, 1.0, v22
	v_add_f32_e32 v25, -1.0, v23
	v_sub_f32_e32 v22, v22, v25
	v_add_f32_e32 v3, v3, v22
	v_add_f32_e32 v50, v23, v3
	v_rcp_f32_e32 v51, v50
	v_sub_f32_e32 v22, v50, v23
	v_add_f32_e32 v23, v21, v24
	v_sub_f32_e32 v21, v23, v21
	v_mul_f32_e32 v52, v23, v51
	v_sub_f32_e32 v21, v24, v21
	v_mul_f32_e32 v24, v50, v52
	v_sub_f32_e32 v3, v3, v22
	v_fma_f32 v46, v52, v50, -v24
	v_fmac_f32_e32 v46, v52, v3
	v_add_f32_e32 v22, v24, v46
	v_sub_f32_e32 v25, v23, v22
	v_pk_add_f32 v[48:49], v[22:23], v[24:25] neg_lo:[0,1] neg_hi:[0,1]
	v_mov_b32_e32 v47, v22
	v_pk_add_f32 v[22:23], v[48:49], v[46:47] neg_lo:[0,1] neg_hi:[0,1]
	v_add_f32_e32 v21, v21, v23
	v_add_f32_e32 v21, v22, v21
	;; [unrolled: 1-line block ×3, first 2 shown]
	v_mul_f32_e32 v53, v51, v23
	v_mul_f32_e32 v24, v50, v53
	v_fma_f32 v46, v53, v50, -v24
	v_fmac_f32_e32 v46, v53, v3
	v_add_f32_e32 v22, v24, v46
	v_sub_f32_e32 v3, v25, v23
	v_sub_f32_e32 v25, v23, v22
	v_pk_add_f32 v[48:49], v[22:23], v[24:25] neg_lo:[0,1] neg_hi:[0,1]
	v_mov_b32_e32 v47, v22
	v_add_f32_e32 v3, v21, v3
	v_pk_add_f32 v[22:23], v[48:49], v[46:47] neg_lo:[0,1] neg_hi:[0,1]
	v_add_f32_e32 v3, v3, v23
	v_add_f32_e32 v3, v22, v3
	;; [unrolled: 1-line block ×4, first 2 shown]
	v_sub_f32_e32 v22, v21, v52
	v_mul_f32_e32 v3, v51, v3
	v_sub_f32_e32 v22, v53, v22
	v_add_f32_e32 v23, v22, v3
	v_add_f32_e32 v24, v21, v23
	v_cvt_f32_i32_e32 v22, v16
	v_mul_f32_e32 v46, v24, v24
	v_mov_b32_e32 v3, 0x3ecc95a3
	v_fmac_f32_e32 v3, 0x3e9b6dac, v46
	v_sub_f32_e32 v16, v24, v21
	v_fma_f32 v3, v46, v3, v28
	v_sub_f32_e32 v16, v23, v16
	v_mul_f32_e32 v23, v24, v46
	v_pk_mul_f32 v[46:47], v[22:23], v[2:3]
	v_ldexp_f32 v25, v24, 1
	v_fma_f32 v24, v22, s48, -v46
	v_fmac_f32_e32 v24, 0xb102e308, v22
	v_pk_add_f32 v[22:23], v[46:47], v[24:25]
	v_sub_f32_e32 v3, v23, v25
	v_ldexp_f32 v16, v16, 1
	v_sub_f32_e32 v3, v47, v3
	v_add_f32_e32 v49, v16, v3
	v_mov_b32_e32 v48, v46
	v_pk_add_f32 v[46:47], v[22:23], v[46:47] neg_lo:[0,1] neg_hi:[0,1]
	v_pk_add_f32 v[50:51], v[22:23], v[48:49]
	v_mov_b32_e32 v47, v51
	v_mov_b32_e32 v25, v22
	v_pk_add_f32 v[52:53], v[24:25], v[46:47] neg_lo:[0,1] neg_hi:[0,1]
	v_pk_add_f32 v[24:25], v[24:25], v[46:47]
	v_mov_b32_e32 v16, v25
	v_pk_add_f32 v[46:47], v[16:17], v[22:23] neg_lo:[0,1] neg_hi:[0,1]
	v_mov_b32_e32 v3, v46
	v_pk_add_f32 v[54:55], v[50:51], v[2:3] neg_lo:[0,1] neg_hi:[0,1]
	v_mov_b32_e32 v24, v51
	v_mov_b32_e32 v50, v23
	;; [unrolled: 1-line block ×4, first 2 shown]
	v_pk_add_f32 v[24:25], v[24:25], v[50:51] neg_lo:[0,1] neg_hi:[0,1]
	v_mov_b32_e32 v46, v49
	v_mov_b32_e32 v47, v22
	v_pk_add_f32 v[22:23], v[46:47], v[24:25] neg_lo:[0,1] neg_hi:[0,1]
	v_mov_b32_e32 v54, v52
	v_pk_add_f32 v[24:25], v[54:55], v[22:23]
	v_mov_b32_e32 v46, v25
	v_pk_add_f32 v[46:47], v[24:25], v[46:47]
	v_pk_add_f32 v[48:49], v[16:17], v[46:47]
	v_mov_b32_e32 v25, v48
	v_pk_add_f32 v[50:51], v[24:25], v[52:53] neg_lo:[0,1] neg_hi:[0,1]
	v_mov_b32_e32 v23, v46
	v_sub_f32_e32 v3, v24, v50
	v_pk_add_f32 v[22:23], v[22:23], v[50:51] neg_lo:[0,1] neg_hi:[0,1]
	v_sub_f32_e32 v3, v52, v3
	v_add_f32_e32 v3, v22, v3
	v_add_f32_e32 v3, v3, v23
	;; [unrolled: 1-line block ×3, first 2 shown]
	v_cmp_eq_f32_e32 vcc, s49, v20
	v_cndmask_b32_e32 v3, v3, v20, vcc
	v_cmp_ngt_f32_e32 vcc, -1.0, v20
	v_cndmask_b32_e32 v3, v35, v3, vcc
	v_cmp_neq_f32_e32 vcc, -1.0, v20
	v_cndmask_b32_e32 v3, v36, v3, vcc
	v_cmp_lt_f32_e64 vcc, |v20|, s50
	v_cndmask_b32_e32 v3, v3, v20, vcc
	v_mul_f32_e32 v16, 0.5, v3
	v_max_f32_e64 v3, |v9|, |v9|
	v_max_f32_e64 v20, |v8|, |v8|
	v_min_f32_e32 v21, v20, v3
	v_max_f32_e32 v3, v20, v3
	v_frexp_mant_f32_e32 v20, v3
	v_rcp_f32_e32 v20, v20
	v_frexp_exp_i32_f32_e32 v3, v3
	v_frexp_exp_i32_f32_e32 v22, v21
	v_frexp_mant_f32_e32 v21, v21
	v_mul_f32_e32 v20, v21, v20
	v_sub_u32_e32 v3, v22, v3
	v_ldexp_f32 v3, v20, v3
	v_mul_f32_e32 v20, v3, v3
	v_mov_b32_e32 v21, 0xbc7a590c
	v_fmac_f32_e32 v21, 0x3b2d2a58, v20
	v_fma_f32 v21, v20, v21, v29
	v_fma_f32 v21, v20, v21, v30
	;; [unrolled: 1-line block ×6, first 2 shown]
	v_mul_f32_e32 v20, v20, v21
	v_fmac_f32_e32 v3, v3, v20
	v_sub_f32_e32 v20, 0x3fc90fdb, v3
	v_cndmask_b32_e64 v3, v3, v20, s[10:11]
	v_sub_f32_e32 v20, 0x40490fdb, v3
	v_cmp_gt_f32_e32 vcc, 0, v8
	v_cmp_gt_i32_e64 s[12:13], 0, v8
	v_cndmask_b32_e32 v3, v3, v20, vcc
	v_cndmask_b32_e64 v20, 0, v37, s[12:13]
	v_cmp_eq_f32_e64 s[12:13], 0, v9
	v_cndmask_b32_e64 v3, v3, v20, s[12:13]
	v_cmp_class_f32_e64 s[12:13], v8, s51
	v_cmp_class_f32_e64 s[34:35], v9, s51
	v_cndmask_b32_e32 v20, v38, v39, vcc
	s_and_b64 vcc, s[34:35], s[12:13]
	v_cndmask_b32_e32 v46, v3, v20, vcc
                                        ; implicit-def: $vgpr20_vgpr21
.LBB187_86:                             ;   in Loop: Header=BB187_4 Depth=1
	s_andn2_saveexec_b64 s[30:31], s[30:31]
	s_cbranch_execz .LBB187_94
; %bb.87:                               ;   in Loop: Header=BB187_4 Depth=1
	v_pk_mul_f32 v[22:23], v[20:21], v[20:21]
	v_add_f32_e32 v3, v23, v22
	v_cmp_ge_f32_e32 vcc, s52, v3
                                        ; implicit-def: $vgpr16
                                        ; implicit-def: $vgpr46
	s_and_saveexec_b64 s[12:13], vcc
	s_xor_b64 s[34:35], exec, s[12:13]
	s_cbranch_execz .LBB187_89
; %bb.88:                               ;   in Loop: Header=BB187_4 Depth=1
	v_cmp_gt_f32_e32 vcc, s53, v3
	v_cndmask_b32_e32 v16, 1.0, v40, vcc
	v_mul_f32_e32 v3, v3, v16
	v_log_f32_e32 v3, v3
	v_cndmask_b32_e32 v16, 0, v41, vcc
	v_cmp_gt_i32_e64 s[12:13], 0, v8
	v_cmp_class_f32_e64 s[36:37], v9, s51
	v_mul_f32_e32 v20, 0x3f317217, v3
	v_fma_f32 v21, v3, s54, -v20
	v_fmac_f32_e32 v21, 0x3377d1cf, v3
	v_add_f32_e32 v20, v20, v21
	v_cmp_lt_f32_e64 vcc, |v3|, s49
	v_cndmask_b32_e32 v3, v3, v20, vcc
	v_sub_f32_e32 v3, v3, v16
	v_mul_f32_e32 v16, 0.5, v3
	v_max_f32_e64 v3, |v9|, |v9|
	v_max_f32_e64 v20, |v8|, |v8|
	v_min_f32_e32 v21, v20, v3
	v_max_f32_e32 v3, v20, v3
	v_frexp_mant_f32_e32 v20, v3
	v_rcp_f32_e32 v20, v20
	v_frexp_exp_i32_f32_e32 v3, v3
	v_frexp_exp_i32_f32_e32 v22, v21
	v_frexp_mant_f32_e32 v21, v21
	v_mul_f32_e32 v20, v21, v20
	v_sub_u32_e32 v3, v22, v3
	v_ldexp_f32 v3, v20, v3
	v_mul_f32_e32 v20, v3, v3
	v_mov_b32_e32 v21, 0xbc7a590c
	v_fmac_f32_e32 v21, 0x3b2d2a58, v20
	v_fma_f32 v21, v20, v21, v29
	v_fma_f32 v21, v20, v21, v30
	;; [unrolled: 1-line block ×6, first 2 shown]
	v_mul_f32_e32 v20, v20, v21
	v_fmac_f32_e32 v3, v3, v20
	v_sub_f32_e32 v20, 0x3fc90fdb, v3
	v_cndmask_b32_e64 v3, v3, v20, s[10:11]
	v_sub_f32_e32 v20, 0x40490fdb, v3
	v_cmp_gt_f32_e32 vcc, 0, v8
	v_cndmask_b32_e32 v3, v3, v20, vcc
	v_cndmask_b32_e64 v20, 0, v37, s[12:13]
	v_cmp_eq_f32_e64 s[12:13], 0, v9
	v_cndmask_b32_e64 v3, v3, v20, s[12:13]
	v_cmp_class_f32_e64 s[12:13], v8, s51
	v_cndmask_b32_e32 v20, v38, v39, vcc
	s_and_b64 vcc, s[36:37], s[12:13]
	v_cndmask_b32_e32 v46, v3, v20, vcc
                                        ; implicit-def: $vgpr20_vgpr21
.LBB187_89:                             ;   in Loop: Header=BB187_4 Depth=1
	s_andn2_saveexec_b64 s[34:35], s[34:35]
	s_cbranch_execz .LBB187_93
; %bb.90:                               ;   in Loop: Header=BB187_4 Depth=1
	v_and_b32_e32 v23, 0x7fff0000, v20
	v_and_b32_e32 v22, 0x7fff0000, v21
	v_pk_add_f32 v[20:21], v[20:21], v[22:23] op_sel:[1,0] op_sel_hi:[0,1] neg_lo:[0,1] neg_hi:[0,1]
	v_and_b32_e32 v25, 0xffff0000, v21
	v_and_b32_e32 v24, 0xffff0000, v20
	v_add_f32_e32 v46, v22, v22
	v_pk_add_f32 v[50:51], v[20:21], v[24:25] neg_lo:[0,1] neg_hi:[0,1]
	v_pk_mul_f32 v[20:21], v[22:23], v[22:23]
	v_mul_f32_e32 v16, v46, v24
	v_add_f32_e32 v48, v23, v23
	v_pk_mul_f32 v[22:23], v[24:25], v[24:25]
	v_add_f32_e32 v24, v24, v24
	v_mul_f32_e32 v3, v48, v25
	v_mul_f32_e32 v47, v46, v50
	;; [unrolled: 1-line block ×4, first 2 shown]
	v_add_f32_e32 v24, v25, v25
	v_mul_f32_e32 v49, v24, v51
	v_pk_mul_f32 v[24:25], v[50:51], v[50:51]
	s_mov_b64 s[36:37], 0
.LBB187_91:                             ;   Parent Loop BB187_4 Depth=1
                                        ; =>  This Inner Loop Header: Depth=2
	v_cmp_nlt_f32_e32 vcc, v20, v21
	v_cndmask_b32_e32 v50, v20, v21, vcc
	v_cmp_nlt_f32_e64 s[12:13], v50, v16
	v_cndmask_b32_e64 v51, v50, v16, s[12:13]
	v_cndmask_b32_e32 v20, v21, v20, vcc
	s_and_b64 s[60:61], vcc, s[12:13]
	v_cmp_nlt_f32_e32 vcc, v51, v3
	v_cndmask_b32_e64 v21, v16, v50, s[12:13]
	v_cndmask_b32_e32 v50, v51, v3, vcc
	v_cmp_nlt_f32_e64 s[12:13], v50, v22
	v_cndmask_b32_e32 v16, v3, v51, vcc
	v_cndmask_b32_e64 v51, v50, v22, s[12:13]
	s_and_b64 s[62:63], vcc, s[12:13]
	v_cmp_nlt_f32_e32 vcc, v51, v23
	v_cndmask_b32_e64 v3, v22, v50, s[12:13]
	v_cndmask_b32_e32 v50, v51, v23, vcc
	v_cmp_nlt_f32_e64 s[12:13], v50, v47
	v_cndmask_b32_e32 v22, v23, v51, vcc
	v_cndmask_b32_e64 v51, v50, v47, s[12:13]
	v_cndmask_b32_e64 v23, v47, v50, s[12:13]
	s_and_b64 s[12:13], vcc, s[12:13]
	v_cmp_nlt_f32_e32 vcc, v51, v46
	v_cndmask_b32_e32 v50, v51, v46, vcc
	v_cndmask_b32_e32 v47, v46, v51, vcc
	s_and_b64 s[12:13], s[12:13], vcc
	v_cmp_nlt_f32_e32 vcc, v50, v48
	v_cndmask_b32_e32 v51, v50, v48, vcc
	v_cndmask_b32_e32 v46, v48, v50, vcc
	s_and_b64 s[12:13], s[12:13], vcc
	;; [unrolled: 4-line block ×4, first 2 shown]
	v_cmp_nlt_f32_e32 vcc, v51, v25
	s_and_b64 s[12:13], s[12:13], vcc
	s_and_b64 s[12:13], s[12:13], s[62:63]
	s_and_b64 s[12:13], s[12:13], s[60:61]
	s_and_b64 s[12:13], exec, s[12:13]
	v_cndmask_b32_e32 v24, v25, v51, vcc
	s_or_b64 s[36:37], s[12:13], s[36:37]
	v_cndmask_b32_e32 v25, v51, v25, vcc
	s_andn2_b64 exec, exec, s[36:37]
	s_cbranch_execnz .LBB187_91
; %bb.92:                               ;   in Loop: Header=BB187_4 Depth=1
	s_or_b64 exec, exec, s[36:37]
	v_add_f32_e32 v20, -1.0, v20
	v_add_f32_e32 v20, v20, v21
	v_add_f32_e32 v16, v20, v16
	;; [unrolled: 1-line block ×11, first 2 shown]
	v_add_f32_e32 v23, 1.0, v20
	v_add_f32_e32 v21, -1.0, v23
	v_mov_b32_e32 v22, v21
	v_pk_add_f32 v[24:25], v[20:21], v[22:23] neg_lo:[0,1] neg_hi:[0,1]
	v_add_f32_e32 v3, 1.0, v25
	v_add_f32_e32 v3, v24, v3
	v_frexp_mant_f32_e32 v16, v23
	v_cvt_f64_f32_e32 v[24:25], v23
	v_frexp_exp_i32_f64_e32 v21, v[24:25]
	v_cmp_gt_f32_e32 vcc, s47, v16
	v_subbrev_co_u32_e32 v16, vcc, 0, v21, vcc
	v_sub_u32_e32 v21, 0, v16
	v_ldexp_f32 v22, v23, v21
	v_ldexp_f32 v3, v3, v21
	v_add_f32_e32 v21, -1.0, v22
	v_add_f32_e32 v23, 1.0, v21
	v_sub_f32_e32 v23, v22, v23
	v_add_f32_e32 v24, v3, v23
	v_add_f32_e32 v23, 1.0, v22
	v_add_f32_e32 v25, -1.0, v23
	v_sub_f32_e32 v22, v22, v25
	v_add_f32_e32 v3, v3, v22
	v_add_f32_e32 v50, v23, v3
	v_rcp_f32_e32 v51, v50
	v_sub_f32_e32 v22, v50, v23
	v_add_f32_e32 v23, v21, v24
	v_sub_f32_e32 v21, v23, v21
	v_mul_f32_e32 v52, v23, v51
	v_sub_f32_e32 v21, v24, v21
	v_mul_f32_e32 v24, v50, v52
	v_sub_f32_e32 v3, v3, v22
	v_fma_f32 v46, v52, v50, -v24
	v_fmac_f32_e32 v46, v52, v3
	v_add_f32_e32 v22, v24, v46
	v_sub_f32_e32 v25, v23, v22
	v_pk_add_f32 v[48:49], v[22:23], v[24:25] neg_lo:[0,1] neg_hi:[0,1]
	v_mov_b32_e32 v47, v22
	v_pk_add_f32 v[22:23], v[48:49], v[46:47] neg_lo:[0,1] neg_hi:[0,1]
	v_add_f32_e32 v21, v21, v23
	v_add_f32_e32 v21, v22, v21
	;; [unrolled: 1-line block ×3, first 2 shown]
	v_mul_f32_e32 v53, v51, v23
	v_mul_f32_e32 v24, v50, v53
	v_fma_f32 v46, v53, v50, -v24
	v_fmac_f32_e32 v46, v53, v3
	v_add_f32_e32 v22, v24, v46
	v_sub_f32_e32 v3, v25, v23
	v_sub_f32_e32 v25, v23, v22
	v_pk_add_f32 v[48:49], v[22:23], v[24:25] neg_lo:[0,1] neg_hi:[0,1]
	v_mov_b32_e32 v47, v22
	v_add_f32_e32 v3, v21, v3
	v_pk_add_f32 v[22:23], v[48:49], v[46:47] neg_lo:[0,1] neg_hi:[0,1]
	v_add_f32_e32 v3, v3, v23
	v_add_f32_e32 v3, v22, v3
	;; [unrolled: 1-line block ×4, first 2 shown]
	v_sub_f32_e32 v22, v21, v52
	v_mul_f32_e32 v3, v51, v3
	v_sub_f32_e32 v22, v53, v22
	v_add_f32_e32 v23, v22, v3
	v_add_f32_e32 v24, v21, v23
	v_cvt_f32_i32_e32 v22, v16
	v_mul_f32_e32 v46, v24, v24
	v_mov_b32_e32 v3, 0x3ecc95a3
	v_fmac_f32_e32 v3, 0x3e9b6dac, v46
	v_sub_f32_e32 v16, v24, v21
	v_fma_f32 v3, v46, v3, v28
	v_sub_f32_e32 v16, v23, v16
	v_mul_f32_e32 v23, v24, v46
	v_pk_mul_f32 v[46:47], v[22:23], v[2:3]
	v_ldexp_f32 v25, v24, 1
	v_fma_f32 v24, v22, s48, -v46
	v_fmac_f32_e32 v24, 0xb102e308, v22
	v_pk_add_f32 v[22:23], v[46:47], v[24:25]
	v_sub_f32_e32 v3, v23, v25
	v_ldexp_f32 v16, v16, 1
	v_sub_f32_e32 v3, v47, v3
	v_add_f32_e32 v49, v16, v3
	v_mov_b32_e32 v48, v46
	v_pk_add_f32 v[46:47], v[22:23], v[46:47] neg_lo:[0,1] neg_hi:[0,1]
	v_pk_add_f32 v[50:51], v[22:23], v[48:49]
	v_mov_b32_e32 v47, v51
	v_mov_b32_e32 v25, v22
	v_pk_add_f32 v[52:53], v[24:25], v[46:47] neg_lo:[0,1] neg_hi:[0,1]
	v_pk_add_f32 v[24:25], v[24:25], v[46:47]
	v_mov_b32_e32 v16, v25
	v_pk_add_f32 v[46:47], v[16:17], v[22:23] neg_lo:[0,1] neg_hi:[0,1]
	v_mov_b32_e32 v3, v46
	v_pk_add_f32 v[54:55], v[50:51], v[2:3] neg_lo:[0,1] neg_hi:[0,1]
	v_mov_b32_e32 v24, v51
	v_mov_b32_e32 v50, v23
	;; [unrolled: 1-line block ×4, first 2 shown]
	v_pk_add_f32 v[24:25], v[24:25], v[50:51] neg_lo:[0,1] neg_hi:[0,1]
	v_mov_b32_e32 v46, v49
	v_mov_b32_e32 v47, v22
	v_pk_add_f32 v[22:23], v[46:47], v[24:25] neg_lo:[0,1] neg_hi:[0,1]
	v_mov_b32_e32 v54, v52
	v_pk_add_f32 v[24:25], v[54:55], v[22:23]
	v_mov_b32_e32 v46, v25
	v_pk_add_f32 v[46:47], v[24:25], v[46:47]
	v_pk_add_f32 v[48:49], v[16:17], v[46:47]
	v_mov_b32_e32 v25, v48
	v_pk_add_f32 v[50:51], v[24:25], v[52:53] neg_lo:[0,1] neg_hi:[0,1]
	v_mov_b32_e32 v23, v46
	v_sub_f32_e32 v3, v24, v50
	v_pk_add_f32 v[22:23], v[22:23], v[50:51] neg_lo:[0,1] neg_hi:[0,1]
	v_sub_f32_e32 v3, v52, v3
	v_add_f32_e32 v3, v22, v3
	v_add_f32_e32 v3, v3, v23
	;; [unrolled: 1-line block ×3, first 2 shown]
	v_cmp_eq_f32_e32 vcc, s49, v20
	v_cndmask_b32_e32 v3, v3, v20, vcc
	v_cmp_ngt_f32_e32 vcc, -1.0, v20
	v_cndmask_b32_e32 v3, v35, v3, vcc
	v_cmp_neq_f32_e32 vcc, -1.0, v20
	v_cndmask_b32_e32 v3, v36, v3, vcc
	v_cmp_lt_f32_e64 vcc, |v20|, s50
	v_cndmask_b32_e32 v3, v3, v20, vcc
	v_mul_f32_e32 v16, 0.5, v3
	v_max_f32_e64 v3, |v9|, |v9|
	v_max_f32_e64 v20, |v8|, |v8|
	v_min_f32_e32 v21, v20, v3
	v_max_f32_e32 v3, v20, v3
	v_frexp_mant_f32_e32 v20, v3
	v_rcp_f32_e32 v20, v20
	v_frexp_exp_i32_f32_e32 v3, v3
	v_frexp_exp_i32_f32_e32 v22, v21
	v_frexp_mant_f32_e32 v21, v21
	v_mul_f32_e32 v20, v21, v20
	v_sub_u32_e32 v3, v22, v3
	v_ldexp_f32 v3, v20, v3
	v_mul_f32_e32 v20, v3, v3
	v_mov_b32_e32 v21, 0xbc7a590c
	v_fmac_f32_e32 v21, 0x3b2d2a58, v20
	v_fma_f32 v21, v20, v21, v29
	v_fma_f32 v21, v20, v21, v30
	;; [unrolled: 1-line block ×6, first 2 shown]
	v_mul_f32_e32 v20, v20, v21
	v_fmac_f32_e32 v3, v3, v20
	v_sub_f32_e32 v20, 0x3fc90fdb, v3
	v_cndmask_b32_e64 v3, v3, v20, s[10:11]
	v_sub_f32_e32 v20, 0x40490fdb, v3
	v_cmp_gt_f32_e32 vcc, 0, v8
	v_cmp_gt_i32_e64 s[12:13], 0, v8
	v_cndmask_b32_e32 v3, v3, v20, vcc
	v_cndmask_b32_e64 v20, 0, v37, s[12:13]
	v_cmp_eq_f32_e64 s[12:13], 0, v9
	v_cndmask_b32_e64 v3, v3, v20, s[12:13]
	v_cmp_class_f32_e64 s[12:13], v8, s51
	v_cmp_class_f32_e64 s[36:37], v9, s51
	v_cndmask_b32_e32 v20, v38, v39, vcc
	s_and_b64 vcc, s[36:37], s[12:13]
	v_cndmask_b32_e32 v46, v3, v20, vcc
.LBB187_93:                             ;   in Loop: Header=BB187_4 Depth=1
	s_or_b64 exec, exec, s[34:35]
.LBB187_94:                             ;   in Loop: Header=BB187_4 Depth=1
	s_or_b64 exec, exec, s[30:31]
.LBB187_95:                             ;   in Loop: Header=BB187_4 Depth=1
	s_andn2_saveexec_b64 s[28:29], s[28:29]
	s_cbranch_execz .LBB187_97
; %bb.96:                               ;   in Loop: Header=BB187_4 Depth=1
	v_max_f32_e64 v3, |v9|, |v9|
	v_max_f32_e64 v22, |v8|, |v8|
	v_max_f32_e32 v23, v22, v3
	v_cvt_f64_f32_e32 v[20:21], v23
	v_frexp_exp_i32_f64_e32 v16, v[20:21]
	v_sub_u32_e32 v20, 0, v16
	v_ldexp_f32 v21, |v8|, v20
	v_ldexp_f32 v20, |v9|, v20
	v_mul_f32_e32 v20, v20, v20
	v_fmac_f32_e32 v20, v21, v21
	v_sqrt_f32_e32 v20, v20
	v_cmp_neq_f32_e32 vcc, s49, v23
	v_min_f32_e32 v3, v22, v3
	v_frexp_exp_i32_f32_e32 v22, v3
	v_ldexp_f32 v16, v20, v16
	v_cndmask_b32_e32 v16, v42, v16, vcc
	v_cmp_gt_f32_e32 vcc, s53, v16
	v_cndmask_b32_e32 v20, 1.0, v40, vcc
	v_mul_f32_e32 v16, v16, v20
	v_log_f32_e32 v16, v16
	v_cndmask_b32_e32 v20, 0, v41, vcc
	v_frexp_mant_f32_e32 v3, v3
	v_cmp_gt_i32_e64 s[12:13], 0, v8
	v_mul_f32_e32 v21, 0x3f317217, v16
	v_fma_f32 v24, v16, s54, -v21
	v_fmac_f32_e32 v24, 0x3377d1cf, v16
	v_add_f32_e32 v21, v21, v24
	v_cmp_lt_f32_e64 vcc, |v16|, s49
	v_cndmask_b32_e32 v16, v16, v21, vcc
	v_sub_f32_e32 v16, v16, v20
	v_frexp_mant_f32_e32 v20, v23
	v_rcp_f32_e32 v20, v20
	v_frexp_exp_i32_f32_e32 v21, v23
	v_cmp_gt_f32_e32 vcc, 0, v8
	v_cmp_class_f32_e64 s[30:31], v9, s51
	v_mul_f32_e32 v3, v3, v20
	v_sub_u32_e32 v20, v22, v21
	v_ldexp_f32 v3, v3, v20
	v_mul_f32_e32 v20, v3, v3
	v_mov_b32_e32 v21, 0xbc7a590c
	v_fmac_f32_e32 v21, 0x3b2d2a58, v20
	v_fma_f32 v21, v20, v21, v29
	v_fma_f32 v21, v20, v21, v30
	;; [unrolled: 1-line block ×6, first 2 shown]
	v_mul_f32_e32 v20, v20, v21
	v_fmac_f32_e32 v3, v3, v20
	v_sub_f32_e32 v20, 0x3fc90fdb, v3
	v_cndmask_b32_e64 v3, v3, v20, s[10:11]
	v_sub_f32_e32 v20, 0x40490fdb, v3
	v_cndmask_b32_e32 v3, v3, v20, vcc
	v_cndmask_b32_e64 v20, 0, v37, s[12:13]
	v_cmp_eq_f32_e64 s[12:13], 0, v9
	v_cndmask_b32_e64 v3, v3, v20, s[12:13]
	v_cmp_class_f32_e64 s[12:13], v8, s51
	v_cndmask_b32_e32 v20, v38, v39, vcc
	s_and_b64 vcc, s[30:31], s[12:13]
	v_cndmask_b32_e32 v46, v3, v20, vcc
.LBB187_97:                             ;   in Loop: Header=BB187_4 Depth=1
	s_or_b64 exec, exec, s[28:29]
                                        ; implicit-def: $vgpr20
.LBB187_98:                             ;   in Loop: Header=BB187_4 Depth=1
	s_andn2_saveexec_b64 s[26:27], s[26:27]
	s_cbranch_execz .LBB187_104
; %bb.99:                               ;   in Loop: Header=BB187_4 Depth=1
	v_cmp_ngt_f32_e32 vcc, s55, v20
                                        ; implicit-def: $vgpr16
                                        ; implicit-def: $vgpr46
	s_and_saveexec_b64 s[12:13], vcc
	s_xor_b64 s[28:29], exec, s[12:13]
	s_cbranch_execz .LBB187_101
; %bb.100:                              ;   in Loop: Header=BB187_4 Depth=1
	v_pk_mul_f32 v[20:21], v[20:21], v[20:21]
	v_add_f32_e32 v23, 1.0, v20
	v_add_f32_e32 v21, -1.0, v23
	v_mov_b32_e32 v22, v21
	v_pk_add_f32 v[24:25], v[20:21], v[22:23] neg_lo:[0,1] neg_hi:[0,1]
	v_add_f32_e32 v3, 1.0, v25
	v_add_f32_e32 v3, v24, v3
	v_frexp_mant_f32_e32 v16, v23
	v_cvt_f64_f32_e32 v[24:25], v23
	v_frexp_exp_i32_f64_e32 v21, v[24:25]
	v_cmp_gt_f32_e32 vcc, s47, v16
	v_subbrev_co_u32_e32 v16, vcc, 0, v21, vcc
	v_sub_u32_e32 v21, 0, v16
	v_ldexp_f32 v22, v23, v21
	v_ldexp_f32 v3, v3, v21
	v_add_f32_e32 v21, -1.0, v22
	v_add_f32_e32 v23, 1.0, v21
	v_sub_f32_e32 v23, v22, v23
	v_add_f32_e32 v24, v3, v23
	v_add_f32_e32 v23, 1.0, v22
	v_add_f32_e32 v25, -1.0, v23
	v_sub_f32_e32 v22, v22, v25
	v_add_f32_e32 v3, v3, v22
	v_add_f32_e32 v50, v23, v3
	v_rcp_f32_e32 v51, v50
	v_sub_f32_e32 v22, v23, v50
	v_add_f32_e32 v23, v21, v24
	v_sub_f32_e32 v21, v21, v23
	v_mul_f32_e32 v52, v23, v51
	v_add_f32_e32 v21, v24, v21
	v_mul_f32_e32 v24, v50, v52
	v_add_f32_e32 v3, v3, v22
	v_fma_f32 v46, v52, v50, -v24
	v_fmac_f32_e32 v46, v52, v3
	v_add_f32_e32 v22, v24, v46
	v_sub_f32_e32 v25, v23, v22
	v_pk_add_f32 v[48:49], v[22:23], v[24:25] neg_lo:[0,1] neg_hi:[0,1]
	v_mov_b32_e32 v47, v22
	v_pk_add_f32 v[22:23], v[48:49], v[46:47] neg_lo:[0,1] neg_hi:[0,1]
	v_add_f32_e32 v21, v21, v23
	v_add_f32_e32 v21, v22, v21
	;; [unrolled: 1-line block ×3, first 2 shown]
	v_mul_f32_e32 v53, v51, v23
	v_mul_f32_e32 v24, v50, v53
	v_fma_f32 v46, v53, v50, -v24
	v_fmac_f32_e32 v46, v53, v3
	v_add_f32_e32 v22, v24, v46
	v_sub_f32_e32 v3, v25, v23
	v_sub_f32_e32 v25, v23, v22
	v_pk_add_f32 v[48:49], v[22:23], v[24:25] neg_lo:[0,1] neg_hi:[0,1]
	v_mov_b32_e32 v47, v22
	v_add_f32_e32 v3, v21, v3
	v_pk_add_f32 v[22:23], v[48:49], v[46:47] neg_lo:[0,1] neg_hi:[0,1]
	v_add_f32_e32 v3, v3, v23
	v_add_f32_e32 v3, v22, v3
	;; [unrolled: 1-line block ×4, first 2 shown]
	v_sub_f32_e32 v22, v21, v52
	v_mul_f32_e32 v3, v51, v3
	v_sub_f32_e32 v22, v53, v22
	v_add_f32_e32 v23, v22, v3
	v_add_f32_e32 v24, v21, v23
	v_cvt_f32_i32_e32 v22, v16
	v_mul_f32_e32 v46, v24, v24
	v_mov_b32_e32 v3, 0x3ecc95a3
	v_fmac_f32_e32 v3, 0x3e9b6dac, v46
	v_sub_f32_e32 v16, v24, v21
	v_fma_f32 v3, v46, v3, v28
	v_sub_f32_e32 v16, v23, v16
	v_mul_f32_e32 v23, v24, v46
	v_pk_mul_f32 v[46:47], v[22:23], v[2:3]
	v_ldexp_f32 v25, v24, 1
	v_fma_f32 v24, v22, s48, -v46
	v_fmac_f32_e32 v24, 0xb102e308, v22
	v_pk_add_f32 v[22:23], v[46:47], v[24:25]
	v_sub_f32_e32 v3, v23, v25
	v_ldexp_f32 v16, v16, 1
	v_sub_f32_e32 v3, v47, v3
	v_add_f32_e32 v49, v16, v3
	v_mov_b32_e32 v48, v46
	v_pk_add_f32 v[46:47], v[22:23], v[46:47] neg_lo:[0,1] neg_hi:[0,1]
	v_pk_add_f32 v[50:51], v[22:23], v[48:49]
	v_mov_b32_e32 v47, v51
	v_mov_b32_e32 v25, v22
	v_pk_add_f32 v[52:53], v[24:25], v[46:47] neg_lo:[0,1] neg_hi:[0,1]
	v_pk_add_f32 v[24:25], v[24:25], v[46:47]
	v_mov_b32_e32 v16, v25
	v_pk_add_f32 v[46:47], v[16:17], v[22:23] neg_lo:[0,1] neg_hi:[0,1]
	v_mov_b32_e32 v3, v46
	v_pk_add_f32 v[54:55], v[50:51], v[2:3] neg_lo:[0,1] neg_hi:[0,1]
	v_mov_b32_e32 v24, v51
	v_mov_b32_e32 v50, v23
	;; [unrolled: 1-line block ×4, first 2 shown]
	v_pk_add_f32 v[24:25], v[24:25], v[50:51] neg_lo:[0,1] neg_hi:[0,1]
	v_mov_b32_e32 v46, v49
	v_mov_b32_e32 v47, v22
	v_pk_add_f32 v[22:23], v[46:47], v[24:25] neg_lo:[0,1] neg_hi:[0,1]
	v_mov_b32_e32 v54, v52
	v_pk_add_f32 v[24:25], v[54:55], v[22:23]
	v_mov_b32_e32 v46, v25
	v_pk_add_f32 v[46:47], v[24:25], v[46:47]
	v_pk_add_f32 v[48:49], v[16:17], v[46:47]
	v_mov_b32_e32 v25, v48
	v_pk_add_f32 v[50:51], v[24:25], v[52:53] neg_lo:[0,1] neg_hi:[0,1]
	v_mov_b32_e32 v23, v46
	v_sub_f32_e32 v3, v24, v50
	v_pk_add_f32 v[22:23], v[22:23], v[50:51] neg_lo:[0,1] neg_hi:[0,1]
	v_sub_f32_e32 v3, v52, v3
	v_add_f32_e32 v3, v22, v3
	v_add_f32_e32 v3, v3, v23
	v_cmp_eq_f32_e32 vcc, s49, v20
	v_cmp_lt_f32_e64 s[12:13], |v20|, s50
	v_add_f32_e32 v3, v48, v3
	s_or_b64 vcc, vcc, s[12:13]
	v_cndmask_b32_e32 v3, v3, v20, vcc
	v_mul_f32_e32 v16, 0.5, v3
	v_max_f32_e64 v3, |v9|, |v9|
	v_max_f32_e64 v20, |v8|, |v8|
	v_min_f32_e32 v21, v20, v3
	v_max_f32_e32 v3, v20, v3
	v_frexp_mant_f32_e32 v20, v3
	v_rcp_f32_e32 v20, v20
	v_frexp_exp_i32_f32_e32 v3, v3
	v_frexp_exp_i32_f32_e32 v22, v21
	v_frexp_mant_f32_e32 v21, v21
	v_mul_f32_e32 v20, v21, v20
	v_sub_u32_e32 v3, v22, v3
	v_ldexp_f32 v3, v20, v3
	v_mul_f32_e32 v20, v3, v3
	v_mov_b32_e32 v21, 0xbc7a590c
	v_fmac_f32_e32 v21, 0x3b2d2a58, v20
	v_fma_f32 v21, v20, v21, v29
	v_fma_f32 v21, v20, v21, v30
	;; [unrolled: 1-line block ×6, first 2 shown]
	v_mul_f32_e32 v20, v20, v21
	v_fmac_f32_e32 v3, v3, v20
	v_sub_f32_e32 v20, 0x3fc90fdb, v3
	v_cndmask_b32_e64 v3, v3, v20, s[10:11]
	v_sub_f32_e32 v20, 0x40490fdb, v3
	v_cmp_gt_f32_e32 vcc, 0, v8
	v_cmp_gt_i32_e64 s[12:13], 0, v8
	v_cndmask_b32_e32 v3, v3, v20, vcc
	v_cndmask_b32_e64 v20, 0, v37, s[12:13]
	v_cmp_eq_f32_e64 s[12:13], 0, v9
	v_cndmask_b32_e64 v3, v3, v20, s[12:13]
	v_cmp_class_f32_e64 s[12:13], v8, s51
	v_cmp_class_f32_e64 s[30:31], v9, s51
	v_cndmask_b32_e32 v20, v38, v39, vcc
	s_and_b64 vcc, s[30:31], s[12:13]
	v_cndmask_b32_e32 v46, v3, v20, vcc
                                        ; implicit-def: $vgpr20
.LBB187_101:                            ;   in Loop: Header=BB187_4 Depth=1
	s_andn2_saveexec_b64 s[28:29], s[28:29]
	s_cbranch_execz .LBB187_103
; %bb.102:                              ;   in Loop: Header=BB187_4 Depth=1
	v_mul_f32_e32 v3, 0.5, v20
	v_mul_f32_e32 v16, v20, v3
	v_max_f32_e64 v3, |v9|, |v9|
	v_max_f32_e64 v20, |v8|, |v8|
	v_min_f32_e32 v21, v20, v3
	v_max_f32_e32 v3, v20, v3
	v_frexp_mant_f32_e32 v20, v3
	v_rcp_f32_e32 v20, v20
	v_frexp_exp_i32_f32_e32 v3, v3
	v_frexp_exp_i32_f32_e32 v22, v21
	v_frexp_mant_f32_e32 v21, v21
	v_mul_f32_e32 v20, v21, v20
	v_sub_u32_e32 v3, v22, v3
	v_ldexp_f32 v3, v20, v3
	v_mul_f32_e32 v20, v3, v3
	v_mov_b32_e32 v21, 0xbc7a590c
	v_fmac_f32_e32 v21, 0x3b2d2a58, v20
	v_fma_f32 v21, v20, v21, v29
	v_fma_f32 v21, v20, v21, v30
	;; [unrolled: 1-line block ×6, first 2 shown]
	v_mul_f32_e32 v20, v20, v21
	v_fmac_f32_e32 v3, v3, v20
	v_sub_f32_e32 v20, 0x3fc90fdb, v3
	v_cndmask_b32_e64 v3, v3, v20, s[10:11]
	v_sub_f32_e32 v20, 0x40490fdb, v3
	v_cmp_gt_f32_e32 vcc, 0, v8
	v_cmp_gt_i32_e64 s[12:13], 0, v8
	v_cndmask_b32_e32 v3, v3, v20, vcc
	v_cndmask_b32_e64 v20, 0, v37, s[12:13]
	v_cmp_eq_f32_e64 s[12:13], 0, v9
	v_cndmask_b32_e64 v3, v3, v20, s[12:13]
	v_cmp_class_f32_e64 s[12:13], v8, s51
	v_cmp_class_f32_e64 s[30:31], v9, s51
	v_cndmask_b32_e32 v20, v38, v39, vcc
	s_and_b64 vcc, s[30:31], s[12:13]
	v_cndmask_b32_e32 v46, v3, v20, vcc
.LBB187_103:                            ;   in Loop: Header=BB187_4 Depth=1
	s_or_b64 exec, exec, s[28:29]
.LBB187_104:                            ;   in Loop: Header=BB187_4 Depth=1
	s_or_b64 exec, exec, s[26:27]
.LBB187_105:                            ;   in Loop: Header=BB187_4 Depth=1
	s_andn2_saveexec_b64 s[24:25], s[24:25]
	s_cbranch_execz .LBB187_107
; %bb.106:                              ;   in Loop: Header=BB187_4 Depth=1
	v_div_scale_f32 v3, s[12:13], s56, s56, v8
	v_rcp_f32_e32 v16, v3
	v_div_scale_f32 v20, vcc, v8, s56, v8
	v_fma_f32 v21, -v3, v16, 1.0
	v_fmac_f32_e32 v16, v21, v16
	v_mul_f32_e32 v21, v20, v16
	v_fma_f32 v22, -v3, v21, v20
	v_fmac_f32_e32 v21, v22, v16
	v_fma_f32 v3, -v3, v21, v20
	v_div_scale_f32 v20, s[12:13], s56, s56, v9
	v_rcp_f32_e32 v22, v20
	v_div_fmas_f32 v3, v3, v16, v21
	v_div_fixup_f32 v3, v3, s56, v8
	v_fma_f32 v16, -v20, v22, 1.0
	v_fmac_f32_e32 v22, v16, v22
	v_div_scale_f32 v16, vcc, v9, s56, v9
	v_mul_f32_e32 v21, v16, v22
	v_fma_f32 v23, -v20, v21, v16
	v_fmac_f32_e32 v21, v23, v22
	v_fma_f32 v16, -v20, v21, v16
	v_div_fmas_f32 v16, v16, v22, v21
	v_div_fixup_f32 v16, v16, s56, v9
	v_max_f32_e64 v22, |v3|, |v16|
	v_cvt_f64_f32_e32 v[20:21], v22
	v_frexp_exp_i32_f64_e32 v20, v[20:21]
	v_sub_u32_e32 v21, 0, v20
	v_ldexp_f32 v16, |v16|, v21
	v_ldexp_f32 v3, |v3|, v21
	v_mul_f32_e32 v16, v16, v16
	v_fmac_f32_e32 v16, v3, v3
	v_sqrt_f32_e32 v3, v16
	v_cmp_neq_f32_e32 vcc, s49, v22
	v_ldexp_f32 v3, v3, v20
	v_cndmask_b32_e32 v3, v42, v3, vcc
	v_cmp_gt_f32_e32 vcc, s53, v3
	v_cndmask_b32_e32 v16, 1.0, v40, vcc
	v_mul_f32_e32 v3, v3, v16
	v_log_f32_e32 v3, v3
	v_mul_f32_e32 v16, 0x3f317217, v3
	v_fma_f32 v20, v3, s54, -v16
	v_fmac_f32_e32 v20, 0x3377d1cf, v3
	v_add_f32_e32 v16, v16, v20
	v_cmp_lt_f32_e64 s[12:13], |v3|, s49
	v_cndmask_b32_e64 v3, v3, v16, s[12:13]
	v_cndmask_b32_e32 v16, 0, v41, vcc
	v_sub_f32_e32 v3, v3, v16
	v_add_f32_e32 v16, 1.0, v3
	v_max_f32_e64 v3, |v9|, |v9|
	v_max_f32_e64 v20, |v8|, |v8|
	v_min_f32_e32 v21, v20, v3
	v_max_f32_e32 v3, v20, v3
	v_frexp_mant_f32_e32 v20, v3
	v_rcp_f32_e32 v20, v20
	v_frexp_exp_i32_f32_e32 v3, v3
	v_frexp_exp_i32_f32_e32 v22, v21
	v_frexp_mant_f32_e32 v21, v21
	v_mul_f32_e32 v20, v21, v20
	v_sub_u32_e32 v3, v22, v3
	v_ldexp_f32 v3, v20, v3
	v_mul_f32_e32 v20, v3, v3
	v_mov_b32_e32 v21, 0xbc7a590c
	v_fmac_f32_e32 v21, 0x3b2d2a58, v20
	v_fma_f32 v21, v20, v21, v29
	v_fma_f32 v21, v20, v21, v30
	;; [unrolled: 1-line block ×6, first 2 shown]
	v_mul_f32_e32 v20, v20, v21
	v_fmac_f32_e32 v3, v3, v20
	v_sub_f32_e32 v20, 0x3fc90fdb, v3
	v_cndmask_b32_e64 v3, v3, v20, s[10:11]
	v_sub_f32_e32 v20, 0x40490fdb, v3
	v_cmp_gt_f32_e32 vcc, 0, v8
	v_cmp_gt_i32_e64 s[10:11], 0, v8
	v_cndmask_b32_e32 v3, v3, v20, vcc
	v_cndmask_b32_e64 v20, 0, v37, s[10:11]
	v_cmp_eq_f32_e64 s[10:11], 0, v9
	v_cndmask_b32_e64 v3, v3, v20, s[10:11]
	v_cmp_class_f32_e64 s[10:11], v8, s51
	v_cmp_class_f32_e64 s[12:13], v9, s51
	v_cndmask_b32_e32 v20, v38, v39, vcc
	s_and_b64 vcc, s[12:13], s[10:11]
	v_cndmask_b32_e32 v46, v3, v20, vcc
.LBB187_107:                            ;   in Loop: Header=BB187_4 Depth=1
	s_or_b64 exec, exec, s[24:25]
.LBB187_108:                            ;   in Loop: Header=BB187_4 Depth=1
	s_andn2_saveexec_b64 s[10:11], s[22:23]
	s_cbranch_execz .LBB187_114
; %bb.109:                              ;   in Loop: Header=BB187_4 Depth=1
	v_cmp_nlt_f32_e64 s[12:13], |v8|, s57
	v_cmp_nlt_f32_e64 s[22:23], |v9|, s57
	s_or_b64 s[12:13], s[22:23], s[12:13]
                                        ; implicit-def: $vgpr3
	s_and_saveexec_b64 s[22:23], s[12:13]
	s_xor_b64 s[12:13], exec, s[22:23]
; %bb.110:                              ;   in Loop: Header=BB187_4 Depth=1
	v_pk_mul_f32 v[20:21], v[8:9], v[8:9]
	v_add_f32_e32 v3, v21, v20
; %bb.111:                              ;   in Loop: Header=BB187_4 Depth=1
	s_andn2_saveexec_b64 s[12:13], s[12:13]
; %bb.112:                              ;   in Loop: Header=BB187_4 Depth=1
	v_pk_mul_f32 v[20:21], v[8:9], 4.0 op_sel_hi:[1,0]
	v_pk_mul_f32 v[20:21], v[20:21], v[20:21]
	v_add_f32_e32 v3, v21, v20
	v_mul_f32_e32 v3, 0x3d800000, v3
; %bb.113:                              ;   in Loop: Header=BB187_4 Depth=1
	s_or_b64 exec, exec, s[12:13]
	v_cmp_gt_f32_e32 vcc, s53, v3
	v_cndmask_b32_e32 v8, 1.0, v40, vcc
	v_mul_f32_e32 v3, v3, v8
	v_log_f32_e32 v3, v3
	v_cndmask_b32_e32 v8, 0, v41, vcc
	v_mov_b32_e32 v46, 0x7fc00000
	v_mul_f32_e32 v16, 0x3f317217, v3
	v_fma_f32 v20, v3, s54, -v16
	v_fmac_f32_e32 v20, 0x3377d1cf, v3
	v_add_f32_e32 v16, v16, v20
	v_cmp_lt_f32_e64 vcc, |v3|, s49
	v_cndmask_b32_e32 v3, v3, v16, vcc
	v_sub_f32_e32 v16, v3, v8
.LBB187_114:                            ;   in Loop: Header=BB187_4 Depth=1
	s_or_b64 exec, exec, s[10:11]
	v_cmp_o_f32_e32 vcc, v13, v12
                                        ; implicit-def: $vgpr3
                                        ; implicit-def: $vgpr8
	s_and_saveexec_b64 s[10:11], vcc
	s_xor_b64 s[22:23], exec, s[10:11]
	s_cbranch_execnz .LBB187_120
; %bb.115:                              ;   in Loop: Header=BB187_4 Depth=1
	s_andn2_saveexec_b64 s[10:11], s[22:23]
	s_cbranch_execnz .LBB187_147
.LBB187_116:                            ;   in Loop: Header=BB187_4 Depth=1
	s_or_b64 exec, exec, s[10:11]
	s_and_saveexec_b64 s[10:11], s[8:9]
	s_xor_b64 s[8:9], exec, s[10:11]
	s_cbranch_execnz .LBB187_152
.LBB187_117:                            ;   in Loop: Header=BB187_4 Depth=1
	s_or_b64 exec, exec, s[8:9]
	s_and_saveexec_b64 s[8:9], s[6:7]
	s_cbranch_execnz .LBB187_153
.LBB187_118:                            ;   in Loop: Header=BB187_4 Depth=1
	s_or_b64 exec, exec, s[8:9]
	s_and_saveexec_b64 s[6:7], s[2:3]
	s_cbranch_execnz .LBB187_154
.LBB187_119:                            ;   in Loop: Header=BB187_4 Depth=1
	s_or_b64 exec, exec, s[6:7]
	s_and_saveexec_b64 s[2:3], s[0:1]
	s_cbranch_execz .LBB187_3
	s_branch .LBB187_155
.LBB187_120:                            ;   in Loop: Header=BB187_4 Depth=1
	v_cmp_lt_f32_e64 s[10:11], |v12|, |v13|
	v_cndmask_b32_e64 v20, v13, v12, s[10:11]
	v_cmp_ngt_f32_e64 s[12:13], |v20|, s44
                                        ; implicit-def: $vgpr3
                                        ; implicit-def: $vgpr8
	s_and_saveexec_b64 s[24:25], s[12:13]
	s_xor_b64 s[24:25], exec, s[24:25]
	s_cbranch_execz .LBB187_144
; %bb.121:                              ;   in Loop: Header=BB187_4 Depth=1
	v_cndmask_b32_e64 v3, v12, v13, s[10:11]
	v_and_b32_e32 v21, 0x7fffffff, v3
	v_and_b32_e32 v20, 0x7fffffff, v20
	v_cmp_neq_f32_e32 vcc, 1.0, v21
                                        ; implicit-def: $vgpr3
                                        ; implicit-def: $vgpr8
	s_and_saveexec_b64 s[12:13], vcc
	s_xor_b64 s[26:27], exec, s[12:13]
	s_cbranch_execz .LBB187_137
; %bb.122:                              ;   in Loop: Header=BB187_4 Depth=1
	v_max_f32_e32 v3, v20, v20
	v_max_f32_e32 v8, v21, v21
	v_min_f32_e32 v22, v8, v3
	v_max_f32_e32 v3, v8, v3
	v_cmp_ngt_f32_e32 vcc, s45, v22
	v_cmp_nlt_f32_e64 s[12:13], s46, v3
	s_and_b64 s[12:13], s[12:13], vcc
                                        ; implicit-def: $vgpr3
                                        ; implicit-def: $vgpr8
	s_and_saveexec_b64 s[28:29], s[12:13]
	s_xor_b64 s[28:29], exec, s[28:29]
	s_cbranch_execz .LBB187_134
; %bb.123:                              ;   in Loop: Header=BB187_4 Depth=1
	v_cmp_le_f32_e32 vcc, 1.0, v21
                                        ; implicit-def: $vgpr3
                                        ; implicit-def: $vgpr8
	s_and_saveexec_b64 s[12:13], vcc
	s_xor_b64 s[30:31], exec, s[12:13]
	s_cbranch_execz .LBB187_125
; %bb.124:                              ;   in Loop: Header=BB187_4 Depth=1
	v_pk_add_f32 v[22:23], v[20:21], s[20:21] op_sel:[1,0]
	v_mov_b32_e32 v8, v23
	v_pk_mul_f32 v[22:23], v[22:23], v[8:9]
	v_pk_fma_f32 v[20:21], v[20:21], v[20:21], v[22:23]
	v_add_f32_e32 v23, 1.0, v20
	v_add_f32_e32 v21, -1.0, v23
	v_mov_b32_e32 v22, v21
	v_pk_add_f32 v[24:25], v[20:21], v[22:23] neg_lo:[0,1] neg_hi:[0,1]
	v_add_f32_e32 v3, 1.0, v25
	v_add_f32_e32 v3, v24, v3
	v_frexp_mant_f32_e32 v8, v23
	v_cvt_f64_f32_e32 v[24:25], v23
	v_frexp_exp_i32_f64_e32 v21, v[24:25]
	v_cmp_gt_f32_e32 vcc, s47, v8
	v_subbrev_co_u32_e32 v8, vcc, 0, v21, vcc
	v_sub_u32_e32 v21, 0, v8
	v_ldexp_f32 v22, v23, v21
	v_ldexp_f32 v3, v3, v21
	v_add_f32_e32 v21, -1.0, v22
	v_add_f32_e32 v23, 1.0, v21
	v_sub_f32_e32 v23, v22, v23
	v_add_f32_e32 v24, v3, v23
	v_add_f32_e32 v23, 1.0, v22
	v_add_f32_e32 v25, -1.0, v23
	v_sub_f32_e32 v22, v22, v25
	v_add_f32_e32 v3, v3, v22
	v_add_f32_e32 v47, v23, v3
	v_rcp_f32_e32 v52, v47
	v_sub_f32_e32 v22, v47, v23
	v_add_f32_e32 v23, v21, v24
	v_sub_f32_e32 v21, v23, v21
	v_mul_f32_e32 v53, v23, v52
	v_sub_f32_e32 v21, v24, v21
	v_mul_f32_e32 v24, v47, v53
	v_sub_f32_e32 v3, v3, v22
	v_fma_f32 v48, v53, v47, -v24
	v_fmac_f32_e32 v48, v53, v3
	v_add_f32_e32 v22, v24, v48
	v_sub_f32_e32 v25, v23, v22
	v_pk_add_f32 v[50:51], v[22:23], v[24:25] neg_lo:[0,1] neg_hi:[0,1]
	v_mov_b32_e32 v49, v22
	v_pk_add_f32 v[22:23], v[50:51], v[48:49] neg_lo:[0,1] neg_hi:[0,1]
	v_add_f32_e32 v21, v21, v23
	v_add_f32_e32 v21, v22, v21
	;; [unrolled: 1-line block ×3, first 2 shown]
	v_mul_f32_e32 v54, v52, v23
	v_mul_f32_e32 v24, v47, v54
	v_fma_f32 v48, v54, v47, -v24
	v_fmac_f32_e32 v48, v54, v3
	v_add_f32_e32 v22, v24, v48
	v_sub_f32_e32 v3, v25, v23
	v_sub_f32_e32 v25, v23, v22
	v_pk_add_f32 v[50:51], v[22:23], v[24:25] neg_lo:[0,1] neg_hi:[0,1]
	v_mov_b32_e32 v49, v22
	v_add_f32_e32 v3, v21, v3
	v_pk_add_f32 v[22:23], v[50:51], v[48:49] neg_lo:[0,1] neg_hi:[0,1]
	v_add_f32_e32 v3, v3, v23
	v_add_f32_e32 v3, v22, v3
	;; [unrolled: 1-line block ×4, first 2 shown]
	v_sub_f32_e32 v22, v21, v53
	v_mul_f32_e32 v3, v52, v3
	v_sub_f32_e32 v22, v54, v22
	v_add_f32_e32 v23, v22, v3
	v_add_f32_e32 v24, v21, v23
	v_cvt_f32_i32_e32 v22, v8
	v_mul_f32_e32 v47, v24, v24
	v_mov_b32_e32 v3, 0x3ecc95a3
	v_fmac_f32_e32 v3, 0x3e9b6dac, v47
	v_sub_f32_e32 v8, v24, v21
	v_fma_f32 v3, v47, v3, v28
	v_sub_f32_e32 v8, v23, v8
	v_mul_f32_e32 v23, v24, v47
	v_pk_mul_f32 v[48:49], v[22:23], v[2:3]
	v_ldexp_f32 v25, v24, 1
	v_fma_f32 v24, v22, s48, -v48
	v_fmac_f32_e32 v24, 0xb102e308, v22
	v_pk_add_f32 v[22:23], v[48:49], v[24:25]
	v_sub_f32_e32 v3, v23, v25
	v_ldexp_f32 v8, v8, 1
	v_sub_f32_e32 v3, v49, v3
	v_add_f32_e32 v51, v8, v3
	v_mov_b32_e32 v50, v48
	v_pk_add_f32 v[48:49], v[22:23], v[48:49] neg_lo:[0,1] neg_hi:[0,1]
	v_pk_add_f32 v[52:53], v[22:23], v[50:51]
	v_mov_b32_e32 v49, v53
	v_mov_b32_e32 v25, v22
	v_pk_add_f32 v[54:55], v[24:25], v[48:49] neg_lo:[0,1] neg_hi:[0,1]
	v_pk_add_f32 v[24:25], v[24:25], v[48:49]
	v_mov_b32_e32 v8, v25
	v_pk_add_f32 v[48:49], v[8:9], v[22:23] neg_lo:[0,1] neg_hi:[0,1]
	v_mov_b32_e32 v3, v48
	v_pk_add_f32 v[56:57], v[52:53], v[2:3] neg_lo:[0,1] neg_hi:[0,1]
	v_mov_b32_e32 v24, v53
	v_mov_b32_e32 v52, v23
	;; [unrolled: 1-line block ×4, first 2 shown]
	v_pk_add_f32 v[24:25], v[24:25], v[52:53] neg_lo:[0,1] neg_hi:[0,1]
	v_mov_b32_e32 v48, v51
	v_mov_b32_e32 v49, v22
	v_pk_add_f32 v[22:23], v[48:49], v[24:25] neg_lo:[0,1] neg_hi:[0,1]
	v_mov_b32_e32 v56, v54
	v_pk_add_f32 v[24:25], v[56:57], v[22:23]
	v_mov_b32_e32 v48, v25
	v_pk_add_f32 v[48:49], v[24:25], v[48:49]
	v_pk_add_f32 v[50:51], v[8:9], v[48:49]
	v_mov_b32_e32 v25, v50
	v_pk_add_f32 v[52:53], v[24:25], v[54:55] neg_lo:[0,1] neg_hi:[0,1]
	v_mov_b32_e32 v23, v48
	v_sub_f32_e32 v3, v24, v52
	v_pk_add_f32 v[22:23], v[22:23], v[52:53] neg_lo:[0,1] neg_hi:[0,1]
	v_sub_f32_e32 v3, v54, v3
	v_add_f32_e32 v3, v22, v3
	v_add_f32_e32 v3, v3, v23
	;; [unrolled: 1-line block ×3, first 2 shown]
	v_cmp_eq_f32_e32 vcc, s49, v20
	v_cndmask_b32_e32 v3, v3, v20, vcc
	v_cmp_ngt_f32_e32 vcc, -1.0, v20
	v_cndmask_b32_e32 v3, v35, v3, vcc
	v_cmp_neq_f32_e32 vcc, -1.0, v20
	v_cndmask_b32_e32 v3, v36, v3, vcc
	v_cmp_lt_f32_e64 vcc, |v20|, s50
	v_cndmask_b32_e32 v3, v3, v20, vcc
	v_max_f32_e64 v8, |v13|, |v13|
	v_max_f32_e64 v20, |v12|, |v12|
	v_min_f32_e32 v21, v20, v8
	v_max_f32_e32 v8, v20, v8
	v_frexp_mant_f32_e32 v20, v8
	v_rcp_f32_e32 v20, v20
	v_frexp_exp_i32_f32_e32 v8, v8
	v_frexp_exp_i32_f32_e32 v22, v21
	v_frexp_mant_f32_e32 v21, v21
	v_mul_f32_e32 v20, v21, v20
	v_sub_u32_e32 v8, v22, v8
	v_ldexp_f32 v8, v20, v8
	v_mul_f32_e32 v20, v8, v8
	v_mov_b32_e32 v21, 0xbc7a590c
	v_fmac_f32_e32 v21, 0x3b2d2a58, v20
	v_fma_f32 v21, v20, v21, v29
	v_fma_f32 v21, v20, v21, v30
	v_fma_f32 v21, v20, v21, v31
	v_fma_f32 v21, v20, v21, v32
	v_fma_f32 v21, v20, v21, v33
	v_fma_f32 v21, v20, v21, v34
	v_mul_f32_e32 v20, v20, v21
	v_fmac_f32_e32 v8, v8, v20
	v_sub_f32_e32 v20, 0x3fc90fdb, v8
	v_cndmask_b32_e64 v8, v8, v20, s[10:11]
	v_sub_f32_e32 v20, 0x40490fdb, v8
	v_cmp_gt_f32_e32 vcc, 0, v12
	v_cmp_gt_i32_e64 s[12:13], 0, v12
	v_cndmask_b32_e32 v8, v8, v20, vcc
	v_cndmask_b32_e64 v20, 0, v37, s[12:13]
	v_cmp_eq_f32_e64 s[12:13], 0, v13
	v_cndmask_b32_e64 v8, v8, v20, s[12:13]
	v_cmp_class_f32_e64 s[12:13], v12, s51
	v_cmp_class_f32_e64 s[34:35], v13, s51
	v_cndmask_b32_e32 v20, v38, v39, vcc
	s_and_b64 vcc, s[34:35], s[12:13]
	v_mul_f32_e32 v3, 0.5, v3
	v_cndmask_b32_e32 v8, v8, v20, vcc
                                        ; implicit-def: $vgpr20_vgpr21
.LBB187_125:                            ;   in Loop: Header=BB187_4 Depth=1
	s_andn2_saveexec_b64 s[30:31], s[30:31]
	s_cbranch_execz .LBB187_133
; %bb.126:                              ;   in Loop: Header=BB187_4 Depth=1
	v_pk_mul_f32 v[22:23], v[20:21], v[20:21]
	v_add_f32_e32 v22, v23, v22
	v_cmp_ge_f32_e32 vcc, s52, v22
                                        ; implicit-def: $vgpr3
                                        ; implicit-def: $vgpr8
	s_and_saveexec_b64 s[12:13], vcc
	s_xor_b64 s[34:35], exec, s[12:13]
	s_cbranch_execz .LBB187_128
; %bb.127:                              ;   in Loop: Header=BB187_4 Depth=1
	v_cmp_gt_f32_e32 vcc, s53, v22
	v_cndmask_b32_e32 v3, 1.0, v40, vcc
	v_mul_f32_e32 v3, v22, v3
	v_log_f32_e32 v3, v3
	v_cndmask_b32_e32 v8, 0, v41, vcc
	v_cmp_gt_i32_e64 s[12:13], 0, v12
	v_cmp_class_f32_e64 s[36:37], v13, s51
	v_mul_f32_e32 v20, 0x3f317217, v3
	v_fma_f32 v21, v3, s54, -v20
	v_fmac_f32_e32 v21, 0x3377d1cf, v3
	v_add_f32_e32 v20, v20, v21
	v_cmp_lt_f32_e64 vcc, |v3|, s49
	v_cndmask_b32_e32 v3, v3, v20, vcc
	v_sub_f32_e32 v3, v3, v8
	v_max_f32_e64 v8, |v13|, |v13|
	v_max_f32_e64 v20, |v12|, |v12|
	v_min_f32_e32 v21, v20, v8
	v_max_f32_e32 v8, v20, v8
	v_frexp_mant_f32_e32 v20, v8
	v_rcp_f32_e32 v20, v20
	v_frexp_exp_i32_f32_e32 v8, v8
	v_frexp_exp_i32_f32_e32 v22, v21
	v_frexp_mant_f32_e32 v21, v21
	v_mul_f32_e32 v20, v21, v20
	v_sub_u32_e32 v8, v22, v8
	v_ldexp_f32 v8, v20, v8
	v_mul_f32_e32 v20, v8, v8
	v_mov_b32_e32 v21, 0xbc7a590c
	v_fmac_f32_e32 v21, 0x3b2d2a58, v20
	v_fma_f32 v21, v20, v21, v29
	v_fma_f32 v21, v20, v21, v30
	;; [unrolled: 1-line block ×6, first 2 shown]
	v_mul_f32_e32 v20, v20, v21
	v_fmac_f32_e32 v8, v8, v20
	v_sub_f32_e32 v20, 0x3fc90fdb, v8
	v_cndmask_b32_e64 v8, v8, v20, s[10:11]
	v_sub_f32_e32 v20, 0x40490fdb, v8
	v_cmp_gt_f32_e32 vcc, 0, v12
	v_cndmask_b32_e32 v8, v8, v20, vcc
	v_cndmask_b32_e64 v20, 0, v37, s[12:13]
	v_cmp_eq_f32_e64 s[12:13], 0, v13
	v_cndmask_b32_e64 v8, v8, v20, s[12:13]
	v_cmp_class_f32_e64 s[12:13], v12, s51
	v_cndmask_b32_e32 v20, v38, v39, vcc
	s_and_b64 vcc, s[36:37], s[12:13]
	v_mul_f32_e32 v3, 0.5, v3
	v_cndmask_b32_e32 v8, v8, v20, vcc
                                        ; implicit-def: $vgpr20_vgpr21
.LBB187_128:                            ;   in Loop: Header=BB187_4 Depth=1
	s_andn2_saveexec_b64 s[34:35], s[34:35]
	s_cbranch_execz .LBB187_132
; %bb.129:                              ;   in Loop: Header=BB187_4 Depth=1
	v_and_b32_e32 v23, 0x7fff0000, v20
	v_and_b32_e32 v22, 0x7fff0000, v21
	v_pk_add_f32 v[20:21], v[20:21], v[22:23] op_sel:[1,0] op_sel_hi:[0,1] neg_lo:[0,1] neg_hi:[0,1]
	v_and_b32_e32 v25, 0xffff0000, v21
	v_and_b32_e32 v24, 0xffff0000, v20
	v_add_f32_e32 v47, v22, v22
	v_pk_add_f32 v[52:53], v[20:21], v[24:25] neg_lo:[0,1] neg_hi:[0,1]
	v_pk_mul_f32 v[20:21], v[22:23], v[22:23]
	v_mul_f32_e32 v8, v47, v24
	v_add_f32_e32 v49, v23, v23
	v_pk_mul_f32 v[22:23], v[24:25], v[24:25]
	v_add_f32_e32 v24, v24, v24
	v_mul_f32_e32 v3, v49, v25
	v_mul_f32_e32 v48, v47, v52
	;; [unrolled: 1-line block ×4, first 2 shown]
	v_add_f32_e32 v24, v25, v25
	v_mul_f32_e32 v50, v24, v53
	v_pk_mul_f32 v[24:25], v[52:53], v[52:53]
	s_mov_b64 s[36:37], 0
.LBB187_130:                            ;   Parent Loop BB187_4 Depth=1
                                        ; =>  This Inner Loop Header: Depth=2
	v_cmp_nlt_f32_e32 vcc, v20, v21
	v_cndmask_b32_e32 v51, v20, v21, vcc
	v_cmp_nlt_f32_e64 s[12:13], v51, v8
	v_cndmask_b32_e64 v52, v51, v8, s[12:13]
	v_cndmask_b32_e32 v20, v21, v20, vcc
	s_and_b64 s[60:61], vcc, s[12:13]
	v_cmp_nlt_f32_e32 vcc, v52, v3
	v_cndmask_b32_e64 v21, v8, v51, s[12:13]
	v_cndmask_b32_e32 v51, v52, v3, vcc
	v_cmp_nlt_f32_e64 s[12:13], v51, v22
	v_cndmask_b32_e32 v8, v3, v52, vcc
	v_cndmask_b32_e64 v52, v51, v22, s[12:13]
	s_and_b64 s[62:63], vcc, s[12:13]
	v_cmp_nlt_f32_e32 vcc, v52, v23
	v_cndmask_b32_e64 v3, v22, v51, s[12:13]
	v_cndmask_b32_e32 v51, v52, v23, vcc
	v_cmp_nlt_f32_e64 s[12:13], v51, v48
	v_cndmask_b32_e32 v22, v23, v52, vcc
	v_cndmask_b32_e64 v52, v51, v48, s[12:13]
	v_cndmask_b32_e64 v23, v48, v51, s[12:13]
	s_and_b64 s[12:13], vcc, s[12:13]
	v_cmp_nlt_f32_e32 vcc, v52, v47
	v_cndmask_b32_e32 v51, v52, v47, vcc
	v_cndmask_b32_e32 v48, v47, v52, vcc
	s_and_b64 s[12:13], s[12:13], vcc
	v_cmp_nlt_f32_e32 vcc, v51, v49
	v_cndmask_b32_e32 v52, v51, v49, vcc
	v_cndmask_b32_e32 v47, v49, v51, vcc
	s_and_b64 s[12:13], s[12:13], vcc
	;; [unrolled: 4-line block ×4, first 2 shown]
	v_cmp_nlt_f32_e32 vcc, v52, v25
	s_and_b64 s[12:13], s[12:13], vcc
	s_and_b64 s[12:13], s[12:13], s[62:63]
	s_and_b64 s[12:13], s[12:13], s[60:61]
	s_and_b64 s[12:13], exec, s[12:13]
	v_cndmask_b32_e32 v24, v25, v52, vcc
	s_or_b64 s[36:37], s[12:13], s[36:37]
	v_cndmask_b32_e32 v25, v52, v25, vcc
	s_andn2_b64 exec, exec, s[36:37]
	s_cbranch_execnz .LBB187_130
; %bb.131:                              ;   in Loop: Header=BB187_4 Depth=1
	s_or_b64 exec, exec, s[36:37]
	v_add_f32_e32 v20, -1.0, v20
	v_add_f32_e32 v20, v20, v21
	v_add_f32_e32 v8, v20, v8
	;; [unrolled: 1-line block ×11, first 2 shown]
	v_add_f32_e32 v23, 1.0, v20
	v_add_f32_e32 v21, -1.0, v23
	v_mov_b32_e32 v22, v21
	v_pk_add_f32 v[24:25], v[20:21], v[22:23] neg_lo:[0,1] neg_hi:[0,1]
	v_add_f32_e32 v3, 1.0, v25
	v_add_f32_e32 v3, v24, v3
	v_frexp_mant_f32_e32 v8, v23
	v_cvt_f64_f32_e32 v[24:25], v23
	v_frexp_exp_i32_f64_e32 v21, v[24:25]
	v_cmp_gt_f32_e32 vcc, s47, v8
	v_subbrev_co_u32_e32 v8, vcc, 0, v21, vcc
	v_sub_u32_e32 v21, 0, v8
	v_ldexp_f32 v22, v23, v21
	v_ldexp_f32 v3, v3, v21
	v_add_f32_e32 v21, -1.0, v22
	v_add_f32_e32 v23, 1.0, v21
	v_sub_f32_e32 v23, v22, v23
	v_add_f32_e32 v24, v3, v23
	v_add_f32_e32 v23, 1.0, v22
	v_add_f32_e32 v25, -1.0, v23
	v_sub_f32_e32 v22, v22, v25
	v_add_f32_e32 v3, v3, v22
	v_add_f32_e32 v47, v23, v3
	v_rcp_f32_e32 v52, v47
	v_sub_f32_e32 v22, v47, v23
	v_add_f32_e32 v23, v21, v24
	v_sub_f32_e32 v21, v23, v21
	v_mul_f32_e32 v53, v23, v52
	v_sub_f32_e32 v21, v24, v21
	v_mul_f32_e32 v24, v47, v53
	v_sub_f32_e32 v3, v3, v22
	v_fma_f32 v48, v53, v47, -v24
	v_fmac_f32_e32 v48, v53, v3
	v_add_f32_e32 v22, v24, v48
	v_sub_f32_e32 v25, v23, v22
	v_pk_add_f32 v[50:51], v[22:23], v[24:25] neg_lo:[0,1] neg_hi:[0,1]
	v_mov_b32_e32 v49, v22
	v_pk_add_f32 v[22:23], v[50:51], v[48:49] neg_lo:[0,1] neg_hi:[0,1]
	v_add_f32_e32 v21, v21, v23
	v_add_f32_e32 v21, v22, v21
	;; [unrolled: 1-line block ×3, first 2 shown]
	v_mul_f32_e32 v54, v52, v23
	v_mul_f32_e32 v24, v47, v54
	v_fma_f32 v48, v54, v47, -v24
	v_fmac_f32_e32 v48, v54, v3
	v_add_f32_e32 v22, v24, v48
	v_sub_f32_e32 v3, v25, v23
	v_sub_f32_e32 v25, v23, v22
	v_pk_add_f32 v[50:51], v[22:23], v[24:25] neg_lo:[0,1] neg_hi:[0,1]
	v_mov_b32_e32 v49, v22
	v_add_f32_e32 v3, v21, v3
	v_pk_add_f32 v[22:23], v[50:51], v[48:49] neg_lo:[0,1] neg_hi:[0,1]
	v_add_f32_e32 v3, v3, v23
	v_add_f32_e32 v3, v22, v3
	;; [unrolled: 1-line block ×4, first 2 shown]
	v_sub_f32_e32 v22, v21, v53
	v_mul_f32_e32 v3, v52, v3
	v_sub_f32_e32 v22, v54, v22
	v_add_f32_e32 v23, v22, v3
	v_add_f32_e32 v24, v21, v23
	v_cvt_f32_i32_e32 v22, v8
	v_mul_f32_e32 v47, v24, v24
	v_mov_b32_e32 v3, 0x3ecc95a3
	v_fmac_f32_e32 v3, 0x3e9b6dac, v47
	v_sub_f32_e32 v8, v24, v21
	v_fma_f32 v3, v47, v3, v28
	v_sub_f32_e32 v8, v23, v8
	v_mul_f32_e32 v23, v24, v47
	v_pk_mul_f32 v[48:49], v[22:23], v[2:3]
	v_ldexp_f32 v25, v24, 1
	v_fma_f32 v24, v22, s48, -v48
	v_fmac_f32_e32 v24, 0xb102e308, v22
	v_pk_add_f32 v[22:23], v[48:49], v[24:25]
	v_sub_f32_e32 v3, v23, v25
	v_ldexp_f32 v8, v8, 1
	v_sub_f32_e32 v3, v49, v3
	v_add_f32_e32 v51, v8, v3
	v_mov_b32_e32 v50, v48
	v_pk_add_f32 v[48:49], v[22:23], v[48:49] neg_lo:[0,1] neg_hi:[0,1]
	v_pk_add_f32 v[52:53], v[22:23], v[50:51]
	v_mov_b32_e32 v49, v53
	v_mov_b32_e32 v25, v22
	v_pk_add_f32 v[54:55], v[24:25], v[48:49] neg_lo:[0,1] neg_hi:[0,1]
	v_pk_add_f32 v[24:25], v[24:25], v[48:49]
	v_mov_b32_e32 v8, v25
	v_pk_add_f32 v[48:49], v[8:9], v[22:23] neg_lo:[0,1] neg_hi:[0,1]
	v_mov_b32_e32 v3, v48
	v_pk_add_f32 v[56:57], v[52:53], v[2:3] neg_lo:[0,1] neg_hi:[0,1]
	v_mov_b32_e32 v24, v53
	v_mov_b32_e32 v52, v23
	;; [unrolled: 1-line block ×4, first 2 shown]
	v_pk_add_f32 v[24:25], v[24:25], v[52:53] neg_lo:[0,1] neg_hi:[0,1]
	v_mov_b32_e32 v48, v51
	v_mov_b32_e32 v49, v22
	v_pk_add_f32 v[22:23], v[48:49], v[24:25] neg_lo:[0,1] neg_hi:[0,1]
	v_mov_b32_e32 v56, v54
	v_pk_add_f32 v[24:25], v[56:57], v[22:23]
	v_mov_b32_e32 v48, v25
	v_pk_add_f32 v[48:49], v[24:25], v[48:49]
	v_pk_add_f32 v[50:51], v[8:9], v[48:49]
	v_mov_b32_e32 v25, v50
	v_pk_add_f32 v[52:53], v[24:25], v[54:55] neg_lo:[0,1] neg_hi:[0,1]
	v_mov_b32_e32 v23, v48
	v_sub_f32_e32 v3, v24, v52
	v_pk_add_f32 v[22:23], v[22:23], v[52:53] neg_lo:[0,1] neg_hi:[0,1]
	v_sub_f32_e32 v3, v54, v3
	v_add_f32_e32 v3, v22, v3
	v_add_f32_e32 v3, v3, v23
	;; [unrolled: 1-line block ×3, first 2 shown]
	v_cmp_eq_f32_e32 vcc, s49, v20
	v_cndmask_b32_e32 v3, v3, v20, vcc
	v_cmp_ngt_f32_e32 vcc, -1.0, v20
	v_cndmask_b32_e32 v3, v35, v3, vcc
	v_cmp_neq_f32_e32 vcc, -1.0, v20
	v_cndmask_b32_e32 v3, v36, v3, vcc
	v_cmp_lt_f32_e64 vcc, |v20|, s50
	v_cndmask_b32_e32 v3, v3, v20, vcc
	v_max_f32_e64 v8, |v13|, |v13|
	v_max_f32_e64 v20, |v12|, |v12|
	v_min_f32_e32 v21, v20, v8
	v_max_f32_e32 v8, v20, v8
	v_frexp_mant_f32_e32 v20, v8
	v_rcp_f32_e32 v20, v20
	v_frexp_exp_i32_f32_e32 v8, v8
	v_frexp_exp_i32_f32_e32 v22, v21
	v_frexp_mant_f32_e32 v21, v21
	v_mul_f32_e32 v20, v21, v20
	v_sub_u32_e32 v8, v22, v8
	v_ldexp_f32 v8, v20, v8
	v_mul_f32_e32 v20, v8, v8
	v_mov_b32_e32 v21, 0xbc7a590c
	v_fmac_f32_e32 v21, 0x3b2d2a58, v20
	v_fma_f32 v21, v20, v21, v29
	v_fma_f32 v21, v20, v21, v30
	;; [unrolled: 1-line block ×6, first 2 shown]
	v_mul_f32_e32 v20, v20, v21
	v_fmac_f32_e32 v8, v8, v20
	v_sub_f32_e32 v20, 0x3fc90fdb, v8
	v_cndmask_b32_e64 v8, v8, v20, s[10:11]
	v_sub_f32_e32 v20, 0x40490fdb, v8
	v_cmp_gt_f32_e32 vcc, 0, v12
	v_cmp_gt_i32_e64 s[12:13], 0, v12
	v_cndmask_b32_e32 v8, v8, v20, vcc
	v_cndmask_b32_e64 v20, 0, v37, s[12:13]
	v_cmp_eq_f32_e64 s[12:13], 0, v13
	v_cndmask_b32_e64 v8, v8, v20, s[12:13]
	v_cmp_class_f32_e64 s[12:13], v12, s51
	v_cmp_class_f32_e64 s[36:37], v13, s51
	v_cndmask_b32_e32 v20, v38, v39, vcc
	s_and_b64 vcc, s[36:37], s[12:13]
	v_mul_f32_e32 v3, 0.5, v3
	v_cndmask_b32_e32 v8, v8, v20, vcc
.LBB187_132:                            ;   in Loop: Header=BB187_4 Depth=1
	s_or_b64 exec, exec, s[34:35]
.LBB187_133:                            ;   in Loop: Header=BB187_4 Depth=1
	s_or_b64 exec, exec, s[30:31]
.LBB187_134:                            ;   in Loop: Header=BB187_4 Depth=1
	s_andn2_saveexec_b64 s[28:29], s[28:29]
	s_cbranch_execz .LBB187_136
; %bb.135:                              ;   in Loop: Header=BB187_4 Depth=1
	v_max_f32_e64 v8, |v13|, |v13|
	v_max_f32_e64 v22, |v12|, |v12|
	v_max_f32_e32 v23, v22, v8
	v_cvt_f64_f32_e32 v[20:21], v23
	v_frexp_exp_i32_f64_e32 v3, v[20:21]
	v_sub_u32_e32 v20, 0, v3
	v_ldexp_f32 v21, |v12|, v20
	v_ldexp_f32 v20, |v13|, v20
	v_mul_f32_e32 v20, v20, v20
	v_fmac_f32_e32 v20, v21, v21
	v_sqrt_f32_e32 v20, v20
	v_cmp_neq_f32_e32 vcc, s49, v23
	v_min_f32_e32 v8, v22, v8
	v_frexp_exp_i32_f32_e32 v22, v8
	v_ldexp_f32 v3, v20, v3
	v_cndmask_b32_e32 v3, v42, v3, vcc
	v_cmp_gt_f32_e32 vcc, s53, v3
	v_cndmask_b32_e32 v20, 1.0, v40, vcc
	v_mul_f32_e32 v3, v3, v20
	v_log_f32_e32 v3, v3
	v_cndmask_b32_e32 v20, 0, v41, vcc
	v_frexp_mant_f32_e32 v8, v8
	v_cmp_gt_i32_e64 s[12:13], 0, v12
	v_mul_f32_e32 v21, 0x3f317217, v3
	v_fma_f32 v24, v3, s54, -v21
	v_fmac_f32_e32 v24, 0x3377d1cf, v3
	v_add_f32_e32 v21, v21, v24
	v_cmp_lt_f32_e64 vcc, |v3|, s49
	v_cndmask_b32_e32 v3, v3, v21, vcc
	v_sub_f32_e32 v3, v3, v20
	v_frexp_mant_f32_e32 v20, v23
	v_rcp_f32_e32 v20, v20
	v_frexp_exp_i32_f32_e32 v21, v23
	v_cmp_gt_f32_e32 vcc, 0, v12
	v_cmp_class_f32_e64 s[30:31], v13, s51
	v_mul_f32_e32 v8, v8, v20
	v_sub_u32_e32 v20, v22, v21
	v_ldexp_f32 v8, v8, v20
	v_mul_f32_e32 v20, v8, v8
	v_mov_b32_e32 v21, 0xbc7a590c
	v_fmac_f32_e32 v21, 0x3b2d2a58, v20
	v_fma_f32 v21, v20, v21, v29
	v_fma_f32 v21, v20, v21, v30
	;; [unrolled: 1-line block ×6, first 2 shown]
	v_mul_f32_e32 v20, v20, v21
	v_fmac_f32_e32 v8, v8, v20
	v_sub_f32_e32 v20, 0x3fc90fdb, v8
	v_cndmask_b32_e64 v8, v8, v20, s[10:11]
	v_sub_f32_e32 v20, 0x40490fdb, v8
	v_cndmask_b32_e32 v8, v8, v20, vcc
	v_cndmask_b32_e64 v20, 0, v37, s[12:13]
	v_cmp_eq_f32_e64 s[12:13], 0, v13
	v_cndmask_b32_e64 v8, v8, v20, s[12:13]
	v_cmp_class_f32_e64 s[12:13], v12, s51
	v_cndmask_b32_e32 v20, v38, v39, vcc
	s_and_b64 vcc, s[30:31], s[12:13]
	v_cndmask_b32_e32 v8, v8, v20, vcc
.LBB187_136:                            ;   in Loop: Header=BB187_4 Depth=1
	s_or_b64 exec, exec, s[28:29]
                                        ; implicit-def: $vgpr20
.LBB187_137:                            ;   in Loop: Header=BB187_4 Depth=1
	s_andn2_saveexec_b64 s[26:27], s[26:27]
	s_cbranch_execz .LBB187_143
; %bb.138:                              ;   in Loop: Header=BB187_4 Depth=1
	v_cmp_ngt_f32_e32 vcc, s55, v20
                                        ; implicit-def: $vgpr3
                                        ; implicit-def: $vgpr8
	s_and_saveexec_b64 s[12:13], vcc
	s_xor_b64 s[28:29], exec, s[12:13]
	s_cbranch_execz .LBB187_140
; %bb.139:                              ;   in Loop: Header=BB187_4 Depth=1
	v_pk_mul_f32 v[20:21], v[20:21], v[20:21]
	v_add_f32_e32 v23, 1.0, v20
	v_add_f32_e32 v21, -1.0, v23
	v_mov_b32_e32 v22, v21
	v_pk_add_f32 v[24:25], v[20:21], v[22:23] neg_lo:[0,1] neg_hi:[0,1]
	v_add_f32_e32 v3, 1.0, v25
	v_add_f32_e32 v3, v24, v3
	v_frexp_mant_f32_e32 v8, v23
	v_cvt_f64_f32_e32 v[24:25], v23
	v_frexp_exp_i32_f64_e32 v21, v[24:25]
	v_cmp_gt_f32_e32 vcc, s47, v8
	v_subbrev_co_u32_e32 v8, vcc, 0, v21, vcc
	v_sub_u32_e32 v21, 0, v8
	v_ldexp_f32 v22, v23, v21
	v_ldexp_f32 v3, v3, v21
	v_add_f32_e32 v21, -1.0, v22
	v_add_f32_e32 v23, 1.0, v21
	v_sub_f32_e32 v23, v22, v23
	v_add_f32_e32 v24, v3, v23
	v_add_f32_e32 v23, 1.0, v22
	v_add_f32_e32 v25, -1.0, v23
	v_sub_f32_e32 v22, v22, v25
	v_add_f32_e32 v3, v3, v22
	v_add_f32_e32 v47, v23, v3
	v_rcp_f32_e32 v52, v47
	v_sub_f32_e32 v22, v23, v47
	v_add_f32_e32 v23, v21, v24
	v_sub_f32_e32 v21, v21, v23
	v_mul_f32_e32 v53, v23, v52
	v_add_f32_e32 v21, v24, v21
	v_mul_f32_e32 v24, v47, v53
	v_add_f32_e32 v3, v3, v22
	v_fma_f32 v48, v53, v47, -v24
	v_fmac_f32_e32 v48, v53, v3
	v_add_f32_e32 v22, v24, v48
	v_sub_f32_e32 v25, v23, v22
	v_pk_add_f32 v[50:51], v[22:23], v[24:25] neg_lo:[0,1] neg_hi:[0,1]
	v_mov_b32_e32 v49, v22
	v_pk_add_f32 v[22:23], v[50:51], v[48:49] neg_lo:[0,1] neg_hi:[0,1]
	v_add_f32_e32 v21, v21, v23
	v_add_f32_e32 v21, v22, v21
	;; [unrolled: 1-line block ×3, first 2 shown]
	v_mul_f32_e32 v54, v52, v23
	v_mul_f32_e32 v24, v47, v54
	v_fma_f32 v48, v54, v47, -v24
	v_fmac_f32_e32 v48, v54, v3
	v_add_f32_e32 v22, v24, v48
	v_sub_f32_e32 v3, v25, v23
	v_sub_f32_e32 v25, v23, v22
	v_pk_add_f32 v[50:51], v[22:23], v[24:25] neg_lo:[0,1] neg_hi:[0,1]
	v_mov_b32_e32 v49, v22
	v_add_f32_e32 v3, v21, v3
	v_pk_add_f32 v[22:23], v[50:51], v[48:49] neg_lo:[0,1] neg_hi:[0,1]
	v_add_f32_e32 v3, v3, v23
	v_add_f32_e32 v3, v22, v3
	;; [unrolled: 1-line block ×4, first 2 shown]
	v_sub_f32_e32 v22, v21, v53
	v_mul_f32_e32 v3, v52, v3
	v_sub_f32_e32 v22, v54, v22
	v_add_f32_e32 v23, v22, v3
	v_add_f32_e32 v24, v21, v23
	v_cvt_f32_i32_e32 v22, v8
	v_mul_f32_e32 v47, v24, v24
	v_mov_b32_e32 v3, 0x3ecc95a3
	v_fmac_f32_e32 v3, 0x3e9b6dac, v47
	v_sub_f32_e32 v8, v24, v21
	v_fma_f32 v3, v47, v3, v28
	v_sub_f32_e32 v8, v23, v8
	v_mul_f32_e32 v23, v24, v47
	v_pk_mul_f32 v[48:49], v[22:23], v[2:3]
	v_ldexp_f32 v25, v24, 1
	v_fma_f32 v24, v22, s48, -v48
	v_fmac_f32_e32 v24, 0xb102e308, v22
	v_pk_add_f32 v[22:23], v[48:49], v[24:25]
	v_sub_f32_e32 v3, v23, v25
	v_ldexp_f32 v8, v8, 1
	v_sub_f32_e32 v3, v49, v3
	v_add_f32_e32 v51, v8, v3
	v_mov_b32_e32 v50, v48
	v_pk_add_f32 v[48:49], v[22:23], v[48:49] neg_lo:[0,1] neg_hi:[0,1]
	v_pk_add_f32 v[52:53], v[22:23], v[50:51]
	v_mov_b32_e32 v49, v53
	v_mov_b32_e32 v25, v22
	v_pk_add_f32 v[54:55], v[24:25], v[48:49] neg_lo:[0,1] neg_hi:[0,1]
	v_pk_add_f32 v[24:25], v[24:25], v[48:49]
	v_mov_b32_e32 v8, v25
	v_pk_add_f32 v[48:49], v[8:9], v[22:23] neg_lo:[0,1] neg_hi:[0,1]
	v_mov_b32_e32 v3, v48
	v_pk_add_f32 v[56:57], v[52:53], v[2:3] neg_lo:[0,1] neg_hi:[0,1]
	v_mov_b32_e32 v24, v53
	v_mov_b32_e32 v52, v23
	;; [unrolled: 1-line block ×4, first 2 shown]
	v_pk_add_f32 v[24:25], v[24:25], v[52:53] neg_lo:[0,1] neg_hi:[0,1]
	v_mov_b32_e32 v48, v51
	v_mov_b32_e32 v49, v22
	v_pk_add_f32 v[22:23], v[48:49], v[24:25] neg_lo:[0,1] neg_hi:[0,1]
	v_mov_b32_e32 v56, v54
	v_pk_add_f32 v[24:25], v[56:57], v[22:23]
	v_mov_b32_e32 v48, v25
	v_pk_add_f32 v[48:49], v[24:25], v[48:49]
	v_pk_add_f32 v[50:51], v[8:9], v[48:49]
	v_mov_b32_e32 v25, v50
	v_pk_add_f32 v[52:53], v[24:25], v[54:55] neg_lo:[0,1] neg_hi:[0,1]
	v_mov_b32_e32 v23, v48
	v_sub_f32_e32 v3, v24, v52
	v_pk_add_f32 v[22:23], v[22:23], v[52:53] neg_lo:[0,1] neg_hi:[0,1]
	v_sub_f32_e32 v3, v54, v3
	v_add_f32_e32 v3, v22, v3
	v_add_f32_e32 v3, v3, v23
	v_cmp_eq_f32_e32 vcc, s49, v20
	v_cmp_lt_f32_e64 s[12:13], |v20|, s50
	v_add_f32_e32 v3, v50, v3
	s_or_b64 vcc, vcc, s[12:13]
	v_cndmask_b32_e32 v3, v3, v20, vcc
	v_max_f32_e64 v8, |v13|, |v13|
	v_max_f32_e64 v20, |v12|, |v12|
	v_min_f32_e32 v21, v20, v8
	v_max_f32_e32 v8, v20, v8
	v_frexp_mant_f32_e32 v20, v8
	v_rcp_f32_e32 v20, v20
	v_frexp_exp_i32_f32_e32 v8, v8
	v_frexp_exp_i32_f32_e32 v22, v21
	v_frexp_mant_f32_e32 v21, v21
	v_mul_f32_e32 v20, v21, v20
	v_sub_u32_e32 v8, v22, v8
	v_ldexp_f32 v8, v20, v8
	v_mul_f32_e32 v20, v8, v8
	v_mov_b32_e32 v21, 0xbc7a590c
	v_fmac_f32_e32 v21, 0x3b2d2a58, v20
	v_fma_f32 v21, v20, v21, v29
	v_fma_f32 v21, v20, v21, v30
	;; [unrolled: 1-line block ×6, first 2 shown]
	v_mul_f32_e32 v20, v20, v21
	v_fmac_f32_e32 v8, v8, v20
	v_sub_f32_e32 v20, 0x3fc90fdb, v8
	v_cndmask_b32_e64 v8, v8, v20, s[10:11]
	v_sub_f32_e32 v20, 0x40490fdb, v8
	v_cmp_gt_f32_e32 vcc, 0, v12
	v_cmp_gt_i32_e64 s[12:13], 0, v12
	v_cndmask_b32_e32 v8, v8, v20, vcc
	v_cndmask_b32_e64 v20, 0, v37, s[12:13]
	v_cmp_eq_f32_e64 s[12:13], 0, v13
	v_cndmask_b32_e64 v8, v8, v20, s[12:13]
	v_cmp_class_f32_e64 s[12:13], v12, s51
	v_cmp_class_f32_e64 s[30:31], v13, s51
	v_cndmask_b32_e32 v20, v38, v39, vcc
	s_and_b64 vcc, s[30:31], s[12:13]
	v_mul_f32_e32 v3, 0.5, v3
	v_cndmask_b32_e32 v8, v8, v20, vcc
                                        ; implicit-def: $vgpr20
.LBB187_140:                            ;   in Loop: Header=BB187_4 Depth=1
	s_andn2_saveexec_b64 s[28:29], s[28:29]
	s_cbranch_execz .LBB187_142
; %bb.141:                              ;   in Loop: Header=BB187_4 Depth=1
	v_mul_f32_e32 v3, 0.5, v20
	v_mul_f32_e32 v3, v20, v3
	v_max_f32_e64 v8, |v13|, |v13|
	v_max_f32_e64 v20, |v12|, |v12|
	v_min_f32_e32 v21, v20, v8
	v_max_f32_e32 v8, v20, v8
	v_frexp_mant_f32_e32 v20, v8
	v_rcp_f32_e32 v20, v20
	v_frexp_exp_i32_f32_e32 v8, v8
	v_frexp_exp_i32_f32_e32 v22, v21
	v_frexp_mant_f32_e32 v21, v21
	v_mul_f32_e32 v20, v21, v20
	v_sub_u32_e32 v8, v22, v8
	v_ldexp_f32 v8, v20, v8
	v_mul_f32_e32 v20, v8, v8
	v_mov_b32_e32 v21, 0xbc7a590c
	v_fmac_f32_e32 v21, 0x3b2d2a58, v20
	v_fma_f32 v21, v20, v21, v29
	v_fma_f32 v21, v20, v21, v30
	;; [unrolled: 1-line block ×6, first 2 shown]
	v_mul_f32_e32 v20, v20, v21
	v_fmac_f32_e32 v8, v8, v20
	v_sub_f32_e32 v20, 0x3fc90fdb, v8
	v_cndmask_b32_e64 v8, v8, v20, s[10:11]
	v_sub_f32_e32 v20, 0x40490fdb, v8
	v_cmp_gt_f32_e32 vcc, 0, v12
	v_cmp_gt_i32_e64 s[12:13], 0, v12
	v_cndmask_b32_e32 v8, v8, v20, vcc
	v_cndmask_b32_e64 v20, 0, v37, s[12:13]
	v_cmp_eq_f32_e64 s[12:13], 0, v13
	v_cndmask_b32_e64 v8, v8, v20, s[12:13]
	v_cmp_class_f32_e64 s[12:13], v12, s51
	v_cmp_class_f32_e64 s[30:31], v13, s51
	v_cndmask_b32_e32 v20, v38, v39, vcc
	s_and_b64 vcc, s[30:31], s[12:13]
	v_cndmask_b32_e32 v8, v8, v20, vcc
.LBB187_142:                            ;   in Loop: Header=BB187_4 Depth=1
	s_or_b64 exec, exec, s[28:29]
.LBB187_143:                            ;   in Loop: Header=BB187_4 Depth=1
	s_or_b64 exec, exec, s[26:27]
.LBB187_144:                            ;   in Loop: Header=BB187_4 Depth=1
	s_andn2_saveexec_b64 s[24:25], s[24:25]
	s_cbranch_execz .LBB187_146
; %bb.145:                              ;   in Loop: Header=BB187_4 Depth=1
	v_div_scale_f32 v3, s[12:13], s56, s56, v12
	v_rcp_f32_e32 v8, v3
	v_div_scale_f32 v20, vcc, v12, s56, v12
	v_fma_f32 v21, -v3, v8, 1.0
	v_fmac_f32_e32 v8, v21, v8
	v_mul_f32_e32 v21, v20, v8
	v_fma_f32 v22, -v3, v21, v20
	v_fmac_f32_e32 v21, v22, v8
	v_fma_f32 v3, -v3, v21, v20
	v_div_scale_f32 v20, s[12:13], s56, s56, v13
	v_rcp_f32_e32 v22, v20
	v_div_fmas_f32 v3, v3, v8, v21
	v_div_fixup_f32 v3, v3, s56, v12
	v_fma_f32 v8, -v20, v22, 1.0
	v_fmac_f32_e32 v22, v8, v22
	v_div_scale_f32 v8, vcc, v13, s56, v13
	v_mul_f32_e32 v21, v8, v22
	v_fma_f32 v23, -v20, v21, v8
	v_fmac_f32_e32 v21, v23, v22
	v_fma_f32 v8, -v20, v21, v8
	v_div_fmas_f32 v8, v8, v22, v21
	v_div_fixup_f32 v8, v8, s56, v13
	v_max_f32_e64 v22, |v3|, |v8|
	v_cvt_f64_f32_e32 v[20:21], v22
	v_frexp_exp_i32_f64_e32 v20, v[20:21]
	v_sub_u32_e32 v21, 0, v20
	v_ldexp_f32 v8, |v8|, v21
	v_ldexp_f32 v3, |v3|, v21
	v_mul_f32_e32 v8, v8, v8
	v_fmac_f32_e32 v8, v3, v3
	v_sqrt_f32_e32 v3, v8
	v_cmp_neq_f32_e32 vcc, s49, v22
	v_ldexp_f32 v3, v3, v20
	v_cndmask_b32_e32 v3, v42, v3, vcc
	v_cmp_gt_f32_e32 vcc, s53, v3
	v_cndmask_b32_e32 v8, 1.0, v40, vcc
	v_mul_f32_e32 v3, v3, v8
	v_log_f32_e32 v3, v3
	v_mul_f32_e32 v8, 0x3f317217, v3
	v_fma_f32 v20, v3, s54, -v8
	v_fmac_f32_e32 v20, 0x3377d1cf, v3
	v_add_f32_e32 v8, v8, v20
	v_cmp_lt_f32_e64 s[12:13], |v3|, s49
	v_cndmask_b32_e64 v3, v3, v8, s[12:13]
	v_cndmask_b32_e32 v8, 0, v41, vcc
	v_sub_f32_e32 v3, v3, v8
	v_max_f32_e64 v8, |v13|, |v13|
	v_max_f32_e64 v20, |v12|, |v12|
	v_min_f32_e32 v21, v20, v8
	v_max_f32_e32 v8, v20, v8
	v_frexp_mant_f32_e32 v20, v8
	v_rcp_f32_e32 v20, v20
	v_frexp_exp_i32_f32_e32 v8, v8
	v_frexp_exp_i32_f32_e32 v22, v21
	v_frexp_mant_f32_e32 v21, v21
	v_mul_f32_e32 v20, v21, v20
	v_sub_u32_e32 v8, v22, v8
	v_ldexp_f32 v8, v20, v8
	v_mul_f32_e32 v20, v8, v8
	v_mov_b32_e32 v21, 0xbc7a590c
	v_fmac_f32_e32 v21, 0x3b2d2a58, v20
	v_fma_f32 v21, v20, v21, v29
	v_fma_f32 v21, v20, v21, v30
	;; [unrolled: 1-line block ×6, first 2 shown]
	v_mul_f32_e32 v20, v20, v21
	v_fmac_f32_e32 v8, v8, v20
	v_sub_f32_e32 v20, 0x3fc90fdb, v8
	v_cndmask_b32_e64 v8, v8, v20, s[10:11]
	v_sub_f32_e32 v20, 0x40490fdb, v8
	v_cmp_gt_f32_e32 vcc, 0, v12
	v_cmp_gt_i32_e64 s[10:11], 0, v12
	v_cndmask_b32_e32 v8, v8, v20, vcc
	v_cndmask_b32_e64 v20, 0, v37, s[10:11]
	v_cmp_eq_f32_e64 s[10:11], 0, v13
	v_cndmask_b32_e64 v8, v8, v20, s[10:11]
	v_cmp_class_f32_e64 s[10:11], v12, s51
	v_cmp_class_f32_e64 s[12:13], v13, s51
	v_cndmask_b32_e32 v20, v38, v39, vcc
	s_and_b64 vcc, s[12:13], s[10:11]
	v_add_f32_e32 v3, 1.0, v3
	v_cndmask_b32_e32 v8, v8, v20, vcc
.LBB187_146:                            ;   in Loop: Header=BB187_4 Depth=1
	s_or_b64 exec, exec, s[24:25]
	s_andn2_saveexec_b64 s[10:11], s[22:23]
	s_cbranch_execz .LBB187_116
.LBB187_147:                            ;   in Loop: Header=BB187_4 Depth=1
	v_cmp_nlt_f32_e64 s[12:13], |v12|, s57
	v_cmp_nlt_f32_e64 s[22:23], |v13|, s57
	s_or_b64 s[12:13], s[22:23], s[12:13]
                                        ; implicit-def: $vgpr3
	s_and_saveexec_b64 s[22:23], s[12:13]
	s_xor_b64 s[12:13], exec, s[22:23]
; %bb.148:                              ;   in Loop: Header=BB187_4 Depth=1
	v_pk_mul_f32 v[20:21], v[12:13], v[12:13]
	v_add_f32_e32 v3, v21, v20
; %bb.149:                              ;   in Loop: Header=BB187_4 Depth=1
	s_andn2_saveexec_b64 s[12:13], s[12:13]
; %bb.150:                              ;   in Loop: Header=BB187_4 Depth=1
	v_pk_mul_f32 v[20:21], v[12:13], 4.0 op_sel_hi:[1,0]
	v_pk_mul_f32 v[20:21], v[20:21], v[20:21]
	v_add_f32_e32 v3, v21, v20
	v_mul_f32_e32 v3, 0x3d800000, v3
; %bb.151:                              ;   in Loop: Header=BB187_4 Depth=1
	s_or_b64 exec, exec, s[12:13]
	v_cmp_gt_f32_e32 vcc, s53, v3
	v_cndmask_b32_e32 v8, 1.0, v40, vcc
	v_mul_f32_e32 v3, v3, v8
	v_log_f32_e32 v3, v3
	v_cndmask_b32_e32 v8, 0, v41, vcc
	v_mul_f32_e32 v12, 0x3f317217, v3
	v_fma_f32 v20, v3, s54, -v12
	v_fmac_f32_e32 v20, 0x3377d1cf, v3
	v_add_f32_e32 v12, v12, v20
	v_cmp_lt_f32_e64 vcc, |v3|, s49
	v_cndmask_b32_e32 v3, v3, v12, vcc
	v_sub_f32_e32 v3, v3, v8
	v_mov_b32_e32 v8, 0x7fc00000
	s_or_b64 exec, exec, s[10:11]
	s_and_saveexec_b64 s[10:11], s[8:9]
	s_xor_b64 s[8:9], exec, s[10:11]
	s_cbranch_execz .LBB187_117
.LBB187_152:                            ;   in Loop: Header=BB187_4 Depth=1
	v_bfi_b32 v12, s43, v44, v19
	v_div_scale_f32 v19, s[10:11], s58, s58, v12
	v_rcp_f32_e32 v20, v19
	v_div_scale_f32 v21, vcc, v12, s58, v12
	v_fma_f32 v22, -v19, v20, 1.0
	v_fmac_f32_e32 v20, v22, v20
	v_mul_f32_e32 v22, v21, v20
	v_fma_f32 v23, -v19, v22, v21
	v_fmac_f32_e32 v22, v23, v20
	v_div_scale_f32 v23, s[10:11], s58, s58, v43
	v_rcp_f32_e32 v24, v23
	v_fma_f32 v19, -v19, v22, v21
	v_div_fmas_f32 v19, v19, v20, v22
	v_div_fixup_f32 v21, v19, s58, v12
	v_fma_f32 v12, -v23, v24, 1.0
	v_fmac_f32_e32 v24, v12, v24
	v_div_scale_f32 v12, vcc, v43, s58, v43
	v_mul_f32_e32 v19, v12, v24
	v_fma_f32 v20, -v23, v19, v12
	v_fmac_f32_e32 v19, v20, v24
	v_fma_f32 v12, -v23, v19, v12
	v_div_fmas_f32 v12, v12, v24, v19
	v_div_fixup_f32 v20, v12, s58, v43
	v_mov_b32_e32 v12, s38
	v_add_co_u32_e32 v14, vcc, s33, v14
	v_addc_co_u32_e32 v15, vcc, v12, v15, vcc
	global_store_dwordx2 v[14:15], v[20:21], off
	s_or_b64 exec, exec, s[8:9]
	s_and_saveexec_b64 s[8:9], s[6:7]
	s_cbranch_execz .LBB187_118
.LBB187_153:                            ;   in Loop: Header=BB187_4 Depth=1
	v_bfi_b32 v12, s43, v45, v17
	v_div_scale_f32 v14, s[6:7], s58, s58, v12
	v_rcp_f32_e32 v15, v14
	v_div_scale_f32 v17, vcc, v12, s58, v12
	v_fma_f32 v19, -v14, v15, 1.0
	v_fmac_f32_e32 v15, v19, v15
	v_mul_f32_e32 v19, v17, v15
	v_fma_f32 v20, -v14, v19, v17
	v_fmac_f32_e32 v19, v20, v15
	v_fma_f32 v14, -v14, v19, v17
	v_div_scale_f32 v17, s[6:7], s58, s58, v18
	v_rcp_f32_e32 v20, v17
	v_div_fmas_f32 v14, v14, v15, v19
	v_div_fixup_f32 v15, v14, s58, v12
	v_fma_f32 v12, -v17, v20, 1.0
	v_fmac_f32_e32 v20, v12, v20
	v_div_scale_f32 v12, vcc, v18, s58, v18
	v_mul_f32_e32 v14, v12, v20
	v_fma_f32 v19, -v17, v14, v12
	v_fmac_f32_e32 v14, v19, v20
	v_fma_f32 v12, -v17, v14, v12
	v_div_fmas_f32 v12, v12, v20, v14
	v_div_fixup_f32 v14, v12, s58, v18
	v_mov_b32_e32 v12, s38
	v_add_co_u32_e32 v10, vcc, s33, v10
	v_addc_co_u32_e32 v11, vcc, v12, v11, vcc
	global_store_dwordx2 v[10:11], v[14:15], off
	s_or_b64 exec, exec, s[8:9]
	s_and_saveexec_b64 s[6:7], s[2:3]
	s_cbranch_execz .LBB187_119
.LBB187_154:                            ;   in Loop: Header=BB187_4 Depth=1
	v_bfi_b32 v9, s43, v46, v9
	v_div_scale_f32 v10, s[2:3], s58, s58, v9
	v_rcp_f32_e32 v11, v10
	v_div_scale_f32 v12, vcc, v9, s58, v9
	v_fma_f32 v14, -v10, v11, 1.0
	v_fmac_f32_e32 v11, v14, v11
	v_mul_f32_e32 v14, v12, v11
	v_fma_f32 v15, -v10, v14, v12
	v_fmac_f32_e32 v14, v15, v11
	v_fma_f32 v10, -v10, v14, v12
	v_div_scale_f32 v12, s[2:3], s58, s58, v16
	v_rcp_f32_e32 v15, v12
	v_div_fmas_f32 v10, v10, v11, v14
	v_div_fixup_f32 v11, v10, s58, v9
	v_fma_f32 v9, -v12, v15, 1.0
	v_fmac_f32_e32 v15, v9, v15
	v_div_scale_f32 v9, vcc, v16, s58, v16
	v_mul_f32_e32 v10, v9, v15
	v_fma_f32 v14, -v12, v10, v9
	v_fmac_f32_e32 v10, v14, v15
	v_fma_f32 v9, -v12, v10, v9
	v_div_fmas_f32 v9, v9, v15, v10
	v_div_fixup_f32 v10, v9, s58, v16
	v_mov_b32_e32 v9, s38
	v_add_co_u32_e32 v6, vcc, s33, v6
	v_addc_co_u32_e32 v7, vcc, v9, v7, vcc
	global_store_dwordx2 v[6:7], v[10:11], off
	s_or_b64 exec, exec, s[6:7]
	s_and_saveexec_b64 s[2:3], s[0:1]
	s_cbranch_execz .LBB187_3
.LBB187_155:                            ;   in Loop: Header=BB187_4 Depth=1
	v_bfi_b32 v6, s43, v8, v13
	v_div_scale_f32 v7, s[0:1], s58, s58, v6
	v_rcp_f32_e32 v8, v7
	v_div_scale_f32 v9, vcc, v6, s58, v6
	v_fma_f32 v10, -v7, v8, 1.0
	v_fmac_f32_e32 v8, v10, v8
	v_mul_f32_e32 v10, v9, v8
	v_fma_f32 v11, -v7, v10, v9
	v_fmac_f32_e32 v10, v11, v8
	v_fma_f32 v7, -v7, v10, v9
	v_div_scale_f32 v9, s[0:1], s58, s58, v3
	v_rcp_f32_e32 v11, v9
	v_div_fmas_f32 v7, v7, v8, v10
	v_div_fixup_f32 v7, v7, s58, v6
	v_fma_f32 v6, -v9, v11, 1.0
	v_fmac_f32_e32 v11, v6, v11
	v_div_scale_f32 v6, vcc, v3, s58, v3
	v_mul_f32_e32 v8, v6, v11
	v_fma_f32 v10, -v9, v8, v6
	v_fmac_f32_e32 v8, v10, v11
	v_fma_f32 v6, -v9, v8, v6
	v_div_fmas_f32 v6, v6, v11, v8
	v_div_fixup_f32 v6, v6, s58, v3
	v_mov_b32_e32 v3, s38
	v_add_co_u32_e32 v4, vcc, s33, v4
	v_addc_co_u32_e32 v5, vcc, v3, v5, vcc
	global_store_dwordx2 v[4:5], v[6:7], off
	s_branch .LBB187_3
.LBB187_156:
	s_cbranch_execz .LBB187_158
	s_branch .LBB187_297
.LBB187_157:
.LBB187_158:
	v_mov_b32_e32 v3, 0
	v_lshlrev_b32_e32 v2, 2, v0
	s_mov_b32 s26, 0
	v_cmp_gt_i64_e32 vcc, s[14:15], v[2:3]
	s_and_saveexec_b64 s[0:1], vcc
	s_cbranch_execz .LBB187_297
; %bb.159:
	s_load_dword s0, s[4:5], 0xd3c
	s_mov_b32 s6, -1.0
	v_mov_b32_e32 v1, v3
	s_mov_b64 s[4:5], 0
	v_mov_b32_e32 v20, s38
	s_brev_b32 s27, -2
	s_waitcnt lgkmcnt(0)
	s_and_b32 s28, s0, 0xffff
	s_mov_b32 s29, 0x77f684df
	s_mov_b32 s7, 1.0
	s_mov_b32 s30, 0x358637bd
	s_mov_b32 s31, 0x49742400
	;; [unrolled: 1-line block ×3, first 2 shown]
	v_mov_b32_e32 v21, 0x3f2aaada
	s_mov_b32 s35, 0x3f317218
	s_mov_b32 s36, 0x7f800000
	;; [unrolled: 1-line block ×3, first 2 shown]
	v_mov_b32_e32 v22, 0x3d29fb3f
	v_mov_b32_e32 v23, 0xbd97d4d7
	;; [unrolled: 1-line block ×6, first 2 shown]
	s_movk_i32 s38, 0x204
	s_mov_b32 s39, 0x3f333333
	s_mov_b32 s40, 0x800000
	;; [unrolled: 1-line block ×5, first 2 shown]
	s_brev_b32 s44, 4
	s_mov_b32 s45, 0x40135d8e
	s_mov_b64 s[8:9], 0xffff
	v_mov_b32_e32 v10, 0x3f317218
	v_mov_b32_e32 v28, 0x7fc00000
	;; [unrolled: 1-line block ×9, first 2 shown]
	s_branch .LBB187_162
.LBB187_160:                            ;   in Loop: Header=BB187_162 Depth=1
	s_or_b64 exec, exec, s[2:3]
	v_cmp_gt_f32_e32 vcc, s40, v2
	v_cndmask_b32_e32 v4, 1.0, v33, vcc
	v_mul_f32_e32 v2, v2, v4
	v_log_f32_e32 v2, v2
	v_cndmask_b32_e32 v4, 0, v34, vcc
	v_mul_f32_e32 v11, 0x3f317217, v2
	v_fma_f32 v14, v2, s41, -v11
	v_fmac_f32_e32 v14, 0x3377d1cf, v2
	v_add_f32_e32 v11, v11, v14
	v_cmp_lt_f32_e64 vcc, |v2|, s36
	v_cndmask_b32_e32 v2, v2, v11, vcc
	v_sub_f32_e32 v2, v2, v4
	v_mov_b32_e32 v11, 0x7fc00000
.LBB187_161:                            ;   in Loop: Header=BB187_162 Depth=1
	s_or_b64 exec, exec, s[0:1]
	v_bfi_b32 v3, s27, v39, v3
	v_div_scale_f32 v4, s[0:1], s45, s45, v3
	v_rcp_f32_e32 v14, v4
	v_div_scale_f32 v15, vcc, v3, s45, v3
	v_bfi_b32 v9, s27, v38, v9
	v_fma_f32 v16, -v4, v14, 1.0
	v_fmac_f32_e32 v14, v16, v14
	v_mul_f32_e32 v16, v15, v14
	v_fma_f32 v17, -v4, v16, v15
	v_fmac_f32_e32 v16, v17, v14
	v_div_scale_f32 v17, s[0:1], s45, s45, v8
	v_rcp_f32_e32 v18, v17
	v_fma_f32 v4, -v4, v16, v15
	v_div_fmas_f32 v4, v4, v14, v16
	v_div_fixup_f32 v15, v4, s45, v3
	v_fma_f32 v3, -v17, v18, 1.0
	v_fmac_f32_e32 v18, v3, v18
	v_div_scale_f32 v3, vcc, v8, s45, v8
	v_mul_f32_e32 v4, v3, v18
	v_fma_f32 v14, -v17, v4, v3
	v_fmac_f32_e32 v4, v14, v18
	v_div_scale_f32 v16, s[0:1], s45, s45, v9
	v_fma_f32 v3, -v17, v4, v3
	v_rcp_f32_e32 v17, v16
	v_div_fmas_f32 v3, v3, v18, v4
	v_div_fixup_f32 v14, v3, s45, v8
	v_bfi_b32 v7, s27, v37, v7
	v_fma_f32 v3, -v16, v17, 1.0
	v_fmac_f32_e32 v17, v3, v17
	v_div_scale_f32 v3, vcc, v9, s45, v9
	v_mul_f32_e32 v4, v3, v17
	v_fma_f32 v8, -v16, v4, v3
	v_fmac_f32_e32 v4, v8, v17
	v_div_scale_f32 v8, s[0:1], s45, s45, v6
	v_fma_f32 v3, -v16, v4, v3
	v_rcp_f32_e32 v16, v8
	v_div_fmas_f32 v3, v3, v17, v4
	v_div_fixup_f32 v9, v3, s45, v9
	v_bfi_b32 v5, s27, v11, v5
	v_fma_f32 v3, -v8, v16, 1.0
	v_fmac_f32_e32 v16, v3, v16
	v_div_scale_f32 v3, vcc, v6, s45, v6
	v_mul_f32_e32 v4, v3, v16
	v_fma_f32 v17, -v8, v4, v3
	v_fmac_f32_e32 v4, v17, v16
	v_div_scale_f32 v17, s[0:1], s45, s45, v7
	v_rcp_f32_e32 v18, v17
	v_fma_f32 v3, -v8, v4, v3
	v_div_fmas_f32 v3, v3, v16, v4
	v_div_fixup_f32 v8, v3, s45, v6
	v_fma_f32 v3, -v17, v18, 1.0
	v_fmac_f32_e32 v18, v3, v18
	v_div_scale_f32 v3, vcc, v7, s45, v7
	v_mul_f32_e32 v4, v3, v18
	v_fma_f32 v6, -v17, v4, v3
	v_fmac_f32_e32 v4, v6, v18
	v_div_scale_f32 v6, s[0:1], s45, s45, v36
	v_rcp_f32_e32 v16, v6
	v_fma_f32 v3, -v17, v4, v3
	v_div_fmas_f32 v3, v3, v18, v4
	v_div_fixup_f32 v7, v3, s45, v7
	v_fma_f32 v3, -v6, v16, 1.0
	v_fmac_f32_e32 v16, v3, v16
	v_div_scale_f32 v3, vcc, v36, s45, v36
	v_mul_f32_e32 v4, v3, v16
	v_fma_f32 v17, -v6, v4, v3
	v_div_scale_f32 v11, s[0:1], s45, s45, v5
	v_fmac_f32_e32 v4, v17, v16
	v_rcp_f32_e32 v17, v11
	v_fma_f32 v3, -v6, v4, v3
	v_div_fmas_f32 v3, v3, v16, v4
	v_div_fixup_f32 v6, v3, s45, v36
	v_fma_f32 v3, -v11, v17, 1.0
	v_fmac_f32_e32 v17, v3, v17
	v_div_scale_f32 v3, vcc, v5, s45, v5
	v_mul_f32_e32 v4, v3, v17
	global_store_dwordx4 v[12:13], v[6:9], off
	s_nop 0
	v_fma_f32 v6, -v11, v4, v3
	v_fmac_f32_e32 v4, v6, v17
	v_div_scale_f32 v6, s[0:1], s45, s45, v2
	v_rcp_f32_e32 v7, v6
	v_fma_f32 v3, -v11, v4, v3
	v_div_fmas_f32 v3, v3, v17, v4
	v_div_fixup_f32 v17, v3, s45, v5
	v_fma_f32 v3, -v6, v7, 1.0
	v_fmac_f32_e32 v7, v3, v7
	v_div_scale_f32 v3, vcc, v2, s45, v2
	v_mul_f32_e32 v4, v3, v7
	v_fma_f32 v5, -v6, v4, v3
	v_fmac_f32_e32 v4, v5, v7
	v_fma_f32 v3, -v6, v4, v3
	v_div_fmas_f32 v3, v3, v7, v4
	v_div_fixup_f32 v16, v3, s45, v2
	v_mov_b32_e32 v2, s26
	v_add_co_u32_e32 v0, vcc, s28, v0
	v_addc_co_u32_e32 v1, vcc, v1, v2, vcc
	v_lshlrev_b64 v[2:3], 2, v[0:1]
	v_cmp_le_i64_e32 vcc, s[14:15], v[2:3]
	v_cmp_lt_u64_e64 s[0:1], s[8:9], v[2:3]
	s_or_b64 s[0:1], vcc, s[0:1]
	s_and_b64 s[0:1], exec, s[0:1]
	s_or_b64 s[4:5], s[0:1], s[4:5]
	global_store_dwordx4 v[12:13], v[14:17], off offset:16
	s_andn2_b64 exec, exec, s[4:5]
	s_cbranch_execz .LBB187_297
.LBB187_162:                            ; =>This Loop Header: Depth=1
                                        ;     Child Loop BB187_173 Depth 2
                                        ;     Child Loop BB187_207 Depth 2
	;; [unrolled: 1-line block ×4, first 2 shown]
	v_lshlrev_b64 v[2:3], 5, v[0:1]
	v_add_co_u32_e32 v12, vcc, s33, v2
	v_addc_co_u32_e32 v13, vcc, v20, v3, vcc
	global_load_dwordx4 v[6:9], v[12:13], off
	global_load_dwordx4 v[2:5], v[12:13], off offset:16
                                        ; implicit-def: $vgpr36
                                        ; implicit-def: $vgpr37
	s_waitcnt vmcnt(1)
	v_cmp_o_f32_e32 vcc, v7, v6
	s_and_saveexec_b64 s[0:1], vcc
	s_xor_b64 s[10:11], exec, s[0:1]
	s_cbranch_execz .LBB187_190
; %bb.163:                              ;   in Loop: Header=BB187_162 Depth=1
	v_cmp_lt_f32_e64 s[0:1], |v6|, |v7|
	v_cndmask_b32_e64 v11, v7, v6, s[0:1]
	v_cmp_ngt_f32_e64 s[2:3], |v11|, s29
                                        ; implicit-def: $vgpr36
                                        ; implicit-def: $vgpr37
	s_and_saveexec_b64 s[12:13], s[2:3]
	s_xor_b64 s[12:13], exec, s[12:13]
	s_cbranch_execz .LBB187_187
; %bb.164:                              ;   in Loop: Header=BB187_162 Depth=1
	v_cndmask_b32_e64 v14, v6, v7, s[0:1]
	v_and_b32_e32 v15, 0x7fffffff, v14
	v_and_b32_e32 v14, 0x7fffffff, v11
	v_cmp_neq_f32_e32 vcc, 1.0, v15
                                        ; implicit-def: $vgpr36
                                        ; implicit-def: $vgpr37
	s_and_saveexec_b64 s[2:3], vcc
	s_xor_b64 s[16:17], exec, s[2:3]
	s_cbranch_execz .LBB187_180
; %bb.165:                              ;   in Loop: Header=BB187_162 Depth=1
	v_max_f32_e32 v11, v14, v14
	v_max_f32_e32 v16, v15, v15
	v_min_f32_e32 v17, v16, v11
	v_max_f32_e32 v11, v16, v11
	v_cmp_ngt_f32_e32 vcc, s30, v17
	v_cmp_nlt_f32_e64 s[2:3], s31, v11
	s_and_b64 s[2:3], s[2:3], vcc
                                        ; implicit-def: $vgpr36
                                        ; implicit-def: $vgpr37
	s_and_saveexec_b64 s[18:19], s[2:3]
	s_xor_b64 s[18:19], exec, s[18:19]
	s_cbranch_execz .LBB187_177
; %bb.166:                              ;   in Loop: Header=BB187_162 Depth=1
	v_cmp_le_f32_e32 vcc, 1.0, v15
                                        ; implicit-def: $vgpr36
                                        ; implicit-def: $vgpr37
	s_and_saveexec_b64 s[2:3], vcc
	s_xor_b64 s[20:21], exec, s[2:3]
	s_cbranch_execz .LBB187_168
; %bb.167:                              ;   in Loop: Header=BB187_162 Depth=1
	v_pk_add_f32 v[16:17], v[14:15], s[6:7] op_sel:[1,0]
	v_mov_b32_e32 v18, v17
	v_pk_mul_f32 v[16:17], v[16:17], v[18:19]
	v_pk_fma_f32 v[14:15], v[14:15], v[14:15], v[16:17]
	v_add_f32_e32 v17, 1.0, v14
	v_add_f32_e32 v15, -1.0, v17
	v_mov_b32_e32 v16, v15
	v_pk_add_f32 v[18:19], v[14:15], v[16:17] neg_lo:[0,1] neg_hi:[0,1]
	v_add_f32_e32 v11, 1.0, v19
	v_add_f32_e32 v11, v18, v11
	v_frexp_mant_f32_e32 v15, v17
	v_cvt_f64_f32_e32 v[18:19], v17
	v_frexp_exp_i32_f64_e32 v16, v[18:19]
	v_cmp_gt_f32_e32 vcc, s34, v15
	v_subbrev_co_u32_e32 v15, vcc, 0, v16, vcc
	v_sub_u32_e32 v16, 0, v15
	v_ldexp_f32 v17, v17, v16
	v_ldexp_f32 v11, v11, v16
	v_add_f32_e32 v16, -1.0, v17
	v_add_f32_e32 v19, 1.0, v17
	v_add_f32_e32 v18, 1.0, v16
	v_add_f32_e32 v36, -1.0, v19
	v_sub_f32_e32 v18, v17, v18
	v_sub_f32_e32 v17, v17, v36
	v_add_f32_e32 v18, v11, v18
	v_add_f32_e32 v11, v11, v17
	;; [unrolled: 1-line block ×3, first 2 shown]
	v_rcp_f32_e32 v41, v40
	v_sub_f32_e32 v17, v40, v19
	v_sub_f32_e32 v11, v11, v17
	v_add_f32_e32 v17, v16, v18
	v_sub_f32_e32 v16, v17, v16
	v_mul_f32_e32 v43, v17, v41
	v_sub_f32_e32 v42, v18, v16
	v_mul_f32_e32 v18, v40, v43
	v_fma_f32 v36, v43, v40, -v18
	v_fmac_f32_e32 v36, v43, v11
	v_add_f32_e32 v16, v18, v36
	v_sub_f32_e32 v19, v17, v16
	v_pk_add_f32 v[38:39], v[16:17], v[18:19] neg_lo:[0,1] neg_hi:[0,1]
	v_mov_b32_e32 v37, v16
	v_pk_add_f32 v[16:17], v[38:39], v[36:37] neg_lo:[0,1] neg_hi:[0,1]
	v_add_f32_e32 v17, v42, v17
	v_add_f32_e32 v16, v16, v17
	;; [unrolled: 1-line block ×3, first 2 shown]
	v_mul_f32_e32 v42, v41, v17
	v_mul_f32_e32 v18, v40, v42
	v_fma_f32 v36, v42, v40, -v18
	v_fmac_f32_e32 v36, v42, v11
	v_sub_f32_e32 v11, v19, v17
	v_add_f32_e32 v11, v16, v11
	v_add_f32_e32 v16, v18, v36
	v_sub_f32_e32 v19, v17, v16
	v_pk_add_f32 v[38:39], v[16:17], v[18:19] neg_lo:[0,1] neg_hi:[0,1]
	v_mov_b32_e32 v37, v16
	v_pk_add_f32 v[16:17], v[38:39], v[36:37] neg_lo:[0,1] neg_hi:[0,1]
	v_add_f32_e32 v11, v11, v17
	v_add_f32_e32 v11, v16, v11
	;; [unrolled: 1-line block ×4, first 2 shown]
	v_sub_f32_e32 v16, v17, v43
	v_mul_f32_e32 v11, v41, v11
	v_sub_f32_e32 v16, v42, v16
	v_add_f32_e32 v18, v16, v11
	v_add_f32_e32 v36, v17, v18
	v_cvt_f32_i32_e32 v16, v15
	v_mul_f32_e32 v37, v36, v36
	v_mov_b32_e32 v11, 0x3ecc95a3
	v_fmac_f32_e32 v11, 0x3e9b6dac, v37
	v_fma_f32 v11, v37, v11, v21
	v_sub_f32_e32 v15, v36, v17
	v_mul_f32_e32 v17, v36, v37
	v_ldexp_f32 v19, v36, 1
	v_pk_mul_f32 v[36:37], v[16:17], v[10:11]
	v_sub_f32_e32 v15, v18, v15
	v_fma_f32 v18, v16, s35, -v36
	v_fmac_f32_e32 v18, 0xb102e308, v16
	v_pk_add_f32 v[16:17], v[36:37], v[18:19]
	v_sub_f32_e32 v11, v17, v19
	v_ldexp_f32 v15, v15, 1
	v_sub_f32_e32 v11, v37, v11
	v_add_f32_e32 v39, v15, v11
	v_mov_b32_e32 v38, v36
	v_pk_add_f32 v[36:37], v[16:17], v[36:37] neg_lo:[0,1] neg_hi:[0,1]
	v_pk_add_f32 v[40:41], v[16:17], v[38:39]
	v_mov_b32_e32 v37, v41
	v_mov_b32_e32 v19, v16
	v_pk_add_f32 v[42:43], v[18:19], v[36:37] neg_lo:[0,1] neg_hi:[0,1]
	v_pk_add_f32 v[18:19], v[18:19], v[36:37]
	v_mov_b32_e32 v36, v19
	v_pk_add_f32 v[44:45], v[36:37], v[16:17] neg_lo:[0,1] neg_hi:[0,1]
	v_mov_b32_e32 v11, v44
	v_pk_add_f32 v[46:47], v[40:41], v[10:11] neg_lo:[0,1] neg_hi:[0,1]
	v_mov_b32_e32 v18, v41
	v_mov_b32_e32 v40, v17
	;; [unrolled: 1-line block ×4, first 2 shown]
	v_pk_add_f32 v[18:19], v[18:19], v[40:41] neg_lo:[0,1] neg_hi:[0,1]
	v_mov_b32_e32 v38, v39
	v_mov_b32_e32 v39, v16
	v_pk_add_f32 v[16:17], v[38:39], v[18:19] neg_lo:[0,1] neg_hi:[0,1]
	v_mov_b32_e32 v46, v42
	v_pk_add_f32 v[18:19], v[46:47], v[16:17]
	v_mov_b32_e32 v38, v19
	v_pk_add_f32 v[38:39], v[18:19], v[38:39]
	v_pk_add_f32 v[36:37], v[36:37], v[38:39]
	v_mov_b32_e32 v19, v36
	v_pk_add_f32 v[40:41], v[18:19], v[42:43] neg_lo:[0,1] neg_hi:[0,1]
	v_mov_b32_e32 v17, v38
	v_sub_f32_e32 v11, v18, v40
	v_pk_add_f32 v[16:17], v[16:17], v[40:41] neg_lo:[0,1] neg_hi:[0,1]
	v_sub_f32_e32 v11, v42, v11
	v_add_f32_e32 v11, v16, v11
	v_add_f32_e32 v11, v11, v17
	;; [unrolled: 1-line block ×3, first 2 shown]
	v_cmp_eq_f32_e32 vcc, s36, v14
	v_cndmask_b32_e32 v11, v11, v14, vcc
	v_cmp_ngt_f32_e32 vcc, -1.0, v14
	v_cndmask_b32_e32 v11, v28, v11, vcc
	v_cmp_neq_f32_e32 vcc, -1.0, v14
	v_cndmask_b32_e32 v11, v29, v11, vcc
	v_cmp_lt_f32_e64 vcc, |v14|, s37
	v_cndmask_b32_e32 v11, v11, v14, vcc
	v_mul_f32_e32 v36, 0.5, v11
	v_max_f32_e64 v11, |v7|, |v7|
	v_max_f32_e64 v14, |v6|, |v6|
	v_min_f32_e32 v15, v14, v11
	v_max_f32_e32 v11, v14, v11
	v_frexp_mant_f32_e32 v14, v11
	v_rcp_f32_e32 v14, v14
	v_frexp_exp_i32_f32_e32 v11, v11
	v_frexp_exp_i32_f32_e32 v16, v15
	v_frexp_mant_f32_e32 v15, v15
	v_mul_f32_e32 v14, v15, v14
	v_sub_u32_e32 v11, v16, v11
	v_ldexp_f32 v11, v14, v11
	v_mul_f32_e32 v14, v11, v11
	v_mov_b32_e32 v15, 0xbc7a590c
	v_fmac_f32_e32 v15, 0x3b2d2a58, v14
	v_fma_f32 v15, v14, v15, v22
	v_fma_f32 v15, v14, v15, v23
	;; [unrolled: 1-line block ×6, first 2 shown]
	v_mul_f32_e32 v14, v14, v15
	v_fmac_f32_e32 v11, v11, v14
	v_sub_f32_e32 v14, 0x3fc90fdb, v11
	v_cndmask_b32_e64 v11, v11, v14, s[0:1]
	v_sub_f32_e32 v14, 0x40490fdb, v11
	v_cmp_gt_f32_e32 vcc, 0, v6
	v_cmp_gt_i32_e64 s[2:3], 0, v6
	v_cndmask_b32_e32 v11, v11, v14, vcc
	v_cndmask_b32_e64 v14, 0, v30, s[2:3]
	v_cmp_eq_f32_e64 s[2:3], 0, v7
	v_cndmask_b32_e64 v11, v11, v14, s[2:3]
	v_cmp_class_f32_e64 s[2:3], v6, s38
	v_cmp_class_f32_e64 s[22:23], v7, s38
	v_cndmask_b32_e32 v14, v31, v32, vcc
	s_and_b64 vcc, s[2:3], s[22:23]
	v_cndmask_b32_e32 v37, v11, v14, vcc
                                        ; implicit-def: $vgpr14_vgpr15
.LBB187_168:                            ;   in Loop: Header=BB187_162 Depth=1
	s_andn2_saveexec_b64 s[20:21], s[20:21]
	s_cbranch_execz .LBB187_176
; %bb.169:                              ;   in Loop: Header=BB187_162 Depth=1
	v_pk_mul_f32 v[16:17], v[14:15], v[14:15]
	v_add_f32_e32 v11, v17, v16
	v_cmp_ge_f32_e32 vcc, s39, v11
                                        ; implicit-def: $vgpr36
                                        ; implicit-def: $vgpr37
	s_and_saveexec_b64 s[2:3], vcc
	s_xor_b64 s[22:23], exec, s[2:3]
	s_cbranch_execz .LBB187_171
; %bb.170:                              ;   in Loop: Header=BB187_162 Depth=1
	v_cmp_gt_f32_e32 vcc, s40, v11
	v_cndmask_b32_e32 v14, 1.0, v33, vcc
	v_mul_f32_e32 v11, v11, v14
	v_log_f32_e32 v11, v11
	v_cndmask_b32_e32 v14, 0, v34, vcc
	v_cmp_gt_i32_e64 s[2:3], 0, v6
	v_cmp_class_f32_e64 s[24:25], v7, s38
	v_mul_f32_e32 v15, 0x3f317217, v11
	v_fma_f32 v16, v11, s41, -v15
	v_fmac_f32_e32 v16, 0x3377d1cf, v11
	v_add_f32_e32 v15, v15, v16
	v_cmp_lt_f32_e64 vcc, |v11|, s36
	v_cndmask_b32_e32 v11, v11, v15, vcc
	v_sub_f32_e32 v11, v11, v14
	v_mul_f32_e32 v36, 0.5, v11
	v_max_f32_e64 v11, |v7|, |v7|
	v_max_f32_e64 v14, |v6|, |v6|
	v_min_f32_e32 v15, v14, v11
	v_max_f32_e32 v11, v14, v11
	v_frexp_mant_f32_e32 v14, v11
	v_rcp_f32_e32 v14, v14
	v_frexp_exp_i32_f32_e32 v11, v11
	v_frexp_exp_i32_f32_e32 v16, v15
	v_frexp_mant_f32_e32 v15, v15
	v_mul_f32_e32 v14, v15, v14
	v_sub_u32_e32 v11, v16, v11
	v_ldexp_f32 v11, v14, v11
	v_mul_f32_e32 v14, v11, v11
	v_mov_b32_e32 v15, 0xbc7a590c
	v_fmac_f32_e32 v15, 0x3b2d2a58, v14
	v_fma_f32 v15, v14, v15, v22
	v_fma_f32 v15, v14, v15, v23
	;; [unrolled: 1-line block ×6, first 2 shown]
	v_mul_f32_e32 v14, v14, v15
	v_fmac_f32_e32 v11, v11, v14
	v_sub_f32_e32 v14, 0x3fc90fdb, v11
	v_cndmask_b32_e64 v11, v11, v14, s[0:1]
	v_sub_f32_e32 v14, 0x40490fdb, v11
	v_cmp_gt_f32_e32 vcc, 0, v6
	v_cndmask_b32_e32 v11, v11, v14, vcc
	v_cndmask_b32_e64 v14, 0, v30, s[2:3]
	v_cmp_eq_f32_e64 s[2:3], 0, v7
	v_cndmask_b32_e64 v11, v11, v14, s[2:3]
	v_cmp_class_f32_e64 s[2:3], v6, s38
	v_cndmask_b32_e32 v14, v31, v32, vcc
	s_and_b64 vcc, s[2:3], s[24:25]
	v_cndmask_b32_e32 v37, v11, v14, vcc
                                        ; implicit-def: $vgpr14_vgpr15
.LBB187_171:                            ;   in Loop: Header=BB187_162 Depth=1
	s_andn2_saveexec_b64 s[22:23], s[22:23]
	s_cbranch_execz .LBB187_175
; %bb.172:                              ;   in Loop: Header=BB187_162 Depth=1
	v_and_b32_e32 v17, 0x7fff0000, v14
	v_and_b32_e32 v16, 0x7fff0000, v15
	v_pk_add_f32 v[14:15], v[14:15], v[16:17] op_sel:[1,0] op_sel_hi:[0,1] neg_lo:[0,1] neg_hi:[0,1]
	v_and_b32_e32 v19, 0xffff0000, v15
	v_and_b32_e32 v18, 0xffff0000, v14
	v_add_f32_e32 v37, v16, v16
	v_pk_add_f32 v[42:43], v[14:15], v[18:19] neg_lo:[0,1] neg_hi:[0,1]
	v_pk_mul_f32 v[14:15], v[16:17], v[16:17]
	v_mul_f32_e32 v36, v37, v18
	v_add_f32_e32 v39, v17, v17
	v_pk_mul_f32 v[16:17], v[18:19], v[18:19]
	v_add_f32_e32 v18, v18, v18
	v_mul_f32_e32 v11, v39, v19
	v_mul_f32_e32 v38, v37, v42
	;; [unrolled: 1-line block ×4, first 2 shown]
	v_add_f32_e32 v18, v19, v19
	v_mul_f32_e32 v40, v18, v43
	v_pk_mul_f32 v[18:19], v[42:43], v[42:43]
	s_mov_b64 s[24:25], 0
.LBB187_173:                            ;   Parent Loop BB187_162 Depth=1
                                        ; =>  This Inner Loop Header: Depth=2
	v_cmp_nlt_f32_e32 vcc, v14, v15
	v_cndmask_b32_e32 v41, v14, v15, vcc
	v_cmp_nlt_f32_e64 s[2:3], v41, v36
	v_cndmask_b32_e64 v42, v41, v36, s[2:3]
	v_cndmask_b32_e32 v14, v15, v14, vcc
	s_and_b64 s[46:47], vcc, s[2:3]
	v_cmp_nlt_f32_e32 vcc, v42, v11
	v_cndmask_b32_e64 v15, v36, v41, s[2:3]
	v_cndmask_b32_e32 v41, v42, v11, vcc
	v_cmp_nlt_f32_e64 s[2:3], v41, v16
	v_cndmask_b32_e32 v36, v11, v42, vcc
	v_cndmask_b32_e64 v42, v41, v16, s[2:3]
	s_and_b64 s[48:49], vcc, s[2:3]
	v_cmp_nlt_f32_e32 vcc, v42, v17
	v_cndmask_b32_e64 v11, v16, v41, s[2:3]
	v_cndmask_b32_e32 v41, v42, v17, vcc
	v_cmp_nlt_f32_e64 s[2:3], v41, v38
	v_cndmask_b32_e32 v16, v17, v42, vcc
	v_cndmask_b32_e64 v42, v41, v38, s[2:3]
	v_cndmask_b32_e64 v17, v38, v41, s[2:3]
	s_and_b64 s[2:3], vcc, s[2:3]
	v_cmp_nlt_f32_e32 vcc, v42, v37
	v_cndmask_b32_e32 v41, v42, v37, vcc
	v_cndmask_b32_e32 v38, v37, v42, vcc
	s_and_b64 s[2:3], s[2:3], vcc
	v_cmp_nlt_f32_e32 vcc, v41, v39
	v_cndmask_b32_e32 v42, v41, v39, vcc
	v_cndmask_b32_e32 v37, v39, v41, vcc
	s_and_b64 s[2:3], s[2:3], vcc
	;; [unrolled: 4-line block ×4, first 2 shown]
	v_cmp_nlt_f32_e32 vcc, v42, v19
	s_and_b64 s[2:3], s[2:3], vcc
	s_and_b64 s[2:3], s[2:3], s[48:49]
	s_and_b64 s[2:3], s[2:3], s[46:47]
	s_and_b64 s[2:3], exec, s[2:3]
	v_cndmask_b32_e32 v18, v19, v42, vcc
	s_or_b64 s[24:25], s[2:3], s[24:25]
	v_cndmask_b32_e32 v19, v42, v19, vcc
	s_andn2_b64 exec, exec, s[24:25]
	s_cbranch_execnz .LBB187_173
; %bb.174:                              ;   in Loop: Header=BB187_162 Depth=1
	s_or_b64 exec, exec, s[24:25]
	v_add_f32_e32 v14, -1.0, v14
	v_add_f32_e32 v14, v14, v15
	v_add_f32_e32 v14, v14, v36
	;; [unrolled: 1-line block ×11, first 2 shown]
	v_add_f32_e32 v17, 1.0, v14
	v_add_f32_e32 v15, -1.0, v17
	v_mov_b32_e32 v16, v15
	v_pk_add_f32 v[18:19], v[14:15], v[16:17] neg_lo:[0,1] neg_hi:[0,1]
	v_add_f32_e32 v11, 1.0, v19
	v_add_f32_e32 v11, v18, v11
	v_frexp_mant_f32_e32 v15, v17
	v_cvt_f64_f32_e32 v[18:19], v17
	v_frexp_exp_i32_f64_e32 v16, v[18:19]
	v_cmp_gt_f32_e32 vcc, s34, v15
	v_subbrev_co_u32_e32 v15, vcc, 0, v16, vcc
	v_sub_u32_e32 v16, 0, v15
	v_ldexp_f32 v17, v17, v16
	v_ldexp_f32 v11, v11, v16
	v_add_f32_e32 v16, -1.0, v17
	v_add_f32_e32 v19, 1.0, v17
	v_add_f32_e32 v18, 1.0, v16
	v_add_f32_e32 v36, -1.0, v19
	v_sub_f32_e32 v18, v17, v18
	v_sub_f32_e32 v17, v17, v36
	v_add_f32_e32 v18, v11, v18
	v_add_f32_e32 v11, v11, v17
	;; [unrolled: 1-line block ×3, first 2 shown]
	v_rcp_f32_e32 v41, v40
	v_sub_f32_e32 v17, v40, v19
	v_sub_f32_e32 v11, v11, v17
	v_add_f32_e32 v17, v16, v18
	v_sub_f32_e32 v16, v17, v16
	v_mul_f32_e32 v43, v17, v41
	v_sub_f32_e32 v42, v18, v16
	v_mul_f32_e32 v18, v40, v43
	v_fma_f32 v36, v43, v40, -v18
	v_fmac_f32_e32 v36, v43, v11
	v_add_f32_e32 v16, v18, v36
	v_sub_f32_e32 v19, v17, v16
	v_pk_add_f32 v[38:39], v[16:17], v[18:19] neg_lo:[0,1] neg_hi:[0,1]
	v_mov_b32_e32 v37, v16
	v_pk_add_f32 v[16:17], v[38:39], v[36:37] neg_lo:[0,1] neg_hi:[0,1]
	v_add_f32_e32 v17, v42, v17
	v_add_f32_e32 v16, v16, v17
	v_add_f32_e32 v17, v19, v16
	v_mul_f32_e32 v42, v41, v17
	v_mul_f32_e32 v18, v40, v42
	v_fma_f32 v36, v42, v40, -v18
	v_fmac_f32_e32 v36, v42, v11
	v_sub_f32_e32 v11, v19, v17
	v_add_f32_e32 v11, v16, v11
	v_add_f32_e32 v16, v18, v36
	v_sub_f32_e32 v19, v17, v16
	v_pk_add_f32 v[38:39], v[16:17], v[18:19] neg_lo:[0,1] neg_hi:[0,1]
	v_mov_b32_e32 v37, v16
	v_pk_add_f32 v[16:17], v[38:39], v[36:37] neg_lo:[0,1] neg_hi:[0,1]
	v_add_f32_e32 v11, v11, v17
	v_add_f32_e32 v11, v16, v11
	;; [unrolled: 1-line block ×4, first 2 shown]
	v_sub_f32_e32 v16, v17, v43
	v_mul_f32_e32 v11, v41, v11
	v_sub_f32_e32 v16, v42, v16
	v_add_f32_e32 v18, v16, v11
	v_add_f32_e32 v36, v17, v18
	v_cvt_f32_i32_e32 v16, v15
	v_mul_f32_e32 v37, v36, v36
	v_mov_b32_e32 v11, 0x3ecc95a3
	v_fmac_f32_e32 v11, 0x3e9b6dac, v37
	v_fma_f32 v11, v37, v11, v21
	v_sub_f32_e32 v15, v36, v17
	v_mul_f32_e32 v17, v36, v37
	v_ldexp_f32 v19, v36, 1
	v_pk_mul_f32 v[36:37], v[16:17], v[10:11]
	v_sub_f32_e32 v15, v18, v15
	v_fma_f32 v18, v16, s35, -v36
	v_fmac_f32_e32 v18, 0xb102e308, v16
	v_pk_add_f32 v[16:17], v[36:37], v[18:19]
	v_sub_f32_e32 v11, v17, v19
	v_ldexp_f32 v15, v15, 1
	v_sub_f32_e32 v11, v37, v11
	v_add_f32_e32 v39, v15, v11
	v_mov_b32_e32 v38, v36
	v_pk_add_f32 v[36:37], v[16:17], v[36:37] neg_lo:[0,1] neg_hi:[0,1]
	v_pk_add_f32 v[40:41], v[16:17], v[38:39]
	v_mov_b32_e32 v37, v41
	v_mov_b32_e32 v19, v16
	v_pk_add_f32 v[42:43], v[18:19], v[36:37] neg_lo:[0,1] neg_hi:[0,1]
	v_pk_add_f32 v[18:19], v[18:19], v[36:37]
	v_mov_b32_e32 v36, v19
	v_pk_add_f32 v[44:45], v[36:37], v[16:17] neg_lo:[0,1] neg_hi:[0,1]
	v_mov_b32_e32 v11, v44
	v_pk_add_f32 v[46:47], v[40:41], v[10:11] neg_lo:[0,1] neg_hi:[0,1]
	v_mov_b32_e32 v18, v41
	v_mov_b32_e32 v40, v17
	;; [unrolled: 1-line block ×4, first 2 shown]
	v_pk_add_f32 v[18:19], v[18:19], v[40:41] neg_lo:[0,1] neg_hi:[0,1]
	v_mov_b32_e32 v38, v39
	v_mov_b32_e32 v39, v16
	v_pk_add_f32 v[16:17], v[38:39], v[18:19] neg_lo:[0,1] neg_hi:[0,1]
	v_mov_b32_e32 v46, v42
	v_pk_add_f32 v[18:19], v[46:47], v[16:17]
	v_mov_b32_e32 v38, v19
	v_pk_add_f32 v[38:39], v[18:19], v[38:39]
	v_pk_add_f32 v[36:37], v[36:37], v[38:39]
	v_mov_b32_e32 v19, v36
	v_pk_add_f32 v[40:41], v[18:19], v[42:43] neg_lo:[0,1] neg_hi:[0,1]
	v_mov_b32_e32 v17, v38
	v_sub_f32_e32 v11, v18, v40
	v_pk_add_f32 v[16:17], v[16:17], v[40:41] neg_lo:[0,1] neg_hi:[0,1]
	v_sub_f32_e32 v11, v42, v11
	v_add_f32_e32 v11, v16, v11
	v_add_f32_e32 v11, v11, v17
	;; [unrolled: 1-line block ×3, first 2 shown]
	v_cmp_eq_f32_e32 vcc, s36, v14
	v_cndmask_b32_e32 v11, v11, v14, vcc
	v_cmp_ngt_f32_e32 vcc, -1.0, v14
	v_cndmask_b32_e32 v11, v28, v11, vcc
	v_cmp_neq_f32_e32 vcc, -1.0, v14
	v_cndmask_b32_e32 v11, v29, v11, vcc
	v_cmp_lt_f32_e64 vcc, |v14|, s37
	v_cndmask_b32_e32 v11, v11, v14, vcc
	v_mul_f32_e32 v36, 0.5, v11
	v_max_f32_e64 v11, |v7|, |v7|
	v_max_f32_e64 v14, |v6|, |v6|
	v_min_f32_e32 v15, v14, v11
	v_max_f32_e32 v11, v14, v11
	v_frexp_mant_f32_e32 v14, v11
	v_rcp_f32_e32 v14, v14
	v_frexp_exp_i32_f32_e32 v11, v11
	v_frexp_exp_i32_f32_e32 v16, v15
	v_frexp_mant_f32_e32 v15, v15
	v_mul_f32_e32 v14, v15, v14
	v_sub_u32_e32 v11, v16, v11
	v_ldexp_f32 v11, v14, v11
	v_mul_f32_e32 v14, v11, v11
	v_mov_b32_e32 v15, 0xbc7a590c
	v_fmac_f32_e32 v15, 0x3b2d2a58, v14
	v_fma_f32 v15, v14, v15, v22
	v_fma_f32 v15, v14, v15, v23
	;; [unrolled: 1-line block ×6, first 2 shown]
	v_mul_f32_e32 v14, v14, v15
	v_fmac_f32_e32 v11, v11, v14
	v_sub_f32_e32 v14, 0x3fc90fdb, v11
	v_cndmask_b32_e64 v11, v11, v14, s[0:1]
	v_sub_f32_e32 v14, 0x40490fdb, v11
	v_cmp_gt_f32_e32 vcc, 0, v6
	v_cmp_gt_i32_e64 s[2:3], 0, v6
	v_cndmask_b32_e32 v11, v11, v14, vcc
	v_cndmask_b32_e64 v14, 0, v30, s[2:3]
	v_cmp_eq_f32_e64 s[2:3], 0, v7
	v_cndmask_b32_e64 v11, v11, v14, s[2:3]
	v_cmp_class_f32_e64 s[2:3], v6, s38
	v_cmp_class_f32_e64 s[24:25], v7, s38
	v_cndmask_b32_e32 v14, v31, v32, vcc
	s_and_b64 vcc, s[2:3], s[24:25]
	v_cndmask_b32_e32 v37, v11, v14, vcc
.LBB187_175:                            ;   in Loop: Header=BB187_162 Depth=1
	s_or_b64 exec, exec, s[22:23]
.LBB187_176:                            ;   in Loop: Header=BB187_162 Depth=1
	s_or_b64 exec, exec, s[20:21]
.LBB187_177:                            ;   in Loop: Header=BB187_162 Depth=1
	s_andn2_saveexec_b64 s[18:19], s[18:19]
	s_cbranch_execz .LBB187_179
; %bb.178:                              ;   in Loop: Header=BB187_162 Depth=1
	v_max_f32_e64 v11, |v7|, |v7|
	v_max_f32_e64 v16, |v6|, |v6|
	v_max_f32_e32 v17, v16, v11
	v_cvt_f64_f32_e32 v[14:15], v17
	v_frexp_exp_i32_f64_e32 v14, v[14:15]
	v_sub_u32_e32 v15, 0, v14
	v_ldexp_f32 v18, |v6|, v15
	v_ldexp_f32 v15, |v7|, v15
	v_mul_f32_e32 v15, v15, v15
	v_fmac_f32_e32 v15, v18, v18
	v_sqrt_f32_e32 v15, v15
	v_cmp_neq_f32_e32 vcc, s36, v17
	v_min_f32_e32 v11, v16, v11
	v_frexp_exp_i32_f32_e32 v16, v11
	v_ldexp_f32 v14, v15, v14
	v_cndmask_b32_e32 v14, v35, v14, vcc
	v_cmp_gt_f32_e32 vcc, s40, v14
	v_cndmask_b32_e32 v15, 1.0, v33, vcc
	v_mul_f32_e32 v14, v14, v15
	v_log_f32_e32 v14, v14
	v_cndmask_b32_e32 v15, 0, v34, vcc
	v_frexp_mant_f32_e32 v11, v11
	v_cmp_gt_i32_e64 s[2:3], 0, v6
	v_mul_f32_e32 v18, 0x3f317217, v14
	v_fma_f32 v19, v14, s41, -v18
	v_fmac_f32_e32 v19, 0x3377d1cf, v14
	v_add_f32_e32 v18, v18, v19
	v_cmp_lt_f32_e64 vcc, |v14|, s36
	v_cndmask_b32_e32 v14, v14, v18, vcc
	v_sub_f32_e32 v36, v14, v15
	v_frexp_mant_f32_e32 v14, v17
	v_rcp_f32_e32 v14, v14
	v_frexp_exp_i32_f32_e32 v15, v17
	v_cmp_gt_f32_e32 vcc, 0, v6
	v_cmp_class_f32_e64 s[20:21], v7, s38
	v_mul_f32_e32 v11, v11, v14
	v_sub_u32_e32 v14, v16, v15
	v_ldexp_f32 v11, v11, v14
	v_mul_f32_e32 v14, v11, v11
	v_mov_b32_e32 v15, 0xbc7a590c
	v_fmac_f32_e32 v15, 0x3b2d2a58, v14
	v_fma_f32 v15, v14, v15, v22
	v_fma_f32 v15, v14, v15, v23
	;; [unrolled: 1-line block ×6, first 2 shown]
	v_mul_f32_e32 v14, v14, v15
	v_fmac_f32_e32 v11, v11, v14
	v_sub_f32_e32 v14, 0x3fc90fdb, v11
	v_cndmask_b32_e64 v11, v11, v14, s[0:1]
	v_sub_f32_e32 v14, 0x40490fdb, v11
	v_cndmask_b32_e32 v11, v11, v14, vcc
	v_cndmask_b32_e64 v14, 0, v30, s[2:3]
	v_cmp_eq_f32_e64 s[2:3], 0, v7
	v_cndmask_b32_e64 v11, v11, v14, s[2:3]
	v_cmp_class_f32_e64 s[2:3], v6, s38
	v_cndmask_b32_e32 v14, v31, v32, vcc
	s_and_b64 vcc, s[2:3], s[20:21]
	v_cndmask_b32_e32 v37, v11, v14, vcc
.LBB187_179:                            ;   in Loop: Header=BB187_162 Depth=1
	s_or_b64 exec, exec, s[18:19]
                                        ; implicit-def: $vgpr14
.LBB187_180:                            ;   in Loop: Header=BB187_162 Depth=1
	s_andn2_saveexec_b64 s[16:17], s[16:17]
	s_cbranch_execz .LBB187_186
; %bb.181:                              ;   in Loop: Header=BB187_162 Depth=1
	v_cmp_ngt_f32_e32 vcc, s42, v14
                                        ; implicit-def: $vgpr36
                                        ; implicit-def: $vgpr37
	s_and_saveexec_b64 s[2:3], vcc
	s_xor_b64 s[18:19], exec, s[2:3]
	s_cbranch_execz .LBB187_183
; %bb.182:                              ;   in Loop: Header=BB187_162 Depth=1
	v_pk_mul_f32 v[14:15], v[14:15], v[14:15]
	v_add_f32_e32 v17, 1.0, v14
	v_add_f32_e32 v15, -1.0, v17
	v_mov_b32_e32 v16, v15
	v_pk_add_f32 v[18:19], v[14:15], v[16:17] neg_lo:[0,1] neg_hi:[0,1]
	v_add_f32_e32 v11, 1.0, v19
	v_add_f32_e32 v11, v18, v11
	v_frexp_mant_f32_e32 v15, v17
	v_cvt_f64_f32_e32 v[18:19], v17
	v_frexp_exp_i32_f64_e32 v16, v[18:19]
	v_cmp_gt_f32_e32 vcc, s34, v15
	v_subbrev_co_u32_e32 v15, vcc, 0, v16, vcc
	v_sub_u32_e32 v16, 0, v15
	v_ldexp_f32 v17, v17, v16
	v_ldexp_f32 v11, v11, v16
	v_add_f32_e32 v16, -1.0, v17
	v_add_f32_e32 v19, 1.0, v17
	v_add_f32_e32 v18, 1.0, v16
	v_add_f32_e32 v36, -1.0, v19
	v_sub_f32_e32 v18, v17, v18
	v_sub_f32_e32 v17, v17, v36
	v_add_f32_e32 v18, v11, v18
	v_add_f32_e32 v11, v11, v17
	;; [unrolled: 1-line block ×3, first 2 shown]
	v_rcp_f32_e32 v41, v40
	v_sub_f32_e32 v17, v19, v40
	v_add_f32_e32 v11, v11, v17
	v_add_f32_e32 v17, v16, v18
	v_sub_f32_e32 v16, v16, v17
	v_mul_f32_e32 v43, v17, v41
	v_add_f32_e32 v42, v18, v16
	v_mul_f32_e32 v18, v40, v43
	v_fma_f32 v36, v43, v40, -v18
	v_fmac_f32_e32 v36, v43, v11
	v_add_f32_e32 v16, v18, v36
	v_sub_f32_e32 v19, v17, v16
	v_pk_add_f32 v[38:39], v[16:17], v[18:19] neg_lo:[0,1] neg_hi:[0,1]
	v_mov_b32_e32 v37, v16
	v_pk_add_f32 v[16:17], v[38:39], v[36:37] neg_lo:[0,1] neg_hi:[0,1]
	v_add_f32_e32 v17, v42, v17
	v_add_f32_e32 v16, v16, v17
	;; [unrolled: 1-line block ×3, first 2 shown]
	v_mul_f32_e32 v42, v41, v17
	v_mul_f32_e32 v18, v40, v42
	v_fma_f32 v36, v42, v40, -v18
	v_fmac_f32_e32 v36, v42, v11
	v_sub_f32_e32 v11, v19, v17
	v_add_f32_e32 v11, v16, v11
	v_add_f32_e32 v16, v18, v36
	v_sub_f32_e32 v19, v17, v16
	v_pk_add_f32 v[38:39], v[16:17], v[18:19] neg_lo:[0,1] neg_hi:[0,1]
	v_mov_b32_e32 v37, v16
	v_pk_add_f32 v[16:17], v[38:39], v[36:37] neg_lo:[0,1] neg_hi:[0,1]
	v_add_f32_e32 v11, v11, v17
	v_add_f32_e32 v11, v16, v11
	;; [unrolled: 1-line block ×4, first 2 shown]
	v_sub_f32_e32 v16, v17, v43
	v_mul_f32_e32 v11, v41, v11
	v_sub_f32_e32 v16, v42, v16
	v_add_f32_e32 v18, v16, v11
	v_add_f32_e32 v36, v17, v18
	v_cvt_f32_i32_e32 v16, v15
	v_mul_f32_e32 v37, v36, v36
	v_mov_b32_e32 v11, 0x3ecc95a3
	v_fmac_f32_e32 v11, 0x3e9b6dac, v37
	v_fma_f32 v11, v37, v11, v21
	v_sub_f32_e32 v15, v36, v17
	v_mul_f32_e32 v17, v36, v37
	v_ldexp_f32 v19, v36, 1
	v_pk_mul_f32 v[36:37], v[16:17], v[10:11]
	v_sub_f32_e32 v15, v18, v15
	v_fma_f32 v18, v16, s35, -v36
	v_fmac_f32_e32 v18, 0xb102e308, v16
	v_pk_add_f32 v[16:17], v[36:37], v[18:19]
	v_sub_f32_e32 v11, v17, v19
	v_ldexp_f32 v15, v15, 1
	v_sub_f32_e32 v11, v37, v11
	v_add_f32_e32 v39, v15, v11
	v_mov_b32_e32 v38, v36
	v_pk_add_f32 v[36:37], v[16:17], v[36:37] neg_lo:[0,1] neg_hi:[0,1]
	v_pk_add_f32 v[40:41], v[16:17], v[38:39]
	v_mov_b32_e32 v37, v41
	v_mov_b32_e32 v19, v16
	v_pk_add_f32 v[42:43], v[18:19], v[36:37] neg_lo:[0,1] neg_hi:[0,1]
	v_pk_add_f32 v[18:19], v[18:19], v[36:37]
	v_mov_b32_e32 v36, v19
	v_pk_add_f32 v[44:45], v[36:37], v[16:17] neg_lo:[0,1] neg_hi:[0,1]
	v_mov_b32_e32 v11, v44
	v_pk_add_f32 v[46:47], v[40:41], v[10:11] neg_lo:[0,1] neg_hi:[0,1]
	v_mov_b32_e32 v18, v41
	v_mov_b32_e32 v40, v17
	;; [unrolled: 1-line block ×4, first 2 shown]
	v_pk_add_f32 v[18:19], v[18:19], v[40:41] neg_lo:[0,1] neg_hi:[0,1]
	v_mov_b32_e32 v38, v39
	v_mov_b32_e32 v39, v16
	v_pk_add_f32 v[16:17], v[38:39], v[18:19] neg_lo:[0,1] neg_hi:[0,1]
	v_mov_b32_e32 v46, v42
	v_pk_add_f32 v[18:19], v[46:47], v[16:17]
	v_mov_b32_e32 v38, v19
	v_pk_add_f32 v[38:39], v[18:19], v[38:39]
	v_pk_add_f32 v[36:37], v[36:37], v[38:39]
	v_mov_b32_e32 v19, v36
	v_pk_add_f32 v[40:41], v[18:19], v[42:43] neg_lo:[0,1] neg_hi:[0,1]
	v_mov_b32_e32 v17, v38
	v_sub_f32_e32 v11, v18, v40
	v_pk_add_f32 v[16:17], v[16:17], v[40:41] neg_lo:[0,1] neg_hi:[0,1]
	v_sub_f32_e32 v11, v42, v11
	v_add_f32_e32 v11, v16, v11
	v_add_f32_e32 v11, v11, v17
	v_cmp_eq_f32_e32 vcc, s36, v14
	v_cmp_lt_f32_e64 s[2:3], |v14|, s37
	v_add_f32_e32 v11, v36, v11
	s_or_b64 vcc, vcc, s[2:3]
	v_cndmask_b32_e32 v11, v11, v14, vcc
	v_mul_f32_e32 v36, 0.5, v11
	v_max_f32_e64 v11, |v7|, |v7|
	v_max_f32_e64 v14, |v6|, |v6|
	v_min_f32_e32 v15, v14, v11
	v_max_f32_e32 v11, v14, v11
	v_frexp_mant_f32_e32 v14, v11
	v_rcp_f32_e32 v14, v14
	v_frexp_exp_i32_f32_e32 v11, v11
	v_frexp_exp_i32_f32_e32 v16, v15
	v_frexp_mant_f32_e32 v15, v15
	v_mul_f32_e32 v14, v15, v14
	v_sub_u32_e32 v11, v16, v11
	v_ldexp_f32 v11, v14, v11
	v_mul_f32_e32 v14, v11, v11
	v_mov_b32_e32 v15, 0xbc7a590c
	v_fmac_f32_e32 v15, 0x3b2d2a58, v14
	v_fma_f32 v15, v14, v15, v22
	v_fma_f32 v15, v14, v15, v23
	;; [unrolled: 1-line block ×6, first 2 shown]
	v_mul_f32_e32 v14, v14, v15
	v_fmac_f32_e32 v11, v11, v14
	v_sub_f32_e32 v14, 0x3fc90fdb, v11
	v_cndmask_b32_e64 v11, v11, v14, s[0:1]
	v_sub_f32_e32 v14, 0x40490fdb, v11
	v_cmp_gt_f32_e32 vcc, 0, v6
	v_cmp_gt_i32_e64 s[2:3], 0, v6
	v_cndmask_b32_e32 v11, v11, v14, vcc
	v_cndmask_b32_e64 v14, 0, v30, s[2:3]
	v_cmp_eq_f32_e64 s[2:3], 0, v7
	v_cndmask_b32_e64 v11, v11, v14, s[2:3]
	v_cmp_class_f32_e64 s[2:3], v6, s38
	v_cmp_class_f32_e64 s[20:21], v7, s38
	v_cndmask_b32_e32 v14, v31, v32, vcc
	s_and_b64 vcc, s[2:3], s[20:21]
	v_cndmask_b32_e32 v37, v11, v14, vcc
                                        ; implicit-def: $vgpr14
.LBB187_183:                            ;   in Loop: Header=BB187_162 Depth=1
	s_andn2_saveexec_b64 s[18:19], s[18:19]
	s_cbranch_execz .LBB187_185
; %bb.184:                              ;   in Loop: Header=BB187_162 Depth=1
	v_mul_f32_e32 v11, 0.5, v14
	v_mul_f32_e32 v36, v14, v11
	v_max_f32_e64 v11, |v7|, |v7|
	v_max_f32_e64 v14, |v6|, |v6|
	v_min_f32_e32 v15, v14, v11
	v_max_f32_e32 v11, v14, v11
	v_frexp_mant_f32_e32 v14, v11
	v_rcp_f32_e32 v14, v14
	v_frexp_exp_i32_f32_e32 v11, v11
	v_frexp_exp_i32_f32_e32 v16, v15
	v_frexp_mant_f32_e32 v15, v15
	v_mul_f32_e32 v14, v15, v14
	v_sub_u32_e32 v11, v16, v11
	v_ldexp_f32 v11, v14, v11
	v_mul_f32_e32 v14, v11, v11
	v_mov_b32_e32 v15, 0xbc7a590c
	v_fmac_f32_e32 v15, 0x3b2d2a58, v14
	v_fma_f32 v15, v14, v15, v22
	v_fma_f32 v15, v14, v15, v23
	;; [unrolled: 1-line block ×6, first 2 shown]
	v_mul_f32_e32 v14, v14, v15
	v_fmac_f32_e32 v11, v11, v14
	v_sub_f32_e32 v14, 0x3fc90fdb, v11
	v_cndmask_b32_e64 v11, v11, v14, s[0:1]
	v_sub_f32_e32 v14, 0x40490fdb, v11
	v_cmp_gt_f32_e32 vcc, 0, v6
	v_cmp_gt_i32_e64 s[2:3], 0, v6
	v_cndmask_b32_e32 v11, v11, v14, vcc
	v_cndmask_b32_e64 v14, 0, v30, s[2:3]
	v_cmp_eq_f32_e64 s[2:3], 0, v7
	v_cndmask_b32_e64 v11, v11, v14, s[2:3]
	v_cmp_class_f32_e64 s[2:3], v6, s38
	v_cmp_class_f32_e64 s[20:21], v7, s38
	v_cndmask_b32_e32 v14, v31, v32, vcc
	s_and_b64 vcc, s[2:3], s[20:21]
	v_cndmask_b32_e32 v37, v11, v14, vcc
.LBB187_185:                            ;   in Loop: Header=BB187_162 Depth=1
	s_or_b64 exec, exec, s[18:19]
.LBB187_186:                            ;   in Loop: Header=BB187_162 Depth=1
	s_or_b64 exec, exec, s[16:17]
.LBB187_187:                            ;   in Loop: Header=BB187_162 Depth=1
	s_andn2_saveexec_b64 s[12:13], s[12:13]
	s_cbranch_execz .LBB187_189
; %bb.188:                              ;   in Loop: Header=BB187_162 Depth=1
	v_div_scale_f32 v11, s[2:3], s43, s43, v6
	v_rcp_f32_e32 v14, v11
	v_div_scale_f32 v15, vcc, v6, s43, v6
	v_fma_f32 v16, -v11, v14, 1.0
	v_fmac_f32_e32 v14, v16, v14
	v_mul_f32_e32 v16, v15, v14
	v_fma_f32 v17, -v11, v16, v15
	v_fmac_f32_e32 v16, v17, v14
	v_fma_f32 v11, -v11, v16, v15
	v_div_scale_f32 v15, s[2:3], s43, s43, v7
	v_rcp_f32_e32 v17, v15
	v_div_fmas_f32 v11, v11, v14, v16
	v_div_fixup_f32 v11, v11, s43, v6
	v_fma_f32 v14, -v15, v17, 1.0
	v_fmac_f32_e32 v17, v14, v17
	v_div_scale_f32 v14, vcc, v7, s43, v7
	v_mul_f32_e32 v16, v14, v17
	v_fma_f32 v18, -v15, v16, v14
	v_fmac_f32_e32 v16, v18, v17
	v_fma_f32 v14, -v15, v16, v14
	v_div_fmas_f32 v14, v14, v17, v16
	v_div_fixup_f32 v16, v14, s43, v7
	v_max_f32_e64 v17, |v11|, |v16|
	v_cvt_f64_f32_e32 v[14:15], v17
	v_frexp_exp_i32_f64_e32 v14, v[14:15]
	v_sub_u32_e32 v15, 0, v14
	v_ldexp_f32 v11, |v11|, v15
	v_ldexp_f32 v15, |v16|, v15
	v_mul_f32_e32 v15, v15, v15
	v_fmac_f32_e32 v15, v11, v11
	v_sqrt_f32_e32 v11, v15
	v_cmp_neq_f32_e32 vcc, s36, v17
	v_ldexp_f32 v11, v11, v14
	v_cndmask_b32_e32 v11, v35, v11, vcc
	v_cmp_gt_f32_e32 vcc, s40, v11
	v_cndmask_b32_e32 v14, 1.0, v33, vcc
	v_mul_f32_e32 v11, v11, v14
	v_log_f32_e32 v11, v11
	v_mul_f32_e32 v14, 0x3f317217, v11
	v_fma_f32 v15, v11, s41, -v14
	v_fmac_f32_e32 v15, 0x3377d1cf, v11
	v_add_f32_e32 v14, v14, v15
	v_cmp_lt_f32_e64 s[2:3], |v11|, s36
	v_cndmask_b32_e64 v11, v11, v14, s[2:3]
	v_cndmask_b32_e32 v14, 0, v34, vcc
	v_sub_f32_e32 v11, v11, v14
	v_add_f32_e32 v36, 1.0, v11
	v_max_f32_e64 v11, |v7|, |v7|
	v_max_f32_e64 v14, |v6|, |v6|
	v_min_f32_e32 v15, v14, v11
	v_max_f32_e32 v11, v14, v11
	v_frexp_mant_f32_e32 v14, v11
	v_rcp_f32_e32 v14, v14
	v_frexp_exp_i32_f32_e32 v11, v11
	v_frexp_exp_i32_f32_e32 v16, v15
	v_frexp_mant_f32_e32 v15, v15
	v_mul_f32_e32 v14, v15, v14
	v_sub_u32_e32 v11, v16, v11
	v_ldexp_f32 v11, v14, v11
	v_mul_f32_e32 v14, v11, v11
	v_mov_b32_e32 v15, 0xbc7a590c
	v_fmac_f32_e32 v15, 0x3b2d2a58, v14
	v_fma_f32 v15, v14, v15, v22
	v_fma_f32 v15, v14, v15, v23
	;; [unrolled: 1-line block ×6, first 2 shown]
	v_mul_f32_e32 v14, v14, v15
	v_fmac_f32_e32 v11, v11, v14
	v_sub_f32_e32 v14, 0x3fc90fdb, v11
	v_cndmask_b32_e64 v11, v11, v14, s[0:1]
	v_sub_f32_e32 v14, 0x40490fdb, v11
	v_cmp_gt_f32_e32 vcc, 0, v6
	v_cmp_gt_i32_e64 s[0:1], 0, v6
	v_cndmask_b32_e32 v11, v11, v14, vcc
	v_cndmask_b32_e64 v14, 0, v30, s[0:1]
	v_cmp_eq_f32_e64 s[0:1], 0, v7
	v_cndmask_b32_e64 v11, v11, v14, s[0:1]
	v_cmp_class_f32_e64 s[0:1], v6, s38
	v_cmp_class_f32_e64 s[2:3], v7, s38
	v_cndmask_b32_e32 v14, v31, v32, vcc
	s_and_b64 vcc, s[0:1], s[2:3]
	v_cndmask_b32_e32 v37, v11, v14, vcc
.LBB187_189:                            ;   in Loop: Header=BB187_162 Depth=1
	s_or_b64 exec, exec, s[12:13]
.LBB187_190:                            ;   in Loop: Header=BB187_162 Depth=1
	s_andn2_saveexec_b64 s[0:1], s[10:11]
	s_cbranch_execz .LBB187_196
; %bb.191:                              ;   in Loop: Header=BB187_162 Depth=1
	v_cmp_nlt_f32_e64 s[2:3], |v6|, s44
	v_cmp_nlt_f32_e64 s[10:11], |v7|, s44
	s_or_b64 s[2:3], s[2:3], s[10:11]
                                        ; implicit-def: $vgpr11
	s_and_saveexec_b64 s[10:11], s[2:3]
	s_xor_b64 s[2:3], exec, s[10:11]
; %bb.192:                              ;   in Loop: Header=BB187_162 Depth=1
	v_pk_mul_f32 v[14:15], v[6:7], v[6:7]
	v_add_f32_e32 v11, v14, v15
; %bb.193:                              ;   in Loop: Header=BB187_162 Depth=1
	s_andn2_saveexec_b64 s[2:3], s[2:3]
; %bb.194:                              ;   in Loop: Header=BB187_162 Depth=1
	v_pk_mul_f32 v[14:15], v[6:7], 4.0 op_sel_hi:[1,0]
	v_pk_mul_f32 v[14:15], v[14:15], v[14:15]
	v_add_f32_e32 v6, v14, v15
	v_mul_f32_e32 v11, 0x3d800000, v6
; %bb.195:                              ;   in Loop: Header=BB187_162 Depth=1
	s_or_b64 exec, exec, s[2:3]
	v_cmp_gt_f32_e32 vcc, s40, v11
	v_cndmask_b32_e32 v6, 1.0, v33, vcc
	v_mul_f32_e32 v6, v11, v6
	v_log_f32_e32 v6, v6
	v_cndmask_b32_e32 v11, 0, v34, vcc
	v_mov_b32_e32 v37, 0x7fc00000
	v_mul_f32_e32 v14, 0x3f317217, v6
	v_fma_f32 v15, v6, s41, -v14
	v_fmac_f32_e32 v15, 0x3377d1cf, v6
	v_add_f32_e32 v14, v14, v15
	v_cmp_lt_f32_e64 vcc, |v6|, s36
	v_cndmask_b32_e32 v6, v6, v14, vcc
	v_sub_f32_e32 v36, v6, v11
.LBB187_196:                            ;   in Loop: Header=BB187_162 Depth=1
	s_or_b64 exec, exec, s[0:1]
	v_cmp_o_f32_e32 vcc, v9, v8
                                        ; implicit-def: $vgpr6
                                        ; implicit-def: $vgpr38
	s_and_saveexec_b64 s[0:1], vcc
	s_xor_b64 s[10:11], exec, s[0:1]
	s_cbranch_execz .LBB187_224
; %bb.197:                              ;   in Loop: Header=BB187_162 Depth=1
	v_cmp_lt_f32_e64 s[0:1], |v8|, |v9|
	v_cndmask_b32_e64 v11, v9, v8, s[0:1]
	v_cmp_ngt_f32_e64 s[2:3], |v11|, s29
                                        ; implicit-def: $vgpr6
                                        ; implicit-def: $vgpr38
	s_and_saveexec_b64 s[12:13], s[2:3]
	s_xor_b64 s[12:13], exec, s[12:13]
	s_cbranch_execz .LBB187_221
; %bb.198:                              ;   in Loop: Header=BB187_162 Depth=1
	v_cndmask_b32_e64 v6, v8, v9, s[0:1]
	v_and_b32_e32 v15, 0x7fffffff, v6
	v_and_b32_e32 v14, 0x7fffffff, v11
	v_cmp_neq_f32_e32 vcc, 1.0, v15
                                        ; implicit-def: $vgpr6
                                        ; implicit-def: $vgpr38
	s_and_saveexec_b64 s[2:3], vcc
	s_xor_b64 s[16:17], exec, s[2:3]
	s_cbranch_execz .LBB187_214
; %bb.199:                              ;   in Loop: Header=BB187_162 Depth=1
	v_max_f32_e32 v6, v14, v14
	v_max_f32_e32 v11, v15, v15
	v_min_f32_e32 v16, v11, v6
	v_max_f32_e32 v6, v11, v6
	v_cmp_ngt_f32_e32 vcc, s30, v16
	v_cmp_nlt_f32_e64 s[2:3], s31, v6
	s_and_b64 s[2:3], s[2:3], vcc
                                        ; implicit-def: $vgpr6
                                        ; implicit-def: $vgpr38
	s_and_saveexec_b64 s[18:19], s[2:3]
	s_xor_b64 s[18:19], exec, s[18:19]
	s_cbranch_execz .LBB187_211
; %bb.200:                              ;   in Loop: Header=BB187_162 Depth=1
	v_cmp_le_f32_e32 vcc, 1.0, v15
                                        ; implicit-def: $vgpr6
                                        ; implicit-def: $vgpr38
	s_and_saveexec_b64 s[2:3], vcc
	s_xor_b64 s[20:21], exec, s[2:3]
	s_cbranch_execz .LBB187_202
; %bb.201:                              ;   in Loop: Header=BB187_162 Depth=1
	v_pk_add_f32 v[16:17], v[14:15], s[6:7] op_sel:[1,0]
	v_mov_b32_e32 v6, v17
	v_pk_mul_f32 v[16:17], v[16:17], v[6:7]
	v_pk_fma_f32 v[14:15], v[14:15], v[14:15], v[16:17]
	v_add_f32_e32 v17, 1.0, v14
	v_add_f32_e32 v15, -1.0, v17
	v_mov_b32_e32 v16, v15
	v_pk_add_f32 v[18:19], v[14:15], v[16:17] neg_lo:[0,1] neg_hi:[0,1]
	v_add_f32_e32 v6, 1.0, v19
	v_add_f32_e32 v6, v18, v6
	v_frexp_mant_f32_e32 v11, v17
	v_cvt_f64_f32_e32 v[18:19], v17
	v_frexp_exp_i32_f64_e32 v15, v[18:19]
	v_cmp_gt_f32_e32 vcc, s34, v11
	v_subbrev_co_u32_e32 v15, vcc, 0, v15, vcc
	v_sub_u32_e32 v11, 0, v15
	v_ldexp_f32 v16, v17, v11
	v_ldexp_f32 v6, v6, v11
	v_add_f32_e32 v11, -1.0, v16
	v_add_f32_e32 v17, 1.0, v11
	v_sub_f32_e32 v17, v16, v17
	v_add_f32_e32 v18, v6, v17
	v_add_f32_e32 v17, 1.0, v16
	v_add_f32_e32 v19, -1.0, v17
	v_sub_f32_e32 v16, v16, v19
	v_add_f32_e32 v6, v6, v16
	v_add_f32_e32 v42, v17, v6
	v_rcp_f32_e32 v43, v42
	v_sub_f32_e32 v16, v42, v17
	v_add_f32_e32 v17, v11, v18
	v_sub_f32_e32 v11, v17, v11
	v_mul_f32_e32 v44, v17, v43
	v_sub_f32_e32 v11, v18, v11
	v_mul_f32_e32 v18, v42, v44
	v_sub_f32_e32 v6, v6, v16
	v_fma_f32 v38, v44, v42, -v18
	v_fmac_f32_e32 v38, v44, v6
	v_add_f32_e32 v16, v18, v38
	v_sub_f32_e32 v19, v17, v16
	v_pk_add_f32 v[40:41], v[16:17], v[18:19] neg_lo:[0,1] neg_hi:[0,1]
	v_mov_b32_e32 v39, v16
	v_pk_add_f32 v[16:17], v[40:41], v[38:39] neg_lo:[0,1] neg_hi:[0,1]
	v_add_f32_e32 v11, v11, v17
	v_add_f32_e32 v11, v16, v11
	;; [unrolled: 1-line block ×3, first 2 shown]
	v_mul_f32_e32 v45, v43, v17
	v_mul_f32_e32 v18, v42, v45
	v_fma_f32 v38, v45, v42, -v18
	v_fmac_f32_e32 v38, v45, v6
	v_add_f32_e32 v16, v18, v38
	v_sub_f32_e32 v6, v19, v17
	v_sub_f32_e32 v19, v17, v16
	v_pk_add_f32 v[40:41], v[16:17], v[18:19] neg_lo:[0,1] neg_hi:[0,1]
	v_mov_b32_e32 v39, v16
	v_add_f32_e32 v6, v11, v6
	v_pk_add_f32 v[16:17], v[40:41], v[38:39] neg_lo:[0,1] neg_hi:[0,1]
	v_add_f32_e32 v6, v6, v17
	v_add_f32_e32 v6, v16, v6
	;; [unrolled: 1-line block ×4, first 2 shown]
	v_sub_f32_e32 v11, v17, v44
	v_mul_f32_e32 v6, v43, v6
	v_sub_f32_e32 v11, v45, v11
	v_add_f32_e32 v6, v11, v6
	v_add_f32_e32 v18, v17, v6
	v_cvt_f32_i32_e32 v16, v15
	v_mul_f32_e32 v38, v18, v18
	v_mov_b32_e32 v11, 0x3ecc95a3
	v_fmac_f32_e32 v11, 0x3e9b6dac, v38
	v_fma_f32 v11, v38, v11, v21
	v_sub_f32_e32 v15, v18, v17
	v_mul_f32_e32 v17, v18, v38
	v_pk_mul_f32 v[38:39], v[16:17], v[10:11]
	v_ldexp_f32 v19, v18, 1
	v_fma_f32 v18, v16, s35, -v38
	v_fmac_f32_e32 v18, 0xb102e308, v16
	v_pk_add_f32 v[16:17], v[38:39], v[18:19]
	v_sub_f32_e32 v6, v6, v15
	v_sub_f32_e32 v11, v17, v19
	v_ldexp_f32 v6, v6, 1
	v_sub_f32_e32 v11, v39, v11
	v_add_f32_e32 v41, v6, v11
	v_mov_b32_e32 v40, v38
	v_pk_add_f32 v[38:39], v[16:17], v[38:39] neg_lo:[0,1] neg_hi:[0,1]
	v_pk_add_f32 v[42:43], v[16:17], v[40:41]
	v_mov_b32_e32 v39, v43
	v_mov_b32_e32 v19, v16
	v_pk_add_f32 v[44:45], v[18:19], v[38:39] neg_lo:[0,1] neg_hi:[0,1]
	v_pk_add_f32 v[18:19], v[18:19], v[38:39]
	v_mov_b32_e32 v6, v19
	v_pk_add_f32 v[38:39], v[6:7], v[16:17] neg_lo:[0,1] neg_hi:[0,1]
	v_mov_b32_e32 v11, v38
	v_pk_add_f32 v[46:47], v[42:43], v[10:11] neg_lo:[0,1] neg_hi:[0,1]
	v_mov_b32_e32 v18, v43
	v_mov_b32_e32 v42, v17
	;; [unrolled: 1-line block ×4, first 2 shown]
	v_pk_add_f32 v[18:19], v[18:19], v[42:43] neg_lo:[0,1] neg_hi:[0,1]
	v_mov_b32_e32 v38, v41
	v_mov_b32_e32 v39, v16
	v_pk_add_f32 v[16:17], v[38:39], v[18:19] neg_lo:[0,1] neg_hi:[0,1]
	v_mov_b32_e32 v46, v44
	v_pk_add_f32 v[18:19], v[46:47], v[16:17]
	v_mov_b32_e32 v38, v19
	v_pk_add_f32 v[38:39], v[18:19], v[38:39]
	v_pk_add_f32 v[40:41], v[6:7], v[38:39]
	v_mov_b32_e32 v19, v40
	v_pk_add_f32 v[42:43], v[18:19], v[44:45] neg_lo:[0,1] neg_hi:[0,1]
	v_mov_b32_e32 v17, v38
	v_sub_f32_e32 v6, v18, v42
	v_pk_add_f32 v[16:17], v[16:17], v[42:43] neg_lo:[0,1] neg_hi:[0,1]
	v_sub_f32_e32 v6, v44, v6
	v_add_f32_e32 v6, v16, v6
	v_add_f32_e32 v6, v6, v17
	;; [unrolled: 1-line block ×3, first 2 shown]
	v_cmp_eq_f32_e32 vcc, s36, v14
	v_cndmask_b32_e32 v6, v6, v14, vcc
	v_cmp_ngt_f32_e32 vcc, -1.0, v14
	v_cndmask_b32_e32 v6, v28, v6, vcc
	v_cmp_neq_f32_e32 vcc, -1.0, v14
	v_cndmask_b32_e32 v6, v29, v6, vcc
	v_cmp_lt_f32_e64 vcc, |v14|, s37
	v_cndmask_b32_e32 v6, v6, v14, vcc
	v_max_f32_e64 v11, |v9|, |v9|
	v_max_f32_e64 v14, |v8|, |v8|
	v_min_f32_e32 v15, v14, v11
	v_max_f32_e32 v11, v14, v11
	v_frexp_mant_f32_e32 v14, v11
	v_rcp_f32_e32 v14, v14
	v_frexp_exp_i32_f32_e32 v11, v11
	v_frexp_exp_i32_f32_e32 v16, v15
	v_frexp_mant_f32_e32 v15, v15
	v_mul_f32_e32 v14, v15, v14
	v_sub_u32_e32 v11, v16, v11
	v_ldexp_f32 v11, v14, v11
	v_mul_f32_e32 v14, v11, v11
	v_mov_b32_e32 v15, 0xbc7a590c
	v_fmac_f32_e32 v15, 0x3b2d2a58, v14
	v_fma_f32 v15, v14, v15, v22
	v_fma_f32 v15, v14, v15, v23
	;; [unrolled: 1-line block ×6, first 2 shown]
	v_mul_f32_e32 v14, v14, v15
	v_fmac_f32_e32 v11, v11, v14
	v_sub_f32_e32 v14, 0x3fc90fdb, v11
	v_cndmask_b32_e64 v11, v11, v14, s[0:1]
	v_sub_f32_e32 v14, 0x40490fdb, v11
	v_cmp_gt_f32_e32 vcc, 0, v8
	v_cmp_gt_i32_e64 s[2:3], 0, v8
	v_cndmask_b32_e32 v11, v11, v14, vcc
	v_cndmask_b32_e64 v14, 0, v30, s[2:3]
	v_cmp_eq_f32_e64 s[2:3], 0, v9
	v_cndmask_b32_e64 v11, v11, v14, s[2:3]
	v_cmp_class_f32_e64 s[2:3], v8, s38
	v_cmp_class_f32_e64 s[22:23], v9, s38
	v_cndmask_b32_e32 v14, v31, v32, vcc
	s_and_b64 vcc, s[2:3], s[22:23]
	v_mul_f32_e32 v6, 0.5, v6
	v_cndmask_b32_e32 v38, v11, v14, vcc
                                        ; implicit-def: $vgpr14_vgpr15
.LBB187_202:                            ;   in Loop: Header=BB187_162 Depth=1
	s_andn2_saveexec_b64 s[20:21], s[20:21]
	s_cbranch_execz .LBB187_210
; %bb.203:                              ;   in Loop: Header=BB187_162 Depth=1
	v_pk_mul_f32 v[16:17], v[14:15], v[14:15]
	v_add_f32_e32 v11, v17, v16
	v_cmp_ge_f32_e32 vcc, s39, v11
                                        ; implicit-def: $vgpr6
                                        ; implicit-def: $vgpr38
	s_and_saveexec_b64 s[2:3], vcc
	s_xor_b64 s[22:23], exec, s[2:3]
	s_cbranch_execz .LBB187_205
; %bb.204:                              ;   in Loop: Header=BB187_162 Depth=1
	v_cmp_gt_f32_e32 vcc, s40, v11
	v_cndmask_b32_e32 v6, 1.0, v33, vcc
	v_mul_f32_e32 v6, v11, v6
	v_log_f32_e32 v6, v6
	v_cndmask_b32_e32 v11, 0, v34, vcc
	v_cmp_gt_i32_e64 s[2:3], 0, v8
	v_cmp_class_f32_e64 s[24:25], v9, s38
	v_mul_f32_e32 v14, 0x3f317217, v6
	v_fma_f32 v15, v6, s41, -v14
	v_fmac_f32_e32 v15, 0x3377d1cf, v6
	v_add_f32_e32 v14, v14, v15
	v_cmp_lt_f32_e64 vcc, |v6|, s36
	v_cndmask_b32_e32 v6, v6, v14, vcc
	v_sub_f32_e32 v6, v6, v11
	v_max_f32_e64 v11, |v9|, |v9|
	v_max_f32_e64 v14, |v8|, |v8|
	v_min_f32_e32 v15, v14, v11
	v_max_f32_e32 v11, v14, v11
	v_frexp_mant_f32_e32 v14, v11
	v_rcp_f32_e32 v14, v14
	v_frexp_exp_i32_f32_e32 v11, v11
	v_frexp_exp_i32_f32_e32 v16, v15
	v_frexp_mant_f32_e32 v15, v15
	v_mul_f32_e32 v14, v15, v14
	v_sub_u32_e32 v11, v16, v11
	v_ldexp_f32 v11, v14, v11
	v_mul_f32_e32 v14, v11, v11
	v_mov_b32_e32 v15, 0xbc7a590c
	v_fmac_f32_e32 v15, 0x3b2d2a58, v14
	v_fma_f32 v15, v14, v15, v22
	v_fma_f32 v15, v14, v15, v23
	;; [unrolled: 1-line block ×6, first 2 shown]
	v_mul_f32_e32 v14, v14, v15
	v_fmac_f32_e32 v11, v11, v14
	v_sub_f32_e32 v14, 0x3fc90fdb, v11
	v_cndmask_b32_e64 v11, v11, v14, s[0:1]
	v_sub_f32_e32 v14, 0x40490fdb, v11
	v_cmp_gt_f32_e32 vcc, 0, v8
	v_cndmask_b32_e32 v11, v11, v14, vcc
	v_cndmask_b32_e64 v14, 0, v30, s[2:3]
	v_cmp_eq_f32_e64 s[2:3], 0, v9
	v_cndmask_b32_e64 v11, v11, v14, s[2:3]
	v_cmp_class_f32_e64 s[2:3], v8, s38
	v_cndmask_b32_e32 v14, v31, v32, vcc
	s_and_b64 vcc, s[2:3], s[24:25]
	v_mul_f32_e32 v6, 0.5, v6
	v_cndmask_b32_e32 v38, v11, v14, vcc
                                        ; implicit-def: $vgpr14_vgpr15
.LBB187_205:                            ;   in Loop: Header=BB187_162 Depth=1
	s_andn2_saveexec_b64 s[22:23], s[22:23]
	s_cbranch_execz .LBB187_209
; %bb.206:                              ;   in Loop: Header=BB187_162 Depth=1
	v_and_b32_e32 v17, 0x7fff0000, v14
	v_and_b32_e32 v16, 0x7fff0000, v15
	v_pk_add_f32 v[14:15], v[14:15], v[16:17] op_sel:[1,0] op_sel_hi:[0,1] neg_lo:[0,1] neg_hi:[0,1]
	v_and_b32_e32 v19, 0xffff0000, v15
	v_and_b32_e32 v18, 0xffff0000, v14
	v_add_f32_e32 v38, v16, v16
	v_pk_add_f32 v[42:43], v[14:15], v[18:19] neg_lo:[0,1] neg_hi:[0,1]
	v_pk_mul_f32 v[14:15], v[16:17], v[16:17]
	v_mul_f32_e32 v11, v38, v18
	v_add_f32_e32 v40, v17, v17
	v_pk_mul_f32 v[16:17], v[18:19], v[18:19]
	v_add_f32_e32 v18, v18, v18
	v_mul_f32_e32 v6, v40, v19
	v_mul_f32_e32 v39, v38, v42
	;; [unrolled: 1-line block ×4, first 2 shown]
	v_add_f32_e32 v18, v19, v19
	v_mul_f32_e32 v41, v18, v43
	v_pk_mul_f32 v[18:19], v[42:43], v[42:43]
	s_mov_b64 s[24:25], 0
.LBB187_207:                            ;   Parent Loop BB187_162 Depth=1
                                        ; =>  This Inner Loop Header: Depth=2
	v_cmp_nlt_f32_e32 vcc, v14, v15
	v_cndmask_b32_e32 v42, v14, v15, vcc
	v_cmp_nlt_f32_e64 s[2:3], v42, v11
	v_cndmask_b32_e64 v43, v42, v11, s[2:3]
	v_cndmask_b32_e32 v14, v15, v14, vcc
	s_and_b64 s[46:47], vcc, s[2:3]
	v_cmp_nlt_f32_e32 vcc, v43, v6
	v_cndmask_b32_e64 v15, v11, v42, s[2:3]
	v_cndmask_b32_e32 v42, v43, v6, vcc
	v_cmp_nlt_f32_e64 s[2:3], v42, v16
	v_cndmask_b32_e32 v11, v6, v43, vcc
	v_cndmask_b32_e64 v43, v42, v16, s[2:3]
	s_and_b64 s[48:49], vcc, s[2:3]
	v_cmp_nlt_f32_e32 vcc, v43, v17
	v_cndmask_b32_e64 v6, v16, v42, s[2:3]
	v_cndmask_b32_e32 v42, v43, v17, vcc
	v_cmp_nlt_f32_e64 s[2:3], v42, v39
	v_cndmask_b32_e32 v16, v17, v43, vcc
	v_cndmask_b32_e64 v43, v42, v39, s[2:3]
	v_cndmask_b32_e64 v17, v39, v42, s[2:3]
	s_and_b64 s[2:3], vcc, s[2:3]
	v_cmp_nlt_f32_e32 vcc, v43, v38
	v_cndmask_b32_e32 v42, v43, v38, vcc
	v_cndmask_b32_e32 v39, v38, v43, vcc
	s_and_b64 s[2:3], s[2:3], vcc
	v_cmp_nlt_f32_e32 vcc, v42, v40
	v_cndmask_b32_e32 v43, v42, v40, vcc
	v_cndmask_b32_e32 v38, v40, v42, vcc
	s_and_b64 s[2:3], s[2:3], vcc
	;; [unrolled: 4-line block ×4, first 2 shown]
	v_cmp_nlt_f32_e32 vcc, v43, v19
	s_and_b64 s[2:3], s[2:3], vcc
	s_and_b64 s[2:3], s[2:3], s[48:49]
	s_and_b64 s[2:3], s[2:3], s[46:47]
	s_and_b64 s[2:3], exec, s[2:3]
	v_cndmask_b32_e32 v18, v19, v43, vcc
	s_or_b64 s[24:25], s[2:3], s[24:25]
	v_cndmask_b32_e32 v19, v43, v19, vcc
	s_andn2_b64 exec, exec, s[24:25]
	s_cbranch_execnz .LBB187_207
; %bb.208:                              ;   in Loop: Header=BB187_162 Depth=1
	s_or_b64 exec, exec, s[24:25]
	v_add_f32_e32 v14, -1.0, v14
	v_add_f32_e32 v14, v14, v15
	v_add_f32_e32 v11, v14, v11
	;; [unrolled: 1-line block ×11, first 2 shown]
	v_add_f32_e32 v17, 1.0, v14
	v_add_f32_e32 v15, -1.0, v17
	v_mov_b32_e32 v16, v15
	v_pk_add_f32 v[18:19], v[14:15], v[16:17] neg_lo:[0,1] neg_hi:[0,1]
	v_add_f32_e32 v6, 1.0, v19
	v_add_f32_e32 v6, v18, v6
	v_frexp_mant_f32_e32 v11, v17
	v_cvt_f64_f32_e32 v[18:19], v17
	v_frexp_exp_i32_f64_e32 v15, v[18:19]
	v_cmp_gt_f32_e32 vcc, s34, v11
	v_subbrev_co_u32_e32 v15, vcc, 0, v15, vcc
	v_sub_u32_e32 v11, 0, v15
	v_ldexp_f32 v16, v17, v11
	v_ldexp_f32 v6, v6, v11
	v_add_f32_e32 v11, -1.0, v16
	v_add_f32_e32 v17, 1.0, v11
	v_sub_f32_e32 v17, v16, v17
	v_add_f32_e32 v18, v6, v17
	v_add_f32_e32 v17, 1.0, v16
	v_add_f32_e32 v19, -1.0, v17
	v_sub_f32_e32 v16, v16, v19
	v_add_f32_e32 v6, v6, v16
	v_add_f32_e32 v42, v17, v6
	v_rcp_f32_e32 v43, v42
	v_sub_f32_e32 v16, v42, v17
	v_add_f32_e32 v17, v11, v18
	v_sub_f32_e32 v11, v17, v11
	v_mul_f32_e32 v44, v17, v43
	v_sub_f32_e32 v11, v18, v11
	v_mul_f32_e32 v18, v42, v44
	v_sub_f32_e32 v6, v6, v16
	v_fma_f32 v38, v44, v42, -v18
	v_fmac_f32_e32 v38, v44, v6
	v_add_f32_e32 v16, v18, v38
	v_sub_f32_e32 v19, v17, v16
	v_pk_add_f32 v[40:41], v[16:17], v[18:19] neg_lo:[0,1] neg_hi:[0,1]
	v_mov_b32_e32 v39, v16
	v_pk_add_f32 v[16:17], v[40:41], v[38:39] neg_lo:[0,1] neg_hi:[0,1]
	v_add_f32_e32 v11, v11, v17
	v_add_f32_e32 v11, v16, v11
	;; [unrolled: 1-line block ×3, first 2 shown]
	v_mul_f32_e32 v45, v43, v17
	v_mul_f32_e32 v18, v42, v45
	v_fma_f32 v38, v45, v42, -v18
	v_fmac_f32_e32 v38, v45, v6
	v_add_f32_e32 v16, v18, v38
	v_sub_f32_e32 v6, v19, v17
	v_sub_f32_e32 v19, v17, v16
	v_pk_add_f32 v[40:41], v[16:17], v[18:19] neg_lo:[0,1] neg_hi:[0,1]
	v_mov_b32_e32 v39, v16
	v_add_f32_e32 v6, v11, v6
	v_pk_add_f32 v[16:17], v[40:41], v[38:39] neg_lo:[0,1] neg_hi:[0,1]
	v_add_f32_e32 v6, v6, v17
	v_add_f32_e32 v6, v16, v6
	;; [unrolled: 1-line block ×4, first 2 shown]
	v_sub_f32_e32 v11, v17, v44
	v_mul_f32_e32 v6, v43, v6
	v_sub_f32_e32 v11, v45, v11
	v_add_f32_e32 v6, v11, v6
	v_add_f32_e32 v18, v17, v6
	v_cvt_f32_i32_e32 v16, v15
	v_mul_f32_e32 v38, v18, v18
	v_mov_b32_e32 v11, 0x3ecc95a3
	v_fmac_f32_e32 v11, 0x3e9b6dac, v38
	v_fma_f32 v11, v38, v11, v21
	v_sub_f32_e32 v15, v18, v17
	v_mul_f32_e32 v17, v18, v38
	v_pk_mul_f32 v[38:39], v[16:17], v[10:11]
	v_ldexp_f32 v19, v18, 1
	v_fma_f32 v18, v16, s35, -v38
	v_fmac_f32_e32 v18, 0xb102e308, v16
	v_pk_add_f32 v[16:17], v[38:39], v[18:19]
	v_sub_f32_e32 v6, v6, v15
	v_sub_f32_e32 v11, v17, v19
	v_ldexp_f32 v6, v6, 1
	v_sub_f32_e32 v11, v39, v11
	v_add_f32_e32 v41, v6, v11
	v_mov_b32_e32 v40, v38
	v_pk_add_f32 v[38:39], v[16:17], v[38:39] neg_lo:[0,1] neg_hi:[0,1]
	v_pk_add_f32 v[42:43], v[16:17], v[40:41]
	v_mov_b32_e32 v39, v43
	v_mov_b32_e32 v19, v16
	v_pk_add_f32 v[44:45], v[18:19], v[38:39] neg_lo:[0,1] neg_hi:[0,1]
	v_pk_add_f32 v[18:19], v[18:19], v[38:39]
	v_mov_b32_e32 v6, v19
	v_pk_add_f32 v[38:39], v[6:7], v[16:17] neg_lo:[0,1] neg_hi:[0,1]
	v_mov_b32_e32 v11, v38
	v_pk_add_f32 v[46:47], v[42:43], v[10:11] neg_lo:[0,1] neg_hi:[0,1]
	v_mov_b32_e32 v18, v43
	v_mov_b32_e32 v42, v17
	;; [unrolled: 1-line block ×4, first 2 shown]
	v_pk_add_f32 v[18:19], v[18:19], v[42:43] neg_lo:[0,1] neg_hi:[0,1]
	v_mov_b32_e32 v38, v41
	v_mov_b32_e32 v39, v16
	v_pk_add_f32 v[16:17], v[38:39], v[18:19] neg_lo:[0,1] neg_hi:[0,1]
	v_mov_b32_e32 v46, v44
	v_pk_add_f32 v[18:19], v[46:47], v[16:17]
	v_mov_b32_e32 v38, v19
	v_pk_add_f32 v[38:39], v[18:19], v[38:39]
	v_pk_add_f32 v[40:41], v[6:7], v[38:39]
	v_mov_b32_e32 v19, v40
	v_pk_add_f32 v[42:43], v[18:19], v[44:45] neg_lo:[0,1] neg_hi:[0,1]
	v_mov_b32_e32 v17, v38
	v_sub_f32_e32 v6, v18, v42
	v_pk_add_f32 v[16:17], v[16:17], v[42:43] neg_lo:[0,1] neg_hi:[0,1]
	v_sub_f32_e32 v6, v44, v6
	v_add_f32_e32 v6, v16, v6
	v_add_f32_e32 v6, v6, v17
	;; [unrolled: 1-line block ×3, first 2 shown]
	v_cmp_eq_f32_e32 vcc, s36, v14
	v_cndmask_b32_e32 v6, v6, v14, vcc
	v_cmp_ngt_f32_e32 vcc, -1.0, v14
	v_cndmask_b32_e32 v6, v28, v6, vcc
	v_cmp_neq_f32_e32 vcc, -1.0, v14
	v_cndmask_b32_e32 v6, v29, v6, vcc
	v_cmp_lt_f32_e64 vcc, |v14|, s37
	v_cndmask_b32_e32 v6, v6, v14, vcc
	v_max_f32_e64 v11, |v9|, |v9|
	v_max_f32_e64 v14, |v8|, |v8|
	v_min_f32_e32 v15, v14, v11
	v_max_f32_e32 v11, v14, v11
	v_frexp_mant_f32_e32 v14, v11
	v_rcp_f32_e32 v14, v14
	v_frexp_exp_i32_f32_e32 v11, v11
	v_frexp_exp_i32_f32_e32 v16, v15
	v_frexp_mant_f32_e32 v15, v15
	v_mul_f32_e32 v14, v15, v14
	v_sub_u32_e32 v11, v16, v11
	v_ldexp_f32 v11, v14, v11
	v_mul_f32_e32 v14, v11, v11
	v_mov_b32_e32 v15, 0xbc7a590c
	v_fmac_f32_e32 v15, 0x3b2d2a58, v14
	v_fma_f32 v15, v14, v15, v22
	v_fma_f32 v15, v14, v15, v23
	;; [unrolled: 1-line block ×6, first 2 shown]
	v_mul_f32_e32 v14, v14, v15
	v_fmac_f32_e32 v11, v11, v14
	v_sub_f32_e32 v14, 0x3fc90fdb, v11
	v_cndmask_b32_e64 v11, v11, v14, s[0:1]
	v_sub_f32_e32 v14, 0x40490fdb, v11
	v_cmp_gt_f32_e32 vcc, 0, v8
	v_cmp_gt_i32_e64 s[2:3], 0, v8
	v_cndmask_b32_e32 v11, v11, v14, vcc
	v_cndmask_b32_e64 v14, 0, v30, s[2:3]
	v_cmp_eq_f32_e64 s[2:3], 0, v9
	v_cndmask_b32_e64 v11, v11, v14, s[2:3]
	v_cmp_class_f32_e64 s[2:3], v8, s38
	v_cmp_class_f32_e64 s[24:25], v9, s38
	v_cndmask_b32_e32 v14, v31, v32, vcc
	s_and_b64 vcc, s[2:3], s[24:25]
	v_mul_f32_e32 v6, 0.5, v6
	v_cndmask_b32_e32 v38, v11, v14, vcc
.LBB187_209:                            ;   in Loop: Header=BB187_162 Depth=1
	s_or_b64 exec, exec, s[22:23]
.LBB187_210:                            ;   in Loop: Header=BB187_162 Depth=1
	s_or_b64 exec, exec, s[20:21]
.LBB187_211:                            ;   in Loop: Header=BB187_162 Depth=1
	s_andn2_saveexec_b64 s[18:19], s[18:19]
	s_cbranch_execz .LBB187_213
; %bb.212:                              ;   in Loop: Header=BB187_162 Depth=1
	v_max_f32_e64 v11, |v9|, |v9|
	v_max_f32_e64 v16, |v8|, |v8|
	v_max_f32_e32 v17, v16, v11
	v_cvt_f64_f32_e32 v[14:15], v17
	v_frexp_exp_i32_f64_e32 v6, v[14:15]
	v_sub_u32_e32 v14, 0, v6
	v_ldexp_f32 v15, |v8|, v14
	v_ldexp_f32 v14, |v9|, v14
	v_mul_f32_e32 v14, v14, v14
	v_fmac_f32_e32 v14, v15, v15
	v_sqrt_f32_e32 v14, v14
	v_cmp_neq_f32_e32 vcc, s36, v17
	v_min_f32_e32 v11, v16, v11
	v_frexp_exp_i32_f32_e32 v16, v11
	v_ldexp_f32 v6, v14, v6
	v_cndmask_b32_e32 v6, v35, v6, vcc
	v_cmp_gt_f32_e32 vcc, s40, v6
	v_cndmask_b32_e32 v14, 1.0, v33, vcc
	v_mul_f32_e32 v6, v6, v14
	v_log_f32_e32 v6, v6
	v_cndmask_b32_e32 v14, 0, v34, vcc
	v_frexp_mant_f32_e32 v11, v11
	v_cmp_gt_i32_e64 s[2:3], 0, v8
	v_mul_f32_e32 v15, 0x3f317217, v6
	v_fma_f32 v18, v6, s41, -v15
	v_fmac_f32_e32 v18, 0x3377d1cf, v6
	v_add_f32_e32 v15, v15, v18
	v_cmp_lt_f32_e64 vcc, |v6|, s36
	v_cndmask_b32_e32 v6, v6, v15, vcc
	v_sub_f32_e32 v6, v6, v14
	v_frexp_mant_f32_e32 v14, v17
	v_rcp_f32_e32 v14, v14
	v_frexp_exp_i32_f32_e32 v15, v17
	v_cmp_gt_f32_e32 vcc, 0, v8
	v_cmp_class_f32_e64 s[20:21], v9, s38
	v_mul_f32_e32 v11, v11, v14
	v_sub_u32_e32 v14, v16, v15
	v_ldexp_f32 v11, v11, v14
	v_mul_f32_e32 v14, v11, v11
	v_mov_b32_e32 v15, 0xbc7a590c
	v_fmac_f32_e32 v15, 0x3b2d2a58, v14
	v_fma_f32 v15, v14, v15, v22
	v_fma_f32 v15, v14, v15, v23
	;; [unrolled: 1-line block ×6, first 2 shown]
	v_mul_f32_e32 v14, v14, v15
	v_fmac_f32_e32 v11, v11, v14
	v_sub_f32_e32 v14, 0x3fc90fdb, v11
	v_cndmask_b32_e64 v11, v11, v14, s[0:1]
	v_sub_f32_e32 v14, 0x40490fdb, v11
	v_cndmask_b32_e32 v11, v11, v14, vcc
	v_cndmask_b32_e64 v14, 0, v30, s[2:3]
	v_cmp_eq_f32_e64 s[2:3], 0, v9
	v_cndmask_b32_e64 v11, v11, v14, s[2:3]
	v_cmp_class_f32_e64 s[2:3], v8, s38
	v_cndmask_b32_e32 v14, v31, v32, vcc
	s_and_b64 vcc, s[2:3], s[20:21]
	v_cndmask_b32_e32 v38, v11, v14, vcc
.LBB187_213:                            ;   in Loop: Header=BB187_162 Depth=1
	s_or_b64 exec, exec, s[18:19]
                                        ; implicit-def: $vgpr14
.LBB187_214:                            ;   in Loop: Header=BB187_162 Depth=1
	s_andn2_saveexec_b64 s[16:17], s[16:17]
	s_cbranch_execz .LBB187_220
; %bb.215:                              ;   in Loop: Header=BB187_162 Depth=1
	v_cmp_ngt_f32_e32 vcc, s42, v14
                                        ; implicit-def: $vgpr6
                                        ; implicit-def: $vgpr38
	s_and_saveexec_b64 s[2:3], vcc
	s_xor_b64 s[18:19], exec, s[2:3]
	s_cbranch_execz .LBB187_217
; %bb.216:                              ;   in Loop: Header=BB187_162 Depth=1
	v_pk_mul_f32 v[14:15], v[14:15], v[14:15]
	v_add_f32_e32 v17, 1.0, v14
	v_add_f32_e32 v15, -1.0, v17
	v_mov_b32_e32 v16, v15
	v_pk_add_f32 v[18:19], v[14:15], v[16:17] neg_lo:[0,1] neg_hi:[0,1]
	v_add_f32_e32 v6, 1.0, v19
	v_add_f32_e32 v6, v18, v6
	v_frexp_mant_f32_e32 v11, v17
	v_cvt_f64_f32_e32 v[18:19], v17
	v_frexp_exp_i32_f64_e32 v15, v[18:19]
	v_cmp_gt_f32_e32 vcc, s34, v11
	v_subbrev_co_u32_e32 v15, vcc, 0, v15, vcc
	v_sub_u32_e32 v11, 0, v15
	v_ldexp_f32 v16, v17, v11
	v_ldexp_f32 v6, v6, v11
	v_add_f32_e32 v11, -1.0, v16
	v_add_f32_e32 v17, 1.0, v11
	v_sub_f32_e32 v17, v16, v17
	v_add_f32_e32 v18, v6, v17
	v_add_f32_e32 v17, 1.0, v16
	v_add_f32_e32 v19, -1.0, v17
	v_sub_f32_e32 v16, v16, v19
	v_add_f32_e32 v6, v6, v16
	v_add_f32_e32 v42, v17, v6
	v_rcp_f32_e32 v43, v42
	v_sub_f32_e32 v16, v17, v42
	v_add_f32_e32 v17, v11, v18
	v_sub_f32_e32 v11, v11, v17
	v_mul_f32_e32 v44, v17, v43
	v_add_f32_e32 v11, v18, v11
	v_mul_f32_e32 v18, v42, v44
	v_add_f32_e32 v6, v6, v16
	v_fma_f32 v38, v44, v42, -v18
	v_fmac_f32_e32 v38, v44, v6
	v_add_f32_e32 v16, v18, v38
	v_sub_f32_e32 v19, v17, v16
	v_pk_add_f32 v[40:41], v[16:17], v[18:19] neg_lo:[0,1] neg_hi:[0,1]
	v_mov_b32_e32 v39, v16
	v_pk_add_f32 v[16:17], v[40:41], v[38:39] neg_lo:[0,1] neg_hi:[0,1]
	v_add_f32_e32 v11, v11, v17
	v_add_f32_e32 v11, v16, v11
	;; [unrolled: 1-line block ×3, first 2 shown]
	v_mul_f32_e32 v45, v43, v17
	v_mul_f32_e32 v18, v42, v45
	v_fma_f32 v38, v45, v42, -v18
	v_fmac_f32_e32 v38, v45, v6
	v_add_f32_e32 v16, v18, v38
	v_sub_f32_e32 v6, v19, v17
	v_sub_f32_e32 v19, v17, v16
	v_pk_add_f32 v[40:41], v[16:17], v[18:19] neg_lo:[0,1] neg_hi:[0,1]
	v_mov_b32_e32 v39, v16
	v_add_f32_e32 v6, v11, v6
	v_pk_add_f32 v[16:17], v[40:41], v[38:39] neg_lo:[0,1] neg_hi:[0,1]
	v_add_f32_e32 v6, v6, v17
	v_add_f32_e32 v6, v16, v6
	;; [unrolled: 1-line block ×4, first 2 shown]
	v_sub_f32_e32 v11, v17, v44
	v_mul_f32_e32 v6, v43, v6
	v_sub_f32_e32 v11, v45, v11
	v_add_f32_e32 v6, v11, v6
	v_add_f32_e32 v18, v17, v6
	v_cvt_f32_i32_e32 v16, v15
	v_mul_f32_e32 v38, v18, v18
	v_mov_b32_e32 v11, 0x3ecc95a3
	v_fmac_f32_e32 v11, 0x3e9b6dac, v38
	v_fma_f32 v11, v38, v11, v21
	v_sub_f32_e32 v15, v18, v17
	v_mul_f32_e32 v17, v18, v38
	v_pk_mul_f32 v[38:39], v[16:17], v[10:11]
	v_ldexp_f32 v19, v18, 1
	v_fma_f32 v18, v16, s35, -v38
	v_fmac_f32_e32 v18, 0xb102e308, v16
	v_pk_add_f32 v[16:17], v[38:39], v[18:19]
	v_sub_f32_e32 v6, v6, v15
	v_sub_f32_e32 v11, v17, v19
	v_ldexp_f32 v6, v6, 1
	v_sub_f32_e32 v11, v39, v11
	v_add_f32_e32 v41, v6, v11
	v_mov_b32_e32 v40, v38
	v_pk_add_f32 v[38:39], v[16:17], v[38:39] neg_lo:[0,1] neg_hi:[0,1]
	v_pk_add_f32 v[42:43], v[16:17], v[40:41]
	v_mov_b32_e32 v39, v43
	v_mov_b32_e32 v19, v16
	v_pk_add_f32 v[44:45], v[18:19], v[38:39] neg_lo:[0,1] neg_hi:[0,1]
	v_pk_add_f32 v[18:19], v[18:19], v[38:39]
	v_mov_b32_e32 v6, v19
	v_pk_add_f32 v[38:39], v[6:7], v[16:17] neg_lo:[0,1] neg_hi:[0,1]
	v_mov_b32_e32 v11, v38
	v_pk_add_f32 v[46:47], v[42:43], v[10:11] neg_lo:[0,1] neg_hi:[0,1]
	v_mov_b32_e32 v18, v43
	v_mov_b32_e32 v42, v17
	v_mov_b32_e32 v43, v38
	v_mov_b32_e32 v45, v19
	v_pk_add_f32 v[18:19], v[18:19], v[42:43] neg_lo:[0,1] neg_hi:[0,1]
	v_mov_b32_e32 v38, v41
	v_mov_b32_e32 v39, v16
	v_pk_add_f32 v[16:17], v[38:39], v[18:19] neg_lo:[0,1] neg_hi:[0,1]
	v_mov_b32_e32 v46, v44
	v_pk_add_f32 v[18:19], v[46:47], v[16:17]
	v_mov_b32_e32 v38, v19
	v_pk_add_f32 v[38:39], v[18:19], v[38:39]
	v_pk_add_f32 v[40:41], v[6:7], v[38:39]
	v_mov_b32_e32 v19, v40
	v_pk_add_f32 v[42:43], v[18:19], v[44:45] neg_lo:[0,1] neg_hi:[0,1]
	v_mov_b32_e32 v17, v38
	v_sub_f32_e32 v6, v18, v42
	v_pk_add_f32 v[16:17], v[16:17], v[42:43] neg_lo:[0,1] neg_hi:[0,1]
	v_sub_f32_e32 v6, v44, v6
	v_add_f32_e32 v6, v16, v6
	v_add_f32_e32 v6, v6, v17
	v_cmp_eq_f32_e32 vcc, s36, v14
	v_cmp_lt_f32_e64 s[2:3], |v14|, s37
	v_add_f32_e32 v6, v40, v6
	s_or_b64 vcc, vcc, s[2:3]
	v_cndmask_b32_e32 v6, v6, v14, vcc
	v_max_f32_e64 v11, |v9|, |v9|
	v_max_f32_e64 v14, |v8|, |v8|
	v_min_f32_e32 v15, v14, v11
	v_max_f32_e32 v11, v14, v11
	v_frexp_mant_f32_e32 v14, v11
	v_rcp_f32_e32 v14, v14
	v_frexp_exp_i32_f32_e32 v11, v11
	v_frexp_exp_i32_f32_e32 v16, v15
	v_frexp_mant_f32_e32 v15, v15
	v_mul_f32_e32 v14, v15, v14
	v_sub_u32_e32 v11, v16, v11
	v_ldexp_f32 v11, v14, v11
	v_mul_f32_e32 v14, v11, v11
	v_mov_b32_e32 v15, 0xbc7a590c
	v_fmac_f32_e32 v15, 0x3b2d2a58, v14
	v_fma_f32 v15, v14, v15, v22
	v_fma_f32 v15, v14, v15, v23
	;; [unrolled: 1-line block ×6, first 2 shown]
	v_mul_f32_e32 v14, v14, v15
	v_fmac_f32_e32 v11, v11, v14
	v_sub_f32_e32 v14, 0x3fc90fdb, v11
	v_cndmask_b32_e64 v11, v11, v14, s[0:1]
	v_sub_f32_e32 v14, 0x40490fdb, v11
	v_cmp_gt_f32_e32 vcc, 0, v8
	v_cmp_gt_i32_e64 s[2:3], 0, v8
	v_cndmask_b32_e32 v11, v11, v14, vcc
	v_cndmask_b32_e64 v14, 0, v30, s[2:3]
	v_cmp_eq_f32_e64 s[2:3], 0, v9
	v_cndmask_b32_e64 v11, v11, v14, s[2:3]
	v_cmp_class_f32_e64 s[2:3], v8, s38
	v_cmp_class_f32_e64 s[20:21], v9, s38
	v_cndmask_b32_e32 v14, v31, v32, vcc
	s_and_b64 vcc, s[2:3], s[20:21]
	v_mul_f32_e32 v6, 0.5, v6
	v_cndmask_b32_e32 v38, v11, v14, vcc
                                        ; implicit-def: $vgpr14
.LBB187_217:                            ;   in Loop: Header=BB187_162 Depth=1
	s_andn2_saveexec_b64 s[18:19], s[18:19]
	s_cbranch_execz .LBB187_219
; %bb.218:                              ;   in Loop: Header=BB187_162 Depth=1
	v_mul_f32_e32 v6, 0.5, v14
	v_mul_f32_e32 v6, v14, v6
	v_max_f32_e64 v11, |v9|, |v9|
	v_max_f32_e64 v14, |v8|, |v8|
	v_min_f32_e32 v15, v14, v11
	v_max_f32_e32 v11, v14, v11
	v_frexp_mant_f32_e32 v14, v11
	v_rcp_f32_e32 v14, v14
	v_frexp_exp_i32_f32_e32 v11, v11
	v_frexp_exp_i32_f32_e32 v16, v15
	v_frexp_mant_f32_e32 v15, v15
	v_mul_f32_e32 v14, v15, v14
	v_sub_u32_e32 v11, v16, v11
	v_ldexp_f32 v11, v14, v11
	v_mul_f32_e32 v14, v11, v11
	v_mov_b32_e32 v15, 0xbc7a590c
	v_fmac_f32_e32 v15, 0x3b2d2a58, v14
	v_fma_f32 v15, v14, v15, v22
	v_fma_f32 v15, v14, v15, v23
	;; [unrolled: 1-line block ×6, first 2 shown]
	v_mul_f32_e32 v14, v14, v15
	v_fmac_f32_e32 v11, v11, v14
	v_sub_f32_e32 v14, 0x3fc90fdb, v11
	v_cndmask_b32_e64 v11, v11, v14, s[0:1]
	v_sub_f32_e32 v14, 0x40490fdb, v11
	v_cmp_gt_f32_e32 vcc, 0, v8
	v_cmp_gt_i32_e64 s[2:3], 0, v8
	v_cndmask_b32_e32 v11, v11, v14, vcc
	v_cndmask_b32_e64 v14, 0, v30, s[2:3]
	v_cmp_eq_f32_e64 s[2:3], 0, v9
	v_cndmask_b32_e64 v11, v11, v14, s[2:3]
	v_cmp_class_f32_e64 s[2:3], v8, s38
	v_cmp_class_f32_e64 s[20:21], v9, s38
	v_cndmask_b32_e32 v14, v31, v32, vcc
	s_and_b64 vcc, s[2:3], s[20:21]
	v_cndmask_b32_e32 v38, v11, v14, vcc
.LBB187_219:                            ;   in Loop: Header=BB187_162 Depth=1
	s_or_b64 exec, exec, s[18:19]
.LBB187_220:                            ;   in Loop: Header=BB187_162 Depth=1
	s_or_b64 exec, exec, s[16:17]
.LBB187_221:                            ;   in Loop: Header=BB187_162 Depth=1
	s_andn2_saveexec_b64 s[12:13], s[12:13]
	s_cbranch_execz .LBB187_223
; %bb.222:                              ;   in Loop: Header=BB187_162 Depth=1
	v_div_scale_f32 v6, s[2:3], s43, s43, v8
	v_rcp_f32_e32 v11, v6
	v_div_scale_f32 v14, vcc, v8, s43, v8
	v_fma_f32 v15, -v6, v11, 1.0
	v_fmac_f32_e32 v11, v15, v11
	v_mul_f32_e32 v15, v14, v11
	v_fma_f32 v16, -v6, v15, v14
	v_fmac_f32_e32 v15, v16, v11
	v_fma_f32 v6, -v6, v15, v14
	v_div_scale_f32 v14, s[2:3], s43, s43, v9
	v_rcp_f32_e32 v16, v14
	v_div_fmas_f32 v6, v6, v11, v15
	v_div_fixup_f32 v6, v6, s43, v8
	v_fma_f32 v11, -v14, v16, 1.0
	v_fmac_f32_e32 v16, v11, v16
	v_div_scale_f32 v11, vcc, v9, s43, v9
	v_mul_f32_e32 v15, v11, v16
	v_fma_f32 v17, -v14, v15, v11
	v_fmac_f32_e32 v15, v17, v16
	v_fma_f32 v11, -v14, v15, v11
	v_div_fmas_f32 v11, v11, v16, v15
	v_div_fixup_f32 v11, v11, s43, v9
	v_max_f32_e64 v16, |v6|, |v11|
	v_cvt_f64_f32_e32 v[14:15], v16
	v_frexp_exp_i32_f64_e32 v14, v[14:15]
	v_sub_u32_e32 v15, 0, v14
	v_ldexp_f32 v11, |v11|, v15
	v_ldexp_f32 v6, |v6|, v15
	v_mul_f32_e32 v11, v11, v11
	v_fmac_f32_e32 v11, v6, v6
	v_sqrt_f32_e32 v6, v11
	v_cmp_neq_f32_e32 vcc, s36, v16
	v_ldexp_f32 v6, v6, v14
	v_cndmask_b32_e32 v6, v35, v6, vcc
	v_cmp_gt_f32_e32 vcc, s40, v6
	v_cndmask_b32_e32 v11, 1.0, v33, vcc
	v_mul_f32_e32 v6, v6, v11
	v_log_f32_e32 v6, v6
	v_mul_f32_e32 v11, 0x3f317217, v6
	v_fma_f32 v14, v6, s41, -v11
	v_fmac_f32_e32 v14, 0x3377d1cf, v6
	v_add_f32_e32 v11, v11, v14
	v_cmp_lt_f32_e64 s[2:3], |v6|, s36
	v_cndmask_b32_e64 v6, v6, v11, s[2:3]
	v_cndmask_b32_e32 v11, 0, v34, vcc
	v_sub_f32_e32 v6, v6, v11
	v_max_f32_e64 v11, |v9|, |v9|
	v_max_f32_e64 v14, |v8|, |v8|
	v_min_f32_e32 v15, v14, v11
	v_max_f32_e32 v11, v14, v11
	v_frexp_mant_f32_e32 v14, v11
	v_rcp_f32_e32 v14, v14
	v_frexp_exp_i32_f32_e32 v11, v11
	v_frexp_exp_i32_f32_e32 v16, v15
	v_frexp_mant_f32_e32 v15, v15
	v_mul_f32_e32 v14, v15, v14
	v_sub_u32_e32 v11, v16, v11
	v_ldexp_f32 v11, v14, v11
	v_mul_f32_e32 v14, v11, v11
	v_mov_b32_e32 v15, 0xbc7a590c
	v_fmac_f32_e32 v15, 0x3b2d2a58, v14
	v_fma_f32 v15, v14, v15, v22
	v_fma_f32 v15, v14, v15, v23
	;; [unrolled: 1-line block ×6, first 2 shown]
	v_mul_f32_e32 v14, v14, v15
	v_fmac_f32_e32 v11, v11, v14
	v_sub_f32_e32 v14, 0x3fc90fdb, v11
	v_cndmask_b32_e64 v11, v11, v14, s[0:1]
	v_sub_f32_e32 v14, 0x40490fdb, v11
	v_cmp_gt_f32_e32 vcc, 0, v8
	v_cmp_gt_i32_e64 s[0:1], 0, v8
	v_cndmask_b32_e32 v11, v11, v14, vcc
	v_cndmask_b32_e64 v14, 0, v30, s[0:1]
	v_cmp_eq_f32_e64 s[0:1], 0, v9
	v_cndmask_b32_e64 v11, v11, v14, s[0:1]
	v_cmp_class_f32_e64 s[0:1], v8, s38
	v_cmp_class_f32_e64 s[2:3], v9, s38
	v_cndmask_b32_e32 v14, v31, v32, vcc
	s_and_b64 vcc, s[0:1], s[2:3]
	v_add_f32_e32 v6, 1.0, v6
	v_cndmask_b32_e32 v38, v11, v14, vcc
.LBB187_223:                            ;   in Loop: Header=BB187_162 Depth=1
	s_or_b64 exec, exec, s[12:13]
.LBB187_224:                            ;   in Loop: Header=BB187_162 Depth=1
	s_andn2_saveexec_b64 s[0:1], s[10:11]
	s_cbranch_execz .LBB187_230
; %bb.225:                              ;   in Loop: Header=BB187_162 Depth=1
	v_cmp_nlt_f32_e64 s[2:3], |v8|, s44
	v_cmp_nlt_f32_e64 s[10:11], |v9|, s44
	s_or_b64 s[2:3], s[2:3], s[10:11]
                                        ; implicit-def: $vgpr6
	s_and_saveexec_b64 s[10:11], s[2:3]
	s_xor_b64 s[2:3], exec, s[10:11]
; %bb.226:                              ;   in Loop: Header=BB187_162 Depth=1
	v_pk_mul_f32 v[14:15], v[8:9], v[8:9]
	v_add_f32_e32 v6, v14, v15
; %bb.227:                              ;   in Loop: Header=BB187_162 Depth=1
	s_andn2_saveexec_b64 s[2:3], s[2:3]
; %bb.228:                              ;   in Loop: Header=BB187_162 Depth=1
	v_pk_mul_f32 v[14:15], v[8:9], 4.0 op_sel_hi:[1,0]
	v_pk_mul_f32 v[14:15], v[14:15], v[14:15]
	v_add_f32_e32 v6, v14, v15
	v_mul_f32_e32 v6, 0x3d800000, v6
; %bb.229:                              ;   in Loop: Header=BB187_162 Depth=1
	s_or_b64 exec, exec, s[2:3]
	v_cmp_gt_f32_e32 vcc, s40, v6
	v_cndmask_b32_e32 v8, 1.0, v33, vcc
	v_mul_f32_e32 v6, v6, v8
	v_log_f32_e32 v6, v6
	v_cndmask_b32_e32 v8, 0, v34, vcc
	v_mov_b32_e32 v38, 0x7fc00000
	v_mul_f32_e32 v11, 0x3f317217, v6
	v_fma_f32 v14, v6, s41, -v11
	v_fmac_f32_e32 v14, 0x3377d1cf, v6
	v_add_f32_e32 v11, v11, v14
	v_cmp_lt_f32_e64 vcc, |v6|, s36
	v_cndmask_b32_e32 v6, v6, v11, vcc
	v_sub_f32_e32 v6, v6, v8
.LBB187_230:                            ;   in Loop: Header=BB187_162 Depth=1
	s_or_b64 exec, exec, s[0:1]
	s_waitcnt vmcnt(0)
	v_cmp_o_f32_e32 vcc, v3, v2
                                        ; implicit-def: $vgpr8
                                        ; implicit-def: $vgpr39
	s_and_saveexec_b64 s[0:1], vcc
	s_xor_b64 s[10:11], exec, s[0:1]
	s_cbranch_execz .LBB187_258
; %bb.231:                              ;   in Loop: Header=BB187_162 Depth=1
	v_cmp_lt_f32_e64 s[0:1], |v2|, |v3|
	v_cndmask_b32_e64 v11, v3, v2, s[0:1]
	v_cmp_ngt_f32_e64 s[2:3], |v11|, s29
                                        ; implicit-def: $vgpr8
                                        ; implicit-def: $vgpr39
	s_and_saveexec_b64 s[12:13], s[2:3]
	s_xor_b64 s[12:13], exec, s[12:13]
	s_cbranch_execz .LBB187_255
; %bb.232:                              ;   in Loop: Header=BB187_162 Depth=1
	v_cndmask_b32_e64 v8, v2, v3, s[0:1]
	v_and_b32_e32 v15, 0x7fffffff, v8
	v_and_b32_e32 v14, 0x7fffffff, v11
	v_cmp_neq_f32_e32 vcc, 1.0, v15
                                        ; implicit-def: $vgpr8
                                        ; implicit-def: $vgpr39
	s_and_saveexec_b64 s[2:3], vcc
	s_xor_b64 s[16:17], exec, s[2:3]
	s_cbranch_execz .LBB187_248
; %bb.233:                              ;   in Loop: Header=BB187_162 Depth=1
	v_max_f32_e32 v8, v14, v14
	v_max_f32_e32 v11, v15, v15
	v_min_f32_e32 v16, v11, v8
	v_max_f32_e32 v8, v11, v8
	v_cmp_ngt_f32_e32 vcc, s30, v16
	v_cmp_nlt_f32_e64 s[2:3], s31, v8
	s_and_b64 s[2:3], s[2:3], vcc
                                        ; implicit-def: $vgpr8
                                        ; implicit-def: $vgpr39
	s_and_saveexec_b64 s[18:19], s[2:3]
	s_xor_b64 s[18:19], exec, s[18:19]
	s_cbranch_execz .LBB187_245
; %bb.234:                              ;   in Loop: Header=BB187_162 Depth=1
	v_cmp_le_f32_e32 vcc, 1.0, v15
                                        ; implicit-def: $vgpr8
                                        ; implicit-def: $vgpr39
	s_and_saveexec_b64 s[2:3], vcc
	s_xor_b64 s[20:21], exec, s[2:3]
	s_cbranch_execz .LBB187_236
; %bb.235:                              ;   in Loop: Header=BB187_162 Depth=1
	v_pk_add_f32 v[16:17], v[14:15], s[6:7] op_sel:[1,0]
	v_mov_b32_e32 v8, v17
	v_pk_mul_f32 v[16:17], v[16:17], v[8:9]
	v_pk_fma_f32 v[14:15], v[14:15], v[14:15], v[16:17]
	v_add_f32_e32 v17, 1.0, v14
	v_add_f32_e32 v15, -1.0, v17
	v_mov_b32_e32 v16, v15
	v_pk_add_f32 v[18:19], v[14:15], v[16:17] neg_lo:[0,1] neg_hi:[0,1]
	v_add_f32_e32 v8, 1.0, v19
	v_add_f32_e32 v8, v18, v8
	v_frexp_mant_f32_e32 v11, v17
	v_cvt_f64_f32_e32 v[18:19], v17
	v_frexp_exp_i32_f64_e32 v15, v[18:19]
	v_cmp_gt_f32_e32 vcc, s34, v11
	v_subbrev_co_u32_e32 v15, vcc, 0, v15, vcc
	v_sub_u32_e32 v11, 0, v15
	v_ldexp_f32 v16, v17, v11
	v_ldexp_f32 v8, v8, v11
	v_add_f32_e32 v11, -1.0, v16
	v_add_f32_e32 v17, 1.0, v11
	v_sub_f32_e32 v17, v16, v17
	v_add_f32_e32 v18, v8, v17
	v_add_f32_e32 v17, 1.0, v16
	v_add_f32_e32 v19, -1.0, v17
	v_sub_f32_e32 v16, v16, v19
	v_add_f32_e32 v8, v8, v16
	v_add_f32_e32 v39, v17, v8
	v_rcp_f32_e32 v44, v39
	v_sub_f32_e32 v16, v39, v17
	v_add_f32_e32 v17, v11, v18
	v_sub_f32_e32 v11, v17, v11
	v_mul_f32_e32 v45, v17, v44
	v_sub_f32_e32 v11, v18, v11
	v_mul_f32_e32 v18, v39, v45
	v_sub_f32_e32 v8, v8, v16
	v_fma_f32 v40, v45, v39, -v18
	v_fmac_f32_e32 v40, v45, v8
	v_add_f32_e32 v16, v18, v40
	v_sub_f32_e32 v19, v17, v16
	v_pk_add_f32 v[42:43], v[16:17], v[18:19] neg_lo:[0,1] neg_hi:[0,1]
	v_mov_b32_e32 v41, v16
	v_pk_add_f32 v[16:17], v[42:43], v[40:41] neg_lo:[0,1] neg_hi:[0,1]
	v_add_f32_e32 v11, v11, v17
	v_add_f32_e32 v11, v16, v11
	v_add_f32_e32 v17, v19, v11
	v_mul_f32_e32 v46, v44, v17
	v_mul_f32_e32 v18, v39, v46
	v_fma_f32 v40, v46, v39, -v18
	v_fmac_f32_e32 v40, v46, v8
	v_add_f32_e32 v16, v18, v40
	v_sub_f32_e32 v8, v19, v17
	v_sub_f32_e32 v19, v17, v16
	v_pk_add_f32 v[42:43], v[16:17], v[18:19] neg_lo:[0,1] neg_hi:[0,1]
	v_mov_b32_e32 v41, v16
	v_add_f32_e32 v8, v11, v8
	v_pk_add_f32 v[16:17], v[42:43], v[40:41] neg_lo:[0,1] neg_hi:[0,1]
	v_add_f32_e32 v8, v8, v17
	v_add_f32_e32 v8, v16, v8
	;; [unrolled: 1-line block ×4, first 2 shown]
	v_sub_f32_e32 v11, v17, v45
	v_mul_f32_e32 v8, v44, v8
	v_sub_f32_e32 v11, v46, v11
	v_add_f32_e32 v8, v11, v8
	v_add_f32_e32 v18, v17, v8
	v_cvt_f32_i32_e32 v16, v15
	v_mul_f32_e32 v39, v18, v18
	v_mov_b32_e32 v11, 0x3ecc95a3
	v_fmac_f32_e32 v11, 0x3e9b6dac, v39
	v_fma_f32 v11, v39, v11, v21
	v_sub_f32_e32 v15, v18, v17
	v_mul_f32_e32 v17, v18, v39
	v_pk_mul_f32 v[40:41], v[16:17], v[10:11]
	v_ldexp_f32 v19, v18, 1
	v_fma_f32 v18, v16, s35, -v40
	v_fmac_f32_e32 v18, 0xb102e308, v16
	v_pk_add_f32 v[16:17], v[40:41], v[18:19]
	v_sub_f32_e32 v8, v8, v15
	v_sub_f32_e32 v11, v17, v19
	v_ldexp_f32 v8, v8, 1
	v_sub_f32_e32 v11, v41, v11
	v_add_f32_e32 v43, v8, v11
	v_mov_b32_e32 v42, v40
	v_pk_add_f32 v[40:41], v[16:17], v[40:41] neg_lo:[0,1] neg_hi:[0,1]
	v_pk_add_f32 v[44:45], v[16:17], v[42:43]
	v_mov_b32_e32 v41, v45
	v_mov_b32_e32 v19, v16
	v_pk_add_f32 v[46:47], v[18:19], v[40:41] neg_lo:[0,1] neg_hi:[0,1]
	v_pk_add_f32 v[18:19], v[18:19], v[40:41]
	v_mov_b32_e32 v8, v19
	v_pk_add_f32 v[40:41], v[8:9], v[16:17] neg_lo:[0,1] neg_hi:[0,1]
	v_mov_b32_e32 v11, v40
	v_pk_add_f32 v[48:49], v[44:45], v[10:11] neg_lo:[0,1] neg_hi:[0,1]
	v_mov_b32_e32 v18, v45
	v_mov_b32_e32 v44, v17
	;; [unrolled: 1-line block ×4, first 2 shown]
	v_pk_add_f32 v[18:19], v[18:19], v[44:45] neg_lo:[0,1] neg_hi:[0,1]
	v_mov_b32_e32 v40, v43
	v_mov_b32_e32 v41, v16
	v_pk_add_f32 v[16:17], v[40:41], v[18:19] neg_lo:[0,1] neg_hi:[0,1]
	v_mov_b32_e32 v48, v46
	v_pk_add_f32 v[18:19], v[48:49], v[16:17]
	v_mov_b32_e32 v40, v19
	v_pk_add_f32 v[40:41], v[18:19], v[40:41]
	v_pk_add_f32 v[42:43], v[8:9], v[40:41]
	v_mov_b32_e32 v19, v42
	v_pk_add_f32 v[44:45], v[18:19], v[46:47] neg_lo:[0,1] neg_hi:[0,1]
	v_mov_b32_e32 v17, v40
	v_sub_f32_e32 v8, v18, v44
	v_pk_add_f32 v[16:17], v[16:17], v[44:45] neg_lo:[0,1] neg_hi:[0,1]
	v_sub_f32_e32 v8, v46, v8
	v_add_f32_e32 v8, v16, v8
	v_add_f32_e32 v8, v8, v17
	;; [unrolled: 1-line block ×3, first 2 shown]
	v_cmp_eq_f32_e32 vcc, s36, v14
	v_cndmask_b32_e32 v8, v8, v14, vcc
	v_cmp_ngt_f32_e32 vcc, -1.0, v14
	v_cndmask_b32_e32 v8, v28, v8, vcc
	v_cmp_neq_f32_e32 vcc, -1.0, v14
	v_cndmask_b32_e32 v8, v29, v8, vcc
	v_cmp_lt_f32_e64 vcc, |v14|, s37
	v_cndmask_b32_e32 v8, v8, v14, vcc
	v_max_f32_e64 v11, |v3|, |v3|
	v_max_f32_e64 v14, |v2|, |v2|
	v_min_f32_e32 v15, v14, v11
	v_max_f32_e32 v11, v14, v11
	v_frexp_mant_f32_e32 v14, v11
	v_rcp_f32_e32 v14, v14
	v_frexp_exp_i32_f32_e32 v11, v11
	v_frexp_exp_i32_f32_e32 v16, v15
	v_frexp_mant_f32_e32 v15, v15
	v_mul_f32_e32 v14, v15, v14
	v_sub_u32_e32 v11, v16, v11
	v_ldexp_f32 v11, v14, v11
	v_mul_f32_e32 v14, v11, v11
	v_mov_b32_e32 v15, 0xbc7a590c
	v_fmac_f32_e32 v15, 0x3b2d2a58, v14
	v_fma_f32 v15, v14, v15, v22
	v_fma_f32 v15, v14, v15, v23
	v_fma_f32 v15, v14, v15, v24
	v_fma_f32 v15, v14, v15, v25
	v_fma_f32 v15, v14, v15, v26
	v_fma_f32 v15, v14, v15, v27
	v_mul_f32_e32 v14, v14, v15
	v_fmac_f32_e32 v11, v11, v14
	v_sub_f32_e32 v14, 0x3fc90fdb, v11
	v_cndmask_b32_e64 v11, v11, v14, s[0:1]
	v_sub_f32_e32 v14, 0x40490fdb, v11
	v_cmp_gt_f32_e32 vcc, 0, v2
	v_cmp_gt_i32_e64 s[2:3], 0, v2
	v_cndmask_b32_e32 v11, v11, v14, vcc
	v_cndmask_b32_e64 v14, 0, v30, s[2:3]
	v_cmp_eq_f32_e64 s[2:3], 0, v3
	v_cndmask_b32_e64 v11, v11, v14, s[2:3]
	v_cmp_class_f32_e64 s[2:3], v2, s38
	v_cmp_class_f32_e64 s[22:23], v3, s38
	v_cndmask_b32_e32 v14, v31, v32, vcc
	s_and_b64 vcc, s[2:3], s[22:23]
	v_mul_f32_e32 v8, 0.5, v8
	v_cndmask_b32_e32 v39, v11, v14, vcc
                                        ; implicit-def: $vgpr14_vgpr15
.LBB187_236:                            ;   in Loop: Header=BB187_162 Depth=1
	s_andn2_saveexec_b64 s[20:21], s[20:21]
	s_cbranch_execz .LBB187_244
; %bb.237:                              ;   in Loop: Header=BB187_162 Depth=1
	v_pk_mul_f32 v[16:17], v[14:15], v[14:15]
	v_add_f32_e32 v11, v17, v16
	v_cmp_ge_f32_e32 vcc, s39, v11
                                        ; implicit-def: $vgpr8
                                        ; implicit-def: $vgpr39
	s_and_saveexec_b64 s[2:3], vcc
	s_xor_b64 s[22:23], exec, s[2:3]
	s_cbranch_execz .LBB187_239
; %bb.238:                              ;   in Loop: Header=BB187_162 Depth=1
	v_cmp_gt_f32_e32 vcc, s40, v11
	v_cndmask_b32_e32 v8, 1.0, v33, vcc
	v_mul_f32_e32 v8, v11, v8
	v_log_f32_e32 v8, v8
	v_cndmask_b32_e32 v11, 0, v34, vcc
	v_cmp_gt_i32_e64 s[2:3], 0, v2
	v_cmp_class_f32_e64 s[24:25], v3, s38
	v_mul_f32_e32 v14, 0x3f317217, v8
	v_fma_f32 v15, v8, s41, -v14
	v_fmac_f32_e32 v15, 0x3377d1cf, v8
	v_add_f32_e32 v14, v14, v15
	v_cmp_lt_f32_e64 vcc, |v8|, s36
	v_cndmask_b32_e32 v8, v8, v14, vcc
	v_sub_f32_e32 v8, v8, v11
	v_max_f32_e64 v11, |v3|, |v3|
	v_max_f32_e64 v14, |v2|, |v2|
	v_min_f32_e32 v15, v14, v11
	v_max_f32_e32 v11, v14, v11
	v_frexp_mant_f32_e32 v14, v11
	v_rcp_f32_e32 v14, v14
	v_frexp_exp_i32_f32_e32 v11, v11
	v_frexp_exp_i32_f32_e32 v16, v15
	v_frexp_mant_f32_e32 v15, v15
	v_mul_f32_e32 v14, v15, v14
	v_sub_u32_e32 v11, v16, v11
	v_ldexp_f32 v11, v14, v11
	v_mul_f32_e32 v14, v11, v11
	v_mov_b32_e32 v15, 0xbc7a590c
	v_fmac_f32_e32 v15, 0x3b2d2a58, v14
	v_fma_f32 v15, v14, v15, v22
	v_fma_f32 v15, v14, v15, v23
	;; [unrolled: 1-line block ×6, first 2 shown]
	v_mul_f32_e32 v14, v14, v15
	v_fmac_f32_e32 v11, v11, v14
	v_sub_f32_e32 v14, 0x3fc90fdb, v11
	v_cndmask_b32_e64 v11, v11, v14, s[0:1]
	v_sub_f32_e32 v14, 0x40490fdb, v11
	v_cmp_gt_f32_e32 vcc, 0, v2
	v_cndmask_b32_e32 v11, v11, v14, vcc
	v_cndmask_b32_e64 v14, 0, v30, s[2:3]
	v_cmp_eq_f32_e64 s[2:3], 0, v3
	v_cndmask_b32_e64 v11, v11, v14, s[2:3]
	v_cmp_class_f32_e64 s[2:3], v2, s38
	v_cndmask_b32_e32 v14, v31, v32, vcc
	s_and_b64 vcc, s[2:3], s[24:25]
	v_mul_f32_e32 v8, 0.5, v8
	v_cndmask_b32_e32 v39, v11, v14, vcc
                                        ; implicit-def: $vgpr14_vgpr15
.LBB187_239:                            ;   in Loop: Header=BB187_162 Depth=1
	s_andn2_saveexec_b64 s[22:23], s[22:23]
	s_cbranch_execz .LBB187_243
; %bb.240:                              ;   in Loop: Header=BB187_162 Depth=1
	v_and_b32_e32 v17, 0x7fff0000, v14
	v_and_b32_e32 v16, 0x7fff0000, v15
	v_pk_add_f32 v[14:15], v[14:15], v[16:17] op_sel:[1,0] op_sel_hi:[0,1] neg_lo:[0,1] neg_hi:[0,1]
	v_and_b32_e32 v19, 0xffff0000, v15
	v_and_b32_e32 v18, 0xffff0000, v14
	v_add_f32_e32 v39, v16, v16
	v_pk_add_f32 v[44:45], v[14:15], v[18:19] neg_lo:[0,1] neg_hi:[0,1]
	v_pk_mul_f32 v[14:15], v[16:17], v[16:17]
	v_mul_f32_e32 v11, v39, v18
	v_add_f32_e32 v41, v17, v17
	v_pk_mul_f32 v[16:17], v[18:19], v[18:19]
	v_add_f32_e32 v18, v18, v18
	v_mul_f32_e32 v8, v41, v19
	v_mul_f32_e32 v40, v39, v44
	;; [unrolled: 1-line block ×4, first 2 shown]
	v_add_f32_e32 v18, v19, v19
	v_mul_f32_e32 v42, v18, v45
	v_pk_mul_f32 v[18:19], v[44:45], v[44:45]
	s_mov_b64 s[24:25], 0
.LBB187_241:                            ;   Parent Loop BB187_162 Depth=1
                                        ; =>  This Inner Loop Header: Depth=2
	v_cmp_nlt_f32_e32 vcc, v14, v15
	v_cndmask_b32_e32 v43, v14, v15, vcc
	v_cmp_nlt_f32_e64 s[2:3], v43, v11
	v_cndmask_b32_e64 v44, v43, v11, s[2:3]
	v_cndmask_b32_e32 v14, v15, v14, vcc
	s_and_b64 s[46:47], vcc, s[2:3]
	v_cmp_nlt_f32_e32 vcc, v44, v8
	v_cndmask_b32_e64 v15, v11, v43, s[2:3]
	v_cndmask_b32_e32 v43, v44, v8, vcc
	v_cmp_nlt_f32_e64 s[2:3], v43, v16
	v_cndmask_b32_e32 v11, v8, v44, vcc
	v_cndmask_b32_e64 v44, v43, v16, s[2:3]
	s_and_b64 s[48:49], vcc, s[2:3]
	v_cmp_nlt_f32_e32 vcc, v44, v17
	v_cndmask_b32_e64 v8, v16, v43, s[2:3]
	v_cndmask_b32_e32 v43, v44, v17, vcc
	v_cmp_nlt_f32_e64 s[2:3], v43, v40
	v_cndmask_b32_e32 v16, v17, v44, vcc
	v_cndmask_b32_e64 v44, v43, v40, s[2:3]
	v_cndmask_b32_e64 v17, v40, v43, s[2:3]
	s_and_b64 s[2:3], vcc, s[2:3]
	v_cmp_nlt_f32_e32 vcc, v44, v39
	v_cndmask_b32_e32 v43, v44, v39, vcc
	v_cndmask_b32_e32 v40, v39, v44, vcc
	s_and_b64 s[2:3], s[2:3], vcc
	v_cmp_nlt_f32_e32 vcc, v43, v41
	v_cndmask_b32_e32 v44, v43, v41, vcc
	v_cndmask_b32_e32 v39, v41, v43, vcc
	s_and_b64 s[2:3], s[2:3], vcc
	;; [unrolled: 4-line block ×4, first 2 shown]
	v_cmp_nlt_f32_e32 vcc, v44, v19
	s_and_b64 s[2:3], s[2:3], vcc
	s_and_b64 s[2:3], s[2:3], s[48:49]
	s_and_b64 s[2:3], s[2:3], s[46:47]
	s_and_b64 s[2:3], exec, s[2:3]
	v_cndmask_b32_e32 v18, v19, v44, vcc
	s_or_b64 s[24:25], s[2:3], s[24:25]
	v_cndmask_b32_e32 v19, v44, v19, vcc
	s_andn2_b64 exec, exec, s[24:25]
	s_cbranch_execnz .LBB187_241
; %bb.242:                              ;   in Loop: Header=BB187_162 Depth=1
	s_or_b64 exec, exec, s[24:25]
	v_add_f32_e32 v14, -1.0, v14
	v_add_f32_e32 v14, v14, v15
	v_add_f32_e32 v11, v14, v11
	;; [unrolled: 1-line block ×11, first 2 shown]
	v_add_f32_e32 v17, 1.0, v14
	v_add_f32_e32 v15, -1.0, v17
	v_mov_b32_e32 v16, v15
	v_pk_add_f32 v[18:19], v[14:15], v[16:17] neg_lo:[0,1] neg_hi:[0,1]
	v_add_f32_e32 v8, 1.0, v19
	v_add_f32_e32 v8, v18, v8
	v_frexp_mant_f32_e32 v11, v17
	v_cvt_f64_f32_e32 v[18:19], v17
	v_frexp_exp_i32_f64_e32 v15, v[18:19]
	v_cmp_gt_f32_e32 vcc, s34, v11
	v_subbrev_co_u32_e32 v15, vcc, 0, v15, vcc
	v_sub_u32_e32 v11, 0, v15
	v_ldexp_f32 v16, v17, v11
	v_ldexp_f32 v8, v8, v11
	v_add_f32_e32 v11, -1.0, v16
	v_add_f32_e32 v17, 1.0, v11
	v_sub_f32_e32 v17, v16, v17
	v_add_f32_e32 v18, v8, v17
	v_add_f32_e32 v17, 1.0, v16
	v_add_f32_e32 v19, -1.0, v17
	v_sub_f32_e32 v16, v16, v19
	v_add_f32_e32 v8, v8, v16
	v_add_f32_e32 v39, v17, v8
	v_rcp_f32_e32 v44, v39
	v_sub_f32_e32 v16, v39, v17
	v_add_f32_e32 v17, v11, v18
	v_sub_f32_e32 v11, v17, v11
	v_mul_f32_e32 v45, v17, v44
	v_sub_f32_e32 v11, v18, v11
	v_mul_f32_e32 v18, v39, v45
	v_sub_f32_e32 v8, v8, v16
	v_fma_f32 v40, v45, v39, -v18
	v_fmac_f32_e32 v40, v45, v8
	v_add_f32_e32 v16, v18, v40
	v_sub_f32_e32 v19, v17, v16
	v_pk_add_f32 v[42:43], v[16:17], v[18:19] neg_lo:[0,1] neg_hi:[0,1]
	v_mov_b32_e32 v41, v16
	v_pk_add_f32 v[16:17], v[42:43], v[40:41] neg_lo:[0,1] neg_hi:[0,1]
	v_add_f32_e32 v11, v11, v17
	v_add_f32_e32 v11, v16, v11
	v_add_f32_e32 v17, v19, v11
	v_mul_f32_e32 v46, v44, v17
	v_mul_f32_e32 v18, v39, v46
	v_fma_f32 v40, v46, v39, -v18
	v_fmac_f32_e32 v40, v46, v8
	v_add_f32_e32 v16, v18, v40
	v_sub_f32_e32 v8, v19, v17
	v_sub_f32_e32 v19, v17, v16
	v_pk_add_f32 v[42:43], v[16:17], v[18:19] neg_lo:[0,1] neg_hi:[0,1]
	v_mov_b32_e32 v41, v16
	v_add_f32_e32 v8, v11, v8
	v_pk_add_f32 v[16:17], v[42:43], v[40:41] neg_lo:[0,1] neg_hi:[0,1]
	v_add_f32_e32 v8, v8, v17
	v_add_f32_e32 v8, v16, v8
	;; [unrolled: 1-line block ×4, first 2 shown]
	v_sub_f32_e32 v11, v17, v45
	v_mul_f32_e32 v8, v44, v8
	v_sub_f32_e32 v11, v46, v11
	v_add_f32_e32 v8, v11, v8
	v_add_f32_e32 v18, v17, v8
	v_cvt_f32_i32_e32 v16, v15
	v_mul_f32_e32 v39, v18, v18
	v_mov_b32_e32 v11, 0x3ecc95a3
	v_fmac_f32_e32 v11, 0x3e9b6dac, v39
	v_fma_f32 v11, v39, v11, v21
	v_sub_f32_e32 v15, v18, v17
	v_mul_f32_e32 v17, v18, v39
	v_pk_mul_f32 v[40:41], v[16:17], v[10:11]
	v_ldexp_f32 v19, v18, 1
	v_fma_f32 v18, v16, s35, -v40
	v_fmac_f32_e32 v18, 0xb102e308, v16
	v_pk_add_f32 v[16:17], v[40:41], v[18:19]
	v_sub_f32_e32 v8, v8, v15
	v_sub_f32_e32 v11, v17, v19
	v_ldexp_f32 v8, v8, 1
	v_sub_f32_e32 v11, v41, v11
	v_add_f32_e32 v43, v8, v11
	v_mov_b32_e32 v42, v40
	v_pk_add_f32 v[40:41], v[16:17], v[40:41] neg_lo:[0,1] neg_hi:[0,1]
	v_pk_add_f32 v[44:45], v[16:17], v[42:43]
	v_mov_b32_e32 v41, v45
	v_mov_b32_e32 v19, v16
	v_pk_add_f32 v[46:47], v[18:19], v[40:41] neg_lo:[0,1] neg_hi:[0,1]
	v_pk_add_f32 v[18:19], v[18:19], v[40:41]
	v_mov_b32_e32 v8, v19
	v_pk_add_f32 v[40:41], v[8:9], v[16:17] neg_lo:[0,1] neg_hi:[0,1]
	v_mov_b32_e32 v11, v40
	v_pk_add_f32 v[48:49], v[44:45], v[10:11] neg_lo:[0,1] neg_hi:[0,1]
	v_mov_b32_e32 v18, v45
	v_mov_b32_e32 v44, v17
	;; [unrolled: 1-line block ×4, first 2 shown]
	v_pk_add_f32 v[18:19], v[18:19], v[44:45] neg_lo:[0,1] neg_hi:[0,1]
	v_mov_b32_e32 v40, v43
	v_mov_b32_e32 v41, v16
	v_pk_add_f32 v[16:17], v[40:41], v[18:19] neg_lo:[0,1] neg_hi:[0,1]
	v_mov_b32_e32 v48, v46
	v_pk_add_f32 v[18:19], v[48:49], v[16:17]
	v_mov_b32_e32 v40, v19
	v_pk_add_f32 v[40:41], v[18:19], v[40:41]
	v_pk_add_f32 v[42:43], v[8:9], v[40:41]
	v_mov_b32_e32 v19, v42
	v_pk_add_f32 v[44:45], v[18:19], v[46:47] neg_lo:[0,1] neg_hi:[0,1]
	v_mov_b32_e32 v17, v40
	v_sub_f32_e32 v8, v18, v44
	v_pk_add_f32 v[16:17], v[16:17], v[44:45] neg_lo:[0,1] neg_hi:[0,1]
	v_sub_f32_e32 v8, v46, v8
	v_add_f32_e32 v8, v16, v8
	v_add_f32_e32 v8, v8, v17
	;; [unrolled: 1-line block ×3, first 2 shown]
	v_cmp_eq_f32_e32 vcc, s36, v14
	v_cndmask_b32_e32 v8, v8, v14, vcc
	v_cmp_ngt_f32_e32 vcc, -1.0, v14
	v_cndmask_b32_e32 v8, v28, v8, vcc
	v_cmp_neq_f32_e32 vcc, -1.0, v14
	v_cndmask_b32_e32 v8, v29, v8, vcc
	v_cmp_lt_f32_e64 vcc, |v14|, s37
	v_cndmask_b32_e32 v8, v8, v14, vcc
	v_max_f32_e64 v11, |v3|, |v3|
	v_max_f32_e64 v14, |v2|, |v2|
	v_min_f32_e32 v15, v14, v11
	v_max_f32_e32 v11, v14, v11
	v_frexp_mant_f32_e32 v14, v11
	v_rcp_f32_e32 v14, v14
	v_frexp_exp_i32_f32_e32 v11, v11
	v_frexp_exp_i32_f32_e32 v16, v15
	v_frexp_mant_f32_e32 v15, v15
	v_mul_f32_e32 v14, v15, v14
	v_sub_u32_e32 v11, v16, v11
	v_ldexp_f32 v11, v14, v11
	v_mul_f32_e32 v14, v11, v11
	v_mov_b32_e32 v15, 0xbc7a590c
	v_fmac_f32_e32 v15, 0x3b2d2a58, v14
	v_fma_f32 v15, v14, v15, v22
	v_fma_f32 v15, v14, v15, v23
	;; [unrolled: 1-line block ×6, first 2 shown]
	v_mul_f32_e32 v14, v14, v15
	v_fmac_f32_e32 v11, v11, v14
	v_sub_f32_e32 v14, 0x3fc90fdb, v11
	v_cndmask_b32_e64 v11, v11, v14, s[0:1]
	v_sub_f32_e32 v14, 0x40490fdb, v11
	v_cmp_gt_f32_e32 vcc, 0, v2
	v_cmp_gt_i32_e64 s[2:3], 0, v2
	v_cndmask_b32_e32 v11, v11, v14, vcc
	v_cndmask_b32_e64 v14, 0, v30, s[2:3]
	v_cmp_eq_f32_e64 s[2:3], 0, v3
	v_cndmask_b32_e64 v11, v11, v14, s[2:3]
	v_cmp_class_f32_e64 s[2:3], v2, s38
	v_cmp_class_f32_e64 s[24:25], v3, s38
	v_cndmask_b32_e32 v14, v31, v32, vcc
	s_and_b64 vcc, s[2:3], s[24:25]
	v_mul_f32_e32 v8, 0.5, v8
	v_cndmask_b32_e32 v39, v11, v14, vcc
.LBB187_243:                            ;   in Loop: Header=BB187_162 Depth=1
	s_or_b64 exec, exec, s[22:23]
.LBB187_244:                            ;   in Loop: Header=BB187_162 Depth=1
	s_or_b64 exec, exec, s[20:21]
.LBB187_245:                            ;   in Loop: Header=BB187_162 Depth=1
	s_andn2_saveexec_b64 s[18:19], s[18:19]
	s_cbranch_execz .LBB187_247
; %bb.246:                              ;   in Loop: Header=BB187_162 Depth=1
	v_max_f32_e64 v11, |v3|, |v3|
	v_max_f32_e64 v16, |v2|, |v2|
	v_max_f32_e32 v17, v16, v11
	v_cvt_f64_f32_e32 v[14:15], v17
	v_frexp_exp_i32_f64_e32 v8, v[14:15]
	v_sub_u32_e32 v14, 0, v8
	v_ldexp_f32 v15, |v2|, v14
	v_ldexp_f32 v14, |v3|, v14
	v_mul_f32_e32 v14, v14, v14
	v_fmac_f32_e32 v14, v15, v15
	v_sqrt_f32_e32 v14, v14
	v_cmp_neq_f32_e32 vcc, s36, v17
	v_min_f32_e32 v11, v16, v11
	v_frexp_exp_i32_f32_e32 v16, v11
	v_ldexp_f32 v8, v14, v8
	v_cndmask_b32_e32 v8, v35, v8, vcc
	v_cmp_gt_f32_e32 vcc, s40, v8
	v_cndmask_b32_e32 v14, 1.0, v33, vcc
	v_mul_f32_e32 v8, v8, v14
	v_log_f32_e32 v8, v8
	v_cndmask_b32_e32 v14, 0, v34, vcc
	v_frexp_mant_f32_e32 v11, v11
	v_cmp_gt_i32_e64 s[2:3], 0, v2
	v_mul_f32_e32 v15, 0x3f317217, v8
	v_fma_f32 v18, v8, s41, -v15
	v_fmac_f32_e32 v18, 0x3377d1cf, v8
	v_add_f32_e32 v15, v15, v18
	v_cmp_lt_f32_e64 vcc, |v8|, s36
	v_cndmask_b32_e32 v8, v8, v15, vcc
	v_sub_f32_e32 v8, v8, v14
	v_frexp_mant_f32_e32 v14, v17
	v_rcp_f32_e32 v14, v14
	v_frexp_exp_i32_f32_e32 v15, v17
	v_cmp_gt_f32_e32 vcc, 0, v2
	v_cmp_class_f32_e64 s[20:21], v3, s38
	v_mul_f32_e32 v11, v11, v14
	v_sub_u32_e32 v14, v16, v15
	v_ldexp_f32 v11, v11, v14
	v_mul_f32_e32 v14, v11, v11
	v_mov_b32_e32 v15, 0xbc7a590c
	v_fmac_f32_e32 v15, 0x3b2d2a58, v14
	v_fma_f32 v15, v14, v15, v22
	v_fma_f32 v15, v14, v15, v23
	;; [unrolled: 1-line block ×6, first 2 shown]
	v_mul_f32_e32 v14, v14, v15
	v_fmac_f32_e32 v11, v11, v14
	v_sub_f32_e32 v14, 0x3fc90fdb, v11
	v_cndmask_b32_e64 v11, v11, v14, s[0:1]
	v_sub_f32_e32 v14, 0x40490fdb, v11
	v_cndmask_b32_e32 v11, v11, v14, vcc
	v_cndmask_b32_e64 v14, 0, v30, s[2:3]
	v_cmp_eq_f32_e64 s[2:3], 0, v3
	v_cndmask_b32_e64 v11, v11, v14, s[2:3]
	v_cmp_class_f32_e64 s[2:3], v2, s38
	v_cndmask_b32_e32 v14, v31, v32, vcc
	s_and_b64 vcc, s[2:3], s[20:21]
	v_cndmask_b32_e32 v39, v11, v14, vcc
.LBB187_247:                            ;   in Loop: Header=BB187_162 Depth=1
	s_or_b64 exec, exec, s[18:19]
                                        ; implicit-def: $vgpr14
.LBB187_248:                            ;   in Loop: Header=BB187_162 Depth=1
	s_andn2_saveexec_b64 s[16:17], s[16:17]
	s_cbranch_execz .LBB187_254
; %bb.249:                              ;   in Loop: Header=BB187_162 Depth=1
	v_cmp_ngt_f32_e32 vcc, s42, v14
                                        ; implicit-def: $vgpr8
                                        ; implicit-def: $vgpr39
	s_and_saveexec_b64 s[2:3], vcc
	s_xor_b64 s[18:19], exec, s[2:3]
	s_cbranch_execz .LBB187_251
; %bb.250:                              ;   in Loop: Header=BB187_162 Depth=1
	v_pk_mul_f32 v[14:15], v[14:15], v[14:15]
	v_add_f32_e32 v17, 1.0, v14
	v_add_f32_e32 v15, -1.0, v17
	v_mov_b32_e32 v16, v15
	v_pk_add_f32 v[18:19], v[14:15], v[16:17] neg_lo:[0,1] neg_hi:[0,1]
	v_add_f32_e32 v8, 1.0, v19
	v_add_f32_e32 v8, v18, v8
	v_frexp_mant_f32_e32 v11, v17
	v_cvt_f64_f32_e32 v[18:19], v17
	v_frexp_exp_i32_f64_e32 v15, v[18:19]
	v_cmp_gt_f32_e32 vcc, s34, v11
	v_subbrev_co_u32_e32 v15, vcc, 0, v15, vcc
	v_sub_u32_e32 v11, 0, v15
	v_ldexp_f32 v16, v17, v11
	v_ldexp_f32 v8, v8, v11
	v_add_f32_e32 v11, -1.0, v16
	v_add_f32_e32 v17, 1.0, v11
	v_sub_f32_e32 v17, v16, v17
	v_add_f32_e32 v18, v8, v17
	v_add_f32_e32 v17, 1.0, v16
	v_add_f32_e32 v19, -1.0, v17
	v_sub_f32_e32 v16, v16, v19
	v_add_f32_e32 v8, v8, v16
	v_add_f32_e32 v39, v17, v8
	v_rcp_f32_e32 v44, v39
	v_sub_f32_e32 v16, v17, v39
	v_add_f32_e32 v17, v11, v18
	v_sub_f32_e32 v11, v11, v17
	v_mul_f32_e32 v45, v17, v44
	v_add_f32_e32 v11, v18, v11
	v_mul_f32_e32 v18, v39, v45
	v_add_f32_e32 v8, v8, v16
	v_fma_f32 v40, v45, v39, -v18
	v_fmac_f32_e32 v40, v45, v8
	v_add_f32_e32 v16, v18, v40
	v_sub_f32_e32 v19, v17, v16
	v_pk_add_f32 v[42:43], v[16:17], v[18:19] neg_lo:[0,1] neg_hi:[0,1]
	v_mov_b32_e32 v41, v16
	v_pk_add_f32 v[16:17], v[42:43], v[40:41] neg_lo:[0,1] neg_hi:[0,1]
	v_add_f32_e32 v11, v11, v17
	v_add_f32_e32 v11, v16, v11
	;; [unrolled: 1-line block ×3, first 2 shown]
	v_mul_f32_e32 v46, v44, v17
	v_mul_f32_e32 v18, v39, v46
	v_fma_f32 v40, v46, v39, -v18
	v_fmac_f32_e32 v40, v46, v8
	v_add_f32_e32 v16, v18, v40
	v_sub_f32_e32 v8, v19, v17
	v_sub_f32_e32 v19, v17, v16
	v_pk_add_f32 v[42:43], v[16:17], v[18:19] neg_lo:[0,1] neg_hi:[0,1]
	v_mov_b32_e32 v41, v16
	v_add_f32_e32 v8, v11, v8
	v_pk_add_f32 v[16:17], v[42:43], v[40:41] neg_lo:[0,1] neg_hi:[0,1]
	v_add_f32_e32 v8, v8, v17
	v_add_f32_e32 v8, v16, v8
	;; [unrolled: 1-line block ×4, first 2 shown]
	v_sub_f32_e32 v11, v17, v45
	v_mul_f32_e32 v8, v44, v8
	v_sub_f32_e32 v11, v46, v11
	v_add_f32_e32 v8, v11, v8
	v_add_f32_e32 v18, v17, v8
	v_cvt_f32_i32_e32 v16, v15
	v_mul_f32_e32 v39, v18, v18
	v_mov_b32_e32 v11, 0x3ecc95a3
	v_fmac_f32_e32 v11, 0x3e9b6dac, v39
	v_fma_f32 v11, v39, v11, v21
	v_sub_f32_e32 v15, v18, v17
	v_mul_f32_e32 v17, v18, v39
	v_pk_mul_f32 v[40:41], v[16:17], v[10:11]
	v_ldexp_f32 v19, v18, 1
	v_fma_f32 v18, v16, s35, -v40
	v_fmac_f32_e32 v18, 0xb102e308, v16
	v_pk_add_f32 v[16:17], v[40:41], v[18:19]
	v_sub_f32_e32 v8, v8, v15
	v_sub_f32_e32 v11, v17, v19
	v_ldexp_f32 v8, v8, 1
	v_sub_f32_e32 v11, v41, v11
	v_add_f32_e32 v43, v8, v11
	v_mov_b32_e32 v42, v40
	v_pk_add_f32 v[40:41], v[16:17], v[40:41] neg_lo:[0,1] neg_hi:[0,1]
	v_pk_add_f32 v[44:45], v[16:17], v[42:43]
	v_mov_b32_e32 v41, v45
	v_mov_b32_e32 v19, v16
	v_pk_add_f32 v[46:47], v[18:19], v[40:41] neg_lo:[0,1] neg_hi:[0,1]
	v_pk_add_f32 v[18:19], v[18:19], v[40:41]
	v_mov_b32_e32 v8, v19
	v_pk_add_f32 v[40:41], v[8:9], v[16:17] neg_lo:[0,1] neg_hi:[0,1]
	v_mov_b32_e32 v11, v40
	v_pk_add_f32 v[48:49], v[44:45], v[10:11] neg_lo:[0,1] neg_hi:[0,1]
	v_mov_b32_e32 v18, v45
	v_mov_b32_e32 v44, v17
	;; [unrolled: 1-line block ×4, first 2 shown]
	v_pk_add_f32 v[18:19], v[18:19], v[44:45] neg_lo:[0,1] neg_hi:[0,1]
	v_mov_b32_e32 v40, v43
	v_mov_b32_e32 v41, v16
	v_pk_add_f32 v[16:17], v[40:41], v[18:19] neg_lo:[0,1] neg_hi:[0,1]
	v_mov_b32_e32 v48, v46
	v_pk_add_f32 v[18:19], v[48:49], v[16:17]
	v_mov_b32_e32 v40, v19
	v_pk_add_f32 v[40:41], v[18:19], v[40:41]
	v_pk_add_f32 v[42:43], v[8:9], v[40:41]
	v_mov_b32_e32 v19, v42
	v_pk_add_f32 v[44:45], v[18:19], v[46:47] neg_lo:[0,1] neg_hi:[0,1]
	v_mov_b32_e32 v17, v40
	v_sub_f32_e32 v8, v18, v44
	v_pk_add_f32 v[16:17], v[16:17], v[44:45] neg_lo:[0,1] neg_hi:[0,1]
	v_sub_f32_e32 v8, v46, v8
	v_add_f32_e32 v8, v16, v8
	v_add_f32_e32 v8, v8, v17
	v_cmp_eq_f32_e32 vcc, s36, v14
	v_cmp_lt_f32_e64 s[2:3], |v14|, s37
	v_add_f32_e32 v8, v42, v8
	s_or_b64 vcc, vcc, s[2:3]
	v_cndmask_b32_e32 v8, v8, v14, vcc
	v_max_f32_e64 v11, |v3|, |v3|
	v_max_f32_e64 v14, |v2|, |v2|
	v_min_f32_e32 v15, v14, v11
	v_max_f32_e32 v11, v14, v11
	v_frexp_mant_f32_e32 v14, v11
	v_rcp_f32_e32 v14, v14
	v_frexp_exp_i32_f32_e32 v11, v11
	v_frexp_exp_i32_f32_e32 v16, v15
	v_frexp_mant_f32_e32 v15, v15
	v_mul_f32_e32 v14, v15, v14
	v_sub_u32_e32 v11, v16, v11
	v_ldexp_f32 v11, v14, v11
	v_mul_f32_e32 v14, v11, v11
	v_mov_b32_e32 v15, 0xbc7a590c
	v_fmac_f32_e32 v15, 0x3b2d2a58, v14
	v_fma_f32 v15, v14, v15, v22
	v_fma_f32 v15, v14, v15, v23
	;; [unrolled: 1-line block ×6, first 2 shown]
	v_mul_f32_e32 v14, v14, v15
	v_fmac_f32_e32 v11, v11, v14
	v_sub_f32_e32 v14, 0x3fc90fdb, v11
	v_cndmask_b32_e64 v11, v11, v14, s[0:1]
	v_sub_f32_e32 v14, 0x40490fdb, v11
	v_cmp_gt_f32_e32 vcc, 0, v2
	v_cmp_gt_i32_e64 s[2:3], 0, v2
	v_cndmask_b32_e32 v11, v11, v14, vcc
	v_cndmask_b32_e64 v14, 0, v30, s[2:3]
	v_cmp_eq_f32_e64 s[2:3], 0, v3
	v_cndmask_b32_e64 v11, v11, v14, s[2:3]
	v_cmp_class_f32_e64 s[2:3], v2, s38
	v_cmp_class_f32_e64 s[20:21], v3, s38
	v_cndmask_b32_e32 v14, v31, v32, vcc
	s_and_b64 vcc, s[2:3], s[20:21]
	v_mul_f32_e32 v8, 0.5, v8
	v_cndmask_b32_e32 v39, v11, v14, vcc
                                        ; implicit-def: $vgpr14
.LBB187_251:                            ;   in Loop: Header=BB187_162 Depth=1
	s_andn2_saveexec_b64 s[18:19], s[18:19]
	s_cbranch_execz .LBB187_253
; %bb.252:                              ;   in Loop: Header=BB187_162 Depth=1
	v_mul_f32_e32 v8, 0.5, v14
	v_mul_f32_e32 v8, v14, v8
	v_max_f32_e64 v11, |v3|, |v3|
	v_max_f32_e64 v14, |v2|, |v2|
	v_min_f32_e32 v15, v14, v11
	v_max_f32_e32 v11, v14, v11
	v_frexp_mant_f32_e32 v14, v11
	v_rcp_f32_e32 v14, v14
	v_frexp_exp_i32_f32_e32 v11, v11
	v_frexp_exp_i32_f32_e32 v16, v15
	v_frexp_mant_f32_e32 v15, v15
	v_mul_f32_e32 v14, v15, v14
	v_sub_u32_e32 v11, v16, v11
	v_ldexp_f32 v11, v14, v11
	v_mul_f32_e32 v14, v11, v11
	v_mov_b32_e32 v15, 0xbc7a590c
	v_fmac_f32_e32 v15, 0x3b2d2a58, v14
	v_fma_f32 v15, v14, v15, v22
	v_fma_f32 v15, v14, v15, v23
	;; [unrolled: 1-line block ×6, first 2 shown]
	v_mul_f32_e32 v14, v14, v15
	v_fmac_f32_e32 v11, v11, v14
	v_sub_f32_e32 v14, 0x3fc90fdb, v11
	v_cndmask_b32_e64 v11, v11, v14, s[0:1]
	v_sub_f32_e32 v14, 0x40490fdb, v11
	v_cmp_gt_f32_e32 vcc, 0, v2
	v_cmp_gt_i32_e64 s[2:3], 0, v2
	v_cndmask_b32_e32 v11, v11, v14, vcc
	v_cndmask_b32_e64 v14, 0, v30, s[2:3]
	v_cmp_eq_f32_e64 s[2:3], 0, v3
	v_cndmask_b32_e64 v11, v11, v14, s[2:3]
	v_cmp_class_f32_e64 s[2:3], v2, s38
	v_cmp_class_f32_e64 s[20:21], v3, s38
	v_cndmask_b32_e32 v14, v31, v32, vcc
	s_and_b64 vcc, s[2:3], s[20:21]
	v_cndmask_b32_e32 v39, v11, v14, vcc
.LBB187_253:                            ;   in Loop: Header=BB187_162 Depth=1
	s_or_b64 exec, exec, s[18:19]
.LBB187_254:                            ;   in Loop: Header=BB187_162 Depth=1
	s_or_b64 exec, exec, s[16:17]
.LBB187_255:                            ;   in Loop: Header=BB187_162 Depth=1
	s_andn2_saveexec_b64 s[12:13], s[12:13]
	s_cbranch_execz .LBB187_257
; %bb.256:                              ;   in Loop: Header=BB187_162 Depth=1
	v_div_scale_f32 v8, s[2:3], s43, s43, v2
	v_rcp_f32_e32 v11, v8
	v_div_scale_f32 v14, vcc, v2, s43, v2
	v_fma_f32 v15, -v8, v11, 1.0
	v_fmac_f32_e32 v11, v15, v11
	v_mul_f32_e32 v15, v14, v11
	v_fma_f32 v16, -v8, v15, v14
	v_fmac_f32_e32 v15, v16, v11
	v_fma_f32 v8, -v8, v15, v14
	v_div_scale_f32 v14, s[2:3], s43, s43, v3
	v_rcp_f32_e32 v16, v14
	v_div_fmas_f32 v8, v8, v11, v15
	v_div_fixup_f32 v8, v8, s43, v2
	v_fma_f32 v11, -v14, v16, 1.0
	v_fmac_f32_e32 v16, v11, v16
	v_div_scale_f32 v11, vcc, v3, s43, v3
	v_mul_f32_e32 v15, v11, v16
	v_fma_f32 v17, -v14, v15, v11
	v_fmac_f32_e32 v15, v17, v16
	v_fma_f32 v11, -v14, v15, v11
	v_div_fmas_f32 v11, v11, v16, v15
	v_div_fixup_f32 v11, v11, s43, v3
	v_max_f32_e64 v16, |v8|, |v11|
	v_cvt_f64_f32_e32 v[14:15], v16
	v_frexp_exp_i32_f64_e32 v14, v[14:15]
	v_sub_u32_e32 v15, 0, v14
	v_ldexp_f32 v11, |v11|, v15
	v_ldexp_f32 v8, |v8|, v15
	v_mul_f32_e32 v11, v11, v11
	v_fmac_f32_e32 v11, v8, v8
	v_sqrt_f32_e32 v8, v11
	v_cmp_neq_f32_e32 vcc, s36, v16
	v_ldexp_f32 v8, v8, v14
	v_cndmask_b32_e32 v8, v35, v8, vcc
	v_cmp_gt_f32_e32 vcc, s40, v8
	v_cndmask_b32_e32 v11, 1.0, v33, vcc
	v_mul_f32_e32 v8, v8, v11
	v_log_f32_e32 v8, v8
	v_mul_f32_e32 v11, 0x3f317217, v8
	v_fma_f32 v14, v8, s41, -v11
	v_fmac_f32_e32 v14, 0x3377d1cf, v8
	v_add_f32_e32 v11, v11, v14
	v_cmp_lt_f32_e64 s[2:3], |v8|, s36
	v_cndmask_b32_e64 v8, v8, v11, s[2:3]
	v_cndmask_b32_e32 v11, 0, v34, vcc
	v_sub_f32_e32 v8, v8, v11
	v_max_f32_e64 v11, |v3|, |v3|
	v_max_f32_e64 v14, |v2|, |v2|
	v_min_f32_e32 v15, v14, v11
	v_max_f32_e32 v11, v14, v11
	v_frexp_mant_f32_e32 v14, v11
	v_rcp_f32_e32 v14, v14
	v_frexp_exp_i32_f32_e32 v11, v11
	v_frexp_exp_i32_f32_e32 v16, v15
	v_frexp_mant_f32_e32 v15, v15
	v_mul_f32_e32 v14, v15, v14
	v_sub_u32_e32 v11, v16, v11
	v_ldexp_f32 v11, v14, v11
	v_mul_f32_e32 v14, v11, v11
	v_mov_b32_e32 v15, 0xbc7a590c
	v_fmac_f32_e32 v15, 0x3b2d2a58, v14
	v_fma_f32 v15, v14, v15, v22
	v_fma_f32 v15, v14, v15, v23
	;; [unrolled: 1-line block ×6, first 2 shown]
	v_mul_f32_e32 v14, v14, v15
	v_fmac_f32_e32 v11, v11, v14
	v_sub_f32_e32 v14, 0x3fc90fdb, v11
	v_cndmask_b32_e64 v11, v11, v14, s[0:1]
	v_sub_f32_e32 v14, 0x40490fdb, v11
	v_cmp_gt_f32_e32 vcc, 0, v2
	v_cmp_gt_i32_e64 s[0:1], 0, v2
	v_cndmask_b32_e32 v11, v11, v14, vcc
	v_cndmask_b32_e64 v14, 0, v30, s[0:1]
	v_cmp_eq_f32_e64 s[0:1], 0, v3
	v_cndmask_b32_e64 v11, v11, v14, s[0:1]
	v_cmp_class_f32_e64 s[0:1], v2, s38
	v_cmp_class_f32_e64 s[2:3], v3, s38
	v_cndmask_b32_e32 v14, v31, v32, vcc
	s_and_b64 vcc, s[0:1], s[2:3]
	v_add_f32_e32 v8, 1.0, v8
	v_cndmask_b32_e32 v39, v11, v14, vcc
.LBB187_257:                            ;   in Loop: Header=BB187_162 Depth=1
	s_or_b64 exec, exec, s[12:13]
.LBB187_258:                            ;   in Loop: Header=BB187_162 Depth=1
	s_andn2_saveexec_b64 s[0:1], s[10:11]
	s_cbranch_execz .LBB187_264
; %bb.259:                              ;   in Loop: Header=BB187_162 Depth=1
	v_cmp_nlt_f32_e64 s[2:3], |v2|, s44
	v_cmp_nlt_f32_e64 s[10:11], |v3|, s44
	s_or_b64 s[2:3], s[2:3], s[10:11]
                                        ; implicit-def: $vgpr8
	s_and_saveexec_b64 s[10:11], s[2:3]
	s_xor_b64 s[2:3], exec, s[10:11]
; %bb.260:                              ;   in Loop: Header=BB187_162 Depth=1
	v_pk_mul_f32 v[14:15], v[2:3], v[2:3]
	v_add_f32_e32 v8, v14, v15
; %bb.261:                              ;   in Loop: Header=BB187_162 Depth=1
	s_andn2_saveexec_b64 s[2:3], s[2:3]
; %bb.262:                              ;   in Loop: Header=BB187_162 Depth=1
	v_pk_mul_f32 v[14:15], v[2:3], 4.0 op_sel_hi:[1,0]
	v_pk_mul_f32 v[14:15], v[14:15], v[14:15]
	v_add_f32_e32 v2, v14, v15
	v_mul_f32_e32 v8, 0x3d800000, v2
; %bb.263:                              ;   in Loop: Header=BB187_162 Depth=1
	s_or_b64 exec, exec, s[2:3]
	v_cmp_gt_f32_e32 vcc, s40, v8
	v_cndmask_b32_e32 v2, 1.0, v33, vcc
	v_mul_f32_e32 v2, v8, v2
	v_log_f32_e32 v2, v2
	v_cndmask_b32_e32 v8, 0, v34, vcc
	v_mov_b32_e32 v39, 0x7fc00000
	v_mul_f32_e32 v11, 0x3f317217, v2
	v_fma_f32 v14, v2, s41, -v11
	v_fmac_f32_e32 v14, 0x3377d1cf, v2
	v_add_f32_e32 v11, v11, v14
	v_cmp_lt_f32_e64 vcc, |v2|, s36
	v_cndmask_b32_e32 v2, v2, v11, vcc
	v_sub_f32_e32 v8, v2, v8
.LBB187_264:                            ;   in Loop: Header=BB187_162 Depth=1
	s_or_b64 exec, exec, s[0:1]
	v_cmp_o_f32_e32 vcc, v5, v4
                                        ; implicit-def: $vgpr2
                                        ; implicit-def: $vgpr11
	s_and_saveexec_b64 s[0:1], vcc
	s_xor_b64 s[10:11], exec, s[0:1]
	s_cbranch_execz .LBB187_292
; %bb.265:                              ;   in Loop: Header=BB187_162 Depth=1
	v_cmp_lt_f32_e64 s[0:1], |v4|, |v5|
	v_cndmask_b32_e64 v14, v5, v4, s[0:1]
	v_cmp_ngt_f32_e64 s[2:3], |v14|, s29
                                        ; implicit-def: $vgpr2
                                        ; implicit-def: $vgpr11
	s_and_saveexec_b64 s[12:13], s[2:3]
	s_xor_b64 s[12:13], exec, s[12:13]
	s_cbranch_execz .LBB187_289
; %bb.266:                              ;   in Loop: Header=BB187_162 Depth=1
	v_cndmask_b32_e64 v2, v4, v5, s[0:1]
	v_and_b32_e32 v15, 0x7fffffff, v2
	v_and_b32_e32 v14, 0x7fffffff, v14
	v_cmp_neq_f32_e32 vcc, 1.0, v15
                                        ; implicit-def: $vgpr2
                                        ; implicit-def: $vgpr11
	s_and_saveexec_b64 s[2:3], vcc
	s_xor_b64 s[16:17], exec, s[2:3]
	s_cbranch_execz .LBB187_282
; %bb.267:                              ;   in Loop: Header=BB187_162 Depth=1
	v_max_f32_e32 v2, v14, v14
	v_max_f32_e32 v11, v15, v15
	v_min_f32_e32 v16, v11, v2
	v_max_f32_e32 v2, v11, v2
	v_cmp_ngt_f32_e32 vcc, s30, v16
	v_cmp_nlt_f32_e64 s[2:3], s31, v2
	s_and_b64 s[2:3], s[2:3], vcc
                                        ; implicit-def: $vgpr2
                                        ; implicit-def: $vgpr11
	s_and_saveexec_b64 s[18:19], s[2:3]
	s_xor_b64 s[18:19], exec, s[18:19]
	s_cbranch_execz .LBB187_279
; %bb.268:                              ;   in Loop: Header=BB187_162 Depth=1
	v_cmp_le_f32_e32 vcc, 1.0, v15
                                        ; implicit-def: $vgpr2
                                        ; implicit-def: $vgpr11
	s_and_saveexec_b64 s[2:3], vcc
	s_xor_b64 s[20:21], exec, s[2:3]
	s_cbranch_execz .LBB187_270
; %bb.269:                              ;   in Loop: Header=BB187_162 Depth=1
	v_pk_add_f32 v[16:17], v[14:15], s[6:7] op_sel:[1,0]
	v_mov_b32_e32 v2, v17
	v_pk_mul_f32 v[16:17], v[16:17], v[2:3]
	v_pk_fma_f32 v[14:15], v[14:15], v[14:15], v[16:17]
	v_add_f32_e32 v17, 1.0, v14
	v_add_f32_e32 v15, -1.0, v17
	v_mov_b32_e32 v16, v15
	v_pk_add_f32 v[18:19], v[14:15], v[16:17] neg_lo:[0,1] neg_hi:[0,1]
	v_add_f32_e32 v2, 1.0, v19
	v_add_f32_e32 v2, v18, v2
	v_frexp_mant_f32_e32 v11, v17
	v_cvt_f64_f32_e32 v[18:19], v17
	v_frexp_exp_i32_f64_e32 v15, v[18:19]
	v_cmp_gt_f32_e32 vcc, s34, v11
	v_subbrev_co_u32_e32 v15, vcc, 0, v15, vcc
	v_sub_u32_e32 v11, 0, v15
	v_ldexp_f32 v16, v17, v11
	v_ldexp_f32 v2, v2, v11
	v_add_f32_e32 v11, -1.0, v16
	v_add_f32_e32 v17, 1.0, v11
	v_sub_f32_e32 v17, v16, v17
	v_add_f32_e32 v18, v2, v17
	v_add_f32_e32 v17, 1.0, v16
	v_add_f32_e32 v19, -1.0, v17
	v_sub_f32_e32 v16, v16, v19
	v_add_f32_e32 v2, v2, v16
	v_add_f32_e32 v44, v17, v2
	v_rcp_f32_e32 v45, v44
	v_sub_f32_e32 v16, v44, v17
	v_add_f32_e32 v17, v11, v18
	v_sub_f32_e32 v11, v17, v11
	v_mul_f32_e32 v46, v17, v45
	v_sub_f32_e32 v11, v18, v11
	v_mul_f32_e32 v18, v44, v46
	v_sub_f32_e32 v2, v2, v16
	v_fma_f32 v40, v46, v44, -v18
	v_fmac_f32_e32 v40, v46, v2
	v_add_f32_e32 v16, v18, v40
	v_sub_f32_e32 v19, v17, v16
	v_pk_add_f32 v[42:43], v[16:17], v[18:19] neg_lo:[0,1] neg_hi:[0,1]
	v_mov_b32_e32 v41, v16
	v_pk_add_f32 v[16:17], v[42:43], v[40:41] neg_lo:[0,1] neg_hi:[0,1]
	v_add_f32_e32 v11, v11, v17
	v_add_f32_e32 v11, v16, v11
	;; [unrolled: 1-line block ×3, first 2 shown]
	v_mul_f32_e32 v47, v45, v17
	v_mul_f32_e32 v18, v44, v47
	v_fma_f32 v40, v47, v44, -v18
	v_fmac_f32_e32 v40, v47, v2
	v_add_f32_e32 v16, v18, v40
	v_sub_f32_e32 v2, v19, v17
	v_sub_f32_e32 v19, v17, v16
	v_pk_add_f32 v[42:43], v[16:17], v[18:19] neg_lo:[0,1] neg_hi:[0,1]
	v_mov_b32_e32 v41, v16
	v_add_f32_e32 v2, v11, v2
	v_pk_add_f32 v[16:17], v[42:43], v[40:41] neg_lo:[0,1] neg_hi:[0,1]
	v_add_f32_e32 v2, v2, v17
	v_add_f32_e32 v2, v16, v2
	;; [unrolled: 1-line block ×4, first 2 shown]
	v_sub_f32_e32 v11, v17, v46
	v_mul_f32_e32 v2, v45, v2
	v_sub_f32_e32 v11, v47, v11
	v_add_f32_e32 v2, v11, v2
	v_add_f32_e32 v18, v17, v2
	v_cvt_f32_i32_e32 v16, v15
	v_mul_f32_e32 v40, v18, v18
	v_mov_b32_e32 v11, 0x3ecc95a3
	v_fmac_f32_e32 v11, 0x3e9b6dac, v40
	v_fma_f32 v11, v40, v11, v21
	v_sub_f32_e32 v15, v18, v17
	v_mul_f32_e32 v17, v18, v40
	v_pk_mul_f32 v[40:41], v[16:17], v[10:11]
	v_ldexp_f32 v19, v18, 1
	v_fma_f32 v18, v16, s35, -v40
	v_fmac_f32_e32 v18, 0xb102e308, v16
	v_pk_add_f32 v[16:17], v[40:41], v[18:19]
	v_sub_f32_e32 v2, v2, v15
	v_sub_f32_e32 v11, v17, v19
	v_ldexp_f32 v2, v2, 1
	v_sub_f32_e32 v11, v41, v11
	v_add_f32_e32 v43, v2, v11
	v_mov_b32_e32 v42, v40
	v_pk_add_f32 v[40:41], v[16:17], v[40:41] neg_lo:[0,1] neg_hi:[0,1]
	v_pk_add_f32 v[44:45], v[16:17], v[42:43]
	v_mov_b32_e32 v41, v45
	v_mov_b32_e32 v19, v16
	v_pk_add_f32 v[46:47], v[18:19], v[40:41] neg_lo:[0,1] neg_hi:[0,1]
	v_pk_add_f32 v[18:19], v[18:19], v[40:41]
	v_mov_b32_e32 v2, v19
	v_pk_add_f32 v[40:41], v[2:3], v[16:17] neg_lo:[0,1] neg_hi:[0,1]
	v_mov_b32_e32 v11, v40
	v_pk_add_f32 v[48:49], v[44:45], v[10:11] neg_lo:[0,1] neg_hi:[0,1]
	v_mov_b32_e32 v18, v45
	v_mov_b32_e32 v44, v17
	;; [unrolled: 1-line block ×4, first 2 shown]
	v_pk_add_f32 v[18:19], v[18:19], v[44:45] neg_lo:[0,1] neg_hi:[0,1]
	v_mov_b32_e32 v40, v43
	v_mov_b32_e32 v41, v16
	v_pk_add_f32 v[16:17], v[40:41], v[18:19] neg_lo:[0,1] neg_hi:[0,1]
	v_mov_b32_e32 v48, v46
	v_pk_add_f32 v[18:19], v[48:49], v[16:17]
	v_mov_b32_e32 v40, v19
	v_pk_add_f32 v[40:41], v[18:19], v[40:41]
	v_pk_add_f32 v[42:43], v[2:3], v[40:41]
	v_mov_b32_e32 v19, v42
	v_pk_add_f32 v[44:45], v[18:19], v[46:47] neg_lo:[0,1] neg_hi:[0,1]
	v_mov_b32_e32 v17, v40
	v_sub_f32_e32 v2, v18, v44
	v_pk_add_f32 v[16:17], v[16:17], v[44:45] neg_lo:[0,1] neg_hi:[0,1]
	v_sub_f32_e32 v2, v46, v2
	v_add_f32_e32 v2, v16, v2
	v_add_f32_e32 v2, v2, v17
	v_add_f32_e32 v2, v42, v2
	v_cmp_eq_f32_e32 vcc, s36, v14
	v_cndmask_b32_e32 v2, v2, v14, vcc
	v_cmp_ngt_f32_e32 vcc, -1.0, v14
	v_cndmask_b32_e32 v2, v28, v2, vcc
	v_cmp_neq_f32_e32 vcc, -1.0, v14
	v_cndmask_b32_e32 v2, v29, v2, vcc
	v_cmp_lt_f32_e64 vcc, |v14|, s37
	v_cndmask_b32_e32 v2, v2, v14, vcc
	v_max_f32_e64 v11, |v5|, |v5|
	v_max_f32_e64 v14, |v4|, |v4|
	v_min_f32_e32 v15, v14, v11
	v_max_f32_e32 v11, v14, v11
	v_frexp_mant_f32_e32 v14, v11
	v_rcp_f32_e32 v14, v14
	v_frexp_exp_i32_f32_e32 v11, v11
	v_frexp_exp_i32_f32_e32 v16, v15
	v_frexp_mant_f32_e32 v15, v15
	v_mul_f32_e32 v14, v15, v14
	v_sub_u32_e32 v11, v16, v11
	v_ldexp_f32 v11, v14, v11
	v_mul_f32_e32 v14, v11, v11
	v_mov_b32_e32 v15, 0xbc7a590c
	v_fmac_f32_e32 v15, 0x3b2d2a58, v14
	v_fma_f32 v15, v14, v15, v22
	v_fma_f32 v15, v14, v15, v23
	v_fma_f32 v15, v14, v15, v24
	v_fma_f32 v15, v14, v15, v25
	v_fma_f32 v15, v14, v15, v26
	v_fma_f32 v15, v14, v15, v27
	v_mul_f32_e32 v14, v14, v15
	v_fmac_f32_e32 v11, v11, v14
	v_sub_f32_e32 v14, 0x3fc90fdb, v11
	v_cndmask_b32_e64 v11, v11, v14, s[0:1]
	v_sub_f32_e32 v14, 0x40490fdb, v11
	v_cmp_gt_f32_e32 vcc, 0, v4
	v_cmp_gt_i32_e64 s[2:3], 0, v4
	v_cndmask_b32_e32 v11, v11, v14, vcc
	v_cndmask_b32_e64 v14, 0, v30, s[2:3]
	v_cmp_eq_f32_e64 s[2:3], 0, v5
	v_cndmask_b32_e64 v11, v11, v14, s[2:3]
	v_cmp_class_f32_e64 s[2:3], v4, s38
	v_cmp_class_f32_e64 s[22:23], v5, s38
	v_cndmask_b32_e32 v14, v31, v32, vcc
	s_and_b64 vcc, s[2:3], s[22:23]
	v_mul_f32_e32 v2, 0.5, v2
	v_cndmask_b32_e32 v11, v11, v14, vcc
                                        ; implicit-def: $vgpr14_vgpr15
.LBB187_270:                            ;   in Loop: Header=BB187_162 Depth=1
	s_andn2_saveexec_b64 s[20:21], s[20:21]
	s_cbranch_execz .LBB187_278
; %bb.271:                              ;   in Loop: Header=BB187_162 Depth=1
	v_pk_mul_f32 v[16:17], v[14:15], v[14:15]
	v_add_f32_e32 v16, v17, v16
	v_cmp_ge_f32_e32 vcc, s39, v16
                                        ; implicit-def: $vgpr2
                                        ; implicit-def: $vgpr11
	s_and_saveexec_b64 s[2:3], vcc
	s_xor_b64 s[22:23], exec, s[2:3]
	s_cbranch_execz .LBB187_273
; %bb.272:                              ;   in Loop: Header=BB187_162 Depth=1
	v_cmp_gt_f32_e32 vcc, s40, v16
	v_cndmask_b32_e32 v2, 1.0, v33, vcc
	v_mul_f32_e32 v2, v16, v2
	v_log_f32_e32 v2, v2
	v_cndmask_b32_e32 v11, 0, v34, vcc
	v_cmp_gt_i32_e64 s[2:3], 0, v4
	v_cmp_class_f32_e64 s[24:25], v5, s38
	v_mul_f32_e32 v14, 0x3f317217, v2
	v_fma_f32 v15, v2, s41, -v14
	v_fmac_f32_e32 v15, 0x3377d1cf, v2
	v_add_f32_e32 v14, v14, v15
	v_cmp_lt_f32_e64 vcc, |v2|, s36
	v_cndmask_b32_e32 v2, v2, v14, vcc
	v_sub_f32_e32 v2, v2, v11
	v_max_f32_e64 v11, |v5|, |v5|
	v_max_f32_e64 v14, |v4|, |v4|
	v_min_f32_e32 v15, v14, v11
	v_max_f32_e32 v11, v14, v11
	v_frexp_mant_f32_e32 v14, v11
	v_rcp_f32_e32 v14, v14
	v_frexp_exp_i32_f32_e32 v11, v11
	v_frexp_exp_i32_f32_e32 v16, v15
	v_frexp_mant_f32_e32 v15, v15
	v_mul_f32_e32 v14, v15, v14
	v_sub_u32_e32 v11, v16, v11
	v_ldexp_f32 v11, v14, v11
	v_mul_f32_e32 v14, v11, v11
	v_mov_b32_e32 v15, 0xbc7a590c
	v_fmac_f32_e32 v15, 0x3b2d2a58, v14
	v_fma_f32 v15, v14, v15, v22
	v_fma_f32 v15, v14, v15, v23
	;; [unrolled: 1-line block ×6, first 2 shown]
	v_mul_f32_e32 v14, v14, v15
	v_fmac_f32_e32 v11, v11, v14
	v_sub_f32_e32 v14, 0x3fc90fdb, v11
	v_cndmask_b32_e64 v11, v11, v14, s[0:1]
	v_sub_f32_e32 v14, 0x40490fdb, v11
	v_cmp_gt_f32_e32 vcc, 0, v4
	v_cndmask_b32_e32 v11, v11, v14, vcc
	v_cndmask_b32_e64 v14, 0, v30, s[2:3]
	v_cmp_eq_f32_e64 s[2:3], 0, v5
	v_cndmask_b32_e64 v11, v11, v14, s[2:3]
	v_cmp_class_f32_e64 s[2:3], v4, s38
	v_cndmask_b32_e32 v14, v31, v32, vcc
	s_and_b64 vcc, s[2:3], s[24:25]
	v_mul_f32_e32 v2, 0.5, v2
	v_cndmask_b32_e32 v11, v11, v14, vcc
                                        ; implicit-def: $vgpr14_vgpr15
.LBB187_273:                            ;   in Loop: Header=BB187_162 Depth=1
	s_andn2_saveexec_b64 s[22:23], s[22:23]
	s_cbranch_execz .LBB187_277
; %bb.274:                              ;   in Loop: Header=BB187_162 Depth=1
	v_and_b32_e32 v17, 0x7fff0000, v14
	v_and_b32_e32 v16, 0x7fff0000, v15
	v_pk_add_f32 v[14:15], v[14:15], v[16:17] op_sel:[1,0] op_sel_hi:[0,1] neg_lo:[0,1] neg_hi:[0,1]
	v_and_b32_e32 v19, 0xffff0000, v15
	v_and_b32_e32 v18, 0xffff0000, v14
	v_add_f32_e32 v40, v16, v16
	v_pk_add_f32 v[44:45], v[14:15], v[18:19] neg_lo:[0,1] neg_hi:[0,1]
	v_pk_mul_f32 v[14:15], v[16:17], v[16:17]
	v_mul_f32_e32 v11, v40, v18
	v_add_f32_e32 v42, v17, v17
	v_pk_mul_f32 v[16:17], v[18:19], v[18:19]
	v_add_f32_e32 v18, v18, v18
	v_mul_f32_e32 v2, v42, v19
	v_mul_f32_e32 v41, v40, v44
	;; [unrolled: 1-line block ×4, first 2 shown]
	v_add_f32_e32 v18, v19, v19
	v_mul_f32_e32 v43, v18, v45
	v_pk_mul_f32 v[18:19], v[44:45], v[44:45]
	s_mov_b64 s[24:25], 0
.LBB187_275:                            ;   Parent Loop BB187_162 Depth=1
                                        ; =>  This Inner Loop Header: Depth=2
	v_cmp_nlt_f32_e32 vcc, v14, v15
	v_cndmask_b32_e32 v44, v14, v15, vcc
	v_cmp_nlt_f32_e64 s[2:3], v44, v11
	v_cndmask_b32_e64 v45, v44, v11, s[2:3]
	v_cndmask_b32_e32 v14, v15, v14, vcc
	s_and_b64 s[46:47], vcc, s[2:3]
	v_cmp_nlt_f32_e32 vcc, v45, v2
	v_cndmask_b32_e64 v15, v11, v44, s[2:3]
	v_cndmask_b32_e32 v44, v45, v2, vcc
	v_cmp_nlt_f32_e64 s[2:3], v44, v16
	v_cndmask_b32_e32 v11, v2, v45, vcc
	v_cndmask_b32_e64 v45, v44, v16, s[2:3]
	s_and_b64 s[48:49], vcc, s[2:3]
	v_cmp_nlt_f32_e32 vcc, v45, v17
	v_cndmask_b32_e64 v2, v16, v44, s[2:3]
	v_cndmask_b32_e32 v44, v45, v17, vcc
	v_cmp_nlt_f32_e64 s[2:3], v44, v41
	v_cndmask_b32_e32 v16, v17, v45, vcc
	v_cndmask_b32_e64 v45, v44, v41, s[2:3]
	v_cndmask_b32_e64 v17, v41, v44, s[2:3]
	s_and_b64 s[2:3], vcc, s[2:3]
	v_cmp_nlt_f32_e32 vcc, v45, v40
	v_cndmask_b32_e32 v44, v45, v40, vcc
	v_cndmask_b32_e32 v41, v40, v45, vcc
	s_and_b64 s[2:3], s[2:3], vcc
	v_cmp_nlt_f32_e32 vcc, v44, v42
	v_cndmask_b32_e32 v45, v44, v42, vcc
	v_cndmask_b32_e32 v40, v42, v44, vcc
	s_and_b64 s[2:3], s[2:3], vcc
	;; [unrolled: 4-line block ×4, first 2 shown]
	v_cmp_nlt_f32_e32 vcc, v45, v19
	s_and_b64 s[2:3], s[2:3], vcc
	s_and_b64 s[2:3], s[2:3], s[48:49]
	s_and_b64 s[2:3], s[2:3], s[46:47]
	s_and_b64 s[2:3], exec, s[2:3]
	v_cndmask_b32_e32 v18, v19, v45, vcc
	s_or_b64 s[24:25], s[2:3], s[24:25]
	v_cndmask_b32_e32 v19, v45, v19, vcc
	s_andn2_b64 exec, exec, s[24:25]
	s_cbranch_execnz .LBB187_275
; %bb.276:                              ;   in Loop: Header=BB187_162 Depth=1
	s_or_b64 exec, exec, s[24:25]
	v_add_f32_e32 v14, -1.0, v14
	v_add_f32_e32 v14, v14, v15
	v_add_f32_e32 v11, v14, v11
	;; [unrolled: 1-line block ×11, first 2 shown]
	v_add_f32_e32 v17, 1.0, v14
	v_add_f32_e32 v15, -1.0, v17
	v_mov_b32_e32 v16, v15
	v_pk_add_f32 v[18:19], v[14:15], v[16:17] neg_lo:[0,1] neg_hi:[0,1]
	v_add_f32_e32 v2, 1.0, v19
	v_add_f32_e32 v2, v18, v2
	v_frexp_mant_f32_e32 v11, v17
	v_cvt_f64_f32_e32 v[18:19], v17
	v_frexp_exp_i32_f64_e32 v15, v[18:19]
	v_cmp_gt_f32_e32 vcc, s34, v11
	v_subbrev_co_u32_e32 v15, vcc, 0, v15, vcc
	v_sub_u32_e32 v11, 0, v15
	v_ldexp_f32 v16, v17, v11
	v_ldexp_f32 v2, v2, v11
	v_add_f32_e32 v11, -1.0, v16
	v_add_f32_e32 v17, 1.0, v11
	v_sub_f32_e32 v17, v16, v17
	v_add_f32_e32 v18, v2, v17
	v_add_f32_e32 v17, 1.0, v16
	v_add_f32_e32 v19, -1.0, v17
	v_sub_f32_e32 v16, v16, v19
	v_add_f32_e32 v2, v2, v16
	v_add_f32_e32 v44, v17, v2
	v_rcp_f32_e32 v45, v44
	v_sub_f32_e32 v16, v44, v17
	v_add_f32_e32 v17, v11, v18
	v_sub_f32_e32 v11, v17, v11
	v_mul_f32_e32 v46, v17, v45
	v_sub_f32_e32 v11, v18, v11
	v_mul_f32_e32 v18, v44, v46
	v_sub_f32_e32 v2, v2, v16
	v_fma_f32 v40, v46, v44, -v18
	v_fmac_f32_e32 v40, v46, v2
	v_add_f32_e32 v16, v18, v40
	v_sub_f32_e32 v19, v17, v16
	v_pk_add_f32 v[42:43], v[16:17], v[18:19] neg_lo:[0,1] neg_hi:[0,1]
	v_mov_b32_e32 v41, v16
	v_pk_add_f32 v[16:17], v[42:43], v[40:41] neg_lo:[0,1] neg_hi:[0,1]
	v_add_f32_e32 v11, v11, v17
	v_add_f32_e32 v11, v16, v11
	v_add_f32_e32 v17, v19, v11
	v_mul_f32_e32 v47, v45, v17
	v_mul_f32_e32 v18, v44, v47
	v_fma_f32 v40, v47, v44, -v18
	v_fmac_f32_e32 v40, v47, v2
	v_add_f32_e32 v16, v18, v40
	v_sub_f32_e32 v2, v19, v17
	v_sub_f32_e32 v19, v17, v16
	v_pk_add_f32 v[42:43], v[16:17], v[18:19] neg_lo:[0,1] neg_hi:[0,1]
	v_mov_b32_e32 v41, v16
	v_add_f32_e32 v2, v11, v2
	v_pk_add_f32 v[16:17], v[42:43], v[40:41] neg_lo:[0,1] neg_hi:[0,1]
	v_add_f32_e32 v2, v2, v17
	v_add_f32_e32 v2, v16, v2
	;; [unrolled: 1-line block ×4, first 2 shown]
	v_sub_f32_e32 v11, v17, v46
	v_mul_f32_e32 v2, v45, v2
	v_sub_f32_e32 v11, v47, v11
	v_add_f32_e32 v2, v11, v2
	v_add_f32_e32 v18, v17, v2
	v_cvt_f32_i32_e32 v16, v15
	v_mul_f32_e32 v40, v18, v18
	v_mov_b32_e32 v11, 0x3ecc95a3
	v_fmac_f32_e32 v11, 0x3e9b6dac, v40
	v_fma_f32 v11, v40, v11, v21
	v_sub_f32_e32 v15, v18, v17
	v_mul_f32_e32 v17, v18, v40
	v_pk_mul_f32 v[40:41], v[16:17], v[10:11]
	v_ldexp_f32 v19, v18, 1
	v_fma_f32 v18, v16, s35, -v40
	v_fmac_f32_e32 v18, 0xb102e308, v16
	v_pk_add_f32 v[16:17], v[40:41], v[18:19]
	v_sub_f32_e32 v2, v2, v15
	v_sub_f32_e32 v11, v17, v19
	v_ldexp_f32 v2, v2, 1
	v_sub_f32_e32 v11, v41, v11
	v_add_f32_e32 v43, v2, v11
	v_mov_b32_e32 v42, v40
	v_pk_add_f32 v[40:41], v[16:17], v[40:41] neg_lo:[0,1] neg_hi:[0,1]
	v_pk_add_f32 v[44:45], v[16:17], v[42:43]
	v_mov_b32_e32 v41, v45
	v_mov_b32_e32 v19, v16
	v_pk_add_f32 v[46:47], v[18:19], v[40:41] neg_lo:[0,1] neg_hi:[0,1]
	v_pk_add_f32 v[18:19], v[18:19], v[40:41]
	v_mov_b32_e32 v2, v19
	v_pk_add_f32 v[40:41], v[2:3], v[16:17] neg_lo:[0,1] neg_hi:[0,1]
	v_mov_b32_e32 v11, v40
	v_pk_add_f32 v[48:49], v[44:45], v[10:11] neg_lo:[0,1] neg_hi:[0,1]
	v_mov_b32_e32 v18, v45
	v_mov_b32_e32 v44, v17
	;; [unrolled: 1-line block ×4, first 2 shown]
	v_pk_add_f32 v[18:19], v[18:19], v[44:45] neg_lo:[0,1] neg_hi:[0,1]
	v_mov_b32_e32 v40, v43
	v_mov_b32_e32 v41, v16
	v_pk_add_f32 v[16:17], v[40:41], v[18:19] neg_lo:[0,1] neg_hi:[0,1]
	v_mov_b32_e32 v48, v46
	v_pk_add_f32 v[18:19], v[48:49], v[16:17]
	v_mov_b32_e32 v40, v19
	v_pk_add_f32 v[40:41], v[18:19], v[40:41]
	v_pk_add_f32 v[42:43], v[2:3], v[40:41]
	v_mov_b32_e32 v19, v42
	v_pk_add_f32 v[44:45], v[18:19], v[46:47] neg_lo:[0,1] neg_hi:[0,1]
	v_mov_b32_e32 v17, v40
	v_sub_f32_e32 v2, v18, v44
	v_pk_add_f32 v[16:17], v[16:17], v[44:45] neg_lo:[0,1] neg_hi:[0,1]
	v_sub_f32_e32 v2, v46, v2
	v_add_f32_e32 v2, v16, v2
	v_add_f32_e32 v2, v2, v17
	;; [unrolled: 1-line block ×3, first 2 shown]
	v_cmp_eq_f32_e32 vcc, s36, v14
	v_cndmask_b32_e32 v2, v2, v14, vcc
	v_cmp_ngt_f32_e32 vcc, -1.0, v14
	v_cndmask_b32_e32 v2, v28, v2, vcc
	v_cmp_neq_f32_e32 vcc, -1.0, v14
	v_cndmask_b32_e32 v2, v29, v2, vcc
	v_cmp_lt_f32_e64 vcc, |v14|, s37
	v_cndmask_b32_e32 v2, v2, v14, vcc
	v_max_f32_e64 v11, |v5|, |v5|
	v_max_f32_e64 v14, |v4|, |v4|
	v_min_f32_e32 v15, v14, v11
	v_max_f32_e32 v11, v14, v11
	v_frexp_mant_f32_e32 v14, v11
	v_rcp_f32_e32 v14, v14
	v_frexp_exp_i32_f32_e32 v11, v11
	v_frexp_exp_i32_f32_e32 v16, v15
	v_frexp_mant_f32_e32 v15, v15
	v_mul_f32_e32 v14, v15, v14
	v_sub_u32_e32 v11, v16, v11
	v_ldexp_f32 v11, v14, v11
	v_mul_f32_e32 v14, v11, v11
	v_mov_b32_e32 v15, 0xbc7a590c
	v_fmac_f32_e32 v15, 0x3b2d2a58, v14
	v_fma_f32 v15, v14, v15, v22
	v_fma_f32 v15, v14, v15, v23
	;; [unrolled: 1-line block ×6, first 2 shown]
	v_mul_f32_e32 v14, v14, v15
	v_fmac_f32_e32 v11, v11, v14
	v_sub_f32_e32 v14, 0x3fc90fdb, v11
	v_cndmask_b32_e64 v11, v11, v14, s[0:1]
	v_sub_f32_e32 v14, 0x40490fdb, v11
	v_cmp_gt_f32_e32 vcc, 0, v4
	v_cmp_gt_i32_e64 s[2:3], 0, v4
	v_cndmask_b32_e32 v11, v11, v14, vcc
	v_cndmask_b32_e64 v14, 0, v30, s[2:3]
	v_cmp_eq_f32_e64 s[2:3], 0, v5
	v_cndmask_b32_e64 v11, v11, v14, s[2:3]
	v_cmp_class_f32_e64 s[2:3], v4, s38
	v_cmp_class_f32_e64 s[24:25], v5, s38
	v_cndmask_b32_e32 v14, v31, v32, vcc
	s_and_b64 vcc, s[2:3], s[24:25]
	v_mul_f32_e32 v2, 0.5, v2
	v_cndmask_b32_e32 v11, v11, v14, vcc
.LBB187_277:                            ;   in Loop: Header=BB187_162 Depth=1
	s_or_b64 exec, exec, s[22:23]
.LBB187_278:                            ;   in Loop: Header=BB187_162 Depth=1
	s_or_b64 exec, exec, s[20:21]
.LBB187_279:                            ;   in Loop: Header=BB187_162 Depth=1
	s_andn2_saveexec_b64 s[18:19], s[18:19]
	s_cbranch_execz .LBB187_281
; %bb.280:                              ;   in Loop: Header=BB187_162 Depth=1
	v_max_f32_e64 v11, |v5|, |v5|
	v_max_f32_e64 v16, |v4|, |v4|
	v_max_f32_e32 v17, v16, v11
	v_cvt_f64_f32_e32 v[14:15], v17
	v_frexp_exp_i32_f64_e32 v2, v[14:15]
	v_sub_u32_e32 v14, 0, v2
	v_ldexp_f32 v15, |v4|, v14
	v_ldexp_f32 v14, |v5|, v14
	v_mul_f32_e32 v14, v14, v14
	v_fmac_f32_e32 v14, v15, v15
	v_sqrt_f32_e32 v14, v14
	v_cmp_neq_f32_e32 vcc, s36, v17
	v_min_f32_e32 v11, v16, v11
	v_frexp_exp_i32_f32_e32 v16, v11
	v_ldexp_f32 v2, v14, v2
	v_cndmask_b32_e32 v2, v35, v2, vcc
	v_cmp_gt_f32_e32 vcc, s40, v2
	v_cndmask_b32_e32 v14, 1.0, v33, vcc
	v_mul_f32_e32 v2, v2, v14
	v_log_f32_e32 v2, v2
	v_cndmask_b32_e32 v14, 0, v34, vcc
	v_frexp_mant_f32_e32 v11, v11
	v_cmp_gt_i32_e64 s[2:3], 0, v4
	v_mul_f32_e32 v15, 0x3f317217, v2
	v_fma_f32 v18, v2, s41, -v15
	v_fmac_f32_e32 v18, 0x3377d1cf, v2
	v_add_f32_e32 v15, v15, v18
	v_cmp_lt_f32_e64 vcc, |v2|, s36
	v_cndmask_b32_e32 v2, v2, v15, vcc
	v_sub_f32_e32 v2, v2, v14
	v_frexp_mant_f32_e32 v14, v17
	v_rcp_f32_e32 v14, v14
	v_frexp_exp_i32_f32_e32 v15, v17
	v_cmp_gt_f32_e32 vcc, 0, v4
	v_cmp_class_f32_e64 s[20:21], v5, s38
	v_mul_f32_e32 v11, v11, v14
	v_sub_u32_e32 v14, v16, v15
	v_ldexp_f32 v11, v11, v14
	v_mul_f32_e32 v14, v11, v11
	v_mov_b32_e32 v15, 0xbc7a590c
	v_fmac_f32_e32 v15, 0x3b2d2a58, v14
	v_fma_f32 v15, v14, v15, v22
	v_fma_f32 v15, v14, v15, v23
	;; [unrolled: 1-line block ×6, first 2 shown]
	v_mul_f32_e32 v14, v14, v15
	v_fmac_f32_e32 v11, v11, v14
	v_sub_f32_e32 v14, 0x3fc90fdb, v11
	v_cndmask_b32_e64 v11, v11, v14, s[0:1]
	v_sub_f32_e32 v14, 0x40490fdb, v11
	v_cndmask_b32_e32 v11, v11, v14, vcc
	v_cndmask_b32_e64 v14, 0, v30, s[2:3]
	v_cmp_eq_f32_e64 s[2:3], 0, v5
	v_cndmask_b32_e64 v11, v11, v14, s[2:3]
	v_cmp_class_f32_e64 s[2:3], v4, s38
	v_cndmask_b32_e32 v14, v31, v32, vcc
	s_and_b64 vcc, s[2:3], s[20:21]
	v_cndmask_b32_e32 v11, v11, v14, vcc
.LBB187_281:                            ;   in Loop: Header=BB187_162 Depth=1
	s_or_b64 exec, exec, s[18:19]
                                        ; implicit-def: $vgpr14
.LBB187_282:                            ;   in Loop: Header=BB187_162 Depth=1
	s_andn2_saveexec_b64 s[16:17], s[16:17]
	s_cbranch_execz .LBB187_288
; %bb.283:                              ;   in Loop: Header=BB187_162 Depth=1
	v_cmp_ngt_f32_e32 vcc, s42, v14
                                        ; implicit-def: $vgpr2
                                        ; implicit-def: $vgpr11
	s_and_saveexec_b64 s[2:3], vcc
	s_xor_b64 s[18:19], exec, s[2:3]
	s_cbranch_execz .LBB187_285
; %bb.284:                              ;   in Loop: Header=BB187_162 Depth=1
	v_pk_mul_f32 v[14:15], v[14:15], v[14:15]
	v_add_f32_e32 v17, 1.0, v14
	v_add_f32_e32 v15, -1.0, v17
	v_mov_b32_e32 v16, v15
	v_pk_add_f32 v[18:19], v[14:15], v[16:17] neg_lo:[0,1] neg_hi:[0,1]
	v_add_f32_e32 v2, 1.0, v19
	v_add_f32_e32 v2, v18, v2
	v_frexp_mant_f32_e32 v11, v17
	v_cvt_f64_f32_e32 v[18:19], v17
	v_frexp_exp_i32_f64_e32 v15, v[18:19]
	v_cmp_gt_f32_e32 vcc, s34, v11
	v_subbrev_co_u32_e32 v15, vcc, 0, v15, vcc
	v_sub_u32_e32 v11, 0, v15
	v_ldexp_f32 v16, v17, v11
	v_ldexp_f32 v2, v2, v11
	v_add_f32_e32 v11, -1.0, v16
	v_add_f32_e32 v17, 1.0, v11
	v_sub_f32_e32 v17, v16, v17
	v_add_f32_e32 v18, v2, v17
	v_add_f32_e32 v17, 1.0, v16
	v_add_f32_e32 v19, -1.0, v17
	v_sub_f32_e32 v16, v16, v19
	v_add_f32_e32 v2, v2, v16
	v_add_f32_e32 v44, v17, v2
	v_rcp_f32_e32 v45, v44
	v_sub_f32_e32 v16, v17, v44
	v_add_f32_e32 v17, v11, v18
	v_sub_f32_e32 v11, v11, v17
	v_mul_f32_e32 v46, v17, v45
	v_add_f32_e32 v11, v18, v11
	v_mul_f32_e32 v18, v44, v46
	v_add_f32_e32 v2, v2, v16
	v_fma_f32 v40, v46, v44, -v18
	v_fmac_f32_e32 v40, v46, v2
	v_add_f32_e32 v16, v18, v40
	v_sub_f32_e32 v19, v17, v16
	v_pk_add_f32 v[42:43], v[16:17], v[18:19] neg_lo:[0,1] neg_hi:[0,1]
	v_mov_b32_e32 v41, v16
	v_pk_add_f32 v[16:17], v[42:43], v[40:41] neg_lo:[0,1] neg_hi:[0,1]
	v_add_f32_e32 v11, v11, v17
	v_add_f32_e32 v11, v16, v11
	;; [unrolled: 1-line block ×3, first 2 shown]
	v_mul_f32_e32 v47, v45, v17
	v_mul_f32_e32 v18, v44, v47
	v_fma_f32 v40, v47, v44, -v18
	v_fmac_f32_e32 v40, v47, v2
	v_add_f32_e32 v16, v18, v40
	v_sub_f32_e32 v2, v19, v17
	v_sub_f32_e32 v19, v17, v16
	v_pk_add_f32 v[42:43], v[16:17], v[18:19] neg_lo:[0,1] neg_hi:[0,1]
	v_mov_b32_e32 v41, v16
	v_add_f32_e32 v2, v11, v2
	v_pk_add_f32 v[16:17], v[42:43], v[40:41] neg_lo:[0,1] neg_hi:[0,1]
	v_add_f32_e32 v2, v2, v17
	v_add_f32_e32 v2, v16, v2
	v_add_f32_e32 v17, v46, v47
	v_add_f32_e32 v2, v19, v2
	v_sub_f32_e32 v11, v17, v46
	v_mul_f32_e32 v2, v45, v2
	v_sub_f32_e32 v11, v47, v11
	v_add_f32_e32 v2, v11, v2
	v_add_f32_e32 v18, v17, v2
	v_cvt_f32_i32_e32 v16, v15
	v_mul_f32_e32 v40, v18, v18
	v_mov_b32_e32 v11, 0x3ecc95a3
	v_fmac_f32_e32 v11, 0x3e9b6dac, v40
	v_fma_f32 v11, v40, v11, v21
	v_sub_f32_e32 v15, v18, v17
	v_mul_f32_e32 v17, v18, v40
	v_pk_mul_f32 v[40:41], v[16:17], v[10:11]
	v_ldexp_f32 v19, v18, 1
	v_fma_f32 v18, v16, s35, -v40
	v_fmac_f32_e32 v18, 0xb102e308, v16
	v_pk_add_f32 v[16:17], v[40:41], v[18:19]
	v_sub_f32_e32 v2, v2, v15
	v_sub_f32_e32 v11, v17, v19
	v_ldexp_f32 v2, v2, 1
	v_sub_f32_e32 v11, v41, v11
	v_add_f32_e32 v43, v2, v11
	v_mov_b32_e32 v42, v40
	v_pk_add_f32 v[40:41], v[16:17], v[40:41] neg_lo:[0,1] neg_hi:[0,1]
	v_pk_add_f32 v[44:45], v[16:17], v[42:43]
	v_mov_b32_e32 v41, v45
	v_mov_b32_e32 v19, v16
	v_pk_add_f32 v[46:47], v[18:19], v[40:41] neg_lo:[0,1] neg_hi:[0,1]
	v_pk_add_f32 v[18:19], v[18:19], v[40:41]
	v_mov_b32_e32 v2, v19
	v_pk_add_f32 v[40:41], v[2:3], v[16:17] neg_lo:[0,1] neg_hi:[0,1]
	v_mov_b32_e32 v11, v40
	v_pk_add_f32 v[48:49], v[44:45], v[10:11] neg_lo:[0,1] neg_hi:[0,1]
	v_mov_b32_e32 v18, v45
	v_mov_b32_e32 v44, v17
	;; [unrolled: 1-line block ×4, first 2 shown]
	v_pk_add_f32 v[18:19], v[18:19], v[44:45] neg_lo:[0,1] neg_hi:[0,1]
	v_mov_b32_e32 v40, v43
	v_mov_b32_e32 v41, v16
	v_pk_add_f32 v[16:17], v[40:41], v[18:19] neg_lo:[0,1] neg_hi:[0,1]
	v_mov_b32_e32 v48, v46
	v_pk_add_f32 v[18:19], v[48:49], v[16:17]
	v_mov_b32_e32 v40, v19
	v_pk_add_f32 v[40:41], v[18:19], v[40:41]
	v_pk_add_f32 v[42:43], v[2:3], v[40:41]
	v_mov_b32_e32 v19, v42
	v_pk_add_f32 v[44:45], v[18:19], v[46:47] neg_lo:[0,1] neg_hi:[0,1]
	v_mov_b32_e32 v17, v40
	v_sub_f32_e32 v2, v18, v44
	v_pk_add_f32 v[16:17], v[16:17], v[44:45] neg_lo:[0,1] neg_hi:[0,1]
	v_sub_f32_e32 v2, v46, v2
	v_add_f32_e32 v2, v16, v2
	v_add_f32_e32 v2, v2, v17
	v_cmp_eq_f32_e32 vcc, s36, v14
	v_cmp_lt_f32_e64 s[2:3], |v14|, s37
	v_add_f32_e32 v2, v42, v2
	s_or_b64 vcc, vcc, s[2:3]
	v_cndmask_b32_e32 v2, v2, v14, vcc
	v_max_f32_e64 v11, |v5|, |v5|
	v_max_f32_e64 v14, |v4|, |v4|
	v_min_f32_e32 v15, v14, v11
	v_max_f32_e32 v11, v14, v11
	v_frexp_mant_f32_e32 v14, v11
	v_rcp_f32_e32 v14, v14
	v_frexp_exp_i32_f32_e32 v11, v11
	v_frexp_exp_i32_f32_e32 v16, v15
	v_frexp_mant_f32_e32 v15, v15
	v_mul_f32_e32 v14, v15, v14
	v_sub_u32_e32 v11, v16, v11
	v_ldexp_f32 v11, v14, v11
	v_mul_f32_e32 v14, v11, v11
	v_mov_b32_e32 v15, 0xbc7a590c
	v_fmac_f32_e32 v15, 0x3b2d2a58, v14
	v_fma_f32 v15, v14, v15, v22
	v_fma_f32 v15, v14, v15, v23
	;; [unrolled: 1-line block ×6, first 2 shown]
	v_mul_f32_e32 v14, v14, v15
	v_fmac_f32_e32 v11, v11, v14
	v_sub_f32_e32 v14, 0x3fc90fdb, v11
	v_cndmask_b32_e64 v11, v11, v14, s[0:1]
	v_sub_f32_e32 v14, 0x40490fdb, v11
	v_cmp_gt_f32_e32 vcc, 0, v4
	v_cmp_gt_i32_e64 s[2:3], 0, v4
	v_cndmask_b32_e32 v11, v11, v14, vcc
	v_cndmask_b32_e64 v14, 0, v30, s[2:3]
	v_cmp_eq_f32_e64 s[2:3], 0, v5
	v_cndmask_b32_e64 v11, v11, v14, s[2:3]
	v_cmp_class_f32_e64 s[2:3], v4, s38
	v_cmp_class_f32_e64 s[20:21], v5, s38
	v_cndmask_b32_e32 v14, v31, v32, vcc
	s_and_b64 vcc, s[2:3], s[20:21]
	v_mul_f32_e32 v2, 0.5, v2
	v_cndmask_b32_e32 v11, v11, v14, vcc
                                        ; implicit-def: $vgpr14
.LBB187_285:                            ;   in Loop: Header=BB187_162 Depth=1
	s_andn2_saveexec_b64 s[18:19], s[18:19]
	s_cbranch_execz .LBB187_287
; %bb.286:                              ;   in Loop: Header=BB187_162 Depth=1
	v_mul_f32_e32 v2, 0.5, v14
	v_mul_f32_e32 v2, v14, v2
	v_max_f32_e64 v11, |v5|, |v5|
	v_max_f32_e64 v14, |v4|, |v4|
	v_min_f32_e32 v15, v14, v11
	v_max_f32_e32 v11, v14, v11
	v_frexp_mant_f32_e32 v14, v11
	v_rcp_f32_e32 v14, v14
	v_frexp_exp_i32_f32_e32 v11, v11
	v_frexp_exp_i32_f32_e32 v16, v15
	v_frexp_mant_f32_e32 v15, v15
	v_mul_f32_e32 v14, v15, v14
	v_sub_u32_e32 v11, v16, v11
	v_ldexp_f32 v11, v14, v11
	v_mul_f32_e32 v14, v11, v11
	v_mov_b32_e32 v15, 0xbc7a590c
	v_fmac_f32_e32 v15, 0x3b2d2a58, v14
	v_fma_f32 v15, v14, v15, v22
	v_fma_f32 v15, v14, v15, v23
	;; [unrolled: 1-line block ×6, first 2 shown]
	v_mul_f32_e32 v14, v14, v15
	v_fmac_f32_e32 v11, v11, v14
	v_sub_f32_e32 v14, 0x3fc90fdb, v11
	v_cndmask_b32_e64 v11, v11, v14, s[0:1]
	v_sub_f32_e32 v14, 0x40490fdb, v11
	v_cmp_gt_f32_e32 vcc, 0, v4
	v_cmp_gt_i32_e64 s[2:3], 0, v4
	v_cndmask_b32_e32 v11, v11, v14, vcc
	v_cndmask_b32_e64 v14, 0, v30, s[2:3]
	v_cmp_eq_f32_e64 s[2:3], 0, v5
	v_cndmask_b32_e64 v11, v11, v14, s[2:3]
	v_cmp_class_f32_e64 s[2:3], v4, s38
	v_cmp_class_f32_e64 s[20:21], v5, s38
	v_cndmask_b32_e32 v14, v31, v32, vcc
	s_and_b64 vcc, s[2:3], s[20:21]
	v_cndmask_b32_e32 v11, v11, v14, vcc
.LBB187_287:                            ;   in Loop: Header=BB187_162 Depth=1
	s_or_b64 exec, exec, s[18:19]
.LBB187_288:                            ;   in Loop: Header=BB187_162 Depth=1
	s_or_b64 exec, exec, s[16:17]
.LBB187_289:                            ;   in Loop: Header=BB187_162 Depth=1
	s_andn2_saveexec_b64 s[12:13], s[12:13]
	s_cbranch_execz .LBB187_291
; %bb.290:                              ;   in Loop: Header=BB187_162 Depth=1
	v_div_scale_f32 v2, s[2:3], s43, s43, v4
	v_rcp_f32_e32 v11, v2
	v_div_scale_f32 v14, vcc, v4, s43, v4
	v_fma_f32 v15, -v2, v11, 1.0
	v_fmac_f32_e32 v11, v15, v11
	v_mul_f32_e32 v15, v14, v11
	v_fma_f32 v16, -v2, v15, v14
	v_fmac_f32_e32 v15, v16, v11
	v_fma_f32 v2, -v2, v15, v14
	v_div_scale_f32 v14, s[2:3], s43, s43, v5
	v_rcp_f32_e32 v16, v14
	v_div_fmas_f32 v2, v2, v11, v15
	v_div_fixup_f32 v2, v2, s43, v4
	v_fma_f32 v11, -v14, v16, 1.0
	v_fmac_f32_e32 v16, v11, v16
	v_div_scale_f32 v11, vcc, v5, s43, v5
	v_mul_f32_e32 v15, v11, v16
	v_fma_f32 v17, -v14, v15, v11
	v_fmac_f32_e32 v15, v17, v16
	v_fma_f32 v11, -v14, v15, v11
	v_div_fmas_f32 v11, v11, v16, v15
	v_div_fixup_f32 v11, v11, s43, v5
	v_max_f32_e64 v16, |v2|, |v11|
	v_cvt_f64_f32_e32 v[14:15], v16
	v_frexp_exp_i32_f64_e32 v14, v[14:15]
	v_sub_u32_e32 v15, 0, v14
	v_ldexp_f32 v11, |v11|, v15
	v_ldexp_f32 v2, |v2|, v15
	v_mul_f32_e32 v11, v11, v11
	v_fmac_f32_e32 v11, v2, v2
	v_sqrt_f32_e32 v2, v11
	v_cmp_neq_f32_e32 vcc, s36, v16
	v_ldexp_f32 v2, v2, v14
	v_cndmask_b32_e32 v2, v35, v2, vcc
	v_cmp_gt_f32_e32 vcc, s40, v2
	v_cndmask_b32_e32 v11, 1.0, v33, vcc
	v_mul_f32_e32 v2, v2, v11
	v_log_f32_e32 v2, v2
	v_mul_f32_e32 v11, 0x3f317217, v2
	v_fma_f32 v14, v2, s41, -v11
	v_fmac_f32_e32 v14, 0x3377d1cf, v2
	v_add_f32_e32 v11, v11, v14
	v_cmp_lt_f32_e64 s[2:3], |v2|, s36
	v_cndmask_b32_e64 v2, v2, v11, s[2:3]
	v_cndmask_b32_e32 v11, 0, v34, vcc
	v_sub_f32_e32 v2, v2, v11
	v_max_f32_e64 v11, |v5|, |v5|
	v_max_f32_e64 v14, |v4|, |v4|
	v_min_f32_e32 v15, v14, v11
	v_max_f32_e32 v11, v14, v11
	v_frexp_mant_f32_e32 v14, v11
	v_rcp_f32_e32 v14, v14
	v_frexp_exp_i32_f32_e32 v11, v11
	v_frexp_exp_i32_f32_e32 v16, v15
	v_frexp_mant_f32_e32 v15, v15
	v_mul_f32_e32 v14, v15, v14
	v_sub_u32_e32 v11, v16, v11
	v_ldexp_f32 v11, v14, v11
	v_mul_f32_e32 v14, v11, v11
	v_mov_b32_e32 v15, 0xbc7a590c
	v_fmac_f32_e32 v15, 0x3b2d2a58, v14
	v_fma_f32 v15, v14, v15, v22
	v_fma_f32 v15, v14, v15, v23
	;; [unrolled: 1-line block ×6, first 2 shown]
	v_mul_f32_e32 v14, v14, v15
	v_fmac_f32_e32 v11, v11, v14
	v_sub_f32_e32 v14, 0x3fc90fdb, v11
	v_cndmask_b32_e64 v11, v11, v14, s[0:1]
	v_sub_f32_e32 v14, 0x40490fdb, v11
	v_cmp_gt_f32_e32 vcc, 0, v4
	v_cmp_gt_i32_e64 s[0:1], 0, v4
	v_cndmask_b32_e32 v11, v11, v14, vcc
	v_cndmask_b32_e64 v14, 0, v30, s[0:1]
	v_cmp_eq_f32_e64 s[0:1], 0, v5
	v_cndmask_b32_e64 v11, v11, v14, s[0:1]
	v_cmp_class_f32_e64 s[0:1], v4, s38
	v_cmp_class_f32_e64 s[2:3], v5, s38
	v_cndmask_b32_e32 v14, v31, v32, vcc
	s_and_b64 vcc, s[0:1], s[2:3]
	v_add_f32_e32 v2, 1.0, v2
	v_cndmask_b32_e32 v11, v11, v14, vcc
.LBB187_291:                            ;   in Loop: Header=BB187_162 Depth=1
	s_or_b64 exec, exec, s[12:13]
.LBB187_292:                            ;   in Loop: Header=BB187_162 Depth=1
	s_andn2_saveexec_b64 s[0:1], s[10:11]
	s_cbranch_execz .LBB187_161
; %bb.293:                              ;   in Loop: Header=BB187_162 Depth=1
	v_cmp_nlt_f32_e64 s[2:3], |v4|, s44
	v_cmp_nlt_f32_e64 s[10:11], |v5|, s44
	s_or_b64 s[2:3], s[2:3], s[10:11]
                                        ; implicit-def: $vgpr2
	s_and_saveexec_b64 s[10:11], s[2:3]
	s_xor_b64 s[2:3], exec, s[10:11]
; %bb.294:                              ;   in Loop: Header=BB187_162 Depth=1
	v_pk_mul_f32 v[14:15], v[4:5], v[4:5]
	v_add_f32_e32 v2, v14, v15
; %bb.295:                              ;   in Loop: Header=BB187_162 Depth=1
	s_andn2_saveexec_b64 s[2:3], s[2:3]
	s_cbranch_execz .LBB187_160
; %bb.296:                              ;   in Loop: Header=BB187_162 Depth=1
	v_pk_mul_f32 v[14:15], v[4:5], 4.0 op_sel_hi:[1,0]
	v_pk_mul_f32 v[14:15], v[14:15], v[14:15]
	v_add_f32_e32 v2, v14, v15
	v_mul_f32_e32 v2, 0x3d800000, v2
	s_branch .LBB187_160
.LBB187_297:
	s_endpgm
	.section	.rodata,"a",@progbits
	.p2align	6, 0x0
	.amdhsa_kernel _ZN2at6native12_GLOBAL__N_125multi_tensor_apply_kernelINS1_18TensorListMetadataILi1EEENS1_14UnaryOpFunctorIN3c107complexIfEELi1ELi1ELi0EEEJNS0_5Log10IS8_EEEEEvT_T0_DpT1_
		.amdhsa_group_segment_fixed_size 0
		.amdhsa_private_segment_fixed_size 0
		.amdhsa_kernarg_size 3632
		.amdhsa_user_sgpr_count 6
		.amdhsa_user_sgpr_private_segment_buffer 1
		.amdhsa_user_sgpr_dispatch_ptr 0
		.amdhsa_user_sgpr_queue_ptr 0
		.amdhsa_user_sgpr_kernarg_segment_ptr 1
		.amdhsa_user_sgpr_dispatch_id 0
		.amdhsa_user_sgpr_flat_scratch_init 0
		.amdhsa_user_sgpr_kernarg_preload_length 0
		.amdhsa_user_sgpr_kernarg_preload_offset 0
		.amdhsa_user_sgpr_private_segment_size 0
		.amdhsa_uses_dynamic_stack 0
		.amdhsa_system_sgpr_private_segment_wavefront_offset 0
		.amdhsa_system_sgpr_workgroup_id_x 1
		.amdhsa_system_sgpr_workgroup_id_y 0
		.amdhsa_system_sgpr_workgroup_id_z 0
		.amdhsa_system_sgpr_workgroup_info 0
		.amdhsa_system_vgpr_workitem_id 0
		.amdhsa_next_free_vgpr 58
		.amdhsa_next_free_sgpr 64
		.amdhsa_accum_offset 60
		.amdhsa_reserve_vcc 1
		.amdhsa_reserve_flat_scratch 0
		.amdhsa_float_round_mode_32 0
		.amdhsa_float_round_mode_16_64 0
		.amdhsa_float_denorm_mode_32 3
		.amdhsa_float_denorm_mode_16_64 3
		.amdhsa_dx10_clamp 1
		.amdhsa_ieee_mode 1
		.amdhsa_fp16_overflow 0
		.amdhsa_tg_split 0
		.amdhsa_exception_fp_ieee_invalid_op 0
		.amdhsa_exception_fp_denorm_src 0
		.amdhsa_exception_fp_ieee_div_zero 0
		.amdhsa_exception_fp_ieee_overflow 0
		.amdhsa_exception_fp_ieee_underflow 0
		.amdhsa_exception_fp_ieee_inexact 0
		.amdhsa_exception_int_div_zero 0
	.end_amdhsa_kernel
	.section	.text._ZN2at6native12_GLOBAL__N_125multi_tensor_apply_kernelINS1_18TensorListMetadataILi1EEENS1_14UnaryOpFunctorIN3c107complexIfEELi1ELi1ELi0EEEJNS0_5Log10IS8_EEEEEvT_T0_DpT1_,"axG",@progbits,_ZN2at6native12_GLOBAL__N_125multi_tensor_apply_kernelINS1_18TensorListMetadataILi1EEENS1_14UnaryOpFunctorIN3c107complexIfEELi1ELi1ELi0EEEJNS0_5Log10IS8_EEEEEvT_T0_DpT1_,comdat
.Lfunc_end187:
	.size	_ZN2at6native12_GLOBAL__N_125multi_tensor_apply_kernelINS1_18TensorListMetadataILi1EEENS1_14UnaryOpFunctorIN3c107complexIfEELi1ELi1ELi0EEEJNS0_5Log10IS8_EEEEEvT_T0_DpT1_, .Lfunc_end187-_ZN2at6native12_GLOBAL__N_125multi_tensor_apply_kernelINS1_18TensorListMetadataILi1EEENS1_14UnaryOpFunctorIN3c107complexIfEELi1ELi1ELi0EEEJNS0_5Log10IS8_EEEEEvT_T0_DpT1_
                                        ; -- End function
	.section	.AMDGPU.csdata,"",@progbits
; Kernel info:
; codeLenInByte = 40560
; NumSgprs: 68
; NumVgprs: 58
; NumAgprs: 0
; TotalNumVgprs: 58
; ScratchSize: 0
; MemoryBound: 1
; FloatMode: 240
; IeeeMode: 1
; LDSByteSize: 0 bytes/workgroup (compile time only)
; SGPRBlocks: 8
; VGPRBlocks: 7
; NumSGPRsForWavesPerEU: 68
; NumVGPRsForWavesPerEU: 58
; AccumOffset: 60
; Occupancy: 8
; WaveLimiterHint : 0
; COMPUTE_PGM_RSRC2:SCRATCH_EN: 0
; COMPUTE_PGM_RSRC2:USER_SGPR: 6
; COMPUTE_PGM_RSRC2:TRAP_HANDLER: 0
; COMPUTE_PGM_RSRC2:TGID_X_EN: 1
; COMPUTE_PGM_RSRC2:TGID_Y_EN: 0
; COMPUTE_PGM_RSRC2:TGID_Z_EN: 0
; COMPUTE_PGM_RSRC2:TIDIG_COMP_CNT: 0
; COMPUTE_PGM_RSRC3_GFX90A:ACCUM_OFFSET: 14
; COMPUTE_PGM_RSRC3_GFX90A:TG_SPLIT: 0
	.section	.text._ZN2at6native12_GLOBAL__N_125multi_tensor_apply_kernelINS1_18TensorListMetadataILi1EEENS1_14UnaryOpFunctorIN3c104HalfELi1ELi1ELi0EEEJNS0_5Log10IfEEEEEvT_T0_DpT1_,"axG",@progbits,_ZN2at6native12_GLOBAL__N_125multi_tensor_apply_kernelINS1_18TensorListMetadataILi1EEENS1_14UnaryOpFunctorIN3c104HalfELi1ELi1ELi0EEEJNS0_5Log10IfEEEEEvT_T0_DpT1_,comdat
	.globl	_ZN2at6native12_GLOBAL__N_125multi_tensor_apply_kernelINS1_18TensorListMetadataILi1EEENS1_14UnaryOpFunctorIN3c104HalfELi1ELi1ELi0EEEJNS0_5Log10IfEEEEEvT_T0_DpT1_ ; -- Begin function _ZN2at6native12_GLOBAL__N_125multi_tensor_apply_kernelINS1_18TensorListMetadataILi1EEENS1_14UnaryOpFunctorIN3c104HalfELi1ELi1ELi0EEEJNS0_5Log10IfEEEEEvT_T0_DpT1_
	.p2align	8
	.type	_ZN2at6native12_GLOBAL__N_125multi_tensor_apply_kernelINS1_18TensorListMetadataILi1EEENS1_14UnaryOpFunctorIN3c104HalfELi1ELi1ELi0EEEJNS0_5Log10IfEEEEEvT_T0_DpT1_,@function
_ZN2at6native12_GLOBAL__N_125multi_tensor_apply_kernelINS1_18TensorListMetadataILi1EEENS1_14UnaryOpFunctorIN3c104HalfELi1ELi1ELi0EEEJNS0_5Log10IfEEEEEvT_T0_DpT1_: ; @_ZN2at6native12_GLOBAL__N_125multi_tensor_apply_kernelINS1_18TensorListMetadataILi1EEENS1_14UnaryOpFunctorIN3c104HalfELi1ELi1ELi0EEEJNS0_5Log10IfEEEEEvT_T0_DpT1_
; %bb.0:
	v_mov_b32_e32 v1, s6
	global_load_ubyte v1, v1, s[4:5] offset:1760
	s_add_u32 s0, s4, s6
	s_mul_hi_u32 s1, s6, 3
	s_mul_i32 s6, s6, 3
	s_addc_u32 s2, s5, 0
	s_add_u32 s0, s0, s6
	s_addc_u32 s1, s2, s1
	s_load_dword s0, s[0:1], 0x820
	s_mov_b32 s7, 0
	s_waitcnt vmcnt(0)
	v_readfirstlane_b32 s2, v1
	s_lshl_b32 s1, s2, 3
	s_load_dwordx2 s[2:3], s[4:5], s1 offset:0x370
	s_load_dwordx2 s[12:13], s[4:5], s1 offset:0x0
	s_waitcnt lgkmcnt(0)
	s_ashr_i32 s1, s0, 31
	s_lshl_b64 s[14:15], s[0:1], 17
	s_lshl_b64 s[0:1], s[0:1], 16
	s_and_b32 s6, s12, 7
	s_sub_u32 s10, s2, s0
	s_subb_u32 s11, s3, s1
	s_and_b32 s0, s2, 3
	s_mov_b32 s1, s7
	s_or_b64 s[0:1], s[6:7], s[0:1]
	s_cmp_eq_u64 s[0:1], 0
	s_cbranch_scc1 .LBB188_21
; %bb.1:
	v_cmp_lt_i64_e64 s[0:1], s[10:11], 1
	s_and_b64 vcc, exec, s[0:1]
	s_cbranch_vccnz .LBB188_20
; %bb.2:
	s_load_dword s0, s[4:5], 0xd3c
	v_mov_b32_e32 v2, 0x10000
	v_mov_b32_e32 v3, 0
	v_cmp_lt_u64_e32 vcc, s[10:11], v[2:3]
	v_lshlrev_b32_e32 v1, 1, v0
	s_waitcnt lgkmcnt(0)
	s_and_b32 s2, s0, 0xffff
	s_and_b64 s[0:1], vcc, exec
	s_cselect_b32 s17, s11, 0
	s_cselect_b32 s16, s10, 0x10000
	s_lshl_b32 s3, s2, 1
	s_lshl_b32 s23, s2, 2
	s_add_u32 s6, s12, s14
	s_addc_u32 s7, s13, s15
	v_mov_b32_e32 v5, s7
	v_add_co_u32_e32 v4, vcc, s6, v1
	s_mul_i32 s0, s2, 3
	v_addc_co_u32_e32 v5, vcc, 0, v5, vcc
	v_add_co_u32_e32 v1, vcc, s0, v0
	v_addc_co_u32_e64 v10, s[0:1], 0, 0, vcc
	v_add_co_u32_e32 v11, vcc, s3, v0
	v_addc_co_u32_e64 v12, s[0:1], 0, 0, vcc
	v_add_co_u32_e32 v13, vcc, s2, v0
	v_lshlrev_b32_e32 v6, 1, v13
	s_mov_b32 s22, 0
	v_addc_co_u32_e64 v14, s[0:1], 0, 0, vcc
	v_mov_b32_e32 v7, s7
	v_add_co_u32_e32 v6, vcc, s6, v6
	s_lshl_b32 s24, s2, 3
	s_mul_i32 s25, s2, 6
	s_mov_b32 s26, s22
	v_addc_co_u32_e32 v7, vcc, 0, v7, vcc
	s_mov_b64 s[18:19], 0
	s_mov_b32 s27, 0x3e9a209a
	s_mov_b32 s28, 0x7f800000
	v_pk_mov_b32 v[8:9], s[10:11], s[10:11] op_sel:[0,1]
	v_mov_b32_e32 v15, s22
	s_branch .LBB188_4
.LBB188_3:                              ;   in Loop: Header=BB188_4 Depth=1
	s_or_b64 exec, exec, s[0:1]
	s_add_u32 s18, s18, s23
	s_addc_u32 s19, s19, 0
	v_cmp_lt_i64_e32 vcc, s[18:19], v[8:9]
	v_cmp_lt_u64_e64 s[0:1], s[18:19], v[2:3]
	s_and_b64 s[0:1], vcc, s[0:1]
	v_add_co_u32_e32 v4, vcc, s24, v4
	v_addc_co_u32_e32 v5, vcc, v5, v15, vcc
	v_add_co_u32_e32 v6, vcc, s24, v6
	v_addc_co_u32_e32 v7, vcc, v7, v15, vcc
	s_and_b64 vcc, exec, s[0:1]
	s_cbranch_vccz .LBB188_20
.LBB188_4:                              ; =>This Inner Loop Header: Depth=1
	s_waitcnt vmcnt(0)
	v_mov_b32_e32 v17, s19
	v_add_co_u32_e32 v16, vcc, s18, v0
	v_addc_co_u32_e32 v17, vcc, 0, v17, vcc
	v_cmp_gt_u64_e64 s[6:7], s[16:17], v[16:17]
	v_mov_b32_e32 v18, 0
	s_and_saveexec_b64 s[0:1], s[6:7]
	s_cbranch_execz .LBB188_6
; %bb.5:                                ;   in Loop: Header=BB188_4 Depth=1
	global_load_ushort v18, v[4:5], off
.LBB188_6:                              ;   in Loop: Header=BB188_4 Depth=1
	s_or_b64 exec, exec, s[0:1]
	v_mov_b32_e32 v17, s19
	v_add_co_u32_e32 v16, vcc, s18, v13
	v_addc_co_u32_e32 v17, vcc, v14, v17, vcc
	v_cmp_gt_u64_e64 s[2:3], s[16:17], v[16:17]
	v_mov_b32_e32 v17, 0
	s_and_saveexec_b64 s[0:1], s[2:3]
	s_cbranch_execz .LBB188_8
; %bb.7:                                ;   in Loop: Header=BB188_4 Depth=1
	global_load_ushort v17, v[6:7], off
.LBB188_8:                              ;   in Loop: Header=BB188_4 Depth=1
	s_or_b64 exec, exec, s[0:1]
	v_mov_b32_e32 v16, s19
	v_add_co_u32_e32 v20, vcc, s18, v11
	v_addc_co_u32_e32 v21, vcc, v12, v16, vcc
	v_cmp_gt_u64_e64 s[0:1], s[16:17], v[20:21]
	v_mov_b32_e32 v16, 0
	v_mov_b32_e32 v19, 0
	s_and_saveexec_b64 s[8:9], s[0:1]
	s_cbranch_execz .LBB188_10
; %bb.9:                                ;   in Loop: Header=BB188_4 Depth=1
	v_mov_b32_e32 v19, s22
	v_add_co_u32_e32 v20, vcc, s23, v4
	v_addc_co_u32_e32 v21, vcc, v5, v19, vcc
	global_load_ushort v19, v[20:21], off
.LBB188_10:                             ;   in Loop: Header=BB188_4 Depth=1
	s_or_b64 exec, exec, s[8:9]
	v_mov_b32_e32 v21, s19
	v_add_co_u32_e32 v20, vcc, s18, v1
	v_addc_co_u32_e32 v21, vcc, v10, v21, vcc
	v_cmp_gt_u64_e32 vcc, s[16:17], v[20:21]
	s_and_saveexec_b64 s[20:21], vcc
	s_cbranch_execnz .LBB188_15
; %bb.11:                               ;   in Loop: Header=BB188_4 Depth=1
	s_or_b64 exec, exec, s[20:21]
	s_and_saveexec_b64 s[8:9], s[6:7]
	s_cbranch_execnz .LBB188_16
.LBB188_12:                             ;   in Loop: Header=BB188_4 Depth=1
	s_or_b64 exec, exec, s[8:9]
	s_and_saveexec_b64 s[6:7], s[2:3]
	s_cbranch_execnz .LBB188_17
.LBB188_13:                             ;   in Loop: Header=BB188_4 Depth=1
	s_or_b64 exec, exec, s[6:7]
	s_and_saveexec_b64 s[2:3], s[0:1]
	s_cbranch_execnz .LBB188_18
.LBB188_14:                             ;   in Loop: Header=BB188_4 Depth=1
	s_or_b64 exec, exec, s[2:3]
	s_and_saveexec_b64 s[0:1], vcc
	s_cbranch_execz .LBB188_3
	s_branch .LBB188_19
.LBB188_15:                             ;   in Loop: Header=BB188_4 Depth=1
	v_mov_b32_e32 v16, s26
	v_add_co_u32_e64 v20, s[8:9], s25, v4
	v_addc_co_u32_e64 v21, s[8:9], v5, v16, s[8:9]
	global_load_ushort v16, v[20:21], off
	s_or_b64 exec, exec, s[20:21]
	s_and_saveexec_b64 s[8:9], s[6:7]
	s_cbranch_execz .LBB188_12
.LBB188_16:                             ;   in Loop: Header=BB188_4 Depth=1
	s_waitcnt vmcnt(0)
	v_cvt_f32_f16_e32 v18, v18
	v_log_f32_e32 v18, v18
	v_mul_f32_e32 v20, 0x3e9a209a, v18
	v_fma_f32 v20, v18, s27, -v20
	v_fmac_f32_e32 v20, 0x3284fbcf, v18
	v_fmac_f32_e32 v20, 0x3e9a209a, v18
	v_cmp_lt_f32_e64 s[6:7], |v18|, s28
	v_cndmask_b32_e64 v18, v18, v20, s[6:7]
	v_cvt_f16_f32_e32 v18, v18
	global_store_short v[4:5], v18, off
	s_or_b64 exec, exec, s[8:9]
	s_and_saveexec_b64 s[6:7], s[2:3]
	s_cbranch_execz .LBB188_13
.LBB188_17:                             ;   in Loop: Header=BB188_4 Depth=1
	s_waitcnt vmcnt(0)
	v_cvt_f32_f16_e32 v17, v17
	v_log_f32_e32 v17, v17
	v_mul_f32_e32 v18, 0x3e9a209a, v17
	v_fma_f32 v18, v17, s27, -v18
	v_fmac_f32_e32 v18, 0x3284fbcf, v17
	v_fmac_f32_e32 v18, 0x3e9a209a, v17
	v_cmp_lt_f32_e64 s[2:3], |v17|, s28
	v_cndmask_b32_e64 v17, v17, v18, s[2:3]
	v_cvt_f16_f32_e32 v17, v17
	global_store_short v[6:7], v17, off
	s_or_b64 exec, exec, s[6:7]
	s_and_saveexec_b64 s[2:3], s[0:1]
	s_cbranch_execz .LBB188_14
.LBB188_18:                             ;   in Loop: Header=BB188_4 Depth=1
	s_waitcnt vmcnt(0)
	v_cvt_f32_f16_e32 v17, v19
	v_mov_b32_e32 v19, s22
	v_log_f32_e32 v17, v17
	v_mul_f32_e32 v18, 0x3e9a209a, v17
	v_fma_f32 v18, v17, s27, -v18
	v_fmac_f32_e32 v18, 0x3284fbcf, v17
	v_fmac_f32_e32 v18, 0x3e9a209a, v17
	v_cmp_lt_f32_e64 s[0:1], |v17|, s28
	v_cndmask_b32_e64 v17, v17, v18, s[0:1]
	v_cvt_f16_f32_e32 v17, v17
	v_add_co_u32_e64 v18, s[0:1], s23, v4
	v_addc_co_u32_e64 v19, s[0:1], v5, v19, s[0:1]
	global_store_short v[18:19], v17, off
	s_or_b64 exec, exec, s[2:3]
	s_and_saveexec_b64 s[0:1], vcc
	s_cbranch_execz .LBB188_3
.LBB188_19:                             ;   in Loop: Header=BB188_4 Depth=1
	s_waitcnt vmcnt(0)
	v_cvt_f32_f16_e32 v16, v16
	v_mov_b32_e32 v17, s26
	v_log_f32_e32 v16, v16
	v_mul_f32_e32 v18, 0x3e9a209a, v16
	v_fma_f32 v18, v16, s27, -v18
	v_fmac_f32_e32 v18, 0x3284fbcf, v16
	v_fmac_f32_e32 v18, 0x3e9a209a, v16
	v_cmp_lt_f32_e64 vcc, |v16|, s28
	v_cndmask_b32_e32 v16, v16, v18, vcc
	v_cvt_f16_f32_e32 v18, v16
	v_add_co_u32_e32 v16, vcc, s25, v4
	v_addc_co_u32_e32 v17, vcc, v5, v17, vcc
	global_store_short v[16:17], v18, off
	s_branch .LBB188_3
.LBB188_20:
	s_cbranch_execz .LBB188_22
	s_branch .LBB188_25
.LBB188_21:
.LBB188_22:
	v_mov_b32_e32 v3, 0
	v_lshlrev_b32_e32 v2, 2, v0
	s_mov_b32 s0, 0
	v_cmp_gt_i64_e32 vcc, s[10:11], v[2:3]
	s_and_saveexec_b64 s[2:3], vcc
	s_cbranch_execz .LBB188_25
; %bb.23:
	s_load_dword s1, s[4:5], 0xd3c
	v_lshlrev_b32_e32 v1, 3, v0
	s_mov_b64 s[4:5], 0
	s_mov_b64 s[6:7], 0xffff
	v_mov_b32_e32 v5, s0
	s_waitcnt lgkmcnt(0)
	s_and_b32 s1, s1, 0xffff
	s_lshl_b32 s8, s1, 2
	s_add_u32 s2, s12, s14
	s_addc_u32 s3, s13, s15
	v_add_lshl_u32 v2, v0, s1, 2
	v_mov_b32_e32 v0, s3
	v_add_co_u32_e32 v1, vcc, s2, v1
	v_addc_co_u32_e32 v4, vcc, 0, v0, vcc
	v_add_co_u32_e32 v0, vcc, 4, v1
	v_addc_co_u32_e32 v1, vcc, 0, v4, vcc
	s_lshl_b32 s9, s1, 3
	s_mov_b32 s12, 0x3e9a209a
	s_mov_b32 s13, 0x7f800000
	v_mov_b32_e32 v4, s0
.LBB188_24:                             ; =>This Inner Loop Header: Depth=1
	global_load_dwordx2 v[6:7], v[0:1], off offset:-4
	v_cmp_le_i64_e32 vcc, s[10:11], v[2:3]
	v_cmp_lt_u64_e64 s[0:1], s[6:7], v[2:3]
	s_or_b64 s[0:1], vcc, s[0:1]
	v_add_co_u32_e64 v2, s[2:3], s8, v2
	s_and_b64 s[0:1], exec, s[0:1]
	v_addc_co_u32_e64 v3, s[2:3], v3, v4, s[2:3]
	s_or_b64 s[4:5], s[0:1], s[4:5]
	s_waitcnt vmcnt(0)
	v_cvt_f32_f16_e32 v8, v6
	v_cvt_f32_f16_sdwa v6, v6 dst_sel:DWORD dst_unused:UNUSED_PAD src0_sel:WORD_1
	v_cvt_f32_f16_e32 v9, v7
	v_cvt_f32_f16_sdwa v7, v7 dst_sel:DWORD dst_unused:UNUSED_PAD src0_sel:WORD_1
	v_log_f32_e32 v8, v8
	v_log_f32_e32 v6, v6
	;; [unrolled: 1-line block ×4, first 2 shown]
	v_mul_f32_e32 v10, 0x3e9a209a, v8
	v_mul_f32_e32 v11, 0x3e9a209a, v6
	v_fma_f32 v10, v8, s12, -v10
	v_mul_f32_e32 v12, 0x3e9a209a, v9
	v_fma_f32 v11, v6, s12, -v11
	v_fmac_f32_e32 v10, 0x3284fbcf, v8
	v_mul_f32_e32 v13, 0x3e9a209a, v7
	v_fma_f32 v12, v9, s12, -v12
	v_fmac_f32_e32 v11, 0x3284fbcf, v6
	v_fmac_f32_e32 v10, 0x3e9a209a, v8
	v_cmp_lt_f32_e64 vcc, |v8|, s13
	v_fma_f32 v13, v7, s12, -v13
	v_fmac_f32_e32 v12, 0x3284fbcf, v9
	v_fmac_f32_e32 v11, 0x3e9a209a, v6
	v_cndmask_b32_e32 v8, v8, v10, vcc
	v_cmp_lt_f32_e64 vcc, |v6|, s13
	v_fmac_f32_e32 v13, 0x3284fbcf, v7
	v_fmac_f32_e32 v12, 0x3e9a209a, v9
	v_cndmask_b32_e32 v6, v6, v11, vcc
	v_cmp_lt_f32_e64 vcc, |v9|, s13
	v_fmac_f32_e32 v13, 0x3e9a209a, v7
	v_cndmask_b32_e32 v9, v9, v12, vcc
	v_cmp_lt_f32_e64 vcc, |v7|, s13
	v_cndmask_b32_e32 v7, v7, v13, vcc
	v_cvt_f16_f32_e32 v8, v8
	v_cvt_f16_f32_e32 v9, v9
	;; [unrolled: 1-line block ×4, first 2 shown]
	v_pack_b32_f16 v7, v9, v7
	v_pack_b32_f16 v6, v8, v6
	global_store_dwordx2 v[0:1], v[6:7], off offset:-4
	v_add_co_u32_e32 v0, vcc, s9, v0
	v_addc_co_u32_e32 v1, vcc, v1, v5, vcc
	s_andn2_b64 exec, exec, s[4:5]
	s_cbranch_execnz .LBB188_24
.LBB188_25:
	s_endpgm
	.section	.rodata,"a",@progbits
	.p2align	6, 0x0
	.amdhsa_kernel _ZN2at6native12_GLOBAL__N_125multi_tensor_apply_kernelINS1_18TensorListMetadataILi1EEENS1_14UnaryOpFunctorIN3c104HalfELi1ELi1ELi0EEEJNS0_5Log10IfEEEEEvT_T0_DpT1_
		.amdhsa_group_segment_fixed_size 0
		.amdhsa_private_segment_fixed_size 0
		.amdhsa_kernarg_size 3632
		.amdhsa_user_sgpr_count 6
		.amdhsa_user_sgpr_private_segment_buffer 1
		.amdhsa_user_sgpr_dispatch_ptr 0
		.amdhsa_user_sgpr_queue_ptr 0
		.amdhsa_user_sgpr_kernarg_segment_ptr 1
		.amdhsa_user_sgpr_dispatch_id 0
		.amdhsa_user_sgpr_flat_scratch_init 0
		.amdhsa_user_sgpr_kernarg_preload_length 0
		.amdhsa_user_sgpr_kernarg_preload_offset 0
		.amdhsa_user_sgpr_private_segment_size 0
		.amdhsa_uses_dynamic_stack 0
		.amdhsa_system_sgpr_private_segment_wavefront_offset 0
		.amdhsa_system_sgpr_workgroup_id_x 1
		.amdhsa_system_sgpr_workgroup_id_y 0
		.amdhsa_system_sgpr_workgroup_id_z 0
		.amdhsa_system_sgpr_workgroup_info 0
		.amdhsa_system_vgpr_workitem_id 0
		.amdhsa_next_free_vgpr 22
		.amdhsa_next_free_sgpr 29
		.amdhsa_accum_offset 24
		.amdhsa_reserve_vcc 1
		.amdhsa_reserve_flat_scratch 0
		.amdhsa_float_round_mode_32 0
		.amdhsa_float_round_mode_16_64 0
		.amdhsa_float_denorm_mode_32 3
		.amdhsa_float_denorm_mode_16_64 3
		.amdhsa_dx10_clamp 1
		.amdhsa_ieee_mode 1
		.amdhsa_fp16_overflow 0
		.amdhsa_tg_split 0
		.amdhsa_exception_fp_ieee_invalid_op 0
		.amdhsa_exception_fp_denorm_src 0
		.amdhsa_exception_fp_ieee_div_zero 0
		.amdhsa_exception_fp_ieee_overflow 0
		.amdhsa_exception_fp_ieee_underflow 0
		.amdhsa_exception_fp_ieee_inexact 0
		.amdhsa_exception_int_div_zero 0
	.end_amdhsa_kernel
	.section	.text._ZN2at6native12_GLOBAL__N_125multi_tensor_apply_kernelINS1_18TensorListMetadataILi1EEENS1_14UnaryOpFunctorIN3c104HalfELi1ELi1ELi0EEEJNS0_5Log10IfEEEEEvT_T0_DpT1_,"axG",@progbits,_ZN2at6native12_GLOBAL__N_125multi_tensor_apply_kernelINS1_18TensorListMetadataILi1EEENS1_14UnaryOpFunctorIN3c104HalfELi1ELi1ELi0EEEJNS0_5Log10IfEEEEEvT_T0_DpT1_,comdat
.Lfunc_end188:
	.size	_ZN2at6native12_GLOBAL__N_125multi_tensor_apply_kernelINS1_18TensorListMetadataILi1EEENS1_14UnaryOpFunctorIN3c104HalfELi1ELi1ELi0EEEJNS0_5Log10IfEEEEEvT_T0_DpT1_, .Lfunc_end188-_ZN2at6native12_GLOBAL__N_125multi_tensor_apply_kernelINS1_18TensorListMetadataILi1EEENS1_14UnaryOpFunctorIN3c104HalfELi1ELi1ELi0EEEJNS0_5Log10IfEEEEEvT_T0_DpT1_
                                        ; -- End function
	.section	.AMDGPU.csdata,"",@progbits
; Kernel info:
; codeLenInByte = 1472
; NumSgprs: 33
; NumVgprs: 22
; NumAgprs: 0
; TotalNumVgprs: 22
; ScratchSize: 0
; MemoryBound: 0
; FloatMode: 240
; IeeeMode: 1
; LDSByteSize: 0 bytes/workgroup (compile time only)
; SGPRBlocks: 4
; VGPRBlocks: 2
; NumSGPRsForWavesPerEU: 33
; NumVGPRsForWavesPerEU: 22
; AccumOffset: 24
; Occupancy: 8
; WaveLimiterHint : 0
; COMPUTE_PGM_RSRC2:SCRATCH_EN: 0
; COMPUTE_PGM_RSRC2:USER_SGPR: 6
; COMPUTE_PGM_RSRC2:TRAP_HANDLER: 0
; COMPUTE_PGM_RSRC2:TGID_X_EN: 1
; COMPUTE_PGM_RSRC2:TGID_Y_EN: 0
; COMPUTE_PGM_RSRC2:TGID_Z_EN: 0
; COMPUTE_PGM_RSRC2:TIDIG_COMP_CNT: 0
; COMPUTE_PGM_RSRC3_GFX90A:ACCUM_OFFSET: 5
; COMPUTE_PGM_RSRC3_GFX90A:TG_SPLIT: 0
	.section	.text._ZN2at6native12_GLOBAL__N_125multi_tensor_apply_kernelINS1_18TensorListMetadataILi1EEENS1_14UnaryOpFunctorIN3c108BFloat16ELi1ELi1ELi0EEEJNS0_5Log10IfEEEEEvT_T0_DpT1_,"axG",@progbits,_ZN2at6native12_GLOBAL__N_125multi_tensor_apply_kernelINS1_18TensorListMetadataILi1EEENS1_14UnaryOpFunctorIN3c108BFloat16ELi1ELi1ELi0EEEJNS0_5Log10IfEEEEEvT_T0_DpT1_,comdat
	.globl	_ZN2at6native12_GLOBAL__N_125multi_tensor_apply_kernelINS1_18TensorListMetadataILi1EEENS1_14UnaryOpFunctorIN3c108BFloat16ELi1ELi1ELi0EEEJNS0_5Log10IfEEEEEvT_T0_DpT1_ ; -- Begin function _ZN2at6native12_GLOBAL__N_125multi_tensor_apply_kernelINS1_18TensorListMetadataILi1EEENS1_14UnaryOpFunctorIN3c108BFloat16ELi1ELi1ELi0EEEJNS0_5Log10IfEEEEEvT_T0_DpT1_
	.p2align	8
	.type	_ZN2at6native12_GLOBAL__N_125multi_tensor_apply_kernelINS1_18TensorListMetadataILi1EEENS1_14UnaryOpFunctorIN3c108BFloat16ELi1ELi1ELi0EEEJNS0_5Log10IfEEEEEvT_T0_DpT1_,@function
_ZN2at6native12_GLOBAL__N_125multi_tensor_apply_kernelINS1_18TensorListMetadataILi1EEENS1_14UnaryOpFunctorIN3c108BFloat16ELi1ELi1ELi0EEEJNS0_5Log10IfEEEEEvT_T0_DpT1_: ; @_ZN2at6native12_GLOBAL__N_125multi_tensor_apply_kernelINS1_18TensorListMetadataILi1EEENS1_14UnaryOpFunctorIN3c108BFloat16ELi1ELi1ELi0EEEJNS0_5Log10IfEEEEEvT_T0_DpT1_
; %bb.0:
	v_mov_b32_e32 v1, s6
	global_load_ubyte v1, v1, s[4:5] offset:1760
	s_add_u32 s0, s4, s6
	s_mul_hi_u32 s1, s6, 3
	s_mul_i32 s6, s6, 3
	s_addc_u32 s2, s5, 0
	s_add_u32 s0, s0, s6
	s_addc_u32 s1, s2, s1
	s_load_dword s0, s[0:1], 0x820
	s_mov_b32 s7, 0
	s_waitcnt vmcnt(0)
	v_readfirstlane_b32 s2, v1
	s_lshl_b32 s1, s2, 3
	s_load_dwordx2 s[2:3], s[4:5], s1 offset:0x370
	s_load_dwordx2 s[12:13], s[4:5], s1 offset:0x0
	s_waitcnt lgkmcnt(0)
	s_ashr_i32 s1, s0, 31
	s_lshl_b64 s[14:15], s[0:1], 17
	s_lshl_b64 s[0:1], s[0:1], 16
	s_and_b32 s6, s12, 7
	s_sub_u32 s10, s2, s0
	s_subb_u32 s11, s3, s1
	s_and_b32 s0, s2, 3
	s_mov_b32 s1, s7
	s_or_b64 s[0:1], s[6:7], s[0:1]
	s_cmp_eq_u64 s[0:1], 0
	s_cbranch_scc1 .LBB189_21
; %bb.1:
	v_cmp_lt_i64_e64 s[0:1], s[10:11], 1
	s_and_b64 vcc, exec, s[0:1]
	s_cbranch_vccnz .LBB189_20
; %bb.2:
	s_load_dword s0, s[4:5], 0xd3c
	v_mov_b32_e32 v2, 0x10000
	v_mov_b32_e32 v3, 0
	v_cmp_lt_u64_e32 vcc, s[10:11], v[2:3]
	v_lshlrev_b32_e32 v1, 1, v0
	s_waitcnt lgkmcnt(0)
	s_and_b32 s2, s0, 0xffff
	s_and_b64 s[0:1], vcc, exec
	s_cselect_b32 s17, s11, 0
	s_cselect_b32 s16, s10, 0x10000
	s_lshl_b32 s3, s2, 1
	s_lshl_b32 s23, s2, 2
	s_add_u32 s6, s12, s14
	s_addc_u32 s7, s13, s15
	v_mov_b32_e32 v5, s7
	v_add_co_u32_e32 v4, vcc, s6, v1
	s_mul_i32 s0, s2, 3
	v_addc_co_u32_e32 v5, vcc, 0, v5, vcc
	v_add_co_u32_e32 v1, vcc, s0, v0
	v_addc_co_u32_e64 v10, s[0:1], 0, 0, vcc
	v_add_co_u32_e32 v11, vcc, s3, v0
	v_addc_co_u32_e64 v12, s[0:1], 0, 0, vcc
	v_add_co_u32_e32 v13, vcc, s2, v0
	v_lshlrev_b32_e32 v6, 1, v13
	s_mov_b32 s22, 0
	v_addc_co_u32_e64 v14, s[0:1], 0, 0, vcc
	v_mov_b32_e32 v7, s7
	v_add_co_u32_e32 v6, vcc, s6, v6
	s_lshl_b32 s24, s2, 3
	s_mul_i32 s25, s2, 6
	s_mov_b32 s26, s22
	v_addc_co_u32_e32 v7, vcc, 0, v7, vcc
	s_mov_b64 s[18:19], 0
	s_mov_b32 s27, 0x800000
	s_mov_b32 s28, 0x3e9a209a
	;; [unrolled: 1-line block ×3, first 2 shown]
	s_movk_i32 s30, 0x7fff
	v_pk_mov_b32 v[8:9], s[10:11], s[10:11] op_sel:[0,1]
	v_mov_b32_e32 v15, s22
	v_mov_b32_e32 v16, 0x4f800000
	;; [unrolled: 1-line block ×4, first 2 shown]
	s_branch .LBB189_4
.LBB189_3:                              ;   in Loop: Header=BB189_4 Depth=1
	s_or_b64 exec, exec, s[0:1]
	s_add_u32 s18, s18, s23
	s_addc_u32 s19, s19, 0
	v_cmp_lt_i64_e32 vcc, s[18:19], v[8:9]
	v_cmp_lt_u64_e64 s[0:1], s[18:19], v[2:3]
	s_and_b64 s[0:1], vcc, s[0:1]
	v_add_co_u32_e32 v4, vcc, s24, v4
	v_addc_co_u32_e32 v5, vcc, v5, v15, vcc
	v_add_co_u32_e32 v6, vcc, s24, v6
	v_addc_co_u32_e32 v7, vcc, v7, v15, vcc
	s_and_b64 vcc, exec, s[0:1]
	s_cbranch_vccz .LBB189_20
.LBB189_4:                              ; =>This Inner Loop Header: Depth=1
	s_waitcnt vmcnt(0)
	v_mov_b32_e32 v19, s19
	v_add_co_u32_e32 v20, vcc, s18, v0
	v_addc_co_u32_e32 v21, vcc, 0, v19, vcc
	v_cmp_gt_u64_e64 s[6:7], s[16:17], v[20:21]
	v_mov_b32_e32 v22, 0
	s_and_saveexec_b64 s[0:1], s[6:7]
	s_cbranch_execz .LBB189_6
; %bb.5:                                ;   in Loop: Header=BB189_4 Depth=1
	global_load_ushort v22, v[4:5], off
.LBB189_6:                              ;   in Loop: Header=BB189_4 Depth=1
	s_or_b64 exec, exec, s[0:1]
	v_mov_b32_e32 v19, s19
	v_add_co_u32_e32 v20, vcc, s18, v13
	v_addc_co_u32_e32 v21, vcc, v14, v19, vcc
	v_cmp_gt_u64_e64 s[2:3], s[16:17], v[20:21]
	v_mov_b32_e32 v21, 0
	s_and_saveexec_b64 s[0:1], s[2:3]
	s_cbranch_execz .LBB189_8
; %bb.7:                                ;   in Loop: Header=BB189_4 Depth=1
	global_load_ushort v21, v[6:7], off
.LBB189_8:                              ;   in Loop: Header=BB189_4 Depth=1
	s_or_b64 exec, exec, s[0:1]
	v_mov_b32_e32 v19, s19
	v_add_co_u32_e32 v24, vcc, s18, v11
	v_addc_co_u32_e32 v25, vcc, v12, v19, vcc
	v_cmp_gt_u64_e64 s[0:1], s[16:17], v[24:25]
	v_mov_b32_e32 v19, 0
	v_mov_b32_e32 v20, 0
	s_and_saveexec_b64 s[8:9], s[0:1]
	s_cbranch_execz .LBB189_10
; %bb.9:                                ;   in Loop: Header=BB189_4 Depth=1
	v_mov_b32_e32 v20, s22
	v_add_co_u32_e32 v24, vcc, s23, v4
	v_addc_co_u32_e32 v25, vcc, v5, v20, vcc
	global_load_ushort v20, v[24:25], off
.LBB189_10:                             ;   in Loop: Header=BB189_4 Depth=1
	s_or_b64 exec, exec, s[8:9]
	v_mov_b32_e32 v23, s19
	v_add_co_u32_e32 v24, vcc, s18, v1
	v_addc_co_u32_e32 v25, vcc, v10, v23, vcc
	v_cmp_gt_u64_e32 vcc, s[16:17], v[24:25]
	s_and_saveexec_b64 s[20:21], vcc
	s_cbranch_execnz .LBB189_15
; %bb.11:                               ;   in Loop: Header=BB189_4 Depth=1
	s_or_b64 exec, exec, s[20:21]
	s_and_saveexec_b64 s[8:9], s[6:7]
	s_cbranch_execnz .LBB189_16
.LBB189_12:                             ;   in Loop: Header=BB189_4 Depth=1
	s_or_b64 exec, exec, s[8:9]
	s_and_saveexec_b64 s[6:7], s[2:3]
	s_cbranch_execnz .LBB189_17
.LBB189_13:                             ;   in Loop: Header=BB189_4 Depth=1
	s_or_b64 exec, exec, s[6:7]
	s_and_saveexec_b64 s[2:3], s[0:1]
	s_cbranch_execnz .LBB189_18
.LBB189_14:                             ;   in Loop: Header=BB189_4 Depth=1
	s_or_b64 exec, exec, s[2:3]
	s_and_saveexec_b64 s[0:1], vcc
	s_cbranch_execz .LBB189_3
	s_branch .LBB189_19
.LBB189_15:                             ;   in Loop: Header=BB189_4 Depth=1
	v_mov_b32_e32 v19, s26
	v_add_co_u32_e64 v24, s[8:9], s25, v4
	v_addc_co_u32_e64 v25, s[8:9], v5, v19, s[8:9]
	global_load_ushort v19, v[24:25], off
	s_or_b64 exec, exec, s[20:21]
	s_and_saveexec_b64 s[8:9], s[6:7]
	s_cbranch_execz .LBB189_12
.LBB189_16:                             ;   in Loop: Header=BB189_4 Depth=1
	s_waitcnt vmcnt(0)
	v_lshlrev_b32_e32 v22, 16, v22
	v_cmp_gt_f32_e64 s[6:7], s27, v22
	v_cndmask_b32_e64 v23, 1.0, v16, s[6:7]
	v_mul_f32_e32 v22, v22, v23
	v_log_f32_e32 v22, v22
	v_cndmask_b32_e64 v23, 0, v17, s[6:7]
	v_mul_f32_e32 v24, 0x3e9a209a, v22
	v_fma_f32 v24, v22, s28, -v24
	v_fmac_f32_e32 v24, 0x3284fbcf, v22
	v_fmac_f32_e32 v24, 0x3e9a209a, v22
	v_cmp_lt_f32_e64 s[6:7], |v22|, s29
	v_cndmask_b32_e64 v22, v22, v24, s[6:7]
	v_sub_f32_e32 v22, v22, v23
	v_bfe_u32 v23, v22, 16, 1
	v_add3_u32 v23, v22, v23, s30
	v_lshrrev_b32_e32 v23, 16, v23
	v_cmp_o_f32_e64 s[6:7], v22, v22
	v_cndmask_b32_e64 v22, v18, v23, s[6:7]
	global_store_short v[4:5], v22, off
	s_or_b64 exec, exec, s[8:9]
	s_and_saveexec_b64 s[6:7], s[2:3]
	s_cbranch_execz .LBB189_13
.LBB189_17:                             ;   in Loop: Header=BB189_4 Depth=1
	s_waitcnt vmcnt(0)
	v_lshlrev_b32_e32 v21, 16, v21
	v_cmp_gt_f32_e64 s[2:3], s27, v21
	v_cndmask_b32_e64 v22, 1.0, v16, s[2:3]
	v_mul_f32_e32 v21, v21, v22
	v_log_f32_e32 v21, v21
	v_cndmask_b32_e64 v22, 0, v17, s[2:3]
	v_mul_f32_e32 v23, 0x3e9a209a, v21
	v_fma_f32 v23, v21, s28, -v23
	v_fmac_f32_e32 v23, 0x3284fbcf, v21
	v_fmac_f32_e32 v23, 0x3e9a209a, v21
	v_cmp_lt_f32_e64 s[2:3], |v21|, s29
	v_cndmask_b32_e64 v21, v21, v23, s[2:3]
	v_sub_f32_e32 v21, v21, v22
	v_bfe_u32 v22, v21, 16, 1
	v_add3_u32 v22, v21, v22, s30
	v_lshrrev_b32_e32 v22, 16, v22
	v_cmp_o_f32_e64 s[2:3], v21, v21
	v_cndmask_b32_e64 v21, v18, v22, s[2:3]
	global_store_short v[6:7], v21, off
	s_or_b64 exec, exec, s[6:7]
	s_and_saveexec_b64 s[2:3], s[0:1]
	s_cbranch_execz .LBB189_14
.LBB189_18:                             ;   in Loop: Header=BB189_4 Depth=1
	s_waitcnt vmcnt(0)
	v_lshlrev_b32_e32 v20, 16, v20
	v_cmp_gt_f32_e64 s[0:1], s27, v20
	v_cndmask_b32_e64 v21, 1.0, v16, s[0:1]
	v_mul_f32_e32 v20, v20, v21
	v_log_f32_e32 v20, v20
	v_cndmask_b32_e64 v21, 0, v17, s[0:1]
	v_mul_f32_e32 v22, 0x3e9a209a, v20
	v_fma_f32 v22, v20, s28, -v22
	v_fmac_f32_e32 v22, 0x3284fbcf, v20
	v_fmac_f32_e32 v22, 0x3e9a209a, v20
	v_cmp_lt_f32_e64 s[0:1], |v20|, s29
	v_cndmask_b32_e64 v20, v20, v22, s[0:1]
	v_sub_f32_e32 v20, v20, v21
	v_bfe_u32 v21, v20, 16, 1
	v_add3_u32 v21, v20, v21, s30
	v_lshrrev_b32_e32 v21, 16, v21
	v_cmp_o_f32_e64 s[0:1], v20, v20
	v_cndmask_b32_e64 v22, v18, v21, s[0:1]
	v_mov_b32_e32 v21, s22
	v_add_co_u32_e64 v20, s[0:1], s23, v4
	v_addc_co_u32_e64 v21, s[0:1], v5, v21, s[0:1]
	global_store_short v[20:21], v22, off
	s_or_b64 exec, exec, s[2:3]
	s_and_saveexec_b64 s[0:1], vcc
	s_cbranch_execz .LBB189_3
.LBB189_19:                             ;   in Loop: Header=BB189_4 Depth=1
	s_waitcnt vmcnt(0)
	v_lshlrev_b32_e32 v19, 16, v19
	v_cmp_gt_f32_e32 vcc, s27, v19
	v_cndmask_b32_e32 v20, 1.0, v16, vcc
	v_mul_f32_e32 v19, v19, v20
	v_log_f32_e32 v19, v19
	v_cndmask_b32_e32 v20, 0, v17, vcc
	v_mul_f32_e32 v21, 0x3e9a209a, v19
	v_fma_f32 v21, v19, s28, -v21
	v_fmac_f32_e32 v21, 0x3284fbcf, v19
	v_fmac_f32_e32 v21, 0x3e9a209a, v19
	v_cmp_lt_f32_e64 vcc, |v19|, s29
	v_cndmask_b32_e32 v19, v19, v21, vcc
	v_sub_f32_e32 v19, v19, v20
	v_bfe_u32 v20, v19, 16, 1
	v_add3_u32 v20, v19, v20, s30
	v_lshrrev_b32_e32 v20, 16, v20
	v_cmp_o_f32_e32 vcc, v19, v19
	v_cndmask_b32_e32 v19, v18, v20, vcc
	v_mov_b32_e32 v21, s26
	v_add_co_u32_e32 v20, vcc, s25, v4
	v_addc_co_u32_e32 v21, vcc, v5, v21, vcc
	global_store_short v[20:21], v19, off
	s_branch .LBB189_3
.LBB189_20:
	s_cbranch_execz .LBB189_22
	s_branch .LBB189_25
.LBB189_21:
.LBB189_22:
	v_mov_b32_e32 v3, 0
	v_lshlrev_b32_e32 v2, 2, v0
	s_mov_b32 s0, 0
	v_cmp_gt_i64_e32 vcc, s[10:11], v[2:3]
	s_and_saveexec_b64 s[2:3], vcc
	s_cbranch_execz .LBB189_25
; %bb.23:
	s_load_dword s1, s[4:5], 0xd3c
	v_lshlrev_b32_e32 v1, 3, v0
	s_mov_b64 s[4:5], 0
	v_mov_b32_e32 v6, 0x7fc00000
	v_mov_b32_e32 v7, 0x7fc0
	s_waitcnt lgkmcnt(0)
	s_and_b32 s1, s1, 0xffff
	s_add_u32 s2, s12, s14
	s_addc_u32 s3, s13, s15
	v_mov_b32_e32 v2, s3
	v_add_co_u32_e32 v4, vcc, s2, v1
	v_addc_co_u32_e32 v5, vcc, 0, v2, vcc
	s_lshl_b32 s8, s1, 3
	v_add_lshl_u32 v2, v0, s1, 2
	s_lshl_b32 s9, s1, 2
	s_mov_b32 s12, 0x800000
	v_mov_b32_e32 v0, 0x4f800000
	s_mov_b32 s13, 0x3e9a209a
	s_mov_b32 s14, 0x7f800000
	v_mov_b32_e32 v1, 0x411a209b
	s_movk_i32 s15, 0x7fff
	s_mov_b64 s[6:7], 0xffff
	v_mov_b32_e32 v8, s0
	v_mov_b32_e32 v9, s0
.LBB189_24:                             ; =>This Inner Loop Header: Depth=1
	global_load_dwordx2 v[10:11], v[4:5], off
	v_cmp_le_i64_e32 vcc, s[10:11], v[2:3]
	v_cmp_lt_u64_e64 s[0:1], s[6:7], v[2:3]
	s_or_b64 s[0:1], vcc, s[0:1]
	s_and_b64 s[0:1], exec, s[0:1]
	s_or_b64 s[4:5], s[0:1], s[4:5]
	s_waitcnt vmcnt(0)
	v_lshlrev_b32_e32 v13, 16, v10
	v_and_b32_e32 v12, 0xffff0000, v10
	v_cmp_gt_f32_e32 vcc, s12, v13
	v_alignbit_b32 v10, v11, v10, 16
	v_and_b32_e32 v11, 0xffff0000, v11
	v_cndmask_b32_e32 v14, 1.0, v0, vcc
	v_cmp_gt_f32_e64 s[0:1], s12, v12
	v_cndmask_b32_e64 v15, 1.0, v0, s[0:1]
	v_cmp_gt_f32_e64 s[2:3], s12, v11
	v_mul_f32_e32 v13, v13, v14
	v_cndmask_b32_e64 v16, 1.0, v0, s[2:3]
	v_mul_f32_e32 v12, v12, v15
	v_log_f32_e32 v13, v13
	v_and_b32_e32 v10, 0xffff0000, v10
	v_mul_f32_e32 v11, v11, v16
	v_log_f32_e32 v12, v12
	v_cndmask_b32_e32 v14, 0, v1, vcc
	v_cmp_gt_f32_e32 vcc, s12, v10
	v_log_f32_e32 v11, v11
	v_cndmask_b32_e32 v17, 1.0, v0, vcc
	v_mul_f32_e32 v10, v10, v17
	v_mul_f32_e32 v18, 0x3e9a209a, v13
	v_log_f32_e32 v10, v10
	v_mul_f32_e32 v19, 0x3e9a209a, v12
	v_fma_f32 v18, v13, s13, -v18
	v_mul_f32_e32 v20, 0x3e9a209a, v11
	v_fma_f32 v19, v12, s13, -v19
	v_fmac_f32_e32 v18, 0x3284fbcf, v13
	v_cndmask_b32_e32 v17, 0, v1, vcc
	v_fma_f32 v20, v11, s13, -v20
	v_fmac_f32_e32 v19, 0x3284fbcf, v12
	v_fmac_f32_e32 v18, 0x3e9a209a, v13
	v_cmp_lt_f32_e64 vcc, |v13|, s14
	v_fmac_f32_e32 v20, 0x3284fbcf, v11
	v_fmac_f32_e32 v19, 0x3e9a209a, v12
	v_cndmask_b32_e32 v13, v13, v18, vcc
	v_cmp_lt_f32_e64 vcc, |v12|, s14
	v_mul_f32_e32 v21, 0x3e9a209a, v10
	v_fmac_f32_e32 v20, 0x3e9a209a, v11
	v_cndmask_b32_e32 v12, v12, v19, vcc
	v_cmp_lt_f32_e64 vcc, |v11|, s14
	v_cndmask_b32_e64 v16, 0, v1, s[2:3]
	v_fma_f32 v21, v10, s13, -v21
	v_cndmask_b32_e32 v11, v11, v20, vcc
	v_cndmask_b32_e64 v15, 0, v1, s[0:1]
	v_fmac_f32_e32 v21, 0x3284fbcf, v10
	v_sub_f32_e32 v11, v11, v16
	v_fmac_f32_e32 v21, 0x3e9a209a, v10
	v_sub_f32_e32 v12, v12, v15
	v_cmp_lt_f32_e64 vcc, |v10|, s14
	v_bfe_u32 v16, v11, 16, 1
	v_sub_f32_e32 v13, v13, v14
	v_cndmask_b32_e32 v10, v10, v21, vcc
	v_bfe_u32 v15, v12, 16, 1
	v_add3_u32 v16, v11, v16, s15
	v_bfe_u32 v14, v13, 16, 1
	v_sub_f32_e32 v10, v10, v17
	v_add3_u32 v15, v12, v15, s15
	v_and_b32_e32 v16, 0xffff0000, v16
	v_cmp_o_f32_e32 vcc, v11, v11
	v_add3_u32 v14, v13, v14, s15
	v_bfe_u32 v17, v10, 16, 1
	v_and_b32_e32 v15, 0xffff0000, v15
	v_cndmask_b32_e32 v11, v6, v16, vcc
	v_cmp_o_f32_e32 vcc, v12, v12
	v_lshrrev_b32_e32 v14, 16, v14
	v_add3_u32 v17, v10, v17, s15
	v_cndmask_b32_e32 v12, v6, v15, vcc
	v_cmp_o_f32_e32 vcc, v13, v13
	v_lshrrev_b32_e32 v17, 16, v17
	v_cndmask_b32_e32 v13, v7, v14, vcc
	v_cmp_o_f32_e32 vcc, v10, v10
	v_cndmask_b32_e32 v10, v7, v17, vcc
	v_or_b32_e32 v12, v13, v12
	v_or3_b32 v11, 0, v10, v11
	v_or3_b32 v10, v12, 0, 0
	global_store_dwordx2 v[4:5], v[10:11], off
	v_add_co_u32_e32 v4, vcc, s8, v4
	v_addc_co_u32_e32 v5, vcc, v5, v8, vcc
	v_add_co_u32_e32 v2, vcc, s9, v2
	v_addc_co_u32_e32 v3, vcc, v3, v9, vcc
	s_andn2_b64 exec, exec, s[4:5]
	s_cbranch_execnz .LBB189_24
.LBB189_25:
	s_endpgm
	.section	.rodata,"a",@progbits
	.p2align	6, 0x0
	.amdhsa_kernel _ZN2at6native12_GLOBAL__N_125multi_tensor_apply_kernelINS1_18TensorListMetadataILi1EEENS1_14UnaryOpFunctorIN3c108BFloat16ELi1ELi1ELi0EEEJNS0_5Log10IfEEEEEvT_T0_DpT1_
		.amdhsa_group_segment_fixed_size 0
		.amdhsa_private_segment_fixed_size 0
		.amdhsa_kernarg_size 3632
		.amdhsa_user_sgpr_count 6
		.amdhsa_user_sgpr_private_segment_buffer 1
		.amdhsa_user_sgpr_dispatch_ptr 0
		.amdhsa_user_sgpr_queue_ptr 0
		.amdhsa_user_sgpr_kernarg_segment_ptr 1
		.amdhsa_user_sgpr_dispatch_id 0
		.amdhsa_user_sgpr_flat_scratch_init 0
		.amdhsa_user_sgpr_kernarg_preload_length 0
		.amdhsa_user_sgpr_kernarg_preload_offset 0
		.amdhsa_user_sgpr_private_segment_size 0
		.amdhsa_uses_dynamic_stack 0
		.amdhsa_system_sgpr_private_segment_wavefront_offset 0
		.amdhsa_system_sgpr_workgroup_id_x 1
		.amdhsa_system_sgpr_workgroup_id_y 0
		.amdhsa_system_sgpr_workgroup_id_z 0
		.amdhsa_system_sgpr_workgroup_info 0
		.amdhsa_system_vgpr_workitem_id 0
		.amdhsa_next_free_vgpr 26
		.amdhsa_next_free_sgpr 31
		.amdhsa_accum_offset 28
		.amdhsa_reserve_vcc 1
		.amdhsa_reserve_flat_scratch 0
		.amdhsa_float_round_mode_32 0
		.amdhsa_float_round_mode_16_64 0
		.amdhsa_float_denorm_mode_32 3
		.amdhsa_float_denorm_mode_16_64 3
		.amdhsa_dx10_clamp 1
		.amdhsa_ieee_mode 1
		.amdhsa_fp16_overflow 0
		.amdhsa_tg_split 0
		.amdhsa_exception_fp_ieee_invalid_op 0
		.amdhsa_exception_fp_denorm_src 0
		.amdhsa_exception_fp_ieee_div_zero 0
		.amdhsa_exception_fp_ieee_overflow 0
		.amdhsa_exception_fp_ieee_underflow 0
		.amdhsa_exception_fp_ieee_inexact 0
		.amdhsa_exception_int_div_zero 0
	.end_amdhsa_kernel
	.section	.text._ZN2at6native12_GLOBAL__N_125multi_tensor_apply_kernelINS1_18TensorListMetadataILi1EEENS1_14UnaryOpFunctorIN3c108BFloat16ELi1ELi1ELi0EEEJNS0_5Log10IfEEEEEvT_T0_DpT1_,"axG",@progbits,_ZN2at6native12_GLOBAL__N_125multi_tensor_apply_kernelINS1_18TensorListMetadataILi1EEENS1_14UnaryOpFunctorIN3c108BFloat16ELi1ELi1ELi0EEEJNS0_5Log10IfEEEEEvT_T0_DpT1_,comdat
.Lfunc_end189:
	.size	_ZN2at6native12_GLOBAL__N_125multi_tensor_apply_kernelINS1_18TensorListMetadataILi1EEENS1_14UnaryOpFunctorIN3c108BFloat16ELi1ELi1ELi0EEEJNS0_5Log10IfEEEEEvT_T0_DpT1_, .Lfunc_end189-_ZN2at6native12_GLOBAL__N_125multi_tensor_apply_kernelINS1_18TensorListMetadataILi1EEENS1_14UnaryOpFunctorIN3c108BFloat16ELi1ELi1ELi0EEEJNS0_5Log10IfEEEEEvT_T0_DpT1_
                                        ; -- End function
	.section	.AMDGPU.csdata,"",@progbits
; Kernel info:
; codeLenInByte = 1996
; NumSgprs: 35
; NumVgprs: 26
; NumAgprs: 0
; TotalNumVgprs: 26
; ScratchSize: 0
; MemoryBound: 0
; FloatMode: 240
; IeeeMode: 1
; LDSByteSize: 0 bytes/workgroup (compile time only)
; SGPRBlocks: 4
; VGPRBlocks: 3
; NumSGPRsForWavesPerEU: 35
; NumVGPRsForWavesPerEU: 26
; AccumOffset: 28
; Occupancy: 8
; WaveLimiterHint : 0
; COMPUTE_PGM_RSRC2:SCRATCH_EN: 0
; COMPUTE_PGM_RSRC2:USER_SGPR: 6
; COMPUTE_PGM_RSRC2:TRAP_HANDLER: 0
; COMPUTE_PGM_RSRC2:TGID_X_EN: 1
; COMPUTE_PGM_RSRC2:TGID_Y_EN: 0
; COMPUTE_PGM_RSRC2:TGID_Z_EN: 0
; COMPUTE_PGM_RSRC2:TIDIG_COMP_CNT: 0
; COMPUTE_PGM_RSRC3_GFX90A:ACCUM_OFFSET: 6
; COMPUTE_PGM_RSRC3_GFX90A:TG_SPLIT: 0
	.section	.text._ZN2at6native12_GLOBAL__N_125multi_tensor_apply_kernelINS1_18TensorListMetadataILi2EEENS1_14UnaryOpFunctorIdLi2ELi1ELi1EEEJNS0_4Log2IdEEEEEvT_T0_DpT1_,"axG",@progbits,_ZN2at6native12_GLOBAL__N_125multi_tensor_apply_kernelINS1_18TensorListMetadataILi2EEENS1_14UnaryOpFunctorIdLi2ELi1ELi1EEEJNS0_4Log2IdEEEEEvT_T0_DpT1_,comdat
	.globl	_ZN2at6native12_GLOBAL__N_125multi_tensor_apply_kernelINS1_18TensorListMetadataILi2EEENS1_14UnaryOpFunctorIdLi2ELi1ELi1EEEJNS0_4Log2IdEEEEEvT_T0_DpT1_ ; -- Begin function _ZN2at6native12_GLOBAL__N_125multi_tensor_apply_kernelINS1_18TensorListMetadataILi2EEENS1_14UnaryOpFunctorIdLi2ELi1ELi1EEEJNS0_4Log2IdEEEEEvT_T0_DpT1_
	.p2align	8
	.type	_ZN2at6native12_GLOBAL__N_125multi_tensor_apply_kernelINS1_18TensorListMetadataILi2EEENS1_14UnaryOpFunctorIdLi2ELi1ELi1EEEJNS0_4Log2IdEEEEEvT_T0_DpT1_,@function
_ZN2at6native12_GLOBAL__N_125multi_tensor_apply_kernelINS1_18TensorListMetadataILi2EEENS1_14UnaryOpFunctorIdLi2ELi1ELi1EEEJNS0_4Log2IdEEEEEvT_T0_DpT1_: ; @_ZN2at6native12_GLOBAL__N_125multi_tensor_apply_kernelINS1_18TensorListMetadataILi2EEENS1_14UnaryOpFunctorIdLi2ELi1ELi1EEEJNS0_4Log2IdEEEEEvT_T0_DpT1_
; %bb.0:
	v_mov_b32_e32 v1, s6
	global_load_ubyte v1, v1, s[4:5] offset:1536
	s_add_u32 s0, s4, s6
	s_mul_hi_u32 s2, s6, 3
	s_mul_i32 s6, s6, 3
	s_addc_u32 s9, s5, 0
	s_add_u32 s8, s0, s6
	s_addc_u32 s9, s9, s2
	s_load_dword s8, s[8:9], 0x740
	s_mov_b32 s1, 0
	s_mov_b32 s7, s1
	;; [unrolled: 1-line block ×3, first 2 shown]
	s_waitcnt lgkmcnt(0)
	s_ashr_i32 s9, s8, 31
	s_lshl_b64 s[14:15], s[8:9], 19
	s_waitcnt vmcnt(0)
	v_readfirstlane_b32 s0, v1
	s_lshl_b32 s0, s0, 3
	s_load_dwordx2 s[20:21], s[4:5], s0 offset:0x0
	s_load_dwordx2 s[10:11], s[4:5], s0 offset:0x400
	;; [unrolled: 1-line block ×3, first 2 shown]
	s_waitcnt lgkmcnt(0)
	s_add_u32 s33, s20, s14
	s_addc_u32 s48, s21, s15
	s_and_b32 s0, s33, 31
	s_add_u32 s49, s18, s14
	s_addc_u32 s50, s19, s15
	s_and_b32 s6, s10, 3
	s_and_b32 s2, s49, 31
	s_or_b64 s[6:7], s[0:1], s[6:7]
	s_or_b64 s[2:3], s[2:3], s[6:7]
	s_lshl_b64 s[6:7], s[8:9], 16
	s_sub_u32 s16, s10, s6
	s_subb_u32 s17, s11, s7
	s_cmp_eq_u64 s[2:3], 0
	s_mov_b64 s[2:3], -1
	s_cbranch_scc0 .LBB190_5
; %bb.1:
	v_mov_b32_e32 v10, 0
	v_lshlrev_b32_e32 v2, 2, v0
	v_mov_b32_e32 v3, v10
	v_cmp_gt_i64_e32 vcc, s[16:17], v[2:3]
	s_and_saveexec_b64 s[22:23], vcc
	s_cbranch_execz .LBB190_4
; %bb.2:
	s_load_dword s0, s[4:5], 0xc5c
	s_mov_b32 s26, 0x55555555
	s_mov_b32 s2, 0x6b47b09a
	;; [unrolled: 1-line block ×4, first 2 shown]
	s_waitcnt lgkmcnt(0)
	s_and_b32 s0, s0, 0xffff
	s_mov_b32 s28, 0xbf559e2b
	s_mov_b32 s30, 0xd7f4df2e
	s_mov_b32 s34, 0x16291751
	s_mov_b32 s36, 0x9b27acf1
	s_mov_b32 s38, 0x998ef7b6
	s_mov_b32 s42, 0x652b82fe
	s_mov_b32 s44, 0xffda0d24
	v_mov_b32_e32 v13, v10
	v_lshlrev_b32_e32 v14, 5, v0
	v_add_lshl_u32 v12, v0, s0, 2
	s_lshl_b32 s51, s0, 2
	s_lshl_b32 s52, s0, 5
	s_mov_b64 s[24:25], 0
	v_mov_b32_e32 v1, 0x3ff00000
	s_mov_b32 s29, 0x3fc3ab76
	v_pk_mov_b32 v[16:17], s[2:3], s[2:3] op_sel:[0,1]
	s_mov_b32 s31, 0x3fc7474d
	s_mov_b32 s35, 0x3fcc71c0
	;; [unrolled: 1-line block ×8, first 2 shown]
	s_movk_i32 s53, 0x204
	v_mov_b32_e32 v15, 0x7ff80000
	v_mov_b32_e32 v18, 0xfff00000
	s_mov_b64 s[46:47], 0xffff
	v_mov_b32_e32 v19, s1
.LBB190_3:                              ; =>This Inner Loop Header: Depth=1
	v_mov_b32_e32 v2, s48
	v_add_co_u32_e32 v20, vcc, s33, v14
	v_addc_co_u32_e32 v21, vcc, 0, v2, vcc
	global_load_dwordx4 v[6:9], v[20:21], off
	global_load_dwordx4 v[2:5], v[20:21], off offset:16
	v_cmp_lt_u64_e64 s[10:11], s[46:47], v[12:13]
	s_waitcnt vmcnt(1)
	v_frexp_mant_f64_e32 v[20:21], v[6:7]
	v_frexp_mant_f64_e32 v[22:23], v[8:9]
	v_cmp_gt_f64_e64 s[2:3], s[26:27], v[20:21]
	s_waitcnt vmcnt(0)
	v_frexp_mant_f64_e32 v[24:25], v[2:3]
	v_cndmask_b32_e64 v11, v1, 2.0, s[2:3]
	v_cmp_gt_f64_e64 s[6:7], s[26:27], v[22:23]
	v_frexp_mant_f64_e32 v[26:27], v[4:5]
	v_cmp_gt_f64_e64 s[0:1], s[26:27], v[24:25]
	v_mul_f64 v[20:21], v[20:21], v[10:11]
	v_cndmask_b32_e64 v11, v1, 2.0, s[6:7]
	v_cmp_gt_f64_e32 vcc, s[26:27], v[26:27]
	v_add_f64 v[30:31], v[20:21], 1.0
	v_mul_f64 v[22:23], v[22:23], v[10:11]
	v_cndmask_b32_e64 v11, v1, 2.0, s[0:1]
	v_rcp_f64_e32 v[34:35], v[30:31]
	v_add_f64 v[38:39], v[22:23], 1.0
	v_mul_f64 v[24:25], v[24:25], v[10:11]
	v_cndmask_b32_e64 v11, v1, 2.0, vcc
	v_add_f64 v[32:33], v[30:31], -1.0
	v_rcp_f64_e32 v[40:41], v[38:39]
	v_add_f64 v[44:45], v[24:25], 1.0
	v_mul_f64 v[26:27], v[26:27], v[10:11]
	v_add_f64 v[28:29], v[20:21], -1.0
	v_add_f64 v[20:21], v[20:21], -v[32:33]
	v_add_f64 v[32:33], v[38:39], -1.0
	v_rcp_f64_e32 v[46:47], v[44:45]
	v_add_f64 v[50:51], v[26:27], 1.0
	v_add_f64 v[36:37], v[22:23], -1.0
	v_add_f64 v[22:23], v[22:23], -v[32:33]
	v_add_f64 v[32:33], v[44:45], -1.0
	v_rcp_f64_e32 v[52:53], v[50:51]
	v_add_f64 v[42:43], v[24:25], -1.0
	v_add_f64 v[24:25], v[24:25], -v[32:33]
	v_add_f64 v[32:33], v[50:51], -1.0
	v_fma_f64 v[54:55], -v[30:31], v[34:35], 1.0
	v_add_f64 v[48:49], v[26:27], -1.0
	v_add_f64 v[26:27], v[26:27], -v[32:33]
	v_fmac_f64_e32 v[34:35], v[54:55], v[34:35]
	v_fma_f64 v[32:33], -v[38:39], v[40:41], 1.0
	v_fma_f64 v[54:55], -v[30:31], v[34:35], 1.0
	v_fmac_f64_e32 v[40:41], v[32:33], v[40:41]
	v_fma_f64 v[32:33], -v[44:45], v[46:47], 1.0
	v_fmac_f64_e32 v[34:35], v[54:55], v[34:35]
	;; [unrolled: 2-line block ×3, first 2 shown]
	v_fma_f64 v[32:33], -v[50:51], v[52:53], 1.0
	v_mul_f64 v[56:57], v[28:29], v[34:35]
	v_fmac_f64_e32 v[40:41], v[54:55], v[40:41]
	v_fma_f64 v[54:55], -v[44:45], v[46:47], 1.0
	v_fmac_f64_e32 v[52:53], v[32:33], v[52:53]
	v_mul_f64 v[32:33], v[30:31], v[56:57]
	v_mul_f64 v[58:59], v[36:37], v[40:41]
	v_fmac_f64_e32 v[46:47], v[54:55], v[46:47]
	v_fma_f64 v[54:55], -v[50:51], v[52:53], 1.0
	v_fma_f64 v[30:31], v[56:57], v[30:31], -v[32:33]
	v_fmac_f64_e32 v[52:53], v[54:55], v[52:53]
	v_mul_f64 v[54:55], v[38:39], v[58:59]
	v_fmac_f64_e32 v[30:31], v[56:57], v[20:21]
	v_mul_f64 v[20:21], v[42:43], v[46:47]
	v_fma_f64 v[38:39], v[58:59], v[38:39], -v[54:55]
	v_fmac_f64_e32 v[38:39], v[58:59], v[22:23]
	v_mul_f64 v[22:23], v[44:45], v[20:21]
	v_fma_f64 v[44:45], v[20:21], v[44:45], -v[22:23]
	v_fmac_f64_e32 v[44:45], v[20:21], v[24:25]
	v_add_f64 v[24:25], v[32:33], v[30:31]
	v_add_f64 v[32:33], v[24:25], -v[32:33]
	v_add_f64 v[30:31], v[32:33], -v[30:31]
	v_mul_f64 v[32:33], v[48:49], v[52:53]
	v_mul_f64 v[60:61], v[50:51], v[32:33]
	v_fma_f64 v[50:51], v[32:33], v[50:51], -v[60:61]
	v_fmac_f64_e32 v[50:51], v[32:33], v[26:27]
	v_add_f64 v[26:27], v[28:29], -v[24:25]
	v_add_f64 v[28:29], v[28:29], -v[26:27]
	;; [unrolled: 1-line block ×3, first 2 shown]
	v_add_f64 v[28:29], v[54:55], v[38:39]
	v_add_f64 v[24:25], v[30:31], v[24:25]
	v_add_f64 v[30:31], v[36:37], -v[28:29]
	v_add_f64 v[54:55], v[28:29], -v[54:55]
	;; [unrolled: 1-line block ×5, first 2 shown]
	v_add_f64 v[36:37], v[22:23], v[44:45]
	v_add_f64 v[24:25], v[26:27], v[24:25]
	;; [unrolled: 1-line block ×3, first 2 shown]
	v_add_f64 v[28:29], v[42:43], -v[36:37]
	v_add_f64 v[22:23], v[36:37], -v[22:23]
	;; [unrolled: 1-line block ×5, first 2 shown]
	v_add_f64 v[38:39], v[60:61], v[50:51]
	v_add_f64 v[22:23], v[22:23], v[36:37]
	v_add_f64 v[36:37], v[48:49], -v[38:39]
	v_add_f64 v[42:43], v[38:39], -v[60:61]
	v_mul_f64 v[24:25], v[34:35], v[24:25]
	v_add_f64 v[48:49], v[48:49], -v[36:37]
	v_add_f64 v[42:43], v[42:43], -v[50:51]
	v_add_f64 v[26:27], v[30:31], v[26:27]
	v_add_f64 v[38:39], v[48:49], -v[38:39]
	v_add_f64 v[48:49], v[56:57], v[24:25]
	v_mul_f64 v[26:27], v[40:41], v[26:27]
	v_add_f64 v[22:23], v[28:29], v[22:23]
	v_add_f64 v[28:29], v[42:43], v[38:39]
	v_mul_f64 v[40:41], v[48:49], v[48:49]
	v_mul_f64 v[22:23], v[46:47], v[22:23]
	v_add_f64 v[28:29], v[36:37], v[28:29]
	v_fma_f64 v[36:37], s[28:29], v[40:41], v[16:17]
	v_mul_f64 v[28:29], v[52:53], v[28:29]
	v_add_f64 v[52:53], v[20:21], v[22:23]
	v_fma_f64 v[36:37], v[40:41], v[36:37], s[30:31]
	v_add_f64 v[20:21], v[52:53], -v[20:21]
	v_fma_f64 v[36:37], v[40:41], v[36:37], s[34:35]
	v_add_f64 v[38:39], v[48:49], -v[56:57]
	v_add_f64 v[56:57], v[58:59], v[26:27]
	v_add_f64 v[20:21], v[22:23], -v[20:21]
	v_add_f64 v[22:23], v[32:33], v[28:29]
	v_fma_f64 v[36:37], v[40:41], v[36:37], s[36:37]
	v_ldexp_f64 v[42:43], v[48:49], 1
	v_add_f64 v[24:25], v[24:25], -v[38:39]
	v_mul_f64 v[38:39], v[48:49], v[40:41]
	v_add_f64 v[46:47], v[56:57], -v[58:59]
	v_mul_f64 v[48:49], v[56:57], v[56:57]
	v_add_f64 v[32:33], v[22:23], -v[32:33]
	v_fma_f64 v[36:37], v[40:41], v[36:37], s[38:39]
	v_add_f64 v[26:27], v[26:27], -v[46:47]
	v_fma_f64 v[46:47], s[28:29], v[48:49], v[16:17]
	v_add_f64 v[28:29], v[28:29], -v[32:33]
	v_mul_f64 v[32:33], v[52:53], v[52:53]
	v_fma_f64 v[36:37], v[40:41], v[36:37], s[40:41]
	v_fma_f64 v[46:47], v[48:49], v[46:47], s[30:31]
	v_mul_f64 v[36:37], v[38:39], v[36:37]
	v_fma_f64 v[38:39], s[28:29], v[32:33], v[16:17]
	v_fma_f64 v[46:47], v[48:49], v[46:47], s[34:35]
	;; [unrolled: 1-line block ×7, first 2 shown]
	v_ldexp_f64 v[58:59], v[56:57], 1
	v_mul_f64 v[56:57], v[56:57], v[48:49]
	v_fma_f64 v[46:47], v[48:49], v[46:47], s[40:41]
	v_mul_f64 v[48:49], v[22:23], v[22:23]
	v_fma_f64 v[38:39], v[32:33], v[38:39], s[38:39]
	v_ldexp_f64 v[40:41], v[52:53], 1
	v_mul_f64 v[52:53], v[52:53], v[32:33]
	v_fma_f64 v[32:33], v[32:33], v[38:39], s[40:41]
	v_fma_f64 v[38:39], s[28:29], v[48:49], v[16:17]
	;; [unrolled: 1-line block ×5, first 2 shown]
	v_mul_f64 v[46:47], v[56:57], v[46:47]
	v_mul_f64 v[32:33], v[52:53], v[32:33]
	v_add_f64 v[52:53], v[42:43], v[36:37]
	v_fma_f64 v[38:39], v[48:49], v[38:39], s[38:39]
	v_ldexp_f64 v[56:57], v[22:23], 1
	v_mul_f64 v[22:23], v[22:23], v[48:49]
	v_add_f64 v[42:43], v[52:53], -v[42:43]
	v_fma_f64 v[38:39], v[48:49], v[38:39], s[40:41]
	v_add_f64 v[48:49], v[58:59], v[46:47]
	v_ldexp_f64 v[24:25], v[24:25], 1
	v_add_f64 v[36:37], v[36:37], -v[42:43]
	v_add_f64 v[42:43], v[48:49], -v[58:59]
	v_add_f64 v[58:59], v[40:41], v[32:33]
	v_mul_f64 v[22:23], v[22:23], v[38:39]
	v_ldexp_f64 v[26:27], v[26:27], 1
	v_add_f64 v[24:25], v[24:25], v[36:37]
	v_add_f64 v[36:37], v[46:47], -v[42:43]
	v_add_f64 v[38:39], v[58:59], -v[40:41]
	v_add_f64 v[40:41], v[56:57], v[22:23]
	v_ldexp_f64 v[20:21], v[20:21], 1
	v_add_f64 v[42:43], v[52:53], v[24:25]
	v_add_f64 v[26:27], v[26:27], v[36:37]
	v_add_f64 v[32:33], v[32:33], -v[38:39]
	v_add_f64 v[36:37], v[40:41], -v[56:57]
	v_ldexp_f64 v[28:29], v[28:29], 1
	v_add_f64 v[38:39], v[42:43], -v[52:53]
	v_mul_f64 v[46:47], v[42:43], s[42:43]
	v_add_f64 v[52:53], v[48:49], v[26:27]
	v_add_f64 v[20:21], v[20:21], v[32:33]
	v_add_f64 v[22:23], v[22:23], -v[36:37]
	v_mov_b32_e32 v11, s50
	v_add_co_u32_e64 v44, s[8:9], s49, v14
	v_add_f64 v[24:25], v[24:25], -v[38:39]
	v_fma_f64 v[32:33], v[42:43], s[42:43], -v[46:47]
	v_add_f64 v[36:37], v[52:53], -v[48:49]
	v_mul_f64 v[38:39], v[52:53], s[42:43]
	v_add_f64 v[48:49], v[58:59], v[20:21]
	v_add_f64 v[22:23], v[28:29], v[22:23]
	v_addc_co_u32_e64 v45, s[8:9], 0, v11, s[8:9]
	v_frexp_exp_i32_f64_e32 v11, v[6:7]
	v_fmac_f64_e32 v[32:33], s[42:43], v[24:25]
	v_add_f64 v[24:25], v[26:27], -v[36:37]
	v_fma_f64 v[26:27], v[52:53], s[42:43], -v[38:39]
	v_add_f64 v[28:29], v[48:49], -v[58:59]
	v_mul_f64 v[36:37], v[48:49], s[42:43]
	v_add_f64 v[56:57], v[40:41], v[22:23]
	v_frexp_exp_i32_f64_e32 v54, v[8:9]
	v_subbrev_co_u32_e64 v11, s[2:3], 0, v11, s[2:3]
	v_fmac_f64_e32 v[32:33], s[44:45], v[42:43]
	v_fmac_f64_e32 v[26:27], s[42:43], v[24:25]
	v_add_f64 v[20:21], v[20:21], -v[28:29]
	v_fma_f64 v[24:25], v[48:49], s[42:43], -v[36:37]
	v_add_f64 v[28:29], v[56:57], -v[40:41]
	v_mul_f64 v[40:41], v[56:57], s[42:43]
	v_frexp_exp_i32_f64_e32 v55, v[2:3]
	v_subbrev_co_u32_e64 v50, s[2:3], 0, v54, s[6:7]
	v_cvt_f64_i32_e32 v[34:35], v11
	v_add_f64 v[42:43], v[46:47], v[32:33]
	v_fmac_f64_e32 v[26:27], s[44:45], v[52:53]
	v_fmac_f64_e32 v[24:25], s[42:43], v[20:21]
	v_add_f64 v[20:21], v[22:23], -v[28:29]
	v_fma_f64 v[22:23], v[56:57], s[42:43], -v[40:41]
	v_frexp_exp_i32_f64_e32 v60, v[4:5]
	v_cvt_f64_i32_e32 v[50:51], v50
	v_subbrev_co_u32_e64 v11, s[0:1], 0, v55, s[0:1]
	v_add_f64 v[28:29], v[42:43], -v[46:47]
	v_add_f64 v[46:47], v[42:43], v[34:35]
	v_add_f64 v[52:53], v[38:39], v[26:27]
	v_fmac_f64_e32 v[24:25], s[44:45], v[48:49]
	v_fmac_f64_e32 v[22:23], s[42:43], v[20:21]
	v_cvt_f64_i32_e32 v[30:31], v11
	v_subbrev_co_u32_e32 v11, vcc, 0, v60, vcc
	v_add_f64 v[20:21], v[32:33], -v[28:29]
	v_add_f64 v[28:29], v[46:47], -v[34:35]
	;; [unrolled: 1-line block ×3, first 2 shown]
	v_add_f64 v[38:39], v[52:53], v[50:51]
	v_add_f64 v[48:49], v[36:37], v[24:25]
	v_fmac_f64_e32 v[22:23], s[44:45], v[56:57]
	v_cvt_f64_i32_e32 v[54:55], v11
	v_add_f64 v[56:57], v[28:29], -v[46:47]
	v_add_f64 v[28:29], v[42:43], -v[28:29]
	;; [unrolled: 1-line block ×5, first 2 shown]
	v_add_f64 v[42:43], v[48:49], v[30:31]
	v_add_f64 v[58:59], v[40:41], v[22:23]
	;; [unrolled: 1-line block ×3, first 2 shown]
	v_add_f64 v[56:57], v[32:33], -v[38:39]
	v_add_f64 v[32:33], v[52:53], -v[32:33]
	;; [unrolled: 1-line block ×5, first 2 shown]
	v_add_f64 v[52:53], v[58:59], v[54:55]
	v_add_f64 v[28:29], v[28:29], v[34:35]
	;; [unrolled: 1-line block ×3, first 2 shown]
	v_add_f64 v[50:51], v[36:37], -v[42:43]
	v_add_f64 v[22:23], v[22:23], -v[40:41]
	v_add_f64 v[40:41], v[52:53], -v[54:55]
	v_cmp_le_i64_e64 s[8:9], s[16:17], v[12:13]
	v_add_f64 v[36:37], v[48:49], -v[36:37]
	v_add_f64 v[20:21], v[20:21], v[28:29]
	v_add_f64 v[28:29], v[32:33], v[34:35]
	;; [unrolled: 1-line block ×3, first 2 shown]
	v_add_f64 v[32:33], v[40:41], -v[52:53]
	s_or_b64 s[8:9], s[8:9], s[10:11]
	v_add_f64 v[34:35], v[58:59], -v[40:41]
	v_add_f64 v[20:21], v[46:47], v[20:21]
	v_add_f64 v[26:27], v[26:27], v[28:29]
	v_add_f64 v[28:29], v[36:37], v[30:31]
	v_add_f64 v[30:31], v[32:33], v[54:55]
	v_cmp_class_f64_e64 vcc, v[6:7], s53
	s_add_u32 s33, s33, s52
	v_cndmask_b32_e32 v11, v20, v6, vcc
	v_cndmask_b32_e32 v20, v21, v7, vcc
	v_cmp_nge_f64_e32 vcc, 0, v[6:7]
	v_add_f64 v[26:27], v[38:39], v[26:27]
	v_cmp_class_f64_e64 s[0:1], v[8:9], s53
	v_add_f64 v[24:25], v[24:25], v[28:29]
	v_add_f64 v[28:29], v[34:35], v[30:31]
	v_cmp_ngt_f64_e64 s[2:3], 0, v[6:7]
	s_addc_u32 s48, s48, 0
	v_cndmask_b32_e64 v21, v15, v20, s[2:3]
	v_cndmask_b32_e32 v20, 0, v11, vcc
	v_cndmask_b32_e64 v11, v26, v8, s[0:1]
	v_cndmask_b32_e64 v30, v27, v9, s[0:1]
	v_cmp_ngt_f64_e32 vcc, 0, v[8:9]
	v_cmp_nge_f64_e64 s[0:1], 0, v[8:9]
	v_add_f64 v[24:25], v[42:43], v[24:25]
	v_cmp_class_f64_e64 s[2:3], v[2:3], s53
	v_add_f64 v[26:27], v[22:23], v[28:29]
	s_add_u32 s49, s49, s52
	v_cmp_neq_f64_e64 s[6:7], 0, v[6:7]
	v_cndmask_b32_e32 v6, v15, v30, vcc
	v_cndmask_b32_e64 v22, 0, v11, s[0:1]
	v_cndmask_b32_e64 v7, v24, v2, s[2:3]
	;; [unrolled: 1-line block ×3, first 2 shown]
	v_cmp_ngt_f64_e32 vcc, 0, v[2:3]
	v_add_f64 v[24:25], v[52:53], v[26:27]
	v_cmp_class_f64_e64 s[2:3], v[4:5], s53
	s_addc_u32 s50, s50, 0
	v_cndmask_b32_e64 v21, v18, v21, s[6:7]
	v_cmp_nge_f64_e64 s[0:1], 0, v[2:3]
	v_cmp_neq_f64_e64 s[6:7], 0, v[8:9]
	v_cndmask_b32_e32 v8, v15, v11, vcc
	v_cndmask_b32_e64 v11, v25, v5, s[2:3]
	v_cmp_ngt_f64_e32 vcc, 0, v[4:5]
	v_add_co_u32_e64 v12, s[12:13], s51, v12
	s_and_b64 s[8:9], exec, s[8:9]
	v_cndmask_b32_e64 v23, v18, v6, s[6:7]
	v_cndmask_b32_e64 v6, 0, v7, s[0:1]
	;; [unrolled: 1-line block ×3, first 2 shown]
	v_cmp_nge_f64_e64 s[0:1], 0, v[4:5]
	v_cmp_neq_f64_e64 s[2:3], 0, v[2:3]
	v_cndmask_b32_e32 v2, v15, v11, vcc
	v_cmp_neq_f64_e32 vcc, 0, v[4:5]
	v_addc_co_u32_e64 v13, s[12:13], v13, v19, s[12:13]
	s_or_b64 s[24:25], s[8:9], s[24:25]
	v_cndmask_b32_e64 v7, v18, v8, s[2:3]
	v_cndmask_b32_e64 v8, 0, v9, s[0:1]
	v_cndmask_b32_e32 v9, v18, v2, vcc
	global_store_dwordx4 v[44:45], v[20:23], off
	global_store_dwordx4 v[44:45], v[6:9], off offset:16
	s_andn2_b64 exec, exec, s[24:25]
	s_cbranch_execnz .LBB190_3
.LBB190_4:
	s_or_b64 exec, exec, s[22:23]
	s_mov_b64 s[2:3], 0
.LBB190_5:
	s_andn2_b64 vcc, exec, s[2:3]
	s_cbranch_vccnz .LBB190_25
; %bb.6:
	v_cmp_lt_i64_e64 s[0:1], s[16:17], 1
	s_and_b64 vcc, exec, s[0:1]
	s_cbranch_vccnz .LBB190_25
; %bb.7:
	s_load_dword s0, s[4:5], 0xc5c
	v_mov_b32_e32 v4, 0x10000
	v_mov_b32_e32 v5, 0
	v_cmp_lt_u64_e32 vcc, s[16:17], v[4:5]
	v_lshlrev_b32_e32 v12, 3, v0
	s_waitcnt lgkmcnt(0)
	s_and_b32 s2, s0, 0xffff
	s_and_b64 s[0:1], vcc, exec
	v_mov_b32_e32 v3, s21
	v_add_co_u32_e32 v4, vcc, s20, v12
	v_mov_b32_e32 v2, 0
	v_addc_co_u32_e32 v1, vcc, 0, v3, vcc
	v_mov_b32_e32 v13, v2
	v_mov_b32_e32 v17, s19
	v_add_co_u32_e32 v6, vcc, s18, v12
	v_addc_co_u32_e32 v5, vcc, 0, v17, vcc
	v_mad_u64_u32 v[10:11], s[0:1], s2, 24, v[12:13]
	v_add_co_u32_e32 v8, vcc, s20, v10
	v_addc_co_u32_e32 v7, vcc, v3, v11, vcc
	v_add_co_u32_e32 v10, vcc, s18, v10
	s_mul_i32 s4, s2, 3
	v_addc_co_u32_e32 v9, vcc, v17, v11, vcc
	v_add_co_u32_e32 v19, vcc, s4, v0
	v_addc_co_u32_e64 v40, s[0:1], 0, 0, vcc
	s_cselect_b32 s9, s17, 0
	s_cselect_b32 s8, s16, 0x10000
	s_lshl_b32 s0, s2, 4
	v_add_co_u32_e32 v13, vcc, s0, v12
	v_addc_co_u32_e64 v15, s[0:1], 0, 0, vcc
	v_add_co_u32_e32 v12, vcc, s20, v13
	v_addc_co_u32_e32 v11, vcc, v3, v15, vcc
	v_add_co_u32_e32 v14, vcc, s18, v13
	s_lshl_b32 s3, s2, 1
	v_addc_co_u32_e32 v13, vcc, v17, v15, vcc
	v_add_co_u32_e32 v41, vcc, s3, v0
	v_addc_co_u32_e64 v42, s[0:1], 0, 0, vcc
	v_add_co_u32_e32 v43, vcc, s2, v0
	v_lshlrev_b32_e32 v18, 3, v43
	v_addc_co_u32_e64 v44, s[0:1], 0, 0, vcc
	v_add_co_u32_e32 v16, vcc, s20, v18
	v_addc_co_u32_e32 v15, vcc, 0, v3, vcc
	v_add_co_u32_e32 v18, vcc, s18, v18
	s_mov_b32 s12, 0x55555555
	s_mov_b32 s18, 0xbf559e2b
	;; [unrolled: 1-line block ×5, first 2 shown]
	s_lshl_b32 s27, s2, 2
	s_lshl_b32 s28, s2, 5
	v_addc_co_u32_e32 v17, vcc, 0, v17, vcc
	s_mov_b64 s[10:11], 0
	s_movk_i32 s29, 0x204
	s_mov_b32 s13, 0x3fe55555
	s_mov_b32 s19, 0x3fc3ab76
	;; [unrolled: 1-line block ×4, first 2 shown]
	v_mov_b32_e32 v45, 0x3ff00000
	v_mov_b32_e32 v20, 0x6b47b09a
	;; [unrolled: 1-line block ×15, first 2 shown]
	s_branch .LBB190_9
.LBB190_8:                              ;   in Loop: Header=BB190_9 Depth=1
	s_or_b64 exec, exec, s[0:1]
	s_add_u32 s10, s10, s27
	s_addc_u32 s11, s11, 0
	s_waitcnt vmcnt(0)
	v_pk_mov_b32 v[32:33], s[16:17], s[16:17] op_sel:[0,1]
	v_cmp_ge_i64_e32 vcc, s[10:11], v[32:33]
	v_mov_b32_e32 v32, 0xffff
	v_mov_b32_e32 v33, 0
	v_cmp_gt_u64_e64 s[0:1], s[10:11], v[32:33]
	s_or_b64 s[0:1], vcc, s[0:1]
	v_mov_b32_e32 v3, s26
	v_add_co_u32_e32 v4, vcc, s28, v4
	v_addc_co_u32_e32 v1, vcc, v1, v3, vcc
	v_add_co_u32_e32 v6, vcc, s28, v6
	v_addc_co_u32_e32 v5, vcc, v5, v3, vcc
	;; [unrolled: 2-line block ×8, first 2 shown]
	s_and_b64 vcc, exec, s[0:1]
	s_cbranch_vccnz .LBB190_25
.LBB190_9:                              ; =>This Inner Loop Header: Depth=1
	v_mov_b32_e32 v3, s11
	v_add_co_u32_e32 v32, vcc, s10, v0
	v_addc_co_u32_e32 v33, vcc, 0, v3, vcc
	v_pk_mov_b32 v[36:37], 0, 0
	v_cmp_gt_u64_e64 s[4:5], s[8:9], v[32:33]
	v_pk_mov_b32 v[38:39], v[36:37], v[36:37] op_sel:[0,1]
	s_and_saveexec_b64 s[0:1], s[4:5]
	s_cbranch_execz .LBB190_11
; %bb.10:                               ;   in Loop: Header=BB190_9 Depth=1
	v_mov_b32_e32 v3, s15
	v_add_co_u32_e32 v32, vcc, s14, v4
	v_addc_co_u32_e32 v33, vcc, v1, v3, vcc
	global_load_dwordx2 v[38:39], v[32:33], off
.LBB190_11:                             ;   in Loop: Header=BB190_9 Depth=1
	s_or_b64 exec, exec, s[0:1]
	v_mov_b32_e32 v3, s11
	v_add_co_u32_e32 v32, vcc, s10, v43
	v_addc_co_u32_e32 v33, vcc, v44, v3, vcc
	v_cmp_gt_u64_e64 s[2:3], s[8:9], v[32:33]
	s_and_saveexec_b64 s[0:1], s[2:3]
	s_cbranch_execz .LBB190_13
; %bb.12:                               ;   in Loop: Header=BB190_9 Depth=1
	v_mov_b32_e32 v3, s15
	v_add_co_u32_e32 v32, vcc, s14, v16
	v_addc_co_u32_e32 v33, vcc, v15, v3, vcc
	global_load_dwordx2 v[36:37], v[32:33], off
.LBB190_13:                             ;   in Loop: Header=BB190_9 Depth=1
	s_or_b64 exec, exec, s[0:1]
	v_mov_b32_e32 v3, s11
	v_add_co_u32_e32 v32, vcc, s10, v41
	v_addc_co_u32_e32 v33, vcc, v42, v3, vcc
	v_cmp_gt_u64_e64 s[0:1], s[8:9], v[32:33]
	v_pk_mov_b32 v[32:33], 0, 0
	v_pk_mov_b32 v[34:35], v[32:33], v[32:33] op_sel:[0,1]
	s_and_saveexec_b64 s[6:7], s[0:1]
	s_cbranch_execz .LBB190_15
; %bb.14:                               ;   in Loop: Header=BB190_9 Depth=1
	v_mov_b32_e32 v3, s15
	v_add_co_u32_e32 v34, vcc, s14, v12
	v_addc_co_u32_e32 v35, vcc, v11, v3, vcc
	global_load_dwordx2 v[34:35], v[34:35], off
.LBB190_15:                             ;   in Loop: Header=BB190_9 Depth=1
	s_or_b64 exec, exec, s[6:7]
	v_mov_b32_e32 v3, s11
	v_add_co_u32_e32 v48, vcc, s10, v19
	v_addc_co_u32_e32 v49, vcc, v40, v3, vcc
	v_cmp_gt_u64_e32 vcc, s[8:9], v[48:49]
	s_and_saveexec_b64 s[24:25], vcc
	s_cbranch_execnz .LBB190_20
; %bb.16:                               ;   in Loop: Header=BB190_9 Depth=1
	s_or_b64 exec, exec, s[24:25]
	s_and_saveexec_b64 s[6:7], s[4:5]
	s_cbranch_execnz .LBB190_21
.LBB190_17:                             ;   in Loop: Header=BB190_9 Depth=1
	s_or_b64 exec, exec, s[6:7]
	s_and_saveexec_b64 s[4:5], s[2:3]
	s_cbranch_execnz .LBB190_22
.LBB190_18:                             ;   in Loop: Header=BB190_9 Depth=1
	s_or_b64 exec, exec, s[4:5]
	s_and_saveexec_b64 s[2:3], s[0:1]
	s_cbranch_execnz .LBB190_23
.LBB190_19:                             ;   in Loop: Header=BB190_9 Depth=1
	s_or_b64 exec, exec, s[2:3]
	s_and_saveexec_b64 s[0:1], vcc
	s_cbranch_execz .LBB190_8
	s_branch .LBB190_24
.LBB190_20:                             ;   in Loop: Header=BB190_9 Depth=1
	v_mov_b32_e32 v3, s15
	v_add_co_u32_e64 v32, s[6:7], s14, v8
	v_addc_co_u32_e64 v33, s[6:7], v7, v3, s[6:7]
	global_load_dwordx2 v[32:33], v[32:33], off
	s_or_b64 exec, exec, s[24:25]
	s_and_saveexec_b64 s[6:7], s[4:5]
	s_cbranch_execz .LBB190_17
.LBB190_21:                             ;   in Loop: Header=BB190_9 Depth=1
	s_waitcnt vmcnt(0)
	v_frexp_mant_f64_e32 v[48:49], v[38:39]
	v_cmp_gt_f64_e64 s[4:5], s[12:13], v[48:49]
	v_cndmask_b32_e64 v3, v45, 2.0, s[4:5]
	v_mul_f64 v[48:49], v[48:49], v[2:3]
	v_add_f64 v[50:51], v[48:49], 1.0
	v_rcp_f64_e32 v[52:53], v[50:51]
	v_add_f64 v[54:55], v[48:49], -1.0
	v_add_f64 v[60:61], v[50:51], -1.0
	v_add_f64 v[48:49], v[48:49], -v[60:61]
	v_fma_f64 v[56:57], -v[50:51], v[52:53], 1.0
	v_fmac_f64_e32 v[52:53], v[56:57], v[52:53]
	v_fma_f64 v[56:57], -v[50:51], v[52:53], 1.0
	v_fmac_f64_e32 v[52:53], v[56:57], v[52:53]
	v_mul_f64 v[56:57], v[54:55], v[52:53]
	v_mul_f64 v[58:59], v[50:51], v[56:57]
	v_fma_f64 v[50:51], v[56:57], v[50:51], -v[58:59]
	v_fmac_f64_e32 v[50:51], v[56:57], v[48:49]
	v_add_f64 v[48:49], v[58:59], v[50:51]
	v_add_f64 v[60:61], v[54:55], -v[48:49]
	v_add_f64 v[58:59], v[48:49], -v[58:59]
	;; [unrolled: 1-line block ×5, first 2 shown]
	v_add_f64 v[48:49], v[50:51], v[48:49]
	v_add_f64 v[48:49], v[60:61], v[48:49]
	v_mul_f64 v[48:49], v[52:53], v[48:49]
	v_add_f64 v[50:51], v[56:57], v[48:49]
	v_mul_f64 v[54:55], v[50:51], v[50:51]
	v_pk_mov_b32 v[60:61], v[20:21], v[20:21] op_sel:[0,1]
	v_fmac_f64_e32 v[60:61], s[18:19], v[54:55]
	v_pk_mov_b32 v[62:63], v[22:23], v[22:23] op_sel:[0,1]
	v_fmac_f64_e32 v[62:63], v[54:55], v[60:61]
	;; [unrolled: 2-line block ×5, first 2 shown]
	v_pk_mov_b32 v[62:63], v[30:31], v[30:31] op_sel:[0,1]
	v_mul_f64 v[58:59], v[50:51], v[54:55]
	v_fmac_f64_e32 v[62:63], v[54:55], v[60:61]
	v_ldexp_f64 v[52:53], v[50:51], 1
	v_mul_f64 v[54:55], v[58:59], v[62:63]
	v_add_f64 v[58:59], v[52:53], v[54:55]
	v_add_f64 v[50:51], v[50:51], -v[56:57]
	v_add_f64 v[48:49], v[48:49], -v[50:51]
	;; [unrolled: 1-line block ×3, first 2 shown]
	v_ldexp_f64 v[48:49], v[48:49], 1
	v_add_f64 v[50:51], v[54:55], -v[50:51]
	v_add_f64 v[48:49], v[48:49], v[50:51]
	v_add_f64 v[50:51], v[58:59], v[48:49]
	v_mul_f64 v[52:53], v[50:51], s[20:21]
	v_add_f64 v[54:55], v[50:51], -v[58:59]
	v_add_f64 v[48:49], v[48:49], -v[54:55]
	v_fma_f64 v[54:55], v[50:51], s[20:21], -v[52:53]
	v_frexp_exp_i32_f64_e32 v3, v[38:39]
	v_fmac_f64_e32 v[54:55], s[20:21], v[48:49]
	v_fmac_f64_e32 v[54:55], s[22:23], v[50:51]
	v_subbrev_co_u32_e64 v3, s[4:5], 0, v3, s[4:5]
	v_add_f64 v[48:49], v[52:53], v[54:55]
	v_cvt_f64_i32_e32 v[50:51], v3
	v_add_f64 v[56:57], v[48:49], v[50:51]
	v_add_f64 v[52:53], v[48:49], -v[52:53]
	v_add_f64 v[52:53], v[54:55], -v[52:53]
	;; [unrolled: 1-line block ×5, first 2 shown]
	v_add_f64 v[50:51], v[54:55], v[50:51]
	v_add_f64 v[48:49], v[48:49], v[50:51]
	;; [unrolled: 1-line block ×4, first 2 shown]
	v_cmp_class_f64_e64 s[4:5], v[38:39], s29
	v_cndmask_b32_e64 v3, v48, v38, s[4:5]
	v_cndmask_b32_e64 v48, v49, v39, s[4:5]
	v_cmp_ngt_f64_e64 s[4:5], 0, v[38:39]
	v_cndmask_b32_e64 v49, v46, v48, s[4:5]
	v_cmp_nge_f64_e64 s[4:5], 0, v[38:39]
	v_cndmask_b32_e64 v48, 0, v3, s[4:5]
	v_cmp_neq_f64_e64 s[4:5], 0, v[38:39]
	v_cndmask_b32_e64 v49, v47, v49, s[4:5]
	v_mov_b32_e32 v3, s15
	v_add_co_u32_e64 v38, s[4:5], s14, v6
	v_addc_co_u32_e64 v39, s[4:5], v5, v3, s[4:5]
	global_store_dwordx2 v[38:39], v[48:49], off
	s_or_b64 exec, exec, s[6:7]
	s_and_saveexec_b64 s[4:5], s[2:3]
	s_cbranch_execz .LBB190_18
.LBB190_22:                             ;   in Loop: Header=BB190_9 Depth=1
	s_waitcnt vmcnt(0)
	v_frexp_mant_f64_e32 v[38:39], v[36:37]
	v_cmp_gt_f64_e64 s[2:3], s[12:13], v[38:39]
	v_cndmask_b32_e64 v3, v45, 2.0, s[2:3]
	v_frexp_exp_i32_f64_e32 v48, v[36:37]
	v_mul_f64 v[38:39], v[38:39], v[2:3]
	v_subbrev_co_u32_e64 v3, s[2:3], 0, v48, s[2:3]
	v_add_f64 v[48:49], v[38:39], 1.0
	v_rcp_f64_e32 v[50:51], v[48:49]
	v_add_f64 v[54:55], v[48:49], -1.0
	v_add_f64 v[52:53], v[38:39], -1.0
	v_add_f64 v[38:39], v[38:39], -v[54:55]
	v_fma_f64 v[54:55], -v[48:49], v[50:51], 1.0
	v_fmac_f64_e32 v[50:51], v[54:55], v[50:51]
	v_fma_f64 v[54:55], -v[48:49], v[50:51], 1.0
	v_fmac_f64_e32 v[50:51], v[54:55], v[50:51]
	v_mul_f64 v[54:55], v[52:53], v[50:51]
	v_mul_f64 v[56:57], v[48:49], v[54:55]
	v_fma_f64 v[48:49], v[54:55], v[48:49], -v[56:57]
	v_fmac_f64_e32 v[48:49], v[54:55], v[38:39]
	v_add_f64 v[38:39], v[56:57], v[48:49]
	v_add_f64 v[58:59], v[52:53], -v[38:39]
	v_add_f64 v[56:57], v[38:39], -v[56:57]
	;; [unrolled: 1-line block ×5, first 2 shown]
	v_add_f64 v[38:39], v[48:49], v[38:39]
	v_add_f64 v[38:39], v[58:59], v[38:39]
	v_mul_f64 v[38:39], v[50:51], v[38:39]
	v_add_f64 v[48:49], v[54:55], v[38:39]
	v_add_f64 v[50:51], v[48:49], -v[54:55]
	v_add_f64 v[38:39], v[38:39], -v[50:51]
	v_mul_f64 v[50:51], v[48:49], v[48:49]
	v_pk_mov_b32 v[52:53], v[20:21], v[20:21] op_sel:[0,1]
	v_fmac_f64_e32 v[52:53], s[18:19], v[50:51]
	v_pk_mov_b32 v[54:55], v[22:23], v[22:23] op_sel:[0,1]
	v_fmac_f64_e32 v[54:55], v[50:51], v[52:53]
	;; [unrolled: 2-line block ×6, first 2 shown]
	v_ldexp_f64 v[52:53], v[48:49], 1
	v_mul_f64 v[48:49], v[48:49], v[50:51]
	v_mul_f64 v[48:49], v[48:49], v[54:55]
	v_add_f64 v[50:51], v[52:53], v[48:49]
	v_add_f64 v[52:53], v[50:51], -v[52:53]
	v_ldexp_f64 v[38:39], v[38:39], 1
	v_add_f64 v[48:49], v[48:49], -v[52:53]
	v_add_f64 v[38:39], v[38:39], v[48:49]
	v_add_f64 v[48:49], v[50:51], v[38:39]
	v_add_f64 v[50:51], v[48:49], -v[50:51]
	v_mul_f64 v[52:53], v[48:49], s[20:21]
	v_add_f64 v[38:39], v[38:39], -v[50:51]
	v_fma_f64 v[54:55], v[48:49], s[20:21], -v[52:53]
	v_fmac_f64_e32 v[54:55], s[20:21], v[38:39]
	v_fmac_f64_e32 v[54:55], s[22:23], v[48:49]
	v_cvt_f64_i32_e32 v[50:51], v3
	v_add_f64 v[38:39], v[52:53], v[54:55]
	v_add_f64 v[48:49], v[38:39], -v[52:53]
	v_add_f64 v[52:53], v[38:39], v[50:51]
	v_add_f64 v[48:49], v[54:55], -v[48:49]
	v_add_f64 v[54:55], v[52:53], -v[50:51]
	;; [unrolled: 1-line block ×3, first 2 shown]
	v_add_f64 v[50:51], v[56:57], v[50:51]
	v_add_f64 v[38:39], v[38:39], -v[54:55]
	v_add_f64 v[38:39], v[38:39], v[50:51]
	v_add_f64 v[38:39], v[48:49], v[38:39]
	;; [unrolled: 1-line block ×3, first 2 shown]
	v_cmp_class_f64_e64 s[2:3], v[36:37], s29
	v_cndmask_b32_e64 v3, v38, v36, s[2:3]
	v_cndmask_b32_e64 v38, v39, v37, s[2:3]
	v_cmp_ngt_f64_e64 s[2:3], 0, v[36:37]
	v_cndmask_b32_e64 v39, v46, v38, s[2:3]
	v_cmp_nge_f64_e64 s[2:3], 0, v[36:37]
	v_cndmask_b32_e64 v38, 0, v3, s[2:3]
	v_cmp_neq_f64_e64 s[2:3], 0, v[36:37]
	v_cndmask_b32_e64 v39, v47, v39, s[2:3]
	v_mov_b32_e32 v3, s15
	v_add_co_u32_e64 v36, s[2:3], s14, v18
	v_addc_co_u32_e64 v37, s[2:3], v17, v3, s[2:3]
	global_store_dwordx2 v[36:37], v[38:39], off
	s_or_b64 exec, exec, s[4:5]
	s_and_saveexec_b64 s[2:3], s[0:1]
	s_cbranch_execz .LBB190_19
.LBB190_23:                             ;   in Loop: Header=BB190_9 Depth=1
	s_waitcnt vmcnt(0)
	v_frexp_mant_f64_e32 v[36:37], v[34:35]
	v_cmp_gt_f64_e64 s[0:1], s[12:13], v[36:37]
	v_cndmask_b32_e64 v3, v45, 2.0, s[0:1]
	v_frexp_exp_i32_f64_e32 v38, v[34:35]
	v_mul_f64 v[36:37], v[36:37], v[2:3]
	v_subbrev_co_u32_e64 v3, s[0:1], 0, v38, s[0:1]
	v_add_f64 v[38:39], v[36:37], 1.0
	v_rcp_f64_e32 v[48:49], v[38:39]
	v_add_f64 v[52:53], v[38:39], -1.0
	v_add_f64 v[50:51], v[36:37], -1.0
	v_add_f64 v[36:37], v[36:37], -v[52:53]
	v_fma_f64 v[52:53], -v[38:39], v[48:49], 1.0
	v_fmac_f64_e32 v[48:49], v[52:53], v[48:49]
	v_fma_f64 v[52:53], -v[38:39], v[48:49], 1.0
	v_fmac_f64_e32 v[48:49], v[52:53], v[48:49]
	v_mul_f64 v[52:53], v[50:51], v[48:49]
	v_mul_f64 v[54:55], v[38:39], v[52:53]
	v_fma_f64 v[38:39], v[52:53], v[38:39], -v[54:55]
	v_fmac_f64_e32 v[38:39], v[52:53], v[36:37]
	v_add_f64 v[36:37], v[54:55], v[38:39]
	v_add_f64 v[56:57], v[50:51], -v[36:37]
	v_add_f64 v[54:55], v[36:37], -v[54:55]
	;; [unrolled: 1-line block ×5, first 2 shown]
	v_add_f64 v[36:37], v[38:39], v[36:37]
	v_add_f64 v[36:37], v[56:57], v[36:37]
	v_mul_f64 v[36:37], v[48:49], v[36:37]
	v_add_f64 v[38:39], v[52:53], v[36:37]
	v_add_f64 v[48:49], v[38:39], -v[52:53]
	v_add_f64 v[36:37], v[36:37], -v[48:49]
	v_mul_f64 v[48:49], v[38:39], v[38:39]
	v_pk_mov_b32 v[50:51], v[20:21], v[20:21] op_sel:[0,1]
	v_fmac_f64_e32 v[50:51], s[18:19], v[48:49]
	v_pk_mov_b32 v[52:53], v[22:23], v[22:23] op_sel:[0,1]
	v_fmac_f64_e32 v[52:53], v[48:49], v[50:51]
	;; [unrolled: 2-line block ×6, first 2 shown]
	v_ldexp_f64 v[50:51], v[38:39], 1
	v_mul_f64 v[38:39], v[38:39], v[48:49]
	v_mul_f64 v[38:39], v[38:39], v[52:53]
	v_add_f64 v[48:49], v[50:51], v[38:39]
	v_add_f64 v[50:51], v[48:49], -v[50:51]
	v_ldexp_f64 v[36:37], v[36:37], 1
	v_add_f64 v[38:39], v[38:39], -v[50:51]
	v_add_f64 v[36:37], v[36:37], v[38:39]
	v_add_f64 v[38:39], v[48:49], v[36:37]
	v_add_f64 v[48:49], v[38:39], -v[48:49]
	v_mul_f64 v[50:51], v[38:39], s[20:21]
	v_add_f64 v[36:37], v[36:37], -v[48:49]
	v_fma_f64 v[52:53], v[38:39], s[20:21], -v[50:51]
	v_fmac_f64_e32 v[52:53], s[20:21], v[36:37]
	v_fmac_f64_e32 v[52:53], s[22:23], v[38:39]
	v_cvt_f64_i32_e32 v[48:49], v3
	v_add_f64 v[36:37], v[50:51], v[52:53]
	v_add_f64 v[38:39], v[36:37], -v[50:51]
	v_add_f64 v[50:51], v[36:37], v[48:49]
	v_add_f64 v[38:39], v[52:53], -v[38:39]
	v_add_f64 v[52:53], v[50:51], -v[48:49]
	;; [unrolled: 1-line block ×3, first 2 shown]
	v_add_f64 v[48:49], v[54:55], v[48:49]
	v_add_f64 v[36:37], v[36:37], -v[52:53]
	v_add_f64 v[36:37], v[36:37], v[48:49]
	v_add_f64 v[36:37], v[38:39], v[36:37]
	;; [unrolled: 1-line block ×3, first 2 shown]
	v_cmp_class_f64_e64 s[0:1], v[34:35], s29
	v_cndmask_b32_e64 v3, v36, v34, s[0:1]
	v_cndmask_b32_e64 v36, v37, v35, s[0:1]
	v_cmp_ngt_f64_e64 s[0:1], 0, v[34:35]
	v_cndmask_b32_e64 v37, v46, v36, s[0:1]
	v_cmp_nge_f64_e64 s[0:1], 0, v[34:35]
	v_cndmask_b32_e64 v36, 0, v3, s[0:1]
	v_cmp_neq_f64_e64 s[0:1], 0, v[34:35]
	v_cndmask_b32_e64 v37, v47, v37, s[0:1]
	v_mov_b32_e32 v3, s15
	v_add_co_u32_e64 v34, s[0:1], s14, v14
	v_addc_co_u32_e64 v35, s[0:1], v13, v3, s[0:1]
	global_store_dwordx2 v[34:35], v[36:37], off
	s_or_b64 exec, exec, s[2:3]
	s_and_saveexec_b64 s[0:1], vcc
	s_cbranch_execz .LBB190_8
.LBB190_24:                             ;   in Loop: Header=BB190_9 Depth=1
	s_waitcnt vmcnt(0)
	v_frexp_mant_f64_e32 v[34:35], v[32:33]
	v_cmp_gt_f64_e32 vcc, s[12:13], v[34:35]
	v_cndmask_b32_e64 v3, v45, 2.0, vcc
	v_frexp_exp_i32_f64_e32 v36, v[32:33]
	v_mul_f64 v[34:35], v[34:35], v[2:3]
	v_subbrev_co_u32_e32 v3, vcc, 0, v36, vcc
	v_add_f64 v[36:37], v[34:35], 1.0
	v_rcp_f64_e32 v[38:39], v[36:37]
	v_add_f64 v[50:51], v[36:37], -1.0
	v_add_f64 v[48:49], v[34:35], -1.0
	v_add_f64 v[34:35], v[34:35], -v[50:51]
	v_fma_f64 v[50:51], -v[36:37], v[38:39], 1.0
	v_fmac_f64_e32 v[38:39], v[50:51], v[38:39]
	v_fma_f64 v[50:51], -v[36:37], v[38:39], 1.0
	v_fmac_f64_e32 v[38:39], v[50:51], v[38:39]
	v_mul_f64 v[50:51], v[48:49], v[38:39]
	v_mul_f64 v[52:53], v[36:37], v[50:51]
	v_fma_f64 v[36:37], v[50:51], v[36:37], -v[52:53]
	v_fmac_f64_e32 v[36:37], v[50:51], v[34:35]
	v_add_f64 v[34:35], v[52:53], v[36:37]
	v_add_f64 v[54:55], v[48:49], -v[34:35]
	v_add_f64 v[52:53], v[34:35], -v[52:53]
	;; [unrolled: 1-line block ×5, first 2 shown]
	v_add_f64 v[34:35], v[36:37], v[34:35]
	v_add_f64 v[34:35], v[54:55], v[34:35]
	v_mul_f64 v[34:35], v[38:39], v[34:35]
	v_add_f64 v[36:37], v[50:51], v[34:35]
	v_add_f64 v[38:39], v[36:37], -v[50:51]
	v_add_f64 v[34:35], v[34:35], -v[38:39]
	v_mul_f64 v[38:39], v[36:37], v[36:37]
	v_pk_mov_b32 v[48:49], v[20:21], v[20:21] op_sel:[0,1]
	v_fmac_f64_e32 v[48:49], s[18:19], v[38:39]
	v_pk_mov_b32 v[50:51], v[22:23], v[22:23] op_sel:[0,1]
	v_fmac_f64_e32 v[50:51], v[38:39], v[48:49]
	;; [unrolled: 2-line block ×6, first 2 shown]
	v_ldexp_f64 v[48:49], v[36:37], 1
	v_mul_f64 v[36:37], v[36:37], v[38:39]
	v_mul_f64 v[36:37], v[36:37], v[50:51]
	v_add_f64 v[38:39], v[48:49], v[36:37]
	v_add_f64 v[48:49], v[38:39], -v[48:49]
	v_ldexp_f64 v[34:35], v[34:35], 1
	v_add_f64 v[36:37], v[36:37], -v[48:49]
	v_add_f64 v[34:35], v[34:35], v[36:37]
	v_add_f64 v[36:37], v[38:39], v[34:35]
	v_add_f64 v[38:39], v[36:37], -v[38:39]
	v_mul_f64 v[48:49], v[36:37], s[20:21]
	v_add_f64 v[34:35], v[34:35], -v[38:39]
	v_fma_f64 v[50:51], v[36:37], s[20:21], -v[48:49]
	v_fmac_f64_e32 v[50:51], s[20:21], v[34:35]
	v_fmac_f64_e32 v[50:51], s[22:23], v[36:37]
	v_cvt_f64_i32_e32 v[38:39], v3
	v_add_f64 v[34:35], v[48:49], v[50:51]
	v_add_f64 v[36:37], v[34:35], -v[48:49]
	v_add_f64 v[48:49], v[34:35], v[38:39]
	v_add_f64 v[36:37], v[50:51], -v[36:37]
	v_add_f64 v[50:51], v[48:49], -v[38:39]
	;; [unrolled: 1-line block ×3, first 2 shown]
	v_add_f64 v[38:39], v[52:53], v[38:39]
	v_add_f64 v[34:35], v[34:35], -v[50:51]
	v_add_f64 v[34:35], v[34:35], v[38:39]
	v_add_f64 v[34:35], v[36:37], v[34:35]
	;; [unrolled: 1-line block ×3, first 2 shown]
	v_cmp_class_f64_e64 vcc, v[32:33], s29
	v_cndmask_b32_e32 v3, v34, v32, vcc
	v_cndmask_b32_e32 v34, v35, v33, vcc
	v_cmp_ngt_f64_e32 vcc, 0, v[32:33]
	v_cndmask_b32_e32 v35, v46, v34, vcc
	v_cmp_nge_f64_e32 vcc, 0, v[32:33]
	v_cndmask_b32_e32 v34, 0, v3, vcc
	v_cmp_neq_f64_e32 vcc, 0, v[32:33]
	v_cndmask_b32_e32 v35, v47, v35, vcc
	v_mov_b32_e32 v3, s15
	v_add_co_u32_e32 v32, vcc, s14, v10
	v_addc_co_u32_e32 v33, vcc, v9, v3, vcc
	global_store_dwordx2 v[32:33], v[34:35], off
	s_branch .LBB190_8
.LBB190_25:
	s_endpgm
	.section	.rodata,"a",@progbits
	.p2align	6, 0x0
	.amdhsa_kernel _ZN2at6native12_GLOBAL__N_125multi_tensor_apply_kernelINS1_18TensorListMetadataILi2EEENS1_14UnaryOpFunctorIdLi2ELi1ELi1EEEJNS0_4Log2IdEEEEEvT_T0_DpT1_
		.amdhsa_group_segment_fixed_size 0
		.amdhsa_private_segment_fixed_size 0
		.amdhsa_kernarg_size 3408
		.amdhsa_user_sgpr_count 6
		.amdhsa_user_sgpr_private_segment_buffer 1
		.amdhsa_user_sgpr_dispatch_ptr 0
		.amdhsa_user_sgpr_queue_ptr 0
		.amdhsa_user_sgpr_kernarg_segment_ptr 1
		.amdhsa_user_sgpr_dispatch_id 0
		.amdhsa_user_sgpr_flat_scratch_init 0
		.amdhsa_user_sgpr_kernarg_preload_length 0
		.amdhsa_user_sgpr_kernarg_preload_offset 0
		.amdhsa_user_sgpr_private_segment_size 0
		.amdhsa_uses_dynamic_stack 0
		.amdhsa_system_sgpr_private_segment_wavefront_offset 0
		.amdhsa_system_sgpr_workgroup_id_x 1
		.amdhsa_system_sgpr_workgroup_id_y 0
		.amdhsa_system_sgpr_workgroup_id_z 0
		.amdhsa_system_sgpr_workgroup_info 0
		.amdhsa_system_vgpr_workitem_id 0
		.amdhsa_next_free_vgpr 64
		.amdhsa_next_free_sgpr 54
		.amdhsa_accum_offset 64
		.amdhsa_reserve_vcc 1
		.amdhsa_reserve_flat_scratch 0
		.amdhsa_float_round_mode_32 0
		.amdhsa_float_round_mode_16_64 0
		.amdhsa_float_denorm_mode_32 3
		.amdhsa_float_denorm_mode_16_64 3
		.amdhsa_dx10_clamp 1
		.amdhsa_ieee_mode 1
		.amdhsa_fp16_overflow 0
		.amdhsa_tg_split 0
		.amdhsa_exception_fp_ieee_invalid_op 0
		.amdhsa_exception_fp_denorm_src 0
		.amdhsa_exception_fp_ieee_div_zero 0
		.amdhsa_exception_fp_ieee_overflow 0
		.amdhsa_exception_fp_ieee_underflow 0
		.amdhsa_exception_fp_ieee_inexact 0
		.amdhsa_exception_int_div_zero 0
	.end_amdhsa_kernel
	.section	.text._ZN2at6native12_GLOBAL__N_125multi_tensor_apply_kernelINS1_18TensorListMetadataILi2EEENS1_14UnaryOpFunctorIdLi2ELi1ELi1EEEJNS0_4Log2IdEEEEEvT_T0_DpT1_,"axG",@progbits,_ZN2at6native12_GLOBAL__N_125multi_tensor_apply_kernelINS1_18TensorListMetadataILi2EEENS1_14UnaryOpFunctorIdLi2ELi1ELi1EEEJNS0_4Log2IdEEEEEvT_T0_DpT1_,comdat
.Lfunc_end190:
	.size	_ZN2at6native12_GLOBAL__N_125multi_tensor_apply_kernelINS1_18TensorListMetadataILi2EEENS1_14UnaryOpFunctorIdLi2ELi1ELi1EEEJNS0_4Log2IdEEEEEvT_T0_DpT1_, .Lfunc_end190-_ZN2at6native12_GLOBAL__N_125multi_tensor_apply_kernelINS1_18TensorListMetadataILi2EEENS1_14UnaryOpFunctorIdLi2ELi1ELi1EEEJNS0_4Log2IdEEEEEvT_T0_DpT1_
                                        ; -- End function
	.section	.AMDGPU.csdata,"",@progbits
; Kernel info:
; codeLenInByte = 6076
; NumSgprs: 58
; NumVgprs: 64
; NumAgprs: 0
; TotalNumVgprs: 64
; ScratchSize: 0
; MemoryBound: 0
; FloatMode: 240
; IeeeMode: 1
; LDSByteSize: 0 bytes/workgroup (compile time only)
; SGPRBlocks: 7
; VGPRBlocks: 7
; NumSGPRsForWavesPerEU: 58
; NumVGPRsForWavesPerEU: 64
; AccumOffset: 64
; Occupancy: 8
; WaveLimiterHint : 0
; COMPUTE_PGM_RSRC2:SCRATCH_EN: 0
; COMPUTE_PGM_RSRC2:USER_SGPR: 6
; COMPUTE_PGM_RSRC2:TRAP_HANDLER: 0
; COMPUTE_PGM_RSRC2:TGID_X_EN: 1
; COMPUTE_PGM_RSRC2:TGID_Y_EN: 0
; COMPUTE_PGM_RSRC2:TGID_Z_EN: 0
; COMPUTE_PGM_RSRC2:TIDIG_COMP_CNT: 0
; COMPUTE_PGM_RSRC3_GFX90A:ACCUM_OFFSET: 15
; COMPUTE_PGM_RSRC3_GFX90A:TG_SPLIT: 0
	.section	.text._ZN2at6native12_GLOBAL__N_125multi_tensor_apply_kernelINS1_18TensorListMetadataILi2EEENS1_14UnaryOpFunctorIfLi2ELi1ELi1EEEJNS0_4Log2IfEEEEEvT_T0_DpT1_,"axG",@progbits,_ZN2at6native12_GLOBAL__N_125multi_tensor_apply_kernelINS1_18TensorListMetadataILi2EEENS1_14UnaryOpFunctorIfLi2ELi1ELi1EEEJNS0_4Log2IfEEEEEvT_T0_DpT1_,comdat
	.globl	_ZN2at6native12_GLOBAL__N_125multi_tensor_apply_kernelINS1_18TensorListMetadataILi2EEENS1_14UnaryOpFunctorIfLi2ELi1ELi1EEEJNS0_4Log2IfEEEEEvT_T0_DpT1_ ; -- Begin function _ZN2at6native12_GLOBAL__N_125multi_tensor_apply_kernelINS1_18TensorListMetadataILi2EEENS1_14UnaryOpFunctorIfLi2ELi1ELi1EEEJNS0_4Log2IfEEEEEvT_T0_DpT1_
	.p2align	8
	.type	_ZN2at6native12_GLOBAL__N_125multi_tensor_apply_kernelINS1_18TensorListMetadataILi2EEENS1_14UnaryOpFunctorIfLi2ELi1ELi1EEEJNS0_4Log2IfEEEEEvT_T0_DpT1_,@function
_ZN2at6native12_GLOBAL__N_125multi_tensor_apply_kernelINS1_18TensorListMetadataILi2EEENS1_14UnaryOpFunctorIfLi2ELi1ELi1EEEJNS0_4Log2IfEEEEEvT_T0_DpT1_: ; @_ZN2at6native12_GLOBAL__N_125multi_tensor_apply_kernelINS1_18TensorListMetadataILi2EEENS1_14UnaryOpFunctorIfLi2ELi1ELi1EEEJNS0_4Log2IfEEEEEvT_T0_DpT1_
; %bb.0:
	v_mov_b32_e32 v1, s6
	global_load_ubyte v1, v1, s[4:5] offset:1536
	s_add_u32 s0, s4, s6
	s_mul_hi_u32 s2, s6, 3
	s_mul_i32 s6, s6, 3
	s_addc_u32 s7, s5, 0
	s_add_u32 s6, s0, s6
	s_addc_u32 s7, s7, s2
	s_mov_b32 s1, 0
	s_mov_b32 s3, s1
	s_waitcnt vmcnt(0)
	v_readfirstlane_b32 s0, v1
	s_lshl_b32 s0, s0, 3
	s_load_dword s10, s[6:7], 0x740
	s_load_dwordx2 s[16:17], s[4:5], s0 offset:0x0
	s_load_dwordx2 s[12:13], s[4:5], s0 offset:0x400
	;; [unrolled: 1-line block ×3, first 2 shown]
	s_mov_b32 s7, s1
	s_waitcnt lgkmcnt(0)
	s_ashr_i32 s11, s10, 31
	s_and_b32 s0, s16, 15
	s_and_b32 s6, s12, 3
	;; [unrolled: 1-line block ×3, first 2 shown]
	s_or_b64 s[6:7], s[0:1], s[6:7]
	s_lshl_b64 s[8:9], s[10:11], 18
	s_or_b64 s[2:3], s[2:3], s[6:7]
	s_lshl_b64 s[6:7], s[10:11], 16
	s_sub_u32 s10, s12, s6
	s_subb_u32 s11, s13, s7
	s_cmp_eq_u64 s[2:3], 0
	s_mov_b64 s[2:3], -1
	s_cbranch_scc0 .LBB191_5
; %bb.1:
	v_mov_b32_e32 v3, 0
	v_lshlrev_b32_e32 v2, 2, v0
	v_cmp_gt_i64_e32 vcc, s[10:11], v[2:3]
	s_and_saveexec_b64 s[12:13], vcc
	s_cbranch_execz .LBB191_4
; %bb.2:
	s_load_dword s0, s[4:5], 0xc5c
	v_lshlrev_b32_e32 v1, 4, v0
	v_mov_b32_e32 v4, s9
	v_add_co_u32_e32 v1, vcc, s8, v1
	v_addc_co_u32_e32 v5, vcc, 0, v4, vcc
	s_waitcnt lgkmcnt(0)
	s_and_b32 s0, s0, 0xffff
	v_add_co_u32_e32 v4, vcc, 8, v1
	v_add_lshl_u32 v2, v0, s0, 2
	s_lshl_b32 s22, s0, 2
	v_addc_co_u32_e32 v1, vcc, 0, v5, vcc
	s_lshl_b32 s23, s0, 4
	s_mov_b64 s[18:19], 0
	v_mov_b32_e32 v5, s17
	v_mov_b32_e32 v6, s15
	s_mov_b32 s24, 0x800000
	v_mov_b32_e32 v7, 0x4f800000
	v_mov_b32_e32 v8, 0x42000000
	s_mov_b64 s[20:21], 0xffff
	v_mov_b32_e32 v9, s1
	v_mov_b32_e32 v10, s1
.LBB191_3:                              ; =>This Inner Loop Header: Depth=1
	v_add_co_u32_e32 v12, vcc, s16, v4
	v_addc_co_u32_e32 v13, vcc, v5, v1, vcc
	global_load_dwordx4 v[12:15], v[12:13], off offset:-8
	v_add_co_u32_e32 v16, vcc, s14, v4
	v_addc_co_u32_e32 v17, vcc, v6, v1, vcc
	v_cmp_le_i64_e32 vcc, s[10:11], v[2:3]
	v_cmp_lt_u64_e64 s[0:1], s[20:21], v[2:3]
	v_add_co_u32_e64 v2, s[2:3], s22, v2
	v_addc_co_u32_e64 v3, s[2:3], v3, v9, s[2:3]
	v_add_co_u32_e64 v4, s[2:3], s23, v4
	s_or_b64 s[0:1], vcc, s[0:1]
	v_addc_co_u32_e64 v1, s[2:3], v1, v10, s[2:3]
	s_and_b64 s[0:1], exec, s[0:1]
	s_or_b64 s[18:19], s[0:1], s[18:19]
	s_waitcnt vmcnt(0)
	v_cmp_gt_f32_e32 vcc, s24, v13
	v_cmp_gt_f32_e64 s[0:1], s24, v12
	v_cmp_gt_f32_e64 s[2:3], s24, v15
	;; [unrolled: 1-line block ×3, first 2 shown]
	v_cndmask_b32_e32 v11, 1.0, v7, vcc
	v_cndmask_b32_e64 v18, 1.0, v7, s[0:1]
	v_cndmask_b32_e64 v19, 1.0, v7, s[2:3]
	;; [unrolled: 1-line block ×3, first 2 shown]
	v_mul_f32_e32 v11, v13, v11
	v_mul_f32_e32 v12, v12, v18
	;; [unrolled: 1-line block ×4, first 2 shown]
	v_log_f32_e32 v11, v11
	v_log_f32_e32 v12, v12
	;; [unrolled: 1-line block ×4, first 2 shown]
	v_cndmask_b32_e32 v13, 0, v8, vcc
	v_cndmask_b32_e64 v18, 0, v8, s[0:1]
	v_cndmask_b32_e64 v19, 0, v8, s[2:3]
	;; [unrolled: 1-line block ×3, first 2 shown]
	v_sub_f32_e32 v13, v11, v13
	v_sub_f32_e32 v12, v12, v18
	;; [unrolled: 1-line block ×4, first 2 shown]
	global_store_dwordx4 v[16:17], v[12:15], off offset:-8
	s_andn2_b64 exec, exec, s[18:19]
	s_cbranch_execnz .LBB191_3
.LBB191_4:
	s_or_b64 exec, exec, s[12:13]
	s_mov_b64 s[2:3], 0
.LBB191_5:
	s_andn2_b64 vcc, exec, s[2:3]
	s_cbranch_vccnz .LBB191_25
; %bb.6:
	v_cmp_lt_i64_e64 s[0:1], s[10:11], 1
	s_and_b64 vcc, exec, s[0:1]
	s_cbranch_vccnz .LBB191_25
; %bb.7:
	s_load_dword s0, s[4:5], 0xc5c
	v_mov_b32_e32 v2, 0x10000
	v_mov_b32_e32 v3, 0
	v_cmp_lt_u64_e32 vcc, s[10:11], v[2:3]
	v_lshlrev_b32_e32 v10, 2, v0
	s_waitcnt lgkmcnt(0)
	s_and_b32 s2, s0, 0xffff
	s_and_b64 s[0:1], vcc, exec
	v_mov_b32_e32 v13, s17
	v_add_co_u32_e32 v2, vcc, s16, v10
	v_addc_co_u32_e32 v1, vcc, 0, v13, vcc
	v_mov_b32_e32 v11, 0
	v_mov_b32_e32 v15, s15
	v_add_co_u32_e32 v4, vcc, s14, v10
	v_addc_co_u32_e32 v3, vcc, 0, v15, vcc
	v_mad_u64_u32 v[8:9], s[0:1], s2, 12, v[10:11]
	v_add_co_u32_e32 v6, vcc, s16, v8
	v_addc_co_u32_e32 v5, vcc, v13, v9, vcc
	v_add_co_u32_e32 v8, vcc, s14, v8
	s_mul_i32 s4, s2, 3
	v_addc_co_u32_e32 v7, vcc, v15, v9, vcc
	v_add_co_u32_e32 v17, vcc, s4, v0
	v_addc_co_u32_e64 v18, s[0:1], 0, 0, vcc
	s_cselect_b32 s13, s11, 0
	s_cselect_b32 s12, s10, 0x10000
	s_lshl_b32 s0, s2, 3
	v_add_co_u32_e32 v11, vcc, s0, v10
	v_addc_co_u32_e64 v14, s[0:1], 0, 0, vcc
	v_add_co_u32_e32 v10, vcc, s16, v11
	v_addc_co_u32_e32 v9, vcc, v13, v14, vcc
	v_add_co_u32_e32 v12, vcc, s14, v11
	s_lshl_b32 s3, s2, 1
	v_addc_co_u32_e32 v11, vcc, v15, v14, vcc
	v_add_co_u32_e32 v19, vcc, s3, v0
	v_addc_co_u32_e64 v20, s[0:1], 0, 0, vcc
	v_add_co_u32_e32 v21, vcc, s2, v0
	v_lshlrev_b32_e32 v16, 2, v21
	v_addc_co_u32_e64 v22, s[0:1], 0, 0, vcc
	v_add_co_u32_e32 v14, vcc, s16, v16
	v_addc_co_u32_e32 v13, vcc, 0, v13, vcc
	v_add_co_u32_e32 v16, vcc, s14, v16
	s_mov_b32 s18, 0
	s_lshl_b32 s19, s2, 2
	s_lshl_b32 s20, s2, 4
	v_addc_co_u32_e32 v15, vcc, 0, v15, vcc
	s_mov_b64 s[14:15], 0
	s_mov_b32 s21, 0x800000
	v_mov_b32_e32 v23, 0x42000000
	v_mov_b32_e32 v24, 0x4f800000
	s_branch .LBB191_9
.LBB191_8:                              ;   in Loop: Header=BB191_9 Depth=1
	s_or_b64 exec, exec, s[0:1]
	s_add_u32 s14, s14, s19
	s_addc_u32 s15, s15, 0
	s_waitcnt vmcnt(0)
	v_pk_mov_b32 v[26:27], s[10:11], s[10:11] op_sel:[0,1]
	v_cmp_ge_i64_e32 vcc, s[14:15], v[26:27]
	v_mov_b32_e32 v26, 0xffff
	v_mov_b32_e32 v27, 0
	v_cmp_gt_u64_e64 s[0:1], s[14:15], v[26:27]
	s_or_b64 s[0:1], vcc, s[0:1]
	v_mov_b32_e32 v25, s18
	v_add_co_u32_e32 v2, vcc, s20, v2
	v_addc_co_u32_e32 v1, vcc, v1, v25, vcc
	v_add_co_u32_e32 v4, vcc, s20, v4
	v_addc_co_u32_e32 v3, vcc, v3, v25, vcc
	;; [unrolled: 2-line block ×8, first 2 shown]
	s_and_b64 vcc, exec, s[0:1]
	s_cbranch_vccnz .LBB191_25
.LBB191_9:                              ; =>This Inner Loop Header: Depth=1
	v_mov_b32_e32 v25, s15
	v_add_co_u32_e32 v26, vcc, s14, v0
	v_addc_co_u32_e32 v27, vcc, 0, v25, vcc
	v_cmp_gt_u64_e32 vcc, s[12:13], v[26:27]
	v_mov_b32_e32 v26, 0
	s_and_saveexec_b64 s[2:3], vcc
	s_cbranch_execz .LBB191_11
; %bb.10:                               ;   in Loop: Header=BB191_9 Depth=1
	v_mov_b32_e32 v25, s9
	v_add_co_u32_e64 v26, s[0:1], s8, v2
	v_addc_co_u32_e64 v27, s[0:1], v1, v25, s[0:1]
	global_load_dword v26, v[26:27], off
.LBB191_11:                             ;   in Loop: Header=BB191_9 Depth=1
	s_or_b64 exec, exec, s[2:3]
	v_mov_b32_e32 v25, s15
	v_add_co_u32_e64 v28, s[0:1], s14, v21
	v_addc_co_u32_e64 v29, s[0:1], v22, v25, s[0:1]
	v_cmp_gt_u64_e64 s[0:1], s[12:13], v[28:29]
	v_mov_b32_e32 v27, 0
	s_and_saveexec_b64 s[4:5], s[0:1]
	s_cbranch_execz .LBB191_13
; %bb.12:                               ;   in Loop: Header=BB191_9 Depth=1
	v_mov_b32_e32 v25, s9
	v_add_co_u32_e64 v28, s[2:3], s8, v14
	v_addc_co_u32_e64 v29, s[2:3], v13, v25, s[2:3]
	global_load_dword v27, v[28:29], off
.LBB191_13:                             ;   in Loop: Header=BB191_9 Depth=1
	s_or_b64 exec, exec, s[4:5]
	v_mov_b32_e32 v25, s15
	v_add_co_u32_e64 v28, s[2:3], s14, v19
	v_addc_co_u32_e64 v29, s[2:3], v20, v25, s[2:3]
	v_cmp_gt_u64_e64 s[2:3], s[12:13], v[28:29]
	v_mov_b32_e32 v25, 0
	v_mov_b32_e32 v28, 0
	s_and_saveexec_b64 s[6:7], s[2:3]
	s_cbranch_execz .LBB191_15
; %bb.14:                               ;   in Loop: Header=BB191_9 Depth=1
	v_mov_b32_e32 v29, s9
	v_add_co_u32_e64 v28, s[4:5], s8, v10
	v_addc_co_u32_e64 v29, s[4:5], v9, v29, s[4:5]
	global_load_dword v28, v[28:29], off
.LBB191_15:                             ;   in Loop: Header=BB191_9 Depth=1
	s_or_b64 exec, exec, s[6:7]
	v_mov_b32_e32 v29, s15
	v_add_co_u32_e64 v30, s[4:5], s14, v17
	v_addc_co_u32_e64 v31, s[4:5], v18, v29, s[4:5]
	v_cmp_gt_u64_e64 s[4:5], s[12:13], v[30:31]
	s_and_saveexec_b64 s[16:17], s[4:5]
	s_cbranch_execnz .LBB191_20
; %bb.16:                               ;   in Loop: Header=BB191_9 Depth=1
	s_or_b64 exec, exec, s[16:17]
	s_and_saveexec_b64 s[6:7], vcc
	s_cbranch_execnz .LBB191_21
.LBB191_17:                             ;   in Loop: Header=BB191_9 Depth=1
	s_or_b64 exec, exec, s[6:7]
	s_and_saveexec_b64 s[6:7], s[0:1]
	s_cbranch_execnz .LBB191_22
.LBB191_18:                             ;   in Loop: Header=BB191_9 Depth=1
	s_or_b64 exec, exec, s[6:7]
	s_and_saveexec_b64 s[0:1], s[2:3]
	s_cbranch_execnz .LBB191_23
.LBB191_19:                             ;   in Loop: Header=BB191_9 Depth=1
	s_or_b64 exec, exec, s[0:1]
	s_and_saveexec_b64 s[0:1], s[4:5]
	s_cbranch_execz .LBB191_8
	s_branch .LBB191_24
.LBB191_20:                             ;   in Loop: Header=BB191_9 Depth=1
	v_mov_b32_e32 v25, s9
	v_add_co_u32_e64 v30, s[6:7], s8, v6
	v_addc_co_u32_e64 v31, s[6:7], v5, v25, s[6:7]
	global_load_dword v25, v[30:31], off
	s_or_b64 exec, exec, s[16:17]
	s_and_saveexec_b64 s[6:7], vcc
	s_cbranch_execz .LBB191_17
.LBB191_21:                             ;   in Loop: Header=BB191_9 Depth=1
	s_waitcnt vmcnt(0)
	v_cmp_gt_f32_e32 vcc, s21, v26
	v_cndmask_b32_e32 v30, 1.0, v24, vcc
	v_mul_f32_e32 v26, v26, v30
	v_log_f32_e32 v26, v26
	v_mov_b32_e32 v29, s9
	v_cndmask_b32_e32 v32, 0, v23, vcc
	v_add_co_u32_e32 v30, vcc, s8, v4
	v_addc_co_u32_e32 v31, vcc, v3, v29, vcc
	v_sub_f32_e32 v26, v26, v32
	global_store_dword v[30:31], v26, off
	s_or_b64 exec, exec, s[6:7]
	s_and_saveexec_b64 s[6:7], s[0:1]
	s_cbranch_execz .LBB191_18
.LBB191_22:                             ;   in Loop: Header=BB191_9 Depth=1
	s_waitcnt vmcnt(0)
	v_cmp_gt_f32_e32 vcc, s21, v27
	v_cndmask_b32_e32 v29, 1.0, v24, vcc
	v_mul_f32_e32 v27, v27, v29
	v_log_f32_e32 v27, v27
	v_cndmask_b32_e32 v26, 0, v23, vcc
	v_mov_b32_e32 v29, s9
	v_sub_f32_e32 v30, v27, v26
	v_add_co_u32_e32 v26, vcc, s8, v16
	v_addc_co_u32_e32 v27, vcc, v15, v29, vcc
	global_store_dword v[26:27], v30, off
	s_or_b64 exec, exec, s[6:7]
	s_and_saveexec_b64 s[0:1], s[2:3]
	s_cbranch_execz .LBB191_19
.LBB191_23:                             ;   in Loop: Header=BB191_9 Depth=1
	s_waitcnt vmcnt(0)
	v_cmp_gt_f32_e32 vcc, s21, v28
	v_cndmask_b32_e32 v27, 1.0, v24, vcc
	v_mul_f32_e32 v27, v28, v27
	v_log_f32_e32 v27, v27
	v_cndmask_b32_e32 v26, 0, v23, vcc
	v_mov_b32_e32 v28, s9
	v_sub_f32_e32 v29, v27, v26
	v_add_co_u32_e32 v26, vcc, s8, v12
	v_addc_co_u32_e32 v27, vcc, v11, v28, vcc
	global_store_dword v[26:27], v29, off
	s_or_b64 exec, exec, s[0:1]
	s_and_saveexec_b64 s[0:1], s[4:5]
	s_cbranch_execz .LBB191_8
.LBB191_24:                             ;   in Loop: Header=BB191_9 Depth=1
	s_waitcnt vmcnt(0)
	v_cmp_gt_f32_e32 vcc, s21, v25
	v_cndmask_b32_e32 v27, 1.0, v24, vcc
	v_mul_f32_e32 v25, v25, v27
	v_log_f32_e32 v25, v25
	v_cndmask_b32_e32 v26, 0, v23, vcc
	v_mov_b32_e32 v27, s9
	v_sub_f32_e32 v25, v25, v26
	v_add_co_u32_e32 v26, vcc, s8, v8
	v_addc_co_u32_e32 v27, vcc, v7, v27, vcc
	global_store_dword v[26:27], v25, off
	s_branch .LBB191_8
.LBB191_25:
	s_endpgm
	.section	.rodata,"a",@progbits
	.p2align	6, 0x0
	.amdhsa_kernel _ZN2at6native12_GLOBAL__N_125multi_tensor_apply_kernelINS1_18TensorListMetadataILi2EEENS1_14UnaryOpFunctorIfLi2ELi1ELi1EEEJNS0_4Log2IfEEEEEvT_T0_DpT1_
		.amdhsa_group_segment_fixed_size 0
		.amdhsa_private_segment_fixed_size 0
		.amdhsa_kernarg_size 3408
		.amdhsa_user_sgpr_count 6
		.amdhsa_user_sgpr_private_segment_buffer 1
		.amdhsa_user_sgpr_dispatch_ptr 0
		.amdhsa_user_sgpr_queue_ptr 0
		.amdhsa_user_sgpr_kernarg_segment_ptr 1
		.amdhsa_user_sgpr_dispatch_id 0
		.amdhsa_user_sgpr_flat_scratch_init 0
		.amdhsa_user_sgpr_kernarg_preload_length 0
		.amdhsa_user_sgpr_kernarg_preload_offset 0
		.amdhsa_user_sgpr_private_segment_size 0
		.amdhsa_uses_dynamic_stack 0
		.amdhsa_system_sgpr_private_segment_wavefront_offset 0
		.amdhsa_system_sgpr_workgroup_id_x 1
		.amdhsa_system_sgpr_workgroup_id_y 0
		.amdhsa_system_sgpr_workgroup_id_z 0
		.amdhsa_system_sgpr_workgroup_info 0
		.amdhsa_system_vgpr_workitem_id 0
		.amdhsa_next_free_vgpr 33
		.amdhsa_next_free_sgpr 25
		.amdhsa_accum_offset 36
		.amdhsa_reserve_vcc 1
		.amdhsa_reserve_flat_scratch 0
		.amdhsa_float_round_mode_32 0
		.amdhsa_float_round_mode_16_64 0
		.amdhsa_float_denorm_mode_32 3
		.amdhsa_float_denorm_mode_16_64 3
		.amdhsa_dx10_clamp 1
		.amdhsa_ieee_mode 1
		.amdhsa_fp16_overflow 0
		.amdhsa_tg_split 0
		.amdhsa_exception_fp_ieee_invalid_op 0
		.amdhsa_exception_fp_denorm_src 0
		.amdhsa_exception_fp_ieee_div_zero 0
		.amdhsa_exception_fp_ieee_overflow 0
		.amdhsa_exception_fp_ieee_underflow 0
		.amdhsa_exception_fp_ieee_inexact 0
		.amdhsa_exception_int_div_zero 0
	.end_amdhsa_kernel
	.section	.text._ZN2at6native12_GLOBAL__N_125multi_tensor_apply_kernelINS1_18TensorListMetadataILi2EEENS1_14UnaryOpFunctorIfLi2ELi1ELi1EEEJNS0_4Log2IfEEEEEvT_T0_DpT1_,"axG",@progbits,_ZN2at6native12_GLOBAL__N_125multi_tensor_apply_kernelINS1_18TensorListMetadataILi2EEENS1_14UnaryOpFunctorIfLi2ELi1ELi1EEEJNS0_4Log2IfEEEEEvT_T0_DpT1_,comdat
.Lfunc_end191:
	.size	_ZN2at6native12_GLOBAL__N_125multi_tensor_apply_kernelINS1_18TensorListMetadataILi2EEENS1_14UnaryOpFunctorIfLi2ELi1ELi1EEEJNS0_4Log2IfEEEEEvT_T0_DpT1_, .Lfunc_end191-_ZN2at6native12_GLOBAL__N_125multi_tensor_apply_kernelINS1_18TensorListMetadataILi2EEENS1_14UnaryOpFunctorIfLi2ELi1ELi1EEEJNS0_4Log2IfEEEEEvT_T0_DpT1_
                                        ; -- End function
	.section	.AMDGPU.csdata,"",@progbits
; Kernel info:
; codeLenInByte = 1492
; NumSgprs: 29
; NumVgprs: 33
; NumAgprs: 0
; TotalNumVgprs: 33
; ScratchSize: 0
; MemoryBound: 0
; FloatMode: 240
; IeeeMode: 1
; LDSByteSize: 0 bytes/workgroup (compile time only)
; SGPRBlocks: 3
; VGPRBlocks: 4
; NumSGPRsForWavesPerEU: 29
; NumVGPRsForWavesPerEU: 33
; AccumOffset: 36
; Occupancy: 8
; WaveLimiterHint : 0
; COMPUTE_PGM_RSRC2:SCRATCH_EN: 0
; COMPUTE_PGM_RSRC2:USER_SGPR: 6
; COMPUTE_PGM_RSRC2:TRAP_HANDLER: 0
; COMPUTE_PGM_RSRC2:TGID_X_EN: 1
; COMPUTE_PGM_RSRC2:TGID_Y_EN: 0
; COMPUTE_PGM_RSRC2:TGID_Z_EN: 0
; COMPUTE_PGM_RSRC2:TIDIG_COMP_CNT: 0
; COMPUTE_PGM_RSRC3_GFX90A:ACCUM_OFFSET: 8
; COMPUTE_PGM_RSRC3_GFX90A:TG_SPLIT: 0
	.section	.text._ZN2at6native12_GLOBAL__N_125multi_tensor_apply_kernelINS1_18TensorListMetadataILi2EEENS1_14UnaryOpFunctorIN3c107complexIdEELi2ELi1ELi1EEEJNS0_4Log2IS8_EEEEEvT_T0_DpT1_,"axG",@progbits,_ZN2at6native12_GLOBAL__N_125multi_tensor_apply_kernelINS1_18TensorListMetadataILi2EEENS1_14UnaryOpFunctorIN3c107complexIdEELi2ELi1ELi1EEEJNS0_4Log2IS8_EEEEEvT_T0_DpT1_,comdat
	.globl	_ZN2at6native12_GLOBAL__N_125multi_tensor_apply_kernelINS1_18TensorListMetadataILi2EEENS1_14UnaryOpFunctorIN3c107complexIdEELi2ELi1ELi1EEEJNS0_4Log2IS8_EEEEEvT_T0_DpT1_ ; -- Begin function _ZN2at6native12_GLOBAL__N_125multi_tensor_apply_kernelINS1_18TensorListMetadataILi2EEENS1_14UnaryOpFunctorIN3c107complexIdEELi2ELi1ELi1EEEJNS0_4Log2IS8_EEEEEvT_T0_DpT1_
	.p2align	8
	.type	_ZN2at6native12_GLOBAL__N_125multi_tensor_apply_kernelINS1_18TensorListMetadataILi2EEENS1_14UnaryOpFunctorIN3c107complexIdEELi2ELi1ELi1EEEJNS0_4Log2IS8_EEEEEvT_T0_DpT1_,@function
_ZN2at6native12_GLOBAL__N_125multi_tensor_apply_kernelINS1_18TensorListMetadataILi2EEENS1_14UnaryOpFunctorIN3c107complexIdEELi2ELi1ELi1EEEJNS0_4Log2IS8_EEEEEvT_T0_DpT1_: ; @_ZN2at6native12_GLOBAL__N_125multi_tensor_apply_kernelINS1_18TensorListMetadataILi2EEENS1_14UnaryOpFunctorIN3c107complexIdEELi2ELi1ELi1EEEJNS0_4Log2IS8_EEEEEvT_T0_DpT1_
; %bb.0:
	v_mov_b32_e32 v1, s6
	global_load_ubyte v1, v1, s[4:5] offset:1536
	s_add_u32 s0, s4, s6
	s_mul_hi_u32 s3, s6, 3
	s_mul_i32 s6, s6, 3
	s_addc_u32 s7, s5, 0
	s_add_u32 s2, s0, s6
	s_addc_u32 s3, s7, s3
	s_load_dword s2, s[2:3], 0x740
	s_mov_b32 s9, 0
	s_mov_b32 s1, s9
	s_waitcnt lgkmcnt(0)
	s_ashr_i32 s3, s2, 31
	s_lshl_b64 s[14:15], s[2:3], 20
	s_waitcnt vmcnt(0)
	v_readfirstlane_b32 s0, v1
	s_lshl_b32 s0, s0, 3
	s_load_dwordx2 s[6:7], s[4:5], s0 offset:0x0
	s_load_dwordx2 s[10:11], s[4:5], s0 offset:0x400
	;; [unrolled: 1-line block ×3, first 2 shown]
	s_waitcnt lgkmcnt(0)
	s_add_u32 s33, s6, s14
	s_addc_u32 s68, s7, s15
	s_add_u32 s69, s12, s14
	s_addc_u32 s70, s13, s15
	s_and_b32 s0, s33, 63
	s_and_b32 s6, s10, 3
	s_mov_b32 s7, s9
	s_and_b32 s8, s69, 63
	s_or_b64 s[0:1], s[0:1], s[6:7]
	s_lshl_b64 s[2:3], s[2:3], 16
	s_or_b64 s[0:1], s[8:9], s[0:1]
	s_sub_u32 s14, s10, s2
	s_subb_u32 s15, s11, s3
	s_cmp_eq_u64 s[0:1], 0
	s_mov_b64 s[0:1], -1
	s_cbranch_scc0 .LBB192_141
; %bb.1:
	v_mov_b32_e32 v18, 0
	v_lshlrev_b32_e32 v2, 2, v0
	v_mov_b32_e32 v3, v18
	v_cmp_gt_i64_e32 vcc, s[14:15], v[2:3]
	s_and_saveexec_b64 s[10:11], vcc
	s_cbranch_execz .LBB192_140
; %bb.2:
	s_load_dword s0, s[4:5], 0xc5c
	v_mov_b32_e32 v1, v18
	s_mov_b32 s16, 0x85ebc8a0
	s_mov_b32 s18, 0x4ad4b81f
	;; [unrolled: 1-line block ×15, first 2 shown]
	s_mov_b64 s[12:13], 0
	v_mov_b32_e32 v106, s68
	s_brev_b32 s8, -2
	s_waitcnt lgkmcnt(0)
	s_and_b32 s66, s0, 0xffff
	s_mov_b32 s17, 0x7fd1ccf3
	s_mov_b32 s19, 0x358dee7a
	;; [unrolled: 1-line block ×9, first 2 shown]
	s_movk_i32 s67, 0x204
	s_mov_b32 s37, 0x3ff921fb
	s_mov_b32 s39, 0x400921fb
	;; [unrolled: 1-line block ×5, first 2 shown]
	s_brev_b32 s47, 4
	s_mov_b32 s49, 0x3ff71547
	s_mov_b64 s[50:51], 0xffff
	v_mov_b32_e32 v20, 0x6b47b09a
	v_mov_b32_e32 v21, 0x3fc38538
	;; [unrolled: 1-line block ×58, first 2 shown]
	v_pk_mov_b32 v[70:71], v[0:1], v[0:1] op_sel:[0,1]
	s_branch .LBB192_5
.LBB192_3:                              ;   in Loop: Header=BB192_5 Depth=1
	s_or_b64 exec, exec, s[2:3]
	v_frexp_mant_f64_e32 v[2:3], v[82:83]
	v_cmp_gt_f64_e32 vcc, s[22:23], v[2:3]
	v_cndmask_b32_e64 v19, v113, 2.0, vcc
	v_mul_f64 v[2:3], v[2:3], v[18:19]
	v_add_f64 v[14:15], v[2:3], 1.0
	v_rcp_f64_e32 v[84:85], v[14:15]
	v_add_f64 v[88:89], v[14:15], -1.0
	v_add_f64 v[86:87], v[2:3], -1.0
	v_add_f64 v[2:3], v[2:3], -v[88:89]
	v_fma_f64 v[88:89], -v[14:15], v[84:85], 1.0
	v_fmac_f64_e32 v[84:85], v[88:89], v[84:85]
	v_fma_f64 v[88:89], -v[14:15], v[84:85], 1.0
	v_fmac_f64_e32 v[84:85], v[88:89], v[84:85]
	v_mul_f64 v[88:89], v[86:87], v[84:85]
	v_mul_f64 v[90:91], v[14:15], v[88:89]
	v_fma_f64 v[14:15], v[88:89], v[14:15], -v[90:91]
	v_fmac_f64_e32 v[14:15], v[88:89], v[2:3]
	v_add_f64 v[2:3], v[90:91], v[14:15]
	v_add_f64 v[92:93], v[86:87], -v[2:3]
	v_add_f64 v[90:91], v[2:3], -v[90:91]
	;; [unrolled: 1-line block ×5, first 2 shown]
	v_add_f64 v[2:3], v[14:15], v[2:3]
	v_add_f64 v[2:3], v[92:93], v[2:3]
	v_mul_f64 v[2:3], v[84:85], v[2:3]
	v_add_f64 v[14:15], v[88:89], v[2:3]
	v_add_f64 v[84:85], v[14:15], -v[88:89]
	v_add_f64 v[2:3], v[2:3], -v[84:85]
	v_mul_f64 v[84:85], v[14:15], v[14:15]
	v_pk_mov_b32 v[86:87], v[20:21], v[20:21] op_sel:[0,1]
	v_fmac_f64_e32 v[86:87], s[24:25], v[84:85]
	v_pk_mov_b32 v[88:89], v[22:23], v[22:23] op_sel:[0,1]
	v_fmac_f64_e32 v[88:89], v[84:85], v[86:87]
	;; [unrolled: 2-line block ×6, first 2 shown]
	v_ldexp_f64 v[86:87], v[14:15], 1
	v_mul_f64 v[14:15], v[14:15], v[84:85]
	v_mul_f64 v[14:15], v[14:15], v[88:89]
	v_add_f64 v[84:85], v[86:87], v[14:15]
	v_add_f64 v[86:87], v[84:85], -v[86:87]
	v_ldexp_f64 v[2:3], v[2:3], 1
	v_add_f64 v[14:15], v[14:15], -v[86:87]
	v_add_f64 v[2:3], v[2:3], v[14:15]
	v_frexp_exp_i32_f64_e32 v1, v[82:83]
	v_add_f64 v[14:15], v[84:85], v[2:3]
	v_subbrev_co_u32_e32 v1, vcc, 0, v1, vcc
	v_add_f64 v[84:85], v[14:15], -v[84:85]
	v_add_f64 v[2:3], v[2:3], -v[84:85]
	v_cvt_f64_i32_e32 v[84:85], v1
	v_mul_f64 v[86:87], v[84:85], s[26:27]
	v_fma_f64 v[88:89], v[84:85], s[26:27], -v[86:87]
	v_fmac_f64_e32 v[88:89], s[28:29], v[84:85]
	v_add_f64 v[84:85], v[86:87], v[88:89]
	v_add_f64 v[86:87], v[84:85], -v[86:87]
	v_add_f64 v[86:87], v[88:89], -v[86:87]
	v_add_f64 v[88:89], v[84:85], v[14:15]
	v_add_f64 v[90:91], v[88:89], -v[84:85]
	v_add_f64 v[92:93], v[88:89], -v[90:91]
	;; [unrolled: 1-line block ×4, first 2 shown]
	v_add_f64 v[14:15], v[14:15], v[84:85]
	v_add_f64 v[84:85], v[86:87], v[2:3]
	v_add_f64 v[90:91], v[84:85], -v[86:87]
	v_add_f64 v[92:93], v[84:85], -v[90:91]
	v_add_f64 v[14:15], v[84:85], v[14:15]
	v_add_f64 v[86:87], v[86:87], -v[92:93]
	v_add_f64 v[2:3], v[2:3], -v[90:91]
	v_add_f64 v[84:85], v[88:89], v[14:15]
	v_add_f64 v[2:3], v[2:3], v[86:87]
	v_add_f64 v[86:87], v[84:85], -v[88:89]
	v_add_f64 v[14:15], v[14:15], -v[86:87]
	v_add_f64 v[2:3], v[2:3], v[14:15]
	v_add_f64 v[2:3], v[84:85], v[2:3]
	v_cmp_class_f64_e64 vcc, v[82:83], s67
	v_cndmask_b32_e32 v1, v2, v82, vcc
	v_cndmask_b32_e32 v2, v3, v83, vcc
	v_cmp_ngt_f64_e32 vcc, 0, v[82:83]
	v_cndmask_b32_e32 v2, v107, v2, vcc
	v_cmp_nge_f64_e32 vcc, 0, v[82:83]
	v_cndmask_b32_e32 v14, 0, v1, vcc
	v_cmp_neq_f64_e32 vcc, 0, v[82:83]
	v_mov_b32_e32 v82, 0
	v_cndmask_b32_e32 v15, v108, v2, vcc
	v_mov_b32_e32 v83, 0x7ff80000
.LBB192_4:                              ;   in Loop: Header=BB192_5 Depth=1
	s_or_b64 exec, exec, s[0:1]
	v_bfi_b32 v81, s8, v81, v17
	v_fma_f64 v[2:3], 0, v[80:81], v[10:11]
	v_bfi_b32 v79, s8, v79, v13
	v_mul_f64 v[84:85], v[2:3], s[48:49]
	v_fma_f64 v[2:3], 0, v[78:79], v[6:7]
	v_bfi_b32 v77, s8, v77, v9
	v_fmac_f64_e32 v[80:81], 0x80000000, v[10:11]
	v_mul_f64 v[10:11], v[2:3], s[48:49]
	v_fma_f64 v[2:3], 0, v[76:77], v[74:75]
	v_bfi_b32 v83, s8, v83, v5
	v_fmac_f64_e32 v[78:79], 0x80000000, v[6:7]
	v_mul_f64 v[6:7], v[2:3], s[48:49]
	v_fma_f64 v[2:3], 0, v[82:83], v[14:15]
	v_fmac_f64_e32 v[82:83], 0x80000000, v[14:15]
	v_mov_b32_e32 v1, s70
	v_add_co_u32_e32 v14, vcc, s69, v72
	v_addc_co_u32_e32 v15, vcc, v1, v73, vcc
	v_fmac_f64_e32 v[76:77], 0x80000000, v[74:75]
	v_mov_b32_e32 v1, s9
	v_add_co_u32_e32 v70, vcc, s66, v70
	v_mul_f64 v[8:9], v[76:77], s[48:49]
	v_addc_co_u32_e32 v71, vcc, v71, v1, vcc
	v_mul_f64 v[86:87], v[80:81], s[48:49]
	v_mul_f64 v[12:13], v[78:79], s[48:49]
	global_store_dwordx4 v[14:15], v[6:9], off
	global_store_dwordx4 v[14:15], v[10:13], off offset:16
	global_store_dwordx4 v[14:15], v[84:87], off offset:32
	v_lshlrev_b64 v[6:7], 2, v[70:71]
	v_cmp_le_i64_e32 vcc, s[14:15], v[6:7]
	v_cmp_lt_u64_e64 s[0:1], s[50:51], v[6:7]
	s_or_b64 s[0:1], vcc, s[0:1]
	s_and_b64 s[0:1], exec, s[0:1]
	v_mul_f64 v[2:3], v[2:3], s[48:49]
	v_mul_f64 v[4:5], v[82:83], s[48:49]
	s_or_b64 s[12:13], s[0:1], s[12:13]
	global_store_dwordx4 v[14:15], v[2:5], off offset:48
	s_andn2_b64 exec, exec, s[12:13]
	s_cbranch_execz .LBB192_140
.LBB192_5:                              ; =>This Loop Header: Depth=1
                                        ;     Child Loop BB192_16 Depth 2
                                        ;     Child Loop BB192_50 Depth 2
	;; [unrolled: 1-line block ×4, first 2 shown]
	v_lshlrev_b64 v[72:73], 6, v[70:71]
	v_add_co_u32_e32 v14, vcc, s33, v72
	v_addc_co_u32_e32 v15, vcc, v106, v73, vcc
	global_load_dwordx4 v[10:13], v[14:15], off offset:16
	global_load_dwordx4 v[6:9], v[14:15], off
	global_load_dwordx4 v[2:5], v[14:15], off offset:48
	s_nop 0
	global_load_dwordx4 v[14:17], v[14:15], off offset:32
                                        ; implicit-def: $vgpr74_vgpr75
                                        ; implicit-def: $vgpr76_vgpr77
	s_waitcnt vmcnt(2)
	v_cmp_o_f64_e32 vcc, v[6:7], v[8:9]
	s_and_saveexec_b64 s[0:1], vcc
	s_xor_b64 s[52:53], exec, s[0:1]
	s_cbranch_execz .LBB192_33
; %bb.6:                                ;   in Loop: Header=BB192_5 Depth=1
	v_and_b32_e32 v19, 0x7fffffff, v7
	v_and_b32_e32 v1, 0x7fffffff, v9
	v_mov_b32_e32 v80, v8
	v_cmp_lt_f64_e64 s[0:1], |v[6:7]|, |v[8:9]|
	v_cndmask_b32_e64 v79, v1, v19, s[0:1]
	v_cndmask_b32_e64 v78, v80, v6, s[0:1]
	v_cmp_nlt_f64_e32 vcc, s[16:17], v[78:79]
                                        ; implicit-def: $vgpr74_vgpr75
                                        ; implicit-def: $vgpr76_vgpr77
	s_and_saveexec_b64 s[2:3], vcc
	s_xor_b64 s[6:7], exec, s[2:3]
	s_cbranch_execz .LBB192_30
; %bb.7:                                ;   in Loop: Header=BB192_5 Depth=1
	v_cndmask_b32_e64 v83, v19, v1, s[0:1]
	v_cndmask_b32_e64 v82, v6, v80, s[0:1]
	v_cmp_neq_f64_e32 vcc, 1.0, v[82:83]
                                        ; implicit-def: $vgpr74_vgpr75
                                        ; implicit-def: $vgpr76_vgpr77
	s_and_saveexec_b64 s[2:3], vcc
	s_xor_b64 s[54:55], exec, s[2:3]
	s_cbranch_execz .LBB192_23
; %bb.8:                                ;   in Loop: Header=BB192_5 Depth=1
	v_max_f64 v[74:75], v[78:79], v[78:79]
	v_max_f64 v[76:77], v[82:83], v[82:83]
	v_min_f64 v[80:81], v[76:77], v[74:75]
	v_max_f64 v[74:75], v[76:77], v[74:75]
	v_cmp_ngt_f64_e32 vcc, s[18:19], v[80:81]
	v_cmp_nlt_f64_e64 s[2:3], s[20:21], v[74:75]
	s_and_b64 s[2:3], s[2:3], vcc
                                        ; implicit-def: $vgpr74_vgpr75
                                        ; implicit-def: $vgpr76_vgpr77
	s_and_saveexec_b64 s[56:57], s[2:3]
	s_xor_b64 s[56:57], exec, s[56:57]
	s_cbranch_execz .LBB192_20
; %bb.9:                                ;   in Loop: Header=BB192_5 Depth=1
	v_cmp_le_f64_e32 vcc, 1.0, v[82:83]
                                        ; implicit-def: $vgpr74_vgpr75
                                        ; implicit-def: $vgpr76_vgpr77
	s_and_saveexec_b64 s[2:3], vcc
	s_xor_b64 s[2:3], exec, s[2:3]
	s_cbranch_execz .LBB192_11
; %bb.10:                               ;   in Loop: Header=BB192_5 Depth=1
	v_add_f64 v[74:75], v[82:83], -1.0
	v_add_f64 v[76:77], v[82:83], 1.0
	v_mul_f64 v[76:77], v[74:75], v[76:77]
	v_fmac_f64_e32 v[76:77], v[78:79], v[78:79]
	v_add_f64 v[74:75], v[76:77], 1.0
	v_add_f64 v[78:79], v[74:75], -1.0
	v_add_f64 v[80:81], v[78:79], -v[74:75]
	v_add_f64 v[80:81], v[80:81], 1.0
	v_add_f64 v[78:79], v[76:77], -v[78:79]
	v_add_f64 v[78:79], v[78:79], v[80:81]
	v_frexp_mant_f64_e32 v[80:81], v[74:75]
	v_frexp_exp_i32_f64_e32 v1, v[74:75]
	v_cmp_gt_f64_e32 vcc, s[22:23], v[80:81]
	v_subbrev_co_u32_e32 v1, vcc, 0, v1, vcc
	v_sub_u32_e32 v19, 0, v1
	v_ldexp_f64 v[74:75], v[74:75], v19
	v_add_f64 v[80:81], v[74:75], -1.0
	v_add_f64 v[86:87], v[74:75], 1.0
	v_add_f64 v[82:83], v[80:81], 1.0
	v_add_f64 v[88:89], v[86:87], -1.0
	v_ldexp_f64 v[78:79], v[78:79], v19
	v_add_f64 v[82:83], v[74:75], -v[82:83]
	v_add_f64 v[74:75], v[74:75], -v[88:89]
	v_add_f64 v[74:75], v[78:79], v[74:75]
	v_add_f64 v[82:83], v[78:79], v[82:83]
	v_add_f64 v[78:79], v[86:87], v[74:75]
	v_rcp_f64_e32 v[88:89], v[78:79]
	v_add_f64 v[84:85], v[80:81], v[82:83]
	v_add_f64 v[80:81], v[84:85], -v[80:81]
	v_add_f64 v[80:81], v[82:83], -v[80:81]
	v_add_f64 v[82:83], v[78:79], -v[86:87]
	v_add_f64 v[74:75], v[74:75], -v[82:83]
	v_fma_f64 v[82:83], -v[78:79], v[88:89], 1.0
	v_fmac_f64_e32 v[88:89], v[82:83], v[88:89]
	v_fma_f64 v[82:83], -v[78:79], v[88:89], 1.0
	v_fmac_f64_e32 v[88:89], v[82:83], v[88:89]
	v_mul_f64 v[82:83], v[84:85], v[88:89]
	v_mul_f64 v[86:87], v[78:79], v[82:83]
	v_fma_f64 v[90:91], v[82:83], v[78:79], -v[86:87]
	v_fmac_f64_e32 v[90:91], v[82:83], v[74:75]
	v_add_f64 v[92:93], v[86:87], v[90:91]
	v_add_f64 v[94:95], v[84:85], -v[92:93]
	v_add_f64 v[84:85], v[84:85], -v[94:95]
	;; [unrolled: 1-line block ×4, first 2 shown]
	v_add_f64 v[80:81], v[80:81], v[84:85]
	v_add_f64 v[84:85], v[86:87], -v[90:91]
	v_add_f64 v[80:81], v[84:85], v[80:81]
	v_add_f64 v[84:85], v[94:95], v[80:81]
	v_add_f64 v[86:87], v[94:95], -v[84:85]
	v_add_f64 v[80:81], v[80:81], v[86:87]
	v_mul_f64 v[86:87], v[88:89], v[84:85]
	v_mul_f64 v[90:91], v[78:79], v[86:87]
	v_fma_f64 v[78:79], v[86:87], v[78:79], -v[90:91]
	v_fmac_f64_e32 v[78:79], v[86:87], v[74:75]
	v_add_f64 v[74:75], v[90:91], v[78:79]
	v_add_f64 v[92:93], v[84:85], -v[74:75]
	v_add_f64 v[84:85], v[84:85], -v[92:93]
	;; [unrolled: 1-line block ×4, first 2 shown]
	v_add_f64 v[74:75], v[80:81], v[74:75]
	v_add_f64 v[78:79], v[90:91], -v[78:79]
	v_add_f64 v[74:75], v[78:79], v[74:75]
	v_add_f64 v[78:79], v[82:83], v[86:87]
	;; [unrolled: 1-line block ×3, first 2 shown]
	v_add_f64 v[80:81], v[78:79], -v[82:83]
	v_mul_f64 v[74:75], v[88:89], v[74:75]
	v_add_f64 v[80:81], v[86:87], -v[80:81]
	v_add_f64 v[74:75], v[80:81], v[74:75]
	v_add_f64 v[80:81], v[78:79], v[74:75]
	v_add_f64 v[78:79], v[80:81], -v[78:79]
	v_add_f64 v[74:75], v[74:75], -v[78:79]
	v_mul_f64 v[78:79], v[80:81], v[80:81]
	v_pk_mov_b32 v[82:83], v[20:21], v[20:21] op_sel:[0,1]
	v_fmac_f64_e32 v[82:83], s[24:25], v[78:79]
	v_pk_mov_b32 v[84:85], v[22:23], v[22:23] op_sel:[0,1]
	v_fmac_f64_e32 v[84:85], v[78:79], v[82:83]
	;; [unrolled: 2-line block ×6, first 2 shown]
	v_cvt_f64_i32_e32 v[82:83], v1
	v_mul_f64 v[86:87], v[82:83], s[26:27]
	v_fma_f64 v[88:89], v[82:83], s[26:27], -v[86:87]
	v_fmac_f64_e32 v[88:89], s[28:29], v[82:83]
	v_add_f64 v[82:83], v[86:87], v[88:89]
	v_add_f64 v[86:87], v[82:83], -v[86:87]
	v_mul_f64 v[78:79], v[80:81], v[78:79]
	v_add_f64 v[86:87], v[88:89], -v[86:87]
	v_ldexp_f64 v[88:89], v[80:81], 1
	v_mul_f64 v[78:79], v[78:79], v[84:85]
	v_add_f64 v[80:81], v[88:89], v[78:79]
	v_add_f64 v[84:85], v[80:81], -v[88:89]
	v_ldexp_f64 v[74:75], v[74:75], 1
	v_add_f64 v[78:79], v[78:79], -v[84:85]
	v_add_f64 v[74:75], v[74:75], v[78:79]
	v_add_f64 v[78:79], v[80:81], v[74:75]
	v_add_f64 v[80:81], v[78:79], -v[80:81]
	v_add_f64 v[74:75], v[74:75], -v[80:81]
	v_add_f64 v[80:81], v[82:83], v[78:79]
	v_add_f64 v[84:85], v[80:81], -v[82:83]
	v_add_f64 v[88:89], v[80:81], -v[84:85]
	;; [unrolled: 1-line block ×4, first 2 shown]
	v_add_f64 v[78:79], v[78:79], v[82:83]
	v_add_f64 v[82:83], v[86:87], v[74:75]
	v_add_f64 v[84:85], v[82:83], -v[86:87]
	v_add_f64 v[78:79], v[82:83], v[78:79]
	v_add_f64 v[88:89], v[82:83], -v[84:85]
	v_add_f64 v[82:83], v[80:81], v[78:79]
	v_add_f64 v[86:87], v[86:87], -v[88:89]
	v_add_f64 v[74:75], v[74:75], -v[84:85]
	v_add_f64 v[80:81], v[82:83], -v[80:81]
	v_add_f64 v[74:75], v[74:75], v[86:87]
	v_add_f64 v[78:79], v[78:79], -v[80:81]
	v_add_f64 v[74:75], v[74:75], v[78:79]
	v_max_f64 v[78:79], |v[8:9]|, |v[8:9]|
	v_max_f64 v[80:81], |v[6:7]|, |v[6:7]|
	v_add_f64 v[74:75], v[82:83], v[74:75]
	v_max_f64 v[82:83], v[80:81], v[78:79]
	v_min_f64 v[78:79], v[80:81], v[78:79]
	v_div_scale_f64 v[80:81], s[58:59], v[82:83], v[82:83], v[78:79]
	v_cmp_eq_f64_e32 vcc, s[30:31], v[76:77]
	v_rcp_f64_e32 v[84:85], v[80:81]
	v_cndmask_b32_e32 v75, v75, v77, vcc
	v_cndmask_b32_e32 v74, v74, v76, vcc
	v_mul_f64 v[74:75], v[74:75], 0.5
	v_cmp_ngt_f64_e32 vcc, -1.0, v[76:77]
	v_cndmask_b32_e32 v1, v107, v75, vcc
	v_cmp_nge_f64_e32 vcc, -1.0, v[76:77]
	v_cndmask_b32_e32 v74, 0, v74, vcc
	v_cmp_neq_f64_e32 vcc, -1.0, v[76:77]
	v_fma_f64 v[76:77], -v[80:81], v[84:85], 1.0
	v_fmac_f64_e32 v[84:85], v[84:85], v[76:77]
	v_fma_f64 v[76:77], -v[80:81], v[84:85], 1.0
	v_cndmask_b32_e32 v75, v108, v1, vcc
	v_fmac_f64_e32 v[84:85], v[84:85], v[76:77]
	v_div_scale_f64 v[76:77], vcc, v[78:79], v[82:83], v[78:79]
	v_mul_f64 v[86:87], v[76:77], v[84:85]
	v_fma_f64 v[76:77], -v[80:81], v[86:87], v[76:77]
	v_pk_mov_b32 v[80:81], v[32:33], v[32:33] op_sel:[0,1]
	s_nop 0
	v_div_fmas_f64 v[76:77], v[76:77], v[84:85], v[86:87]
	v_div_fixup_f64 v[76:77], v[76:77], v[82:83], v[78:79]
	v_mul_f64 v[78:79], v[76:77], v[76:77]
	v_fmac_f64_e32 v[80:81], s[34:35], v[78:79]
	v_pk_mov_b32 v[82:83], v[34:35], v[34:35] op_sel:[0,1]
	v_fmac_f64_e32 v[82:83], v[78:79], v[80:81]
	v_pk_mov_b32 v[80:81], v[36:37], v[36:37] op_sel:[0,1]
	;; [unrolled: 2-line block ×18, first 2 shown]
	v_fmac_f64_e32 v[80:81], v[78:79], v[82:83]
	v_cmp_gt_i32_e32 vcc, 0, v7
	v_mul_f64 v[78:79], v[78:79], v[80:81]
	v_cmp_class_f64_e64 s[60:61], v[6:7], s67
	v_cndmask_b32_e32 v6, v111, v112, vcc
	v_fmac_f64_e32 v[76:77], v[76:77], v[78:79]
	v_bfi_b32 v19, s8, v6, v9
	v_ashrrev_i32_e32 v6, 31, v7
	v_and_b32_e32 v78, 0x400921fb, v6
	v_and_b32_e32 v79, 0x54442d18, v6
	v_add_f64 v[6:7], -v[76:77], s[36:37]
	v_cndmask_b32_e64 v7, v77, v7, s[0:1]
	v_cndmask_b32_e64 v6, v76, v6, s[0:1]
	s_mov_b32 s38, s36
	v_add_f64 v[76:77], -v[6:7], s[38:39]
	v_cmp_class_f64_e64 s[58:59], v[8:9], s67
	v_cndmask_b32_e32 v1, v109, v110, vcc
	v_cndmask_b32_e32 v7, v7, v77, vcc
	;; [unrolled: 1-line block ×3, first 2 shown]
	v_cmp_eq_f64_e32 vcc, 0, v[8:9]
	v_cndmask_b32_e32 v6, v6, v79, vcc
	v_cndmask_b32_e32 v7, v7, v78, vcc
	s_and_b64 vcc, s[60:61], s[58:59]
	v_cndmask_b32_e32 v77, v7, v19, vcc
	v_cndmask_b32_e32 v76, v6, v1, vcc
                                        ; implicit-def: $vgpr78_vgpr79
                                        ; implicit-def: $vgpr82_vgpr83
.LBB192_11:                             ;   in Loop: Header=BB192_5 Depth=1
	s_andn2_saveexec_b64 s[58:59], s[2:3]
	s_cbranch_execz .LBB192_19
; %bb.12:                               ;   in Loop: Header=BB192_5 Depth=1
	v_mul_f64 v[80:81], v[78:79], v[78:79]
	v_fmac_f64_e32 v[80:81], v[82:83], v[82:83]
	v_cmp_ge_f64_e32 vcc, s[40:41], v[80:81]
                                        ; implicit-def: $vgpr74_vgpr75
                                        ; implicit-def: $vgpr76_vgpr77
	s_and_saveexec_b64 s[2:3], vcc
	s_xor_b64 s[2:3], exec, s[2:3]
	s_cbranch_execz .LBB192_14
; %bb.13:                               ;   in Loop: Header=BB192_5 Depth=1
	v_frexp_mant_f64_e32 v[74:75], v[80:81]
	v_cmp_gt_f64_e32 vcc, s[22:23], v[74:75]
	v_cndmask_b32_e64 v19, v113, 2.0, vcc
	v_mul_f64 v[74:75], v[74:75], v[18:19]
	v_add_f64 v[76:77], v[74:75], 1.0
	v_rcp_f64_e32 v[78:79], v[76:77]
	v_add_f64 v[84:85], v[76:77], -1.0
	v_add_f64 v[82:83], v[74:75], -1.0
	v_add_f64 v[74:75], v[74:75], -v[84:85]
	v_fma_f64 v[84:85], -v[76:77], v[78:79], 1.0
	v_fmac_f64_e32 v[78:79], v[84:85], v[78:79]
	v_fma_f64 v[84:85], -v[76:77], v[78:79], 1.0
	v_fmac_f64_e32 v[78:79], v[84:85], v[78:79]
	v_mul_f64 v[84:85], v[82:83], v[78:79]
	v_mul_f64 v[86:87], v[76:77], v[84:85]
	v_fma_f64 v[76:77], v[84:85], v[76:77], -v[86:87]
	v_fmac_f64_e32 v[76:77], v[84:85], v[74:75]
	v_add_f64 v[74:75], v[86:87], v[76:77]
	v_add_f64 v[88:89], v[82:83], -v[74:75]
	v_add_f64 v[86:87], v[74:75], -v[86:87]
	;; [unrolled: 1-line block ×5, first 2 shown]
	v_add_f64 v[74:75], v[76:77], v[74:75]
	v_add_f64 v[74:75], v[88:89], v[74:75]
	v_mul_f64 v[74:75], v[78:79], v[74:75]
	v_add_f64 v[76:77], v[84:85], v[74:75]
	v_add_f64 v[78:79], v[76:77], -v[84:85]
	v_add_f64 v[74:75], v[74:75], -v[78:79]
	v_mul_f64 v[78:79], v[76:77], v[76:77]
	v_pk_mov_b32 v[82:83], v[20:21], v[20:21] op_sel:[0,1]
	v_fmac_f64_e32 v[82:83], s[24:25], v[78:79]
	v_pk_mov_b32 v[84:85], v[22:23], v[22:23] op_sel:[0,1]
	v_fmac_f64_e32 v[84:85], v[78:79], v[82:83]
	;; [unrolled: 2-line block ×6, first 2 shown]
	v_ldexp_f64 v[82:83], v[76:77], 1
	v_mul_f64 v[76:77], v[76:77], v[78:79]
	v_mul_f64 v[76:77], v[76:77], v[84:85]
	v_add_f64 v[78:79], v[82:83], v[76:77]
	v_add_f64 v[82:83], v[78:79], -v[82:83]
	v_ldexp_f64 v[74:75], v[74:75], 1
	v_add_f64 v[76:77], v[76:77], -v[82:83]
	v_add_f64 v[74:75], v[74:75], v[76:77]
	v_frexp_exp_i32_f64_e32 v1, v[80:81]
	v_add_f64 v[76:77], v[78:79], v[74:75]
	v_subbrev_co_u32_e32 v1, vcc, 0, v1, vcc
	v_add_f64 v[78:79], v[76:77], -v[78:79]
	v_add_f64 v[74:75], v[74:75], -v[78:79]
	v_cvt_f64_i32_e32 v[78:79], v1
	v_mul_f64 v[82:83], v[78:79], s[26:27]
	v_fma_f64 v[84:85], v[78:79], s[26:27], -v[82:83]
	v_fmac_f64_e32 v[84:85], s[28:29], v[78:79]
	v_add_f64 v[78:79], v[82:83], v[84:85]
	v_add_f64 v[82:83], v[78:79], -v[82:83]
	v_add_f64 v[82:83], v[84:85], -v[82:83]
	v_add_f64 v[84:85], v[78:79], v[76:77]
	v_add_f64 v[86:87], v[84:85], -v[78:79]
	v_add_f64 v[88:89], v[84:85], -v[86:87]
	;; [unrolled: 1-line block ×4, first 2 shown]
	v_add_f64 v[76:77], v[76:77], v[78:79]
	v_add_f64 v[78:79], v[82:83], v[74:75]
	v_add_f64 v[86:87], v[78:79], -v[82:83]
	v_add_f64 v[88:89], v[78:79], -v[86:87]
	v_add_f64 v[76:77], v[78:79], v[76:77]
	v_add_f64 v[82:83], v[82:83], -v[88:89]
	v_add_f64 v[74:75], v[74:75], -v[86:87]
	v_add_f64 v[78:79], v[84:85], v[76:77]
	v_add_f64 v[74:75], v[74:75], v[82:83]
	v_add_f64 v[82:83], v[78:79], -v[84:85]
	v_add_f64 v[76:77], v[76:77], -v[82:83]
	v_add_f64 v[74:75], v[74:75], v[76:77]
	v_add_f64 v[74:75], v[78:79], v[74:75]
	v_max_f64 v[76:77], |v[8:9]|, |v[8:9]|
	v_max_f64 v[78:79], |v[6:7]|, |v[6:7]|
	v_max_f64 v[82:83], v[78:79], v[76:77]
	v_min_f64 v[76:77], v[78:79], v[76:77]
	v_div_scale_f64 v[78:79], s[60:61], v[82:83], v[82:83], v[76:77]
	v_rcp_f64_e32 v[84:85], v[78:79]
	v_cmp_neq_f64_e32 vcc, 0, v[80:81]
	v_mul_f64 v[74:75], v[74:75], 0.5
	v_cndmask_b32_e32 v75, v108, v75, vcc
	v_fma_f64 v[80:81], -v[78:79], v[84:85], 1.0
	v_fmac_f64_e32 v[84:85], v[84:85], v[80:81]
	v_fma_f64 v[80:81], -v[78:79], v[84:85], 1.0
	v_cndmask_b32_e32 v74, 0, v74, vcc
	v_fmac_f64_e32 v[84:85], v[84:85], v[80:81]
	v_div_scale_f64 v[80:81], vcc, v[76:77], v[82:83], v[76:77]
	v_mul_f64 v[86:87], v[80:81], v[84:85]
	v_fma_f64 v[78:79], -v[78:79], v[86:87], v[80:81]
	v_pk_mov_b32 v[80:81], v[32:33], v[32:33] op_sel:[0,1]
	s_nop 0
	v_div_fmas_f64 v[78:79], v[78:79], v[84:85], v[86:87]
	v_div_fixup_f64 v[76:77], v[78:79], v[82:83], v[76:77]
	v_mul_f64 v[78:79], v[76:77], v[76:77]
	v_fmac_f64_e32 v[80:81], s[34:35], v[78:79]
	v_pk_mov_b32 v[82:83], v[34:35], v[34:35] op_sel:[0,1]
	v_fmac_f64_e32 v[82:83], v[78:79], v[80:81]
	v_pk_mov_b32 v[80:81], v[36:37], v[36:37] op_sel:[0,1]
	;; [unrolled: 2-line block ×18, first 2 shown]
	v_fmac_f64_e32 v[80:81], v[78:79], v[82:83]
	v_cmp_gt_i32_e32 vcc, 0, v7
	v_mul_f64 v[78:79], v[78:79], v[80:81]
	v_cmp_class_f64_e64 s[62:63], v[6:7], s67
	v_cndmask_b32_e32 v6, v111, v112, vcc
	v_fmac_f64_e32 v[76:77], v[76:77], v[78:79]
	v_bfi_b32 v19, s8, v6, v9
	v_ashrrev_i32_e32 v6, 31, v7
	v_and_b32_e32 v78, 0x400921fb, v6
	v_and_b32_e32 v79, 0x54442d18, v6
	v_add_f64 v[6:7], -v[76:77], s[36:37]
	v_cndmask_b32_e64 v7, v77, v7, s[0:1]
	v_cndmask_b32_e64 v6, v76, v6, s[0:1]
	s_mov_b32 s38, s36
	v_add_f64 v[76:77], -v[6:7], s[38:39]
	v_cmp_class_f64_e64 s[60:61], v[8:9], s67
	v_cndmask_b32_e32 v1, v109, v110, vcc
	v_cndmask_b32_e32 v7, v7, v77, vcc
	;; [unrolled: 1-line block ×3, first 2 shown]
	v_cmp_eq_f64_e32 vcc, 0, v[8:9]
	v_cndmask_b32_e32 v6, v6, v79, vcc
	v_cndmask_b32_e32 v7, v7, v78, vcc
	s_and_b64 vcc, s[62:63], s[60:61]
	v_cndmask_b32_e32 v77, v7, v19, vcc
	v_cndmask_b32_e32 v76, v6, v1, vcc
                                        ; implicit-def: $vgpr82_vgpr83
                                        ; implicit-def: $vgpr78_vgpr79
.LBB192_14:                             ;   in Loop: Header=BB192_5 Depth=1
	s_andn2_saveexec_b64 s[60:61], s[2:3]
	s_cbranch_execz .LBB192_18
; %bb.15:                               ;   in Loop: Header=BB192_5 Depth=1
	v_and_b32_e32 v19, 0x7ffffff8, v83
	v_add_f64 v[74:75], v[82:83], -v[18:19]
	v_and_b32_e32 v91, -8, v75
	v_mov_b32_e32 v90, v18
	v_and_b32_e32 v81, 0x7ffffff8, v79
	v_mov_b32_e32 v80, v18
	v_add_f64 v[94:95], v[74:75], -v[90:91]
	v_add_f64 v[74:75], v[78:79], -v[80:81]
	v_and_b32_e32 v93, -8, v75
	v_mov_b32_e32 v92, v18
	v_add_f64 v[84:85], v[18:19], v[18:19]
	v_add_f64 v[98:99], v[80:81], v[80:81]
	v_add_f64 v[96:97], v[74:75], -v[92:93]
	v_mul_f64 v[76:77], v[80:81], v[80:81]
	v_mul_f64 v[82:83], v[84:85], v[90:91]
	v_mul_f64 v[80:81], v[98:99], v[92:93]
	v_mul_f64 v[88:89], v[90:91], v[90:91]
	v_mul_f64 v[78:79], v[92:93], v[92:93]
	v_add_f64 v[90:91], v[90:91], v[90:91]
	v_add_f64 v[92:93], v[92:93], v[92:93]
	v_mul_f64 v[74:75], v[18:19], v[18:19]
	v_mul_f64 v[86:87], v[84:85], v[94:95]
	;; [unrolled: 1-line block ×7, first 2 shown]
	s_mov_b64 s[62:63], 0
.LBB192_16:                             ;   Parent Loop BB192_5 Depth=1
                                        ; =>  This Inner Loop Header: Depth=2
	v_cmp_nlt_f64_e32 vcc, v[74:75], v[76:77]
	v_cndmask_b32_e32 v99, v75, v77, vcc
	v_cndmask_b32_e32 v98, v74, v76, vcc
	v_cmp_nlt_f64_e64 s[2:3], v[98:99], v[82:83]
	v_cndmask_b32_e64 v101, v99, v83, s[2:3]
	v_cndmask_b32_e64 v100, v98, v82, s[2:3]
	v_cndmask_b32_e32 v75, v77, v75, vcc
	v_cndmask_b32_e32 v74, v76, v74, vcc
	s_and_b64 s[64:65], vcc, s[2:3]
	v_cmp_nlt_f64_e32 vcc, v[100:101], v[80:81]
	v_cndmask_b32_e64 v77, v83, v99, s[2:3]
	v_cndmask_b32_e64 v76, v82, v98, s[2:3]
	v_cndmask_b32_e32 v99, v101, v81, vcc
	v_cndmask_b32_e32 v98, v100, v80, vcc
	v_cmp_nlt_f64_e64 s[2:3], v[98:99], v[88:89]
	v_cndmask_b32_e32 v83, v81, v101, vcc
	v_cndmask_b32_e32 v82, v80, v100, vcc
	v_cndmask_b32_e64 v101, v99, v89, s[2:3]
	v_cndmask_b32_e64 v100, v98, v88, s[2:3]
	s_and_b64 s[72:73], vcc, s[2:3]
	v_cmp_nlt_f64_e32 vcc, v[100:101], v[78:79]
	v_cndmask_b32_e64 v81, v89, v99, s[2:3]
	v_cndmask_b32_e64 v80, v88, v98, s[2:3]
	v_cndmask_b32_e32 v99, v101, v79, vcc
	v_cndmask_b32_e32 v98, v100, v78, vcc
	v_cmp_nlt_f64_e64 s[2:3], v[98:99], v[86:87]
	v_cndmask_b32_e32 v89, v79, v101, vcc
	v_cndmask_b32_e32 v88, v78, v100, vcc
	v_cndmask_b32_e64 v101, v99, v87, s[2:3]
	v_cndmask_b32_e64 v100, v98, v86, s[2:3]
	;; [unrolled: 1-line block ×4, first 2 shown]
	s_and_b64 s[2:3], vcc, s[2:3]
	v_cmp_nlt_f64_e32 vcc, v[100:101], v[84:85]
	v_cndmask_b32_e32 v99, v101, v85, vcc
	v_cndmask_b32_e32 v98, v100, v84, vcc
	v_cndmask_b32_e32 v87, v85, v101, vcc
	v_cndmask_b32_e32 v86, v84, v100, vcc
	s_and_b64 s[2:3], s[2:3], vcc
	v_cmp_nlt_f64_e32 vcc, v[98:99], v[90:91]
	v_cndmask_b32_e32 v101, v99, v91, vcc
	v_cndmask_b32_e32 v100, v98, v90, vcc
	v_cndmask_b32_e32 v85, v91, v99, vcc
	v_cndmask_b32_e32 v84, v90, v98, vcc
	s_and_b64 s[2:3], s[2:3], vcc
	;; [unrolled: 6-line block ×4, first 2 shown]
	v_cmp_nlt_f64_e32 vcc, v[100:101], v[96:97]
	s_and_b64 s[2:3], s[2:3], vcc
	s_and_b64 s[2:3], s[2:3], s[72:73]
	s_and_b64 s[2:3], s[2:3], s[64:65]
	v_cndmask_b32_e32 v99, v101, v97, vcc
	v_cndmask_b32_e32 v98, v100, v96, vcc
	s_and_b64 s[2:3], exec, s[2:3]
	v_cndmask_b32_e32 v95, v97, v101, vcc
	v_cndmask_b32_e32 v94, v96, v100, vcc
	s_or_b64 s[62:63], s[2:3], s[62:63]
	v_pk_mov_b32 v[96:97], v[98:99], v[98:99] op_sel:[0,1]
	s_andn2_b64 exec, exec, s[62:63]
	s_cbranch_execnz .LBB192_16
; %bb.17:                               ;   in Loop: Header=BB192_5 Depth=1
	s_or_b64 exec, exec, s[62:63]
	v_add_f64 v[74:75], v[74:75], -1.0
	v_add_f64 v[74:75], v[74:75], v[76:77]
	v_add_f64 v[74:75], v[74:75], v[82:83]
	;; [unrolled: 1-line block ×11, first 2 shown]
	v_add_f64 v[74:75], v[76:77], 1.0
	v_add_f64 v[78:79], v[74:75], -1.0
	v_add_f64 v[80:81], v[78:79], -v[74:75]
	v_add_f64 v[80:81], v[80:81], 1.0
	v_add_f64 v[78:79], v[76:77], -v[78:79]
	v_add_f64 v[78:79], v[78:79], v[80:81]
	v_frexp_mant_f64_e32 v[80:81], v[74:75]
	v_frexp_exp_i32_f64_e32 v1, v[74:75]
	v_cmp_gt_f64_e32 vcc, s[22:23], v[80:81]
	v_subbrev_co_u32_e32 v1, vcc, 0, v1, vcc
	v_sub_u32_e32 v19, 0, v1
	v_ldexp_f64 v[74:75], v[74:75], v19
	v_add_f64 v[80:81], v[74:75], -1.0
	v_add_f64 v[86:87], v[74:75], 1.0
	v_add_f64 v[82:83], v[80:81], 1.0
	v_add_f64 v[88:89], v[86:87], -1.0
	v_ldexp_f64 v[78:79], v[78:79], v19
	v_add_f64 v[82:83], v[74:75], -v[82:83]
	v_add_f64 v[74:75], v[74:75], -v[88:89]
	v_add_f64 v[74:75], v[78:79], v[74:75]
	v_add_f64 v[82:83], v[78:79], v[82:83]
	;; [unrolled: 1-line block ×3, first 2 shown]
	v_rcp_f64_e32 v[88:89], v[78:79]
	v_add_f64 v[84:85], v[80:81], v[82:83]
	v_add_f64 v[80:81], v[84:85], -v[80:81]
	v_add_f64 v[80:81], v[82:83], -v[80:81]
	;; [unrolled: 1-line block ×4, first 2 shown]
	v_fma_f64 v[82:83], -v[78:79], v[88:89], 1.0
	v_fmac_f64_e32 v[88:89], v[82:83], v[88:89]
	v_fma_f64 v[82:83], -v[78:79], v[88:89], 1.0
	v_fmac_f64_e32 v[88:89], v[82:83], v[88:89]
	v_mul_f64 v[82:83], v[84:85], v[88:89]
	v_mul_f64 v[86:87], v[78:79], v[82:83]
	v_fma_f64 v[90:91], v[82:83], v[78:79], -v[86:87]
	v_fmac_f64_e32 v[90:91], v[82:83], v[74:75]
	v_add_f64 v[92:93], v[86:87], v[90:91]
	v_add_f64 v[94:95], v[84:85], -v[92:93]
	v_add_f64 v[84:85], v[84:85], -v[94:95]
	;; [unrolled: 1-line block ×4, first 2 shown]
	v_add_f64 v[80:81], v[80:81], v[84:85]
	v_add_f64 v[84:85], v[86:87], -v[90:91]
	v_add_f64 v[80:81], v[84:85], v[80:81]
	v_add_f64 v[84:85], v[94:95], v[80:81]
	v_add_f64 v[86:87], v[94:95], -v[84:85]
	v_add_f64 v[80:81], v[80:81], v[86:87]
	v_mul_f64 v[86:87], v[88:89], v[84:85]
	v_mul_f64 v[90:91], v[78:79], v[86:87]
	v_fma_f64 v[78:79], v[86:87], v[78:79], -v[90:91]
	v_fmac_f64_e32 v[78:79], v[86:87], v[74:75]
	v_add_f64 v[74:75], v[90:91], v[78:79]
	v_add_f64 v[92:93], v[84:85], -v[74:75]
	v_add_f64 v[84:85], v[84:85], -v[92:93]
	;; [unrolled: 1-line block ×4, first 2 shown]
	v_add_f64 v[74:75], v[80:81], v[74:75]
	v_add_f64 v[78:79], v[90:91], -v[78:79]
	v_add_f64 v[74:75], v[78:79], v[74:75]
	v_add_f64 v[78:79], v[82:83], v[86:87]
	;; [unrolled: 1-line block ×3, first 2 shown]
	v_add_f64 v[80:81], v[78:79], -v[82:83]
	v_mul_f64 v[74:75], v[88:89], v[74:75]
	v_add_f64 v[80:81], v[86:87], -v[80:81]
	v_add_f64 v[74:75], v[80:81], v[74:75]
	v_add_f64 v[80:81], v[78:79], v[74:75]
	v_add_f64 v[78:79], v[80:81], -v[78:79]
	v_add_f64 v[74:75], v[74:75], -v[78:79]
	v_mul_f64 v[78:79], v[80:81], v[80:81]
	v_pk_mov_b32 v[82:83], v[20:21], v[20:21] op_sel:[0,1]
	v_fmac_f64_e32 v[82:83], s[24:25], v[78:79]
	v_pk_mov_b32 v[84:85], v[22:23], v[22:23] op_sel:[0,1]
	v_fmac_f64_e32 v[84:85], v[78:79], v[82:83]
	;; [unrolled: 2-line block ×6, first 2 shown]
	v_cvt_f64_i32_e32 v[82:83], v1
	v_mul_f64 v[86:87], v[82:83], s[26:27]
	v_fma_f64 v[88:89], v[82:83], s[26:27], -v[86:87]
	v_fmac_f64_e32 v[88:89], s[28:29], v[82:83]
	v_add_f64 v[82:83], v[86:87], v[88:89]
	v_add_f64 v[86:87], v[82:83], -v[86:87]
	v_mul_f64 v[78:79], v[80:81], v[78:79]
	v_add_f64 v[86:87], v[88:89], -v[86:87]
	v_ldexp_f64 v[88:89], v[80:81], 1
	v_mul_f64 v[78:79], v[78:79], v[84:85]
	v_add_f64 v[80:81], v[88:89], v[78:79]
	v_add_f64 v[84:85], v[80:81], -v[88:89]
	v_ldexp_f64 v[74:75], v[74:75], 1
	v_add_f64 v[78:79], v[78:79], -v[84:85]
	v_add_f64 v[74:75], v[74:75], v[78:79]
	v_add_f64 v[78:79], v[80:81], v[74:75]
	v_add_f64 v[80:81], v[78:79], -v[80:81]
	v_add_f64 v[74:75], v[74:75], -v[80:81]
	v_add_f64 v[80:81], v[82:83], v[78:79]
	v_add_f64 v[84:85], v[80:81], -v[82:83]
	v_add_f64 v[88:89], v[80:81], -v[84:85]
	;; [unrolled: 1-line block ×4, first 2 shown]
	v_add_f64 v[78:79], v[78:79], v[82:83]
	v_add_f64 v[82:83], v[86:87], v[74:75]
	v_add_f64 v[84:85], v[82:83], -v[86:87]
	v_add_f64 v[78:79], v[82:83], v[78:79]
	v_add_f64 v[88:89], v[82:83], -v[84:85]
	;; [unrolled: 2-line block ×3, first 2 shown]
	v_add_f64 v[74:75], v[74:75], -v[84:85]
	v_add_f64 v[80:81], v[82:83], -v[80:81]
	v_add_f64 v[74:75], v[74:75], v[86:87]
	v_add_f64 v[78:79], v[78:79], -v[80:81]
	v_add_f64 v[74:75], v[74:75], v[78:79]
	v_max_f64 v[78:79], |v[8:9]|, |v[8:9]|
	v_max_f64 v[80:81], |v[6:7]|, |v[6:7]|
	v_add_f64 v[74:75], v[82:83], v[74:75]
	v_max_f64 v[82:83], v[80:81], v[78:79]
	v_min_f64 v[78:79], v[80:81], v[78:79]
	v_div_scale_f64 v[80:81], s[2:3], v[82:83], v[82:83], v[78:79]
	v_cmp_eq_f64_e32 vcc, s[30:31], v[76:77]
	v_rcp_f64_e32 v[84:85], v[80:81]
	v_cndmask_b32_e32 v75, v75, v77, vcc
	v_cndmask_b32_e32 v74, v74, v76, vcc
	v_mul_f64 v[74:75], v[74:75], 0.5
	v_cmp_ngt_f64_e32 vcc, -1.0, v[76:77]
	v_cndmask_b32_e32 v1, v107, v75, vcc
	v_cmp_nge_f64_e32 vcc, -1.0, v[76:77]
	v_cndmask_b32_e32 v74, 0, v74, vcc
	v_cmp_neq_f64_e32 vcc, -1.0, v[76:77]
	v_fma_f64 v[76:77], -v[80:81], v[84:85], 1.0
	v_fmac_f64_e32 v[84:85], v[84:85], v[76:77]
	v_fma_f64 v[76:77], -v[80:81], v[84:85], 1.0
	v_cndmask_b32_e32 v75, v108, v1, vcc
	v_fmac_f64_e32 v[84:85], v[84:85], v[76:77]
	v_div_scale_f64 v[76:77], vcc, v[78:79], v[82:83], v[78:79]
	v_mul_f64 v[86:87], v[76:77], v[84:85]
	v_fma_f64 v[76:77], -v[80:81], v[86:87], v[76:77]
	v_pk_mov_b32 v[80:81], v[32:33], v[32:33] op_sel:[0,1]
	s_nop 0
	v_div_fmas_f64 v[76:77], v[76:77], v[84:85], v[86:87]
	v_div_fixup_f64 v[76:77], v[76:77], v[82:83], v[78:79]
	v_mul_f64 v[78:79], v[76:77], v[76:77]
	v_fmac_f64_e32 v[80:81], s[34:35], v[78:79]
	v_pk_mov_b32 v[82:83], v[34:35], v[34:35] op_sel:[0,1]
	v_fmac_f64_e32 v[82:83], v[78:79], v[80:81]
	v_pk_mov_b32 v[80:81], v[36:37], v[36:37] op_sel:[0,1]
	;; [unrolled: 2-line block ×18, first 2 shown]
	v_fmac_f64_e32 v[80:81], v[78:79], v[82:83]
	v_cmp_gt_i32_e32 vcc, 0, v7
	v_mul_f64 v[78:79], v[78:79], v[80:81]
	v_cmp_class_f64_e64 s[62:63], v[6:7], s67
	v_cndmask_b32_e32 v6, v111, v112, vcc
	v_fmac_f64_e32 v[76:77], v[76:77], v[78:79]
	v_bfi_b32 v19, s8, v6, v9
	v_ashrrev_i32_e32 v6, 31, v7
	v_and_b32_e32 v78, 0x400921fb, v6
	v_and_b32_e32 v79, 0x54442d18, v6
	v_add_f64 v[6:7], -v[76:77], s[36:37]
	v_cndmask_b32_e64 v7, v77, v7, s[0:1]
	v_cndmask_b32_e64 v6, v76, v6, s[0:1]
	s_mov_b32 s38, s36
	v_add_f64 v[76:77], -v[6:7], s[38:39]
	v_cmp_class_f64_e64 s[2:3], v[8:9], s67
	v_cndmask_b32_e32 v1, v109, v110, vcc
	v_cndmask_b32_e32 v7, v7, v77, vcc
	;; [unrolled: 1-line block ×3, first 2 shown]
	v_cmp_eq_f64_e32 vcc, 0, v[8:9]
	v_cndmask_b32_e32 v6, v6, v79, vcc
	v_cndmask_b32_e32 v7, v7, v78, vcc
	s_and_b64 vcc, s[62:63], s[2:3]
	v_cndmask_b32_e32 v77, v7, v19, vcc
	v_cndmask_b32_e32 v76, v6, v1, vcc
.LBB192_18:                             ;   in Loop: Header=BB192_5 Depth=1
	s_or_b64 exec, exec, s[60:61]
.LBB192_19:                             ;   in Loop: Header=BB192_5 Depth=1
	s_or_b64 exec, exec, s[58:59]
.LBB192_20:                             ;   in Loop: Header=BB192_5 Depth=1
	s_andn2_saveexec_b64 s[56:57], s[56:57]
	s_cbranch_execz .LBB192_22
; %bb.21:                               ;   in Loop: Header=BB192_5 Depth=1
	v_max_f64 v[74:75], |v[8:9]|, |v[8:9]|
	v_max_f64 v[76:77], |v[6:7]|, |v[6:7]|
	v_max_f64 v[78:79], v[76:77], v[74:75]
	v_frexp_exp_i32_f64_e32 v1, v[78:79]
	v_sub_u32_e32 v19, 0, v1
	v_ldexp_f64 v[82:83], |v[8:9]|, v19
	v_ldexp_f64 v[80:81], |v[6:7]|, v19
	v_mul_f64 v[82:83], v[82:83], v[82:83]
	v_fmac_f64_e32 v[82:83], v[80:81], v[80:81]
	v_rsq_f64_e32 v[80:81], v[82:83]
	v_cmp_eq_f64_e32 vcc, 0, v[82:83]
	v_cmp_class_f64_e64 s[58:59], v[6:7], s67
	v_cmp_class_f64_e64 s[60:61], v[8:9], s67
	v_mul_f64 v[84:85], v[82:83], v[80:81]
	v_mul_f64 v[80:81], v[80:81], 0.5
	v_fma_f64 v[86:87], -v[80:81], v[84:85], 0.5
	v_fmac_f64_e32 v[84:85], v[84:85], v[86:87]
	v_fmac_f64_e32 v[80:81], v[80:81], v[86:87]
	v_fma_f64 v[86:87], -v[84:85], v[84:85], v[82:83]
	v_fmac_f64_e32 v[84:85], v[86:87], v[80:81]
	v_cndmask_b32_e32 v81, v85, v83, vcc
	v_cndmask_b32_e32 v80, v84, v82, vcc
	v_ldexp_f64 v[80:81], v[80:81], v1
	s_or_b64 vcc, s[58:59], s[60:61]
	v_cndmask_b32_e32 v83, v81, v114, vcc
	v_cndmask_b32_e64 v82, v80, 0, vcc
	v_frexp_mant_f64_e32 v[84:85], v[82:83]
	v_cmp_gt_f64_e64 s[2:3], s[22:23], v[84:85]
	v_cndmask_b32_e64 v19, v113, 2.0, s[2:3]
	v_mul_f64 v[84:85], v[84:85], v[18:19]
	v_add_f64 v[86:87], v[84:85], 1.0
	v_rcp_f64_e32 v[88:89], v[86:87]
	v_add_f64 v[92:93], v[86:87], -1.0
	v_add_f64 v[90:91], v[84:85], -1.0
	v_add_f64 v[84:85], v[84:85], -v[92:93]
	v_fma_f64 v[92:93], -v[86:87], v[88:89], 1.0
	v_fmac_f64_e32 v[88:89], v[92:93], v[88:89]
	v_fma_f64 v[92:93], -v[86:87], v[88:89], 1.0
	v_fmac_f64_e32 v[88:89], v[92:93], v[88:89]
	v_mul_f64 v[92:93], v[90:91], v[88:89]
	v_mul_f64 v[94:95], v[86:87], v[92:93]
	v_fma_f64 v[86:87], v[92:93], v[86:87], -v[94:95]
	v_fmac_f64_e32 v[86:87], v[92:93], v[84:85]
	v_add_f64 v[84:85], v[94:95], v[86:87]
	v_add_f64 v[96:97], v[90:91], -v[84:85]
	v_add_f64 v[94:95], v[84:85], -v[94:95]
	;; [unrolled: 1-line block ×5, first 2 shown]
	v_add_f64 v[84:85], v[86:87], v[84:85]
	v_add_f64 v[84:85], v[96:97], v[84:85]
	v_mul_f64 v[84:85], v[88:89], v[84:85]
	v_add_f64 v[86:87], v[92:93], v[84:85]
	v_add_f64 v[88:89], v[86:87], -v[92:93]
	v_add_f64 v[84:85], v[84:85], -v[88:89]
	v_mul_f64 v[88:89], v[86:87], v[86:87]
	v_pk_mov_b32 v[90:91], v[20:21], v[20:21] op_sel:[0,1]
	v_fmac_f64_e32 v[90:91], s[24:25], v[88:89]
	v_pk_mov_b32 v[92:93], v[22:23], v[22:23] op_sel:[0,1]
	v_fmac_f64_e32 v[92:93], v[88:89], v[90:91]
	;; [unrolled: 2-line block ×6, first 2 shown]
	v_ldexp_f64 v[90:91], v[86:87], 1
	v_mul_f64 v[86:87], v[86:87], v[88:89]
	v_mul_f64 v[86:87], v[86:87], v[92:93]
	v_add_f64 v[88:89], v[90:91], v[86:87]
	v_add_f64 v[90:91], v[88:89], -v[90:91]
	v_ldexp_f64 v[84:85], v[84:85], 1
	v_add_f64 v[86:87], v[86:87], -v[90:91]
	v_add_f64 v[84:85], v[84:85], v[86:87]
	v_frexp_exp_i32_f64_e32 v1, v[82:83]
	v_add_f64 v[86:87], v[88:89], v[84:85]
	v_subbrev_co_u32_e64 v1, s[2:3], 0, v1, s[2:3]
	v_add_f64 v[88:89], v[86:87], -v[88:89]
	v_add_f64 v[84:85], v[84:85], -v[88:89]
	v_cvt_f64_i32_e32 v[88:89], v1
	v_mul_f64 v[90:91], v[88:89], s[26:27]
	v_fma_f64 v[92:93], v[88:89], s[26:27], -v[90:91]
	v_fmac_f64_e32 v[92:93], s[28:29], v[88:89]
	v_add_f64 v[88:89], v[90:91], v[92:93]
	v_add_f64 v[90:91], v[88:89], -v[90:91]
	v_add_f64 v[90:91], v[92:93], -v[90:91]
	v_add_f64 v[92:93], v[88:89], v[86:87]
	v_add_f64 v[94:95], v[92:93], -v[88:89]
	v_add_f64 v[96:97], v[92:93], -v[94:95]
	;; [unrolled: 1-line block ×4, first 2 shown]
	v_add_f64 v[86:87], v[86:87], v[88:89]
	v_add_f64 v[88:89], v[90:91], v[84:85]
	v_add_f64 v[94:95], v[88:89], -v[90:91]
	v_add_f64 v[96:97], v[88:89], -v[94:95]
	v_add_f64 v[86:87], v[88:89], v[86:87]
	v_add_f64 v[90:91], v[90:91], -v[96:97]
	v_add_f64 v[84:85], v[84:85], -v[94:95]
	v_add_f64 v[88:89], v[92:93], v[86:87]
	v_add_f64 v[84:85], v[84:85], v[90:91]
	v_add_f64 v[90:91], v[88:89], -v[92:93]
	v_add_f64 v[86:87], v[86:87], -v[90:91]
	v_add_f64 v[84:85], v[84:85], v[86:87]
	v_add_f64 v[84:85], v[88:89], v[84:85]
	v_cmp_class_f64_e64 s[2:3], v[80:81], s67
	v_min_f64 v[76:77], v[76:77], v[74:75]
	v_cndmask_b32_e64 v1, v85, v81, s[2:3]
	v_cndmask_b32_e64 v6, v84, v80, s[2:3]
	v_div_scale_f64 v[80:81], s[2:3], v[78:79], v[78:79], v[76:77]
	v_rcp_f64_e32 v[84:85], v[80:81]
	v_cndmask_b32_e64 v6, v6, 0, vcc
	v_cndmask_b32_e32 v1, v1, v114, vcc
	v_cmp_ngt_f64_e32 vcc, 0, v[82:83]
	v_cndmask_b32_e32 v1, v107, v1, vcc
	v_cmp_nge_f64_e32 vcc, 0, v[82:83]
	v_cndmask_b32_e32 v74, 0, v6, vcc
	v_cmp_neq_f64_e32 vcc, 0, v[82:83]
	v_fma_f64 v[82:83], -v[80:81], v[84:85], 1.0
	v_fmac_f64_e32 v[84:85], v[84:85], v[82:83]
	v_fma_f64 v[82:83], -v[80:81], v[84:85], 1.0
	v_cndmask_b32_e32 v75, v108, v1, vcc
	v_fmac_f64_e32 v[84:85], v[84:85], v[82:83]
	v_div_scale_f64 v[82:83], vcc, v[76:77], v[78:79], v[76:77]
	v_mul_f64 v[86:87], v[82:83], v[84:85]
	v_fma_f64 v[80:81], -v[80:81], v[86:87], v[82:83]
	v_pk_mov_b32 v[82:83], v[34:35], v[34:35] op_sel:[0,1]
	s_nop 0
	v_div_fmas_f64 v[80:81], v[80:81], v[84:85], v[86:87]
	v_div_fixup_f64 v[76:77], v[80:81], v[78:79], v[76:77]
	v_mul_f64 v[78:79], v[76:77], v[76:77]
	v_pk_mov_b32 v[80:81], v[32:33], v[32:33] op_sel:[0,1]
	v_fmac_f64_e32 v[80:81], s[34:35], v[78:79]
	v_fmac_f64_e32 v[82:83], v[78:79], v[80:81]
	v_pk_mov_b32 v[80:81], v[36:37], v[36:37] op_sel:[0,1]
	v_fmac_f64_e32 v[80:81], v[78:79], v[82:83]
	v_pk_mov_b32 v[82:83], v[38:39], v[38:39] op_sel:[0,1]
	;; [unrolled: 2-line block ×17, first 2 shown]
	v_fmac_f64_e32 v[80:81], v[78:79], v[82:83]
	v_cmp_gt_i32_e32 vcc, 0, v7
	v_mul_f64 v[78:79], v[78:79], v[80:81]
	v_cndmask_b32_e32 v6, v111, v112, vcc
	v_fmac_f64_e32 v[76:77], v[76:77], v[78:79]
	v_bfi_b32 v19, s8, v6, v9
	v_ashrrev_i32_e32 v6, 31, v7
	v_and_b32_e32 v78, 0x400921fb, v6
	v_and_b32_e32 v79, 0x54442d18, v6
	v_add_f64 v[6:7], -v[76:77], s[36:37]
	v_cndmask_b32_e64 v7, v77, v7, s[0:1]
	v_cndmask_b32_e64 v6, v76, v6, s[0:1]
	s_mov_b32 s38, s36
	v_add_f64 v[76:77], -v[6:7], s[38:39]
	v_cndmask_b32_e32 v1, v109, v110, vcc
	v_cndmask_b32_e32 v7, v7, v77, vcc
	;; [unrolled: 1-line block ×3, first 2 shown]
	v_cmp_eq_f64_e32 vcc, 0, v[8:9]
	v_cndmask_b32_e32 v6, v6, v79, vcc
	v_cndmask_b32_e32 v7, v7, v78, vcc
	s_and_b64 vcc, s[58:59], s[60:61]
	v_cndmask_b32_e32 v77, v7, v19, vcc
	v_cndmask_b32_e32 v76, v6, v1, vcc
.LBB192_22:                             ;   in Loop: Header=BB192_5 Depth=1
	s_or_b64 exec, exec, s[56:57]
                                        ; implicit-def: $vgpr78_vgpr79
.LBB192_23:                             ;   in Loop: Header=BB192_5 Depth=1
	s_andn2_saveexec_b64 s[2:3], s[54:55]
	s_cbranch_execz .LBB192_29
; %bb.24:                               ;   in Loop: Header=BB192_5 Depth=1
	v_cmp_ngt_f64_e32 vcc, s[42:43], v[78:79]
                                        ; implicit-def: $vgpr74_vgpr75
                                        ; implicit-def: $vgpr76_vgpr77
	s_and_saveexec_b64 s[54:55], vcc
	s_xor_b64 s[54:55], exec, s[54:55]
	s_cbranch_execz .LBB192_26
; %bb.25:                               ;   in Loop: Header=BB192_5 Depth=1
	v_mul_f64 v[74:75], v[78:79], v[78:79]
	v_add_f64 v[76:77], v[74:75], 1.0
	v_add_f64 v[78:79], v[76:77], -1.0
	v_add_f64 v[80:81], v[78:79], -v[76:77]
	v_add_f64 v[80:81], v[80:81], 1.0
	v_add_f64 v[78:79], v[74:75], -v[78:79]
	v_add_f64 v[78:79], v[78:79], v[80:81]
	v_frexp_mant_f64_e32 v[80:81], v[76:77]
	v_frexp_exp_i32_f64_e32 v1, v[76:77]
	v_cmp_gt_f64_e32 vcc, s[22:23], v[80:81]
	v_subbrev_co_u32_e32 v1, vcc, 0, v1, vcc
	v_sub_u32_e32 v19, 0, v1
	v_ldexp_f64 v[76:77], v[76:77], v19
	v_add_f64 v[80:81], v[76:77], -1.0
	v_add_f64 v[86:87], v[76:77], 1.0
	v_add_f64 v[82:83], v[80:81], 1.0
	v_add_f64 v[88:89], v[86:87], -1.0
	v_ldexp_f64 v[78:79], v[78:79], v19
	v_add_f64 v[82:83], v[76:77], -v[82:83]
	v_add_f64 v[76:77], v[76:77], -v[88:89]
	v_add_f64 v[76:77], v[78:79], v[76:77]
	v_add_f64 v[82:83], v[78:79], v[82:83]
	;; [unrolled: 1-line block ×3, first 2 shown]
	v_rcp_f64_e32 v[88:89], v[78:79]
	v_add_f64 v[84:85], v[80:81], v[82:83]
	v_add_f64 v[80:81], v[80:81], -v[84:85]
	v_add_f64 v[80:81], v[82:83], v[80:81]
	v_add_f64 v[82:83], v[86:87], -v[78:79]
	v_add_f64 v[76:77], v[76:77], v[82:83]
	v_fma_f64 v[82:83], -v[78:79], v[88:89], 1.0
	v_fmac_f64_e32 v[88:89], v[82:83], v[88:89]
	v_fma_f64 v[82:83], -v[78:79], v[88:89], 1.0
	v_fmac_f64_e32 v[88:89], v[82:83], v[88:89]
	v_mul_f64 v[82:83], v[84:85], v[88:89]
	v_mul_f64 v[86:87], v[78:79], v[82:83]
	v_fma_f64 v[90:91], v[82:83], v[78:79], -v[86:87]
	v_fmac_f64_e32 v[90:91], v[82:83], v[76:77]
	v_add_f64 v[92:93], v[86:87], v[90:91]
	v_add_f64 v[94:95], v[84:85], -v[92:93]
	v_add_f64 v[84:85], v[84:85], -v[94:95]
	;; [unrolled: 1-line block ×4, first 2 shown]
	v_add_f64 v[80:81], v[80:81], v[84:85]
	v_add_f64 v[84:85], v[86:87], -v[90:91]
	v_add_f64 v[80:81], v[84:85], v[80:81]
	v_add_f64 v[84:85], v[94:95], v[80:81]
	v_add_f64 v[86:87], v[94:95], -v[84:85]
	v_add_f64 v[80:81], v[80:81], v[86:87]
	v_mul_f64 v[86:87], v[88:89], v[84:85]
	v_mul_f64 v[90:91], v[78:79], v[86:87]
	v_fma_f64 v[78:79], v[86:87], v[78:79], -v[90:91]
	v_fmac_f64_e32 v[78:79], v[86:87], v[76:77]
	v_add_f64 v[76:77], v[90:91], v[78:79]
	v_add_f64 v[92:93], v[84:85], -v[76:77]
	v_add_f64 v[84:85], v[84:85], -v[92:93]
	;; [unrolled: 1-line block ×4, first 2 shown]
	v_add_f64 v[76:77], v[80:81], v[76:77]
	v_add_f64 v[78:79], v[90:91], -v[78:79]
	v_add_f64 v[76:77], v[78:79], v[76:77]
	v_add_f64 v[78:79], v[82:83], v[86:87]
	;; [unrolled: 1-line block ×3, first 2 shown]
	v_add_f64 v[80:81], v[78:79], -v[82:83]
	v_mul_f64 v[76:77], v[88:89], v[76:77]
	v_add_f64 v[80:81], v[86:87], -v[80:81]
	v_add_f64 v[76:77], v[80:81], v[76:77]
	v_add_f64 v[80:81], v[78:79], v[76:77]
	v_add_f64 v[78:79], v[80:81], -v[78:79]
	v_add_f64 v[76:77], v[76:77], -v[78:79]
	v_mul_f64 v[78:79], v[80:81], v[80:81]
	v_pk_mov_b32 v[82:83], v[20:21], v[20:21] op_sel:[0,1]
	v_fmac_f64_e32 v[82:83], s[24:25], v[78:79]
	v_pk_mov_b32 v[84:85], v[22:23], v[22:23] op_sel:[0,1]
	v_fmac_f64_e32 v[84:85], v[78:79], v[82:83]
	;; [unrolled: 2-line block ×6, first 2 shown]
	v_cvt_f64_i32_e32 v[82:83], v1
	v_mul_f64 v[86:87], v[82:83], s[26:27]
	v_fma_f64 v[88:89], v[82:83], s[26:27], -v[86:87]
	v_fmac_f64_e32 v[88:89], s[28:29], v[82:83]
	v_add_f64 v[82:83], v[86:87], v[88:89]
	v_add_f64 v[86:87], v[82:83], -v[86:87]
	v_mul_f64 v[78:79], v[80:81], v[78:79]
	v_add_f64 v[86:87], v[88:89], -v[86:87]
	v_ldexp_f64 v[88:89], v[80:81], 1
	v_mul_f64 v[78:79], v[78:79], v[84:85]
	v_add_f64 v[80:81], v[88:89], v[78:79]
	v_add_f64 v[84:85], v[80:81], -v[88:89]
	v_ldexp_f64 v[76:77], v[76:77], 1
	v_add_f64 v[78:79], v[78:79], -v[84:85]
	v_add_f64 v[76:77], v[76:77], v[78:79]
	v_add_f64 v[78:79], v[80:81], v[76:77]
	v_add_f64 v[80:81], v[78:79], -v[80:81]
	v_add_f64 v[76:77], v[76:77], -v[80:81]
	v_add_f64 v[80:81], v[82:83], v[78:79]
	v_add_f64 v[84:85], v[80:81], -v[82:83]
	v_add_f64 v[88:89], v[80:81], -v[84:85]
	;; [unrolled: 1-line block ×4, first 2 shown]
	v_add_f64 v[78:79], v[78:79], v[82:83]
	v_add_f64 v[82:83], v[86:87], v[76:77]
	v_add_f64 v[84:85], v[82:83], -v[86:87]
	v_add_f64 v[78:79], v[82:83], v[78:79]
	v_add_f64 v[88:89], v[82:83], -v[84:85]
	;; [unrolled: 2-line block ×3, first 2 shown]
	v_add_f64 v[76:77], v[76:77], -v[84:85]
	v_add_f64 v[80:81], v[82:83], -v[80:81]
	v_add_f64 v[76:77], v[76:77], v[86:87]
	v_add_f64 v[78:79], v[78:79], -v[80:81]
	v_add_f64 v[76:77], v[76:77], v[78:79]
	v_max_f64 v[78:79], |v[8:9]|, |v[8:9]|
	v_max_f64 v[80:81], |v[6:7]|, |v[6:7]|
	v_add_f64 v[76:77], v[82:83], v[76:77]
	v_max_f64 v[82:83], v[80:81], v[78:79]
	v_min_f64 v[78:79], v[80:81], v[78:79]
	v_div_scale_f64 v[80:81], s[56:57], v[82:83], v[82:83], v[78:79]
	v_rcp_f64_e32 v[84:85], v[80:81]
	v_cmp_eq_f64_e32 vcc, s[30:31], v[74:75]
	v_cndmask_b32_e32 v75, v77, v75, vcc
	v_cndmask_b32_e32 v74, v76, v74, vcc
	v_fma_f64 v[76:77], -v[80:81], v[84:85], 1.0
	v_fmac_f64_e32 v[84:85], v[84:85], v[76:77]
	v_fma_f64 v[76:77], -v[80:81], v[84:85], 1.0
	v_fmac_f64_e32 v[84:85], v[84:85], v[76:77]
	v_div_scale_f64 v[76:77], vcc, v[78:79], v[82:83], v[78:79]
	v_mul_f64 v[86:87], v[76:77], v[84:85]
	v_fma_f64 v[76:77], -v[80:81], v[86:87], v[76:77]
	v_pk_mov_b32 v[80:81], v[32:33], v[32:33] op_sel:[0,1]
	s_nop 0
	v_div_fmas_f64 v[76:77], v[76:77], v[84:85], v[86:87]
	v_div_fixup_f64 v[76:77], v[76:77], v[82:83], v[78:79]
	v_mul_f64 v[78:79], v[76:77], v[76:77]
	v_fmac_f64_e32 v[80:81], s[34:35], v[78:79]
	v_pk_mov_b32 v[82:83], v[34:35], v[34:35] op_sel:[0,1]
	v_fmac_f64_e32 v[82:83], v[78:79], v[80:81]
	v_pk_mov_b32 v[80:81], v[36:37], v[36:37] op_sel:[0,1]
	;; [unrolled: 2-line block ×18, first 2 shown]
	v_fmac_f64_e32 v[80:81], v[78:79], v[82:83]
	v_cmp_gt_i32_e32 vcc, 0, v7
	v_mul_f64 v[78:79], v[78:79], v[80:81]
	v_cmp_class_f64_e64 s[58:59], v[6:7], s67
	v_cndmask_b32_e32 v6, v111, v112, vcc
	v_fmac_f64_e32 v[76:77], v[76:77], v[78:79]
	v_bfi_b32 v19, s8, v6, v9
	v_ashrrev_i32_e32 v6, 31, v7
	v_and_b32_e32 v78, 0x400921fb, v6
	v_and_b32_e32 v79, 0x54442d18, v6
	v_add_f64 v[6:7], -v[76:77], s[36:37]
	v_cndmask_b32_e64 v7, v77, v7, s[0:1]
	v_cndmask_b32_e64 v6, v76, v6, s[0:1]
	s_mov_b32 s38, s36
	v_add_f64 v[76:77], -v[6:7], s[38:39]
	v_cmp_class_f64_e64 s[56:57], v[8:9], s67
	v_cndmask_b32_e32 v1, v109, v110, vcc
	v_cndmask_b32_e32 v7, v7, v77, vcc
	v_cndmask_b32_e32 v6, v6, v76, vcc
	v_cmp_eq_f64_e32 vcc, 0, v[8:9]
	v_cndmask_b32_e32 v6, v6, v79, vcc
	v_cndmask_b32_e32 v7, v7, v78, vcc
	s_and_b64 vcc, s[58:59], s[56:57]
	v_mul_f64 v[74:75], v[74:75], 0.5
	v_cndmask_b32_e32 v77, v7, v19, vcc
	v_cndmask_b32_e32 v76, v6, v1, vcc
                                        ; implicit-def: $vgpr78_vgpr79
.LBB192_26:                             ;   in Loop: Header=BB192_5 Depth=1
	s_andn2_saveexec_b64 s[54:55], s[54:55]
	s_cbranch_execz .LBB192_28
; %bb.27:                               ;   in Loop: Header=BB192_5 Depth=1
	v_max_f64 v[74:75], |v[8:9]|, |v[8:9]|
	v_max_f64 v[76:77], |v[6:7]|, |v[6:7]|
	v_max_f64 v[80:81], v[76:77], v[74:75]
	v_min_f64 v[76:77], v[76:77], v[74:75]
	v_div_scale_f64 v[82:83], s[56:57], v[80:81], v[80:81], v[76:77]
	v_rcp_f64_e32 v[84:85], v[82:83]
	v_mul_f64 v[74:75], v[78:79], 0.5
	v_mul_f64 v[74:75], v[78:79], v[74:75]
	v_cmp_class_f64_e64 s[58:59], v[6:7], s67
	v_fma_f64 v[78:79], -v[82:83], v[84:85], 1.0
	v_fmac_f64_e32 v[84:85], v[84:85], v[78:79]
	v_fma_f64 v[78:79], -v[82:83], v[84:85], 1.0
	v_fmac_f64_e32 v[84:85], v[84:85], v[78:79]
	v_div_scale_f64 v[78:79], vcc, v[76:77], v[80:81], v[76:77]
	v_mul_f64 v[86:87], v[78:79], v[84:85]
	v_fma_f64 v[78:79], -v[82:83], v[86:87], v[78:79]
	v_pk_mov_b32 v[82:83], v[34:35], v[34:35] op_sel:[0,1]
	s_nop 0
	v_div_fmas_f64 v[78:79], v[78:79], v[84:85], v[86:87]
	v_div_fixup_f64 v[76:77], v[78:79], v[80:81], v[76:77]
	v_mul_f64 v[78:79], v[76:77], v[76:77]
	v_pk_mov_b32 v[80:81], v[32:33], v[32:33] op_sel:[0,1]
	v_fmac_f64_e32 v[80:81], s[34:35], v[78:79]
	v_fmac_f64_e32 v[82:83], v[78:79], v[80:81]
	v_pk_mov_b32 v[80:81], v[36:37], v[36:37] op_sel:[0,1]
	v_fmac_f64_e32 v[80:81], v[78:79], v[82:83]
	v_pk_mov_b32 v[82:83], v[38:39], v[38:39] op_sel:[0,1]
	;; [unrolled: 2-line block ×17, first 2 shown]
	v_fmac_f64_e32 v[80:81], v[78:79], v[82:83]
	v_cmp_gt_i32_e32 vcc, 0, v7
	v_mul_f64 v[78:79], v[78:79], v[80:81]
	v_cndmask_b32_e32 v6, v111, v112, vcc
	v_fmac_f64_e32 v[76:77], v[76:77], v[78:79]
	v_bfi_b32 v19, s8, v6, v9
	v_ashrrev_i32_e32 v6, 31, v7
	v_and_b32_e32 v78, 0x400921fb, v6
	v_and_b32_e32 v79, 0x54442d18, v6
	v_add_f64 v[6:7], -v[76:77], s[36:37]
	v_cndmask_b32_e64 v7, v77, v7, s[0:1]
	v_cndmask_b32_e64 v6, v76, v6, s[0:1]
	s_mov_b32 s38, s36
	v_add_f64 v[76:77], -v[6:7], s[38:39]
	v_cmp_class_f64_e64 s[56:57], v[8:9], s67
	v_cndmask_b32_e32 v1, v109, v110, vcc
	v_cndmask_b32_e32 v7, v7, v77, vcc
	;; [unrolled: 1-line block ×3, first 2 shown]
	v_cmp_eq_f64_e32 vcc, 0, v[8:9]
	v_cndmask_b32_e32 v6, v6, v79, vcc
	v_cndmask_b32_e32 v7, v7, v78, vcc
	s_and_b64 vcc, s[58:59], s[56:57]
	v_cndmask_b32_e32 v77, v7, v19, vcc
	v_cndmask_b32_e32 v76, v6, v1, vcc
.LBB192_28:                             ;   in Loop: Header=BB192_5 Depth=1
	s_or_b64 exec, exec, s[54:55]
.LBB192_29:                             ;   in Loop: Header=BB192_5 Depth=1
	s_or_b64 exec, exec, s[2:3]
.LBB192_30:                             ;   in Loop: Header=BB192_5 Depth=1
	s_andn2_saveexec_b64 s[54:55], s[6:7]
	s_cbranch_execz .LBB192_32
; %bb.31:                               ;   in Loop: Header=BB192_5 Depth=1
	v_div_scale_f64 v[74:75], s[2:3], s[44:45], s[44:45], v[6:7]
	v_rcp_f64_e32 v[76:77], v[74:75]
	v_div_scale_f64 v[78:79], vcc, v[6:7], s[44:45], v[6:7]
	s_mov_b32 s38, s36
	v_fma_f64 v[80:81], -v[74:75], v[76:77], 1.0
	v_fmac_f64_e32 v[76:77], v[76:77], v[80:81]
	v_fma_f64 v[80:81], -v[74:75], v[76:77], 1.0
	v_fmac_f64_e32 v[76:77], v[76:77], v[80:81]
	v_mul_f64 v[80:81], v[78:79], v[76:77]
	v_fma_f64 v[74:75], -v[74:75], v[80:81], v[78:79]
	v_div_scale_f64 v[78:79], s[2:3], s[44:45], s[44:45], v[8:9]
	v_rcp_f64_e32 v[82:83], v[78:79]
	v_div_fmas_f64 v[74:75], v[74:75], v[76:77], v[80:81]
	v_div_fixup_f64 v[74:75], v[74:75], s[44:45], v[6:7]
	v_cmp_class_f64_e64 s[6:7], v[74:75], s67
	v_fma_f64 v[76:77], -v[78:79], v[82:83], 1.0
	v_fmac_f64_e32 v[82:83], v[82:83], v[76:77]
	v_fma_f64 v[76:77], -v[78:79], v[82:83], 1.0
	v_fmac_f64_e32 v[82:83], v[82:83], v[76:77]
	v_div_scale_f64 v[76:77], vcc, v[8:9], s[44:45], v[8:9]
	v_mul_f64 v[80:81], v[76:77], v[82:83]
	v_fma_f64 v[76:77], -v[78:79], v[80:81], v[76:77]
	s_nop 1
	v_div_fmas_f64 v[76:77], v[76:77], v[82:83], v[80:81]
	v_div_fixup_f64 v[76:77], v[76:77], s[44:45], v[8:9]
	v_max_f64 v[78:79], |v[74:75]|, |v[76:77]|
	v_frexp_exp_i32_f64_e32 v1, v[78:79]
	v_sub_u32_e32 v19, 0, v1
	v_ldexp_f64 v[80:81], |v[76:77]|, v19
	v_ldexp_f64 v[78:79], |v[74:75]|, v19
	v_mul_f64 v[80:81], v[80:81], v[80:81]
	v_fmac_f64_e32 v[80:81], v[78:79], v[78:79]
	v_rsq_f64_e32 v[78:79], v[80:81]
	v_cmp_eq_f64_e32 vcc, 0, v[80:81]
	v_cmp_o_f64_e64 s[2:3], v[74:75], v[76:77]
	v_cmp_class_f64_e64 s[56:57], v[76:77], s67
	v_mul_f64 v[82:83], v[80:81], v[78:79]
	v_mul_f64 v[78:79], v[78:79], 0.5
	v_fma_f64 v[84:85], -v[78:79], v[82:83], 0.5
	v_fmac_f64_e32 v[82:83], v[82:83], v[84:85]
	v_fmac_f64_e32 v[78:79], v[78:79], v[84:85]
	v_fma_f64 v[84:85], -v[82:83], v[82:83], v[80:81]
	v_fmac_f64_e32 v[82:83], v[84:85], v[78:79]
	v_cndmask_b32_e32 v79, v83, v81, vcc
	v_cndmask_b32_e32 v78, v82, v80, vcc
	v_ldexp_f64 v[78:79], v[78:79], v1
	v_cndmask_b32_e64 v1, 0, v78, s[2:3]
	v_cndmask_b32_e64 v92, v107, v79, s[2:3]
	s_or_b64 vcc, s[6:7], s[56:57]
	v_cndmask_b32_e32 v77, v92, v114, vcc
	v_cndmask_b32_e64 v76, v1, 0, vcc
	v_frexp_mant_f64_e32 v[74:75], v[76:77]
	v_cmp_gt_f64_e64 s[6:7], s[22:23], v[74:75]
	v_cndmask_b32_e64 v19, v113, 2.0, s[6:7]
	v_frexp_exp_i32_f64_e32 v80, v[76:77]
	v_mul_f64 v[74:75], v[74:75], v[18:19]
	v_subbrev_co_u32_e64 v19, s[6:7], 0, v80, s[6:7]
	v_add_f64 v[80:81], v[74:75], 1.0
	v_rcp_f64_e32 v[82:83], v[80:81]
	v_add_f64 v[86:87], v[80:81], -1.0
	v_add_f64 v[84:85], v[74:75], -1.0
	v_add_f64 v[74:75], v[74:75], -v[86:87]
	v_fma_f64 v[86:87], -v[80:81], v[82:83], 1.0
	v_fmac_f64_e32 v[82:83], v[86:87], v[82:83]
	v_fma_f64 v[86:87], -v[80:81], v[82:83], 1.0
	v_fmac_f64_e32 v[82:83], v[86:87], v[82:83]
	v_mul_f64 v[86:87], v[84:85], v[82:83]
	v_mul_f64 v[88:89], v[80:81], v[86:87]
	v_fma_f64 v[80:81], v[86:87], v[80:81], -v[88:89]
	v_fmac_f64_e32 v[80:81], v[86:87], v[74:75]
	v_add_f64 v[74:75], v[88:89], v[80:81]
	v_add_f64 v[90:91], v[84:85], -v[74:75]
	v_add_f64 v[88:89], v[74:75], -v[88:89]
	;; [unrolled: 1-line block ×5, first 2 shown]
	v_add_f64 v[74:75], v[80:81], v[74:75]
	v_add_f64 v[74:75], v[90:91], v[74:75]
	v_mul_f64 v[74:75], v[82:83], v[74:75]
	v_add_f64 v[80:81], v[86:87], v[74:75]
	v_add_f64 v[82:83], v[80:81], -v[86:87]
	v_add_f64 v[74:75], v[74:75], -v[82:83]
	v_mul_f64 v[82:83], v[80:81], v[80:81]
	v_pk_mov_b32 v[84:85], v[20:21], v[20:21] op_sel:[0,1]
	v_fmac_f64_e32 v[84:85], s[24:25], v[82:83]
	v_pk_mov_b32 v[86:87], v[22:23], v[22:23] op_sel:[0,1]
	v_fmac_f64_e32 v[86:87], v[82:83], v[84:85]
	v_pk_mov_b32 v[84:85], v[24:25], v[24:25] op_sel:[0,1]
	v_fmac_f64_e32 v[84:85], v[82:83], v[86:87]
	v_pk_mov_b32 v[86:87], v[26:27], v[26:27] op_sel:[0,1]
	v_fmac_f64_e32 v[86:87], v[82:83], v[84:85]
	v_pk_mov_b32 v[84:85], v[28:29], v[28:29] op_sel:[0,1]
	v_fmac_f64_e32 v[84:85], v[82:83], v[86:87]
	v_pk_mov_b32 v[86:87], v[30:31], v[30:31] op_sel:[0,1]
	v_fmac_f64_e32 v[86:87], v[82:83], v[84:85]
	v_ldexp_f64 v[84:85], v[80:81], 1
	v_mul_f64 v[80:81], v[80:81], v[82:83]
	v_mul_f64 v[80:81], v[80:81], v[86:87]
	v_add_f64 v[82:83], v[84:85], v[80:81]
	v_add_f64 v[84:85], v[82:83], -v[84:85]
	v_ldexp_f64 v[74:75], v[74:75], 1
	v_add_f64 v[80:81], v[80:81], -v[84:85]
	v_add_f64 v[74:75], v[74:75], v[80:81]
	v_add_f64 v[80:81], v[82:83], v[74:75]
	v_add_f64 v[82:83], v[80:81], -v[82:83]
	v_add_f64 v[74:75], v[74:75], -v[82:83]
	v_cvt_f64_i32_e32 v[82:83], v19
	v_mul_f64 v[84:85], v[82:83], s[26:27]
	v_fma_f64 v[86:87], v[82:83], s[26:27], -v[84:85]
	v_fmac_f64_e32 v[86:87], s[28:29], v[82:83]
	v_add_f64 v[82:83], v[84:85], v[86:87]
	v_add_f64 v[84:85], v[82:83], -v[84:85]
	v_add_f64 v[84:85], v[86:87], -v[84:85]
	v_add_f64 v[86:87], v[82:83], v[80:81]
	v_add_f64 v[88:89], v[86:87], -v[82:83]
	v_add_f64 v[90:91], v[86:87], -v[88:89]
	;; [unrolled: 1-line block ×4, first 2 shown]
	v_add_f64 v[80:81], v[80:81], v[82:83]
	v_add_f64 v[82:83], v[84:85], v[74:75]
	v_add_f64 v[88:89], v[82:83], -v[84:85]
	v_add_f64 v[90:91], v[82:83], -v[88:89]
	v_add_f64 v[80:81], v[82:83], v[80:81]
	v_add_f64 v[84:85], v[84:85], -v[90:91]
	v_add_f64 v[74:75], v[74:75], -v[88:89]
	v_add_f64 v[82:83], v[86:87], v[80:81]
	v_add_f64 v[74:75], v[74:75], v[84:85]
	v_add_f64 v[84:85], v[82:83], -v[86:87]
	v_add_f64 v[80:81], v[80:81], -v[84:85]
	v_and_b32_e32 v79, 0x7fffffff, v79
	v_add_f64 v[74:75], v[74:75], v[80:81]
	v_cmp_eq_f64_e64 s[6:7], s[30:31], v[78:79]
	v_add_f64 v[74:75], v[82:83], v[74:75]
	s_and_b64 s[2:3], s[2:3], s[6:7]
	v_cndmask_b32_e64 v75, v75, v92, s[2:3]
	v_cndmask_b32_e64 v74, v74, v1, s[2:3]
	v_add_f64 v[74:75], v[74:75], 1.0
	v_cndmask_b32_e64 v1, v74, 0, vcc
	v_cndmask_b32_e32 v19, v75, v114, vcc
	v_max_f64 v[74:75], |v[8:9]|, |v[8:9]|
	v_max_f64 v[78:79], |v[6:7]|, |v[6:7]|
	v_max_f64 v[80:81], v[78:79], v[74:75]
	v_min_f64 v[78:79], v[78:79], v[74:75]
	v_div_scale_f64 v[82:83], s[2:3], v[80:81], v[80:81], v[78:79]
	v_rcp_f64_e32 v[84:85], v[82:83]
	v_cmp_ngt_f64_e32 vcc, 0, v[76:77]
	v_cndmask_b32_e32 v19, v107, v19, vcc
	v_cmp_nge_f64_e32 vcc, 0, v[76:77]
	v_cndmask_b32_e32 v74, 0, v1, vcc
	v_cmp_neq_f64_e32 vcc, 0, v[76:77]
	v_fma_f64 v[76:77], -v[82:83], v[84:85], 1.0
	v_fmac_f64_e32 v[84:85], v[84:85], v[76:77]
	v_fma_f64 v[76:77], -v[82:83], v[84:85], 1.0
	v_cndmask_b32_e32 v75, v108, v19, vcc
	v_fmac_f64_e32 v[84:85], v[84:85], v[76:77]
	v_div_scale_f64 v[76:77], vcc, v[78:79], v[80:81], v[78:79]
	v_mul_f64 v[86:87], v[76:77], v[84:85]
	v_fma_f64 v[76:77], -v[82:83], v[86:87], v[76:77]
	v_pk_mov_b32 v[82:83], v[34:35], v[34:35] op_sel:[0,1]
	s_nop 0
	v_div_fmas_f64 v[76:77], v[76:77], v[84:85], v[86:87]
	v_div_fixup_f64 v[76:77], v[76:77], v[80:81], v[78:79]
	v_mul_f64 v[78:79], v[76:77], v[76:77]
	v_pk_mov_b32 v[80:81], v[32:33], v[32:33] op_sel:[0,1]
	v_fmac_f64_e32 v[80:81], s[34:35], v[78:79]
	v_fmac_f64_e32 v[82:83], v[78:79], v[80:81]
	v_pk_mov_b32 v[80:81], v[36:37], v[36:37] op_sel:[0,1]
	v_fmac_f64_e32 v[80:81], v[78:79], v[82:83]
	v_pk_mov_b32 v[82:83], v[38:39], v[38:39] op_sel:[0,1]
	;; [unrolled: 2-line block ×17, first 2 shown]
	v_fmac_f64_e32 v[80:81], v[78:79], v[82:83]
	v_cmp_gt_i32_e32 vcc, 0, v7
	v_mul_f64 v[78:79], v[78:79], v[80:81]
	v_cmp_class_f64_e64 s[6:7], v[6:7], s67
	v_cndmask_b32_e32 v6, v111, v112, vcc
	v_fmac_f64_e32 v[76:77], v[76:77], v[78:79]
	v_bfi_b32 v19, s8, v6, v9
	v_ashrrev_i32_e32 v6, 31, v7
	v_and_b32_e32 v78, 0x400921fb, v6
	v_and_b32_e32 v79, 0x54442d18, v6
	v_add_f64 v[6:7], -v[76:77], s[36:37]
	v_cndmask_b32_e64 v7, v77, v7, s[0:1]
	v_cndmask_b32_e64 v6, v76, v6, s[0:1]
	v_add_f64 v[76:77], -v[6:7], s[38:39]
	v_cmp_class_f64_e64 s[2:3], v[8:9], s67
	v_cndmask_b32_e32 v1, v109, v110, vcc
	v_cndmask_b32_e32 v7, v7, v77, vcc
	v_cndmask_b32_e32 v6, v6, v76, vcc
	v_cmp_eq_f64_e32 vcc, 0, v[8:9]
	v_cndmask_b32_e32 v6, v6, v79, vcc
	v_cndmask_b32_e32 v7, v7, v78, vcc
	s_and_b64 vcc, s[6:7], s[2:3]
	v_cndmask_b32_e32 v77, v7, v19, vcc
	v_cndmask_b32_e32 v76, v6, v1, vcc
.LBB192_32:                             ;   in Loop: Header=BB192_5 Depth=1
	s_or_b64 exec, exec, s[54:55]
.LBB192_33:                             ;   in Loop: Header=BB192_5 Depth=1
	s_andn2_saveexec_b64 s[0:1], s[52:53]
	s_cbranch_execz .LBB192_39
; %bb.34:                               ;   in Loop: Header=BB192_5 Depth=1
	v_cmp_nlt_f64_e64 s[2:3], |v[6:7]|, s[46:47]
	v_cmp_nlt_f64_e64 s[6:7], |v[8:9]|, s[46:47]
	s_or_b64 s[2:3], s[2:3], s[6:7]
                                        ; implicit-def: $vgpr76_vgpr77
	s_and_saveexec_b64 s[6:7], s[2:3]
	s_xor_b64 s[2:3], exec, s[6:7]
; %bb.35:                               ;   in Loop: Header=BB192_5 Depth=1
	v_mul_f64 v[76:77], v[8:9], v[8:9]
	v_fmac_f64_e32 v[76:77], v[6:7], v[6:7]
; %bb.36:                               ;   in Loop: Header=BB192_5 Depth=1
	s_andn2_saveexec_b64 s[2:3], s[2:3]
; %bb.37:                               ;   in Loop: Header=BB192_5 Depth=1
	v_mul_f64 v[74:75], v[8:9], 4.0
	v_mul_f64 v[6:7], v[6:7], 4.0
	v_mul_f64 v[74:75], v[74:75], v[74:75]
	v_fmac_f64_e32 v[74:75], v[6:7], v[6:7]
	v_ldexp_f64 v[76:77], v[74:75], -4
; %bb.38:                               ;   in Loop: Header=BB192_5 Depth=1
	s_or_b64 exec, exec, s[2:3]
	v_frexp_mant_f64_e32 v[6:7], v[76:77]
	v_cmp_gt_f64_e32 vcc, s[22:23], v[6:7]
	v_cndmask_b32_e64 v19, v113, 2.0, vcc
	v_mul_f64 v[6:7], v[6:7], v[18:19]
	v_add_f64 v[74:75], v[6:7], 1.0
	v_rcp_f64_e32 v[78:79], v[74:75]
	v_add_f64 v[82:83], v[74:75], -1.0
	v_add_f64 v[80:81], v[6:7], -1.0
	v_add_f64 v[6:7], v[6:7], -v[82:83]
	v_fma_f64 v[82:83], -v[74:75], v[78:79], 1.0
	v_fmac_f64_e32 v[78:79], v[82:83], v[78:79]
	v_fma_f64 v[82:83], -v[74:75], v[78:79], 1.0
	v_fmac_f64_e32 v[78:79], v[82:83], v[78:79]
	v_mul_f64 v[82:83], v[80:81], v[78:79]
	v_mul_f64 v[84:85], v[74:75], v[82:83]
	v_fma_f64 v[74:75], v[82:83], v[74:75], -v[84:85]
	v_fmac_f64_e32 v[74:75], v[82:83], v[6:7]
	v_add_f64 v[6:7], v[84:85], v[74:75]
	v_add_f64 v[86:87], v[80:81], -v[6:7]
	v_add_f64 v[84:85], v[6:7], -v[84:85]
	;; [unrolled: 1-line block ×5, first 2 shown]
	v_add_f64 v[6:7], v[74:75], v[6:7]
	v_add_f64 v[6:7], v[86:87], v[6:7]
	v_mul_f64 v[6:7], v[78:79], v[6:7]
	v_add_f64 v[74:75], v[82:83], v[6:7]
	v_add_f64 v[78:79], v[74:75], -v[82:83]
	v_add_f64 v[6:7], v[6:7], -v[78:79]
	v_mul_f64 v[78:79], v[74:75], v[74:75]
	v_pk_mov_b32 v[80:81], v[20:21], v[20:21] op_sel:[0,1]
	v_fmac_f64_e32 v[80:81], s[24:25], v[78:79]
	v_pk_mov_b32 v[82:83], v[22:23], v[22:23] op_sel:[0,1]
	v_fmac_f64_e32 v[82:83], v[78:79], v[80:81]
	;; [unrolled: 2-line block ×6, first 2 shown]
	v_ldexp_f64 v[80:81], v[74:75], 1
	v_mul_f64 v[74:75], v[74:75], v[78:79]
	v_mul_f64 v[74:75], v[74:75], v[82:83]
	v_add_f64 v[78:79], v[80:81], v[74:75]
	v_add_f64 v[80:81], v[78:79], -v[80:81]
	v_ldexp_f64 v[6:7], v[6:7], 1
	v_add_f64 v[74:75], v[74:75], -v[80:81]
	v_add_f64 v[6:7], v[6:7], v[74:75]
	v_frexp_exp_i32_f64_e32 v1, v[76:77]
	v_add_f64 v[74:75], v[78:79], v[6:7]
	v_subbrev_co_u32_e32 v1, vcc, 0, v1, vcc
	v_add_f64 v[78:79], v[74:75], -v[78:79]
	v_add_f64 v[6:7], v[6:7], -v[78:79]
	v_cvt_f64_i32_e32 v[78:79], v1
	v_mul_f64 v[80:81], v[78:79], s[26:27]
	v_fma_f64 v[82:83], v[78:79], s[26:27], -v[80:81]
	v_fmac_f64_e32 v[82:83], s[28:29], v[78:79]
	v_add_f64 v[78:79], v[80:81], v[82:83]
	v_add_f64 v[80:81], v[78:79], -v[80:81]
	v_add_f64 v[80:81], v[82:83], -v[80:81]
	v_add_f64 v[82:83], v[78:79], v[74:75]
	v_add_f64 v[84:85], v[82:83], -v[78:79]
	v_add_f64 v[86:87], v[82:83], -v[84:85]
	;; [unrolled: 1-line block ×4, first 2 shown]
	v_add_f64 v[74:75], v[74:75], v[78:79]
	v_add_f64 v[78:79], v[80:81], v[6:7]
	v_add_f64 v[84:85], v[78:79], -v[80:81]
	v_add_f64 v[86:87], v[78:79], -v[84:85]
	v_add_f64 v[74:75], v[78:79], v[74:75]
	v_add_f64 v[80:81], v[80:81], -v[86:87]
	v_add_f64 v[6:7], v[6:7], -v[84:85]
	v_add_f64 v[78:79], v[82:83], v[74:75]
	v_add_f64 v[6:7], v[6:7], v[80:81]
	v_add_f64 v[80:81], v[78:79], -v[82:83]
	v_add_f64 v[74:75], v[74:75], -v[80:81]
	v_add_f64 v[6:7], v[6:7], v[74:75]
	v_add_f64 v[6:7], v[78:79], v[6:7]
	v_cmp_class_f64_e64 vcc, v[76:77], s67
	v_cndmask_b32_e32 v1, v6, v76, vcc
	v_cndmask_b32_e32 v6, v7, v77, vcc
	v_cmp_ngt_f64_e32 vcc, 0, v[76:77]
	v_cndmask_b32_e32 v6, v107, v6, vcc
	v_cmp_nge_f64_e32 vcc, 0, v[76:77]
	v_cndmask_b32_e32 v74, 0, v1, vcc
	v_cmp_neq_f64_e32 vcc, 0, v[76:77]
	v_mov_b32_e32 v76, 0
	v_cndmask_b32_e32 v75, v108, v6, vcc
	v_mov_b32_e32 v77, 0x7ff80000
.LBB192_39:                             ;   in Loop: Header=BB192_5 Depth=1
	s_or_b64 exec, exec, s[0:1]
	v_cmp_o_f64_e32 vcc, v[10:11], v[12:13]
                                        ; implicit-def: $vgpr6_vgpr7
                                        ; implicit-def: $vgpr78_vgpr79
	s_and_saveexec_b64 s[0:1], vcc
	s_xor_b64 s[52:53], exec, s[0:1]
	s_cbranch_execz .LBB192_67
; %bb.40:                               ;   in Loop: Header=BB192_5 Depth=1
	v_and_b32_e32 v19, 0x7fffffff, v11
	v_and_b32_e32 v1, 0x7fffffff, v13
	v_mov_b32_e32 v8, v12
	v_cmp_lt_f64_e64 s[0:1], |v[10:11]|, |v[12:13]|
	v_cndmask_b32_e64 v81, v1, v19, s[0:1]
	v_cndmask_b32_e64 v80, v8, v10, s[0:1]
	v_cmp_nlt_f64_e32 vcc, s[16:17], v[80:81]
                                        ; implicit-def: $vgpr6_vgpr7
                                        ; implicit-def: $vgpr78_vgpr79
	s_and_saveexec_b64 s[2:3], vcc
	s_xor_b64 s[6:7], exec, s[2:3]
	s_cbranch_execz .LBB192_64
; %bb.41:                               ;   in Loop: Header=BB192_5 Depth=1
	v_cndmask_b32_e64 v85, v19, v1, s[0:1]
	v_cndmask_b32_e64 v84, v10, v8, s[0:1]
	v_cmp_neq_f64_e32 vcc, 1.0, v[84:85]
                                        ; implicit-def: $vgpr6_vgpr7
                                        ; implicit-def: $vgpr78_vgpr79
	s_and_saveexec_b64 s[2:3], vcc
	s_xor_b64 s[54:55], exec, s[2:3]
	s_cbranch_execz .LBB192_57
; %bb.42:                               ;   in Loop: Header=BB192_5 Depth=1
	v_max_f64 v[6:7], v[80:81], v[80:81]
	v_max_f64 v[78:79], v[84:85], v[84:85]
	v_min_f64 v[82:83], v[78:79], v[6:7]
	v_max_f64 v[6:7], v[78:79], v[6:7]
	v_cmp_ngt_f64_e32 vcc, s[18:19], v[82:83]
	v_cmp_nlt_f64_e64 s[2:3], s[20:21], v[6:7]
	s_and_b64 s[2:3], s[2:3], vcc
                                        ; implicit-def: $vgpr6_vgpr7
                                        ; implicit-def: $vgpr78_vgpr79
	s_and_saveexec_b64 s[56:57], s[2:3]
	s_xor_b64 s[56:57], exec, s[56:57]
	s_cbranch_execz .LBB192_54
; %bb.43:                               ;   in Loop: Header=BB192_5 Depth=1
	v_cmp_le_f64_e32 vcc, 1.0, v[84:85]
                                        ; implicit-def: $vgpr6_vgpr7
                                        ; implicit-def: $vgpr78_vgpr79
	s_and_saveexec_b64 s[2:3], vcc
	s_xor_b64 s[2:3], exec, s[2:3]
	s_cbranch_execz .LBB192_45
; %bb.44:                               ;   in Loop: Header=BB192_5 Depth=1
	v_add_f64 v[6:7], v[84:85], -1.0
	v_add_f64 v[78:79], v[84:85], 1.0
	v_mul_f64 v[78:79], v[6:7], v[78:79]
	v_fmac_f64_e32 v[78:79], v[80:81], v[80:81]
	v_add_f64 v[6:7], v[78:79], 1.0
	v_add_f64 v[80:81], v[6:7], -1.0
	v_add_f64 v[82:83], v[80:81], -v[6:7]
	v_add_f64 v[82:83], v[82:83], 1.0
	v_add_f64 v[80:81], v[78:79], -v[80:81]
	v_add_f64 v[80:81], v[80:81], v[82:83]
	v_frexp_mant_f64_e32 v[82:83], v[6:7]
	v_frexp_exp_i32_f64_e32 v1, v[6:7]
	v_cmp_gt_f64_e32 vcc, s[22:23], v[82:83]
	v_subbrev_co_u32_e32 v1, vcc, 0, v1, vcc
	v_sub_u32_e32 v8, 0, v1
	v_ldexp_f64 v[6:7], v[6:7], v8
	v_add_f64 v[82:83], v[6:7], -1.0
	v_add_f64 v[88:89], v[6:7], 1.0
	v_add_f64 v[84:85], v[82:83], 1.0
	v_add_f64 v[90:91], v[88:89], -1.0
	v_ldexp_f64 v[80:81], v[80:81], v8
	v_add_f64 v[84:85], v[6:7], -v[84:85]
	v_add_f64 v[6:7], v[6:7], -v[90:91]
	v_add_f64 v[6:7], v[80:81], v[6:7]
	v_add_f64 v[84:85], v[80:81], v[84:85]
	;; [unrolled: 1-line block ×3, first 2 shown]
	v_rcp_f64_e32 v[90:91], v[80:81]
	v_add_f64 v[86:87], v[82:83], v[84:85]
	v_add_f64 v[82:83], v[86:87], -v[82:83]
	v_add_f64 v[82:83], v[84:85], -v[82:83]
	;; [unrolled: 1-line block ×4, first 2 shown]
	v_fma_f64 v[84:85], -v[80:81], v[90:91], 1.0
	v_fmac_f64_e32 v[90:91], v[84:85], v[90:91]
	v_fma_f64 v[84:85], -v[80:81], v[90:91], 1.0
	v_fmac_f64_e32 v[90:91], v[84:85], v[90:91]
	v_mul_f64 v[84:85], v[86:87], v[90:91]
	v_mul_f64 v[88:89], v[80:81], v[84:85]
	v_fma_f64 v[92:93], v[84:85], v[80:81], -v[88:89]
	v_fmac_f64_e32 v[92:93], v[84:85], v[6:7]
	v_add_f64 v[94:95], v[88:89], v[92:93]
	v_add_f64 v[96:97], v[86:87], -v[94:95]
	v_add_f64 v[86:87], v[86:87], -v[96:97]
	v_add_f64 v[88:89], v[94:95], -v[88:89]
	v_add_f64 v[86:87], v[86:87], -v[94:95]
	v_add_f64 v[82:83], v[82:83], v[86:87]
	v_add_f64 v[86:87], v[88:89], -v[92:93]
	v_add_f64 v[82:83], v[86:87], v[82:83]
	v_add_f64 v[86:87], v[96:97], v[82:83]
	v_add_f64 v[88:89], v[96:97], -v[86:87]
	v_add_f64 v[82:83], v[82:83], v[88:89]
	v_mul_f64 v[88:89], v[90:91], v[86:87]
	v_mul_f64 v[92:93], v[80:81], v[88:89]
	v_fma_f64 v[80:81], v[88:89], v[80:81], -v[92:93]
	v_fmac_f64_e32 v[80:81], v[88:89], v[6:7]
	v_add_f64 v[6:7], v[92:93], v[80:81]
	v_add_f64 v[94:95], v[86:87], -v[6:7]
	v_add_f64 v[86:87], v[86:87], -v[94:95]
	;; [unrolled: 1-line block ×4, first 2 shown]
	v_add_f64 v[6:7], v[82:83], v[6:7]
	v_add_f64 v[80:81], v[92:93], -v[80:81]
	v_add_f64 v[6:7], v[80:81], v[6:7]
	v_add_f64 v[80:81], v[84:85], v[88:89]
	;; [unrolled: 1-line block ×3, first 2 shown]
	v_add_f64 v[82:83], v[80:81], -v[84:85]
	v_mul_f64 v[6:7], v[90:91], v[6:7]
	v_add_f64 v[82:83], v[88:89], -v[82:83]
	v_add_f64 v[6:7], v[82:83], v[6:7]
	v_add_f64 v[82:83], v[80:81], v[6:7]
	v_add_f64 v[80:81], v[82:83], -v[80:81]
	v_add_f64 v[6:7], v[6:7], -v[80:81]
	v_mul_f64 v[80:81], v[82:83], v[82:83]
	v_pk_mov_b32 v[84:85], v[20:21], v[20:21] op_sel:[0,1]
	v_fmac_f64_e32 v[84:85], s[24:25], v[80:81]
	v_pk_mov_b32 v[86:87], v[22:23], v[22:23] op_sel:[0,1]
	v_fmac_f64_e32 v[86:87], v[80:81], v[84:85]
	;; [unrolled: 2-line block ×6, first 2 shown]
	v_cvt_f64_i32_e32 v[84:85], v1
	v_mul_f64 v[88:89], v[84:85], s[26:27]
	v_fma_f64 v[90:91], v[84:85], s[26:27], -v[88:89]
	v_fmac_f64_e32 v[90:91], s[28:29], v[84:85]
	v_add_f64 v[84:85], v[88:89], v[90:91]
	v_add_f64 v[88:89], v[84:85], -v[88:89]
	v_mul_f64 v[80:81], v[82:83], v[80:81]
	v_add_f64 v[88:89], v[90:91], -v[88:89]
	v_ldexp_f64 v[90:91], v[82:83], 1
	v_mul_f64 v[80:81], v[80:81], v[86:87]
	v_add_f64 v[82:83], v[90:91], v[80:81]
	v_add_f64 v[86:87], v[82:83], -v[90:91]
	v_ldexp_f64 v[6:7], v[6:7], 1
	v_add_f64 v[80:81], v[80:81], -v[86:87]
	v_add_f64 v[6:7], v[6:7], v[80:81]
	v_add_f64 v[80:81], v[82:83], v[6:7]
	v_add_f64 v[82:83], v[80:81], -v[82:83]
	v_add_f64 v[6:7], v[6:7], -v[82:83]
	v_add_f64 v[82:83], v[84:85], v[80:81]
	v_add_f64 v[86:87], v[82:83], -v[84:85]
	v_add_f64 v[90:91], v[82:83], -v[86:87]
	;; [unrolled: 1-line block ×4, first 2 shown]
	v_add_f64 v[80:81], v[80:81], v[84:85]
	v_add_f64 v[84:85], v[88:89], v[6:7]
	v_add_f64 v[86:87], v[84:85], -v[88:89]
	v_add_f64 v[80:81], v[84:85], v[80:81]
	v_add_f64 v[90:91], v[84:85], -v[86:87]
	;; [unrolled: 2-line block ×3, first 2 shown]
	v_add_f64 v[6:7], v[6:7], -v[86:87]
	v_add_f64 v[82:83], v[84:85], -v[82:83]
	v_add_f64 v[6:7], v[6:7], v[88:89]
	v_add_f64 v[80:81], v[80:81], -v[82:83]
	v_add_f64 v[6:7], v[6:7], v[80:81]
	v_max_f64 v[80:81], |v[12:13]|, |v[12:13]|
	v_max_f64 v[82:83], |v[10:11]|, |v[10:11]|
	v_add_f64 v[6:7], v[84:85], v[6:7]
	v_max_f64 v[84:85], v[82:83], v[80:81]
	v_min_f64 v[80:81], v[82:83], v[80:81]
	v_div_scale_f64 v[82:83], s[58:59], v[84:85], v[84:85], v[80:81]
	v_cmp_eq_f64_e32 vcc, s[30:31], v[78:79]
	v_rcp_f64_e32 v[86:87], v[82:83]
	v_cndmask_b32_e32 v7, v7, v79, vcc
	v_cndmask_b32_e32 v6, v6, v78, vcc
	v_mul_f64 v[6:7], v[6:7], 0.5
	v_cmp_ngt_f64_e32 vcc, -1.0, v[78:79]
	v_cndmask_b32_e32 v1, v107, v7, vcc
	v_cmp_nge_f64_e32 vcc, -1.0, v[78:79]
	v_cndmask_b32_e32 v6, 0, v6, vcc
	v_cmp_neq_f64_e32 vcc, -1.0, v[78:79]
	v_fma_f64 v[78:79], -v[82:83], v[86:87], 1.0
	v_fmac_f64_e32 v[86:87], v[86:87], v[78:79]
	v_fma_f64 v[78:79], -v[82:83], v[86:87], 1.0
	v_cndmask_b32_e32 v7, v108, v1, vcc
	v_fmac_f64_e32 v[86:87], v[86:87], v[78:79]
	v_div_scale_f64 v[78:79], vcc, v[80:81], v[84:85], v[80:81]
	v_mul_f64 v[88:89], v[78:79], v[86:87]
	v_fma_f64 v[78:79], -v[82:83], v[88:89], v[78:79]
	v_pk_mov_b32 v[82:83], v[32:33], v[32:33] op_sel:[0,1]
	s_nop 0
	v_div_fmas_f64 v[78:79], v[78:79], v[86:87], v[88:89]
	v_div_fixup_f64 v[78:79], v[78:79], v[84:85], v[80:81]
	v_mul_f64 v[80:81], v[78:79], v[78:79]
	v_fmac_f64_e32 v[82:83], s[34:35], v[80:81]
	v_pk_mov_b32 v[84:85], v[34:35], v[34:35] op_sel:[0,1]
	v_fmac_f64_e32 v[84:85], v[80:81], v[82:83]
	v_pk_mov_b32 v[82:83], v[36:37], v[36:37] op_sel:[0,1]
	;; [unrolled: 2-line block ×18, first 2 shown]
	v_fmac_f64_e32 v[82:83], v[80:81], v[84:85]
	v_mul_f64 v[80:81], v[80:81], v[82:83]
	v_fmac_f64_e32 v[78:79], v[78:79], v[80:81]
	v_cmp_class_f64_e64 s[60:61], v[10:11], s67
	v_ashrrev_i32_e32 v10, 31, v11
	v_cmp_gt_i32_e32 vcc, 0, v11
	v_and_b32_e32 v19, 0x400921fb, v10
	v_and_b32_e32 v80, 0x54442d18, v10
	v_add_f64 v[10:11], -v[78:79], s[36:37]
	v_cndmask_b32_e64 v11, v79, v11, s[0:1]
	v_cndmask_b32_e64 v10, v78, v10, s[0:1]
	s_mov_b32 s38, s36
	v_add_f64 v[78:79], -v[10:11], s[38:39]
	v_cmp_class_f64_e64 s[58:59], v[12:13], s67
	v_cndmask_b32_e32 v1, v109, v110, vcc
	v_cndmask_b32_e32 v8, v111, v112, vcc
	;; [unrolled: 1-line block ×4, first 2 shown]
	v_cmp_eq_f64_e32 vcc, 0, v[12:13]
	v_bfi_b32 v8, s8, v8, v13
	v_cndmask_b32_e32 v10, v10, v80, vcc
	v_cndmask_b32_e32 v11, v11, v19, vcc
	s_and_b64 vcc, s[60:61], s[58:59]
	v_cndmask_b32_e32 v79, v11, v8, vcc
	v_cndmask_b32_e32 v78, v10, v1, vcc
                                        ; implicit-def: $vgpr80_vgpr81
                                        ; implicit-def: $vgpr84_vgpr85
.LBB192_45:                             ;   in Loop: Header=BB192_5 Depth=1
	s_andn2_saveexec_b64 s[58:59], s[2:3]
	s_cbranch_execz .LBB192_53
; %bb.46:                               ;   in Loop: Header=BB192_5 Depth=1
	v_mul_f64 v[82:83], v[80:81], v[80:81]
	v_fmac_f64_e32 v[82:83], v[84:85], v[84:85]
	v_cmp_ge_f64_e32 vcc, s[40:41], v[82:83]
                                        ; implicit-def: $vgpr6_vgpr7
                                        ; implicit-def: $vgpr78_vgpr79
	s_and_saveexec_b64 s[2:3], vcc
	s_xor_b64 s[2:3], exec, s[2:3]
	s_cbranch_execz .LBB192_48
; %bb.47:                               ;   in Loop: Header=BB192_5 Depth=1
	v_frexp_mant_f64_e32 v[6:7], v[82:83]
	v_cmp_gt_f64_e32 vcc, s[22:23], v[6:7]
	v_cndmask_b32_e64 v19, v113, 2.0, vcc
	v_mul_f64 v[6:7], v[6:7], v[18:19]
	v_add_f64 v[78:79], v[6:7], 1.0
	v_rcp_f64_e32 v[80:81], v[78:79]
	v_add_f64 v[86:87], v[78:79], -1.0
	v_add_f64 v[84:85], v[6:7], -1.0
	v_add_f64 v[6:7], v[6:7], -v[86:87]
	v_fma_f64 v[86:87], -v[78:79], v[80:81], 1.0
	v_fmac_f64_e32 v[80:81], v[86:87], v[80:81]
	v_fma_f64 v[86:87], -v[78:79], v[80:81], 1.0
	v_fmac_f64_e32 v[80:81], v[86:87], v[80:81]
	v_mul_f64 v[86:87], v[84:85], v[80:81]
	v_mul_f64 v[88:89], v[78:79], v[86:87]
	v_fma_f64 v[78:79], v[86:87], v[78:79], -v[88:89]
	v_fmac_f64_e32 v[78:79], v[86:87], v[6:7]
	v_add_f64 v[6:7], v[88:89], v[78:79]
	v_add_f64 v[90:91], v[84:85], -v[6:7]
	v_add_f64 v[88:89], v[6:7], -v[88:89]
	;; [unrolled: 1-line block ×5, first 2 shown]
	v_add_f64 v[6:7], v[78:79], v[6:7]
	v_add_f64 v[6:7], v[90:91], v[6:7]
	v_mul_f64 v[6:7], v[80:81], v[6:7]
	v_add_f64 v[78:79], v[86:87], v[6:7]
	v_add_f64 v[80:81], v[78:79], -v[86:87]
	v_add_f64 v[6:7], v[6:7], -v[80:81]
	v_mul_f64 v[80:81], v[78:79], v[78:79]
	v_pk_mov_b32 v[84:85], v[20:21], v[20:21] op_sel:[0,1]
	v_fmac_f64_e32 v[84:85], s[24:25], v[80:81]
	v_pk_mov_b32 v[86:87], v[22:23], v[22:23] op_sel:[0,1]
	v_fmac_f64_e32 v[86:87], v[80:81], v[84:85]
	;; [unrolled: 2-line block ×6, first 2 shown]
	v_ldexp_f64 v[84:85], v[78:79], 1
	v_mul_f64 v[78:79], v[78:79], v[80:81]
	v_mul_f64 v[78:79], v[78:79], v[86:87]
	v_add_f64 v[80:81], v[84:85], v[78:79]
	v_add_f64 v[84:85], v[80:81], -v[84:85]
	v_ldexp_f64 v[6:7], v[6:7], 1
	v_add_f64 v[78:79], v[78:79], -v[84:85]
	v_add_f64 v[6:7], v[6:7], v[78:79]
	v_frexp_exp_i32_f64_e32 v1, v[82:83]
	v_add_f64 v[78:79], v[80:81], v[6:7]
	v_subbrev_co_u32_e32 v1, vcc, 0, v1, vcc
	v_add_f64 v[80:81], v[78:79], -v[80:81]
	v_add_f64 v[6:7], v[6:7], -v[80:81]
	v_cvt_f64_i32_e32 v[80:81], v1
	v_mul_f64 v[84:85], v[80:81], s[26:27]
	v_fma_f64 v[86:87], v[80:81], s[26:27], -v[84:85]
	v_fmac_f64_e32 v[86:87], s[28:29], v[80:81]
	v_add_f64 v[80:81], v[84:85], v[86:87]
	v_add_f64 v[84:85], v[80:81], -v[84:85]
	v_add_f64 v[84:85], v[86:87], -v[84:85]
	v_add_f64 v[86:87], v[80:81], v[78:79]
	v_add_f64 v[88:89], v[86:87], -v[80:81]
	v_add_f64 v[90:91], v[86:87], -v[88:89]
	;; [unrolled: 1-line block ×4, first 2 shown]
	v_add_f64 v[78:79], v[78:79], v[80:81]
	v_add_f64 v[80:81], v[84:85], v[6:7]
	v_add_f64 v[88:89], v[80:81], -v[84:85]
	v_add_f64 v[90:91], v[80:81], -v[88:89]
	v_add_f64 v[78:79], v[80:81], v[78:79]
	v_add_f64 v[84:85], v[84:85], -v[90:91]
	v_add_f64 v[6:7], v[6:7], -v[88:89]
	v_add_f64 v[80:81], v[86:87], v[78:79]
	v_add_f64 v[6:7], v[6:7], v[84:85]
	v_add_f64 v[84:85], v[80:81], -v[86:87]
	v_add_f64 v[78:79], v[78:79], -v[84:85]
	v_add_f64 v[6:7], v[6:7], v[78:79]
	v_add_f64 v[6:7], v[80:81], v[6:7]
	v_max_f64 v[78:79], |v[12:13]|, |v[12:13]|
	v_max_f64 v[80:81], |v[10:11]|, |v[10:11]|
	v_max_f64 v[84:85], v[80:81], v[78:79]
	v_min_f64 v[78:79], v[80:81], v[78:79]
	v_div_scale_f64 v[80:81], s[60:61], v[84:85], v[84:85], v[78:79]
	v_rcp_f64_e32 v[86:87], v[80:81]
	v_cmp_neq_f64_e32 vcc, 0, v[82:83]
	v_mul_f64 v[6:7], v[6:7], 0.5
	v_cndmask_b32_e32 v7, v108, v7, vcc
	v_fma_f64 v[82:83], -v[80:81], v[86:87], 1.0
	v_fmac_f64_e32 v[86:87], v[86:87], v[82:83]
	v_fma_f64 v[82:83], -v[80:81], v[86:87], 1.0
	v_cndmask_b32_e32 v6, 0, v6, vcc
	v_fmac_f64_e32 v[86:87], v[86:87], v[82:83]
	v_div_scale_f64 v[82:83], vcc, v[78:79], v[84:85], v[78:79]
	v_mul_f64 v[88:89], v[82:83], v[86:87]
	v_fma_f64 v[80:81], -v[80:81], v[88:89], v[82:83]
	v_pk_mov_b32 v[82:83], v[32:33], v[32:33] op_sel:[0,1]
	s_nop 0
	v_div_fmas_f64 v[80:81], v[80:81], v[86:87], v[88:89]
	v_div_fixup_f64 v[78:79], v[80:81], v[84:85], v[78:79]
	v_mul_f64 v[80:81], v[78:79], v[78:79]
	v_fmac_f64_e32 v[82:83], s[34:35], v[80:81]
	v_pk_mov_b32 v[84:85], v[34:35], v[34:35] op_sel:[0,1]
	v_fmac_f64_e32 v[84:85], v[80:81], v[82:83]
	v_pk_mov_b32 v[82:83], v[36:37], v[36:37] op_sel:[0,1]
	;; [unrolled: 2-line block ×18, first 2 shown]
	v_fmac_f64_e32 v[82:83], v[80:81], v[84:85]
	v_mul_f64 v[80:81], v[80:81], v[82:83]
	v_fmac_f64_e32 v[78:79], v[78:79], v[80:81]
	v_cmp_class_f64_e64 s[62:63], v[10:11], s67
	v_ashrrev_i32_e32 v10, 31, v11
	v_cmp_gt_i32_e32 vcc, 0, v11
	v_and_b32_e32 v19, 0x400921fb, v10
	v_and_b32_e32 v80, 0x54442d18, v10
	v_add_f64 v[10:11], -v[78:79], s[36:37]
	v_cndmask_b32_e64 v11, v79, v11, s[0:1]
	v_cndmask_b32_e64 v10, v78, v10, s[0:1]
	s_mov_b32 s38, s36
	v_add_f64 v[78:79], -v[10:11], s[38:39]
	v_cmp_class_f64_e64 s[60:61], v[12:13], s67
	v_cndmask_b32_e32 v1, v109, v110, vcc
	v_cndmask_b32_e32 v8, v111, v112, vcc
	v_cndmask_b32_e32 v11, v11, v79, vcc
	v_cndmask_b32_e32 v10, v10, v78, vcc
	v_cmp_eq_f64_e32 vcc, 0, v[12:13]
	v_bfi_b32 v8, s8, v8, v13
	v_cndmask_b32_e32 v10, v10, v80, vcc
	v_cndmask_b32_e32 v11, v11, v19, vcc
	s_and_b64 vcc, s[62:63], s[60:61]
	v_cndmask_b32_e32 v79, v11, v8, vcc
	v_cndmask_b32_e32 v78, v10, v1, vcc
                                        ; implicit-def: $vgpr84_vgpr85
                                        ; implicit-def: $vgpr80_vgpr81
.LBB192_48:                             ;   in Loop: Header=BB192_5 Depth=1
	s_andn2_saveexec_b64 s[60:61], s[2:3]
	s_cbranch_execz .LBB192_52
; %bb.49:                               ;   in Loop: Header=BB192_5 Depth=1
	v_and_b32_e32 v19, 0x7ffffff8, v85
	v_add_f64 v[6:7], v[84:85], -v[18:19]
	v_and_b32_e32 v93, -8, v7
	v_mov_b32_e32 v92, v18
	v_and_b32_e32 v83, 0x7ffffff8, v81
	v_mov_b32_e32 v82, v18
	v_add_f64 v[96:97], v[6:7], -v[92:93]
	v_add_f64 v[6:7], v[80:81], -v[82:83]
	v_and_b32_e32 v95, -8, v7
	v_mov_b32_e32 v94, v18
	v_add_f64 v[86:87], v[18:19], v[18:19]
	v_add_f64 v[100:101], v[82:83], v[82:83]
	v_add_f64 v[98:99], v[6:7], -v[94:95]
	v_mul_f64 v[78:79], v[82:83], v[82:83]
	v_mul_f64 v[84:85], v[86:87], v[92:93]
	;; [unrolled: 1-line block ×5, first 2 shown]
	v_add_f64 v[92:93], v[92:93], v[92:93]
	v_add_f64 v[94:95], v[94:95], v[94:95]
	v_mul_f64 v[6:7], v[18:19], v[18:19]
	v_mul_f64 v[88:89], v[86:87], v[96:97]
	;; [unrolled: 1-line block ×7, first 2 shown]
	s_mov_b64 s[62:63], 0
.LBB192_50:                             ;   Parent Loop BB192_5 Depth=1
                                        ; =>  This Inner Loop Header: Depth=2
	v_cmp_nlt_f64_e32 vcc, v[6:7], v[78:79]
	v_cndmask_b32_e32 v101, v7, v79, vcc
	v_cndmask_b32_e32 v100, v6, v78, vcc
	v_cmp_nlt_f64_e64 s[2:3], v[100:101], v[84:85]
	v_cndmask_b32_e64 v103, v101, v85, s[2:3]
	v_cndmask_b32_e64 v102, v100, v84, s[2:3]
	v_cndmask_b32_e32 v7, v79, v7, vcc
	v_cndmask_b32_e32 v6, v78, v6, vcc
	s_and_b64 s[64:65], vcc, s[2:3]
	v_cmp_nlt_f64_e32 vcc, v[102:103], v[82:83]
	v_cndmask_b32_e64 v79, v85, v101, s[2:3]
	v_cndmask_b32_e64 v78, v84, v100, s[2:3]
	v_cndmask_b32_e32 v101, v103, v83, vcc
	v_cndmask_b32_e32 v100, v102, v82, vcc
	v_cmp_nlt_f64_e64 s[2:3], v[100:101], v[90:91]
	v_cndmask_b32_e32 v85, v83, v103, vcc
	v_cndmask_b32_e32 v84, v82, v102, vcc
	v_cndmask_b32_e64 v103, v101, v91, s[2:3]
	v_cndmask_b32_e64 v102, v100, v90, s[2:3]
	s_and_b64 s[72:73], vcc, s[2:3]
	v_cmp_nlt_f64_e32 vcc, v[102:103], v[80:81]
	v_cndmask_b32_e64 v83, v91, v101, s[2:3]
	v_cndmask_b32_e64 v82, v90, v100, s[2:3]
	v_cndmask_b32_e32 v101, v103, v81, vcc
	v_cndmask_b32_e32 v100, v102, v80, vcc
	v_cmp_nlt_f64_e64 s[2:3], v[100:101], v[88:89]
	v_cndmask_b32_e32 v91, v81, v103, vcc
	v_cndmask_b32_e32 v90, v80, v102, vcc
	v_cndmask_b32_e64 v103, v101, v89, s[2:3]
	v_cndmask_b32_e64 v102, v100, v88, s[2:3]
	;; [unrolled: 1-line block ×4, first 2 shown]
	s_and_b64 s[2:3], vcc, s[2:3]
	v_cmp_nlt_f64_e32 vcc, v[102:103], v[86:87]
	v_cndmask_b32_e32 v101, v103, v87, vcc
	v_cndmask_b32_e32 v100, v102, v86, vcc
	v_cndmask_b32_e32 v89, v87, v103, vcc
	v_cndmask_b32_e32 v88, v86, v102, vcc
	s_and_b64 s[2:3], s[2:3], vcc
	v_cmp_nlt_f64_e32 vcc, v[100:101], v[92:93]
	v_cndmask_b32_e32 v103, v101, v93, vcc
	v_cndmask_b32_e32 v102, v100, v92, vcc
	v_cndmask_b32_e32 v87, v93, v101, vcc
	v_cndmask_b32_e32 v86, v92, v100, vcc
	s_and_b64 s[2:3], s[2:3], vcc
	;; [unrolled: 6-line block ×4, first 2 shown]
	v_cmp_nlt_f64_e32 vcc, v[102:103], v[98:99]
	s_and_b64 s[2:3], s[2:3], vcc
	s_and_b64 s[2:3], s[2:3], s[72:73]
	s_and_b64 s[2:3], s[2:3], s[64:65]
	v_cndmask_b32_e32 v101, v103, v99, vcc
	v_cndmask_b32_e32 v100, v102, v98, vcc
	s_and_b64 s[2:3], exec, s[2:3]
	v_cndmask_b32_e32 v97, v99, v103, vcc
	v_cndmask_b32_e32 v96, v98, v102, vcc
	s_or_b64 s[62:63], s[2:3], s[62:63]
	v_pk_mov_b32 v[98:99], v[100:101], v[100:101] op_sel:[0,1]
	s_andn2_b64 exec, exec, s[62:63]
	s_cbranch_execnz .LBB192_50
; %bb.51:                               ;   in Loop: Header=BB192_5 Depth=1
	s_or_b64 exec, exec, s[62:63]
	v_add_f64 v[6:7], v[6:7], -1.0
	v_add_f64 v[6:7], v[6:7], v[78:79]
	v_add_f64 v[6:7], v[6:7], v[84:85]
	;; [unrolled: 1-line block ×11, first 2 shown]
	v_add_f64 v[6:7], v[78:79], 1.0
	v_add_f64 v[80:81], v[6:7], -1.0
	v_add_f64 v[82:83], v[80:81], -v[6:7]
	v_add_f64 v[82:83], v[82:83], 1.0
	v_add_f64 v[80:81], v[78:79], -v[80:81]
	v_add_f64 v[80:81], v[80:81], v[82:83]
	v_frexp_mant_f64_e32 v[82:83], v[6:7]
	v_frexp_exp_i32_f64_e32 v1, v[6:7]
	v_cmp_gt_f64_e32 vcc, s[22:23], v[82:83]
	v_subbrev_co_u32_e32 v1, vcc, 0, v1, vcc
	v_sub_u32_e32 v8, 0, v1
	v_ldexp_f64 v[6:7], v[6:7], v8
	v_add_f64 v[82:83], v[6:7], -1.0
	v_add_f64 v[88:89], v[6:7], 1.0
	v_add_f64 v[84:85], v[82:83], 1.0
	v_add_f64 v[90:91], v[88:89], -1.0
	v_ldexp_f64 v[80:81], v[80:81], v8
	v_add_f64 v[84:85], v[6:7], -v[84:85]
	v_add_f64 v[6:7], v[6:7], -v[90:91]
	v_add_f64 v[6:7], v[80:81], v[6:7]
	v_add_f64 v[84:85], v[80:81], v[84:85]
	;; [unrolled: 1-line block ×3, first 2 shown]
	v_rcp_f64_e32 v[90:91], v[80:81]
	v_add_f64 v[86:87], v[82:83], v[84:85]
	v_add_f64 v[82:83], v[86:87], -v[82:83]
	v_add_f64 v[82:83], v[84:85], -v[82:83]
	;; [unrolled: 1-line block ×4, first 2 shown]
	v_fma_f64 v[84:85], -v[80:81], v[90:91], 1.0
	v_fmac_f64_e32 v[90:91], v[84:85], v[90:91]
	v_fma_f64 v[84:85], -v[80:81], v[90:91], 1.0
	v_fmac_f64_e32 v[90:91], v[84:85], v[90:91]
	v_mul_f64 v[84:85], v[86:87], v[90:91]
	v_mul_f64 v[88:89], v[80:81], v[84:85]
	v_fma_f64 v[92:93], v[84:85], v[80:81], -v[88:89]
	v_fmac_f64_e32 v[92:93], v[84:85], v[6:7]
	v_add_f64 v[94:95], v[88:89], v[92:93]
	v_add_f64 v[96:97], v[86:87], -v[94:95]
	v_add_f64 v[86:87], v[86:87], -v[96:97]
	;; [unrolled: 1-line block ×4, first 2 shown]
	v_add_f64 v[82:83], v[82:83], v[86:87]
	v_add_f64 v[86:87], v[88:89], -v[92:93]
	v_add_f64 v[82:83], v[86:87], v[82:83]
	v_add_f64 v[86:87], v[96:97], v[82:83]
	v_add_f64 v[88:89], v[96:97], -v[86:87]
	v_add_f64 v[82:83], v[82:83], v[88:89]
	v_mul_f64 v[88:89], v[90:91], v[86:87]
	v_mul_f64 v[92:93], v[80:81], v[88:89]
	v_fma_f64 v[80:81], v[88:89], v[80:81], -v[92:93]
	v_fmac_f64_e32 v[80:81], v[88:89], v[6:7]
	v_add_f64 v[6:7], v[92:93], v[80:81]
	v_add_f64 v[94:95], v[86:87], -v[6:7]
	v_add_f64 v[86:87], v[86:87], -v[94:95]
	;; [unrolled: 1-line block ×4, first 2 shown]
	v_add_f64 v[6:7], v[82:83], v[6:7]
	v_add_f64 v[80:81], v[92:93], -v[80:81]
	v_add_f64 v[6:7], v[80:81], v[6:7]
	v_add_f64 v[80:81], v[84:85], v[88:89]
	;; [unrolled: 1-line block ×3, first 2 shown]
	v_add_f64 v[82:83], v[80:81], -v[84:85]
	v_mul_f64 v[6:7], v[90:91], v[6:7]
	v_add_f64 v[82:83], v[88:89], -v[82:83]
	v_add_f64 v[6:7], v[82:83], v[6:7]
	v_add_f64 v[82:83], v[80:81], v[6:7]
	v_add_f64 v[80:81], v[82:83], -v[80:81]
	v_add_f64 v[6:7], v[6:7], -v[80:81]
	v_mul_f64 v[80:81], v[82:83], v[82:83]
	v_pk_mov_b32 v[84:85], v[20:21], v[20:21] op_sel:[0,1]
	v_fmac_f64_e32 v[84:85], s[24:25], v[80:81]
	v_pk_mov_b32 v[86:87], v[22:23], v[22:23] op_sel:[0,1]
	v_fmac_f64_e32 v[86:87], v[80:81], v[84:85]
	;; [unrolled: 2-line block ×6, first 2 shown]
	v_cvt_f64_i32_e32 v[84:85], v1
	v_mul_f64 v[88:89], v[84:85], s[26:27]
	v_fma_f64 v[90:91], v[84:85], s[26:27], -v[88:89]
	v_fmac_f64_e32 v[90:91], s[28:29], v[84:85]
	v_add_f64 v[84:85], v[88:89], v[90:91]
	v_add_f64 v[88:89], v[84:85], -v[88:89]
	v_mul_f64 v[80:81], v[82:83], v[80:81]
	v_add_f64 v[88:89], v[90:91], -v[88:89]
	v_ldexp_f64 v[90:91], v[82:83], 1
	v_mul_f64 v[80:81], v[80:81], v[86:87]
	v_add_f64 v[82:83], v[90:91], v[80:81]
	v_add_f64 v[86:87], v[82:83], -v[90:91]
	v_ldexp_f64 v[6:7], v[6:7], 1
	v_add_f64 v[80:81], v[80:81], -v[86:87]
	v_add_f64 v[6:7], v[6:7], v[80:81]
	v_add_f64 v[80:81], v[82:83], v[6:7]
	v_add_f64 v[82:83], v[80:81], -v[82:83]
	v_add_f64 v[6:7], v[6:7], -v[82:83]
	v_add_f64 v[82:83], v[84:85], v[80:81]
	v_add_f64 v[86:87], v[82:83], -v[84:85]
	v_add_f64 v[90:91], v[82:83], -v[86:87]
	;; [unrolled: 1-line block ×4, first 2 shown]
	v_add_f64 v[80:81], v[80:81], v[84:85]
	v_add_f64 v[84:85], v[88:89], v[6:7]
	v_add_f64 v[86:87], v[84:85], -v[88:89]
	v_add_f64 v[80:81], v[84:85], v[80:81]
	v_add_f64 v[90:91], v[84:85], -v[86:87]
	;; [unrolled: 2-line block ×3, first 2 shown]
	v_add_f64 v[6:7], v[6:7], -v[86:87]
	v_add_f64 v[82:83], v[84:85], -v[82:83]
	v_add_f64 v[6:7], v[6:7], v[88:89]
	v_add_f64 v[80:81], v[80:81], -v[82:83]
	v_add_f64 v[6:7], v[6:7], v[80:81]
	v_max_f64 v[80:81], |v[12:13]|, |v[12:13]|
	v_max_f64 v[82:83], |v[10:11]|, |v[10:11]|
	v_add_f64 v[6:7], v[84:85], v[6:7]
	v_max_f64 v[84:85], v[82:83], v[80:81]
	v_min_f64 v[80:81], v[82:83], v[80:81]
	v_div_scale_f64 v[82:83], s[2:3], v[84:85], v[84:85], v[80:81]
	v_cmp_eq_f64_e32 vcc, s[30:31], v[78:79]
	v_rcp_f64_e32 v[86:87], v[82:83]
	v_cndmask_b32_e32 v7, v7, v79, vcc
	v_cndmask_b32_e32 v6, v6, v78, vcc
	v_mul_f64 v[6:7], v[6:7], 0.5
	v_cmp_ngt_f64_e32 vcc, -1.0, v[78:79]
	v_cndmask_b32_e32 v1, v107, v7, vcc
	v_cmp_nge_f64_e32 vcc, -1.0, v[78:79]
	v_cndmask_b32_e32 v6, 0, v6, vcc
	v_cmp_neq_f64_e32 vcc, -1.0, v[78:79]
	v_fma_f64 v[78:79], -v[82:83], v[86:87], 1.0
	v_fmac_f64_e32 v[86:87], v[86:87], v[78:79]
	v_fma_f64 v[78:79], -v[82:83], v[86:87], 1.0
	v_cndmask_b32_e32 v7, v108, v1, vcc
	v_fmac_f64_e32 v[86:87], v[86:87], v[78:79]
	v_div_scale_f64 v[78:79], vcc, v[80:81], v[84:85], v[80:81]
	v_mul_f64 v[88:89], v[78:79], v[86:87]
	v_fma_f64 v[78:79], -v[82:83], v[88:89], v[78:79]
	v_pk_mov_b32 v[82:83], v[32:33], v[32:33] op_sel:[0,1]
	s_nop 0
	v_div_fmas_f64 v[78:79], v[78:79], v[86:87], v[88:89]
	v_div_fixup_f64 v[78:79], v[78:79], v[84:85], v[80:81]
	v_mul_f64 v[80:81], v[78:79], v[78:79]
	v_fmac_f64_e32 v[82:83], s[34:35], v[80:81]
	v_pk_mov_b32 v[84:85], v[34:35], v[34:35] op_sel:[0,1]
	v_fmac_f64_e32 v[84:85], v[80:81], v[82:83]
	v_pk_mov_b32 v[82:83], v[36:37], v[36:37] op_sel:[0,1]
	;; [unrolled: 2-line block ×18, first 2 shown]
	v_fmac_f64_e32 v[82:83], v[80:81], v[84:85]
	v_mul_f64 v[80:81], v[80:81], v[82:83]
	v_fmac_f64_e32 v[78:79], v[78:79], v[80:81]
	v_cmp_class_f64_e64 s[62:63], v[10:11], s67
	v_ashrrev_i32_e32 v10, 31, v11
	v_cmp_gt_i32_e32 vcc, 0, v11
	v_and_b32_e32 v19, 0x400921fb, v10
	v_and_b32_e32 v80, 0x54442d18, v10
	v_add_f64 v[10:11], -v[78:79], s[36:37]
	v_cndmask_b32_e64 v11, v79, v11, s[0:1]
	v_cndmask_b32_e64 v10, v78, v10, s[0:1]
	s_mov_b32 s38, s36
	v_add_f64 v[78:79], -v[10:11], s[38:39]
	v_cmp_class_f64_e64 s[2:3], v[12:13], s67
	v_cndmask_b32_e32 v1, v109, v110, vcc
	v_cndmask_b32_e32 v8, v111, v112, vcc
	;; [unrolled: 1-line block ×4, first 2 shown]
	v_cmp_eq_f64_e32 vcc, 0, v[12:13]
	v_bfi_b32 v8, s8, v8, v13
	v_cndmask_b32_e32 v10, v10, v80, vcc
	v_cndmask_b32_e32 v11, v11, v19, vcc
	s_and_b64 vcc, s[62:63], s[2:3]
	v_cndmask_b32_e32 v79, v11, v8, vcc
	v_cndmask_b32_e32 v78, v10, v1, vcc
.LBB192_52:                             ;   in Loop: Header=BB192_5 Depth=1
	s_or_b64 exec, exec, s[60:61]
.LBB192_53:                             ;   in Loop: Header=BB192_5 Depth=1
	s_or_b64 exec, exec, s[58:59]
.LBB192_54:                             ;   in Loop: Header=BB192_5 Depth=1
	s_andn2_saveexec_b64 s[56:57], s[56:57]
	s_cbranch_execz .LBB192_56
; %bb.55:                               ;   in Loop: Header=BB192_5 Depth=1
	v_max_f64 v[6:7], |v[12:13]|, |v[12:13]|
	v_max_f64 v[78:79], |v[10:11]|, |v[10:11]|
	v_max_f64 v[80:81], v[78:79], v[6:7]
	v_frexp_exp_i32_f64_e32 v1, v[80:81]
	v_sub_u32_e32 v8, 0, v1
	v_ldexp_f64 v[84:85], |v[12:13]|, v8
	v_ldexp_f64 v[82:83], |v[10:11]|, v8
	v_mul_f64 v[84:85], v[84:85], v[84:85]
	v_fmac_f64_e32 v[84:85], v[82:83], v[82:83]
	v_rsq_f64_e32 v[82:83], v[84:85]
	v_cmp_eq_f64_e32 vcc, 0, v[84:85]
	v_cmp_class_f64_e64 s[58:59], v[10:11], s67
	v_cmp_class_f64_e64 s[60:61], v[12:13], s67
	v_mul_f64 v[86:87], v[84:85], v[82:83]
	v_mul_f64 v[82:83], v[82:83], 0.5
	v_fma_f64 v[88:89], -v[82:83], v[86:87], 0.5
	v_fmac_f64_e32 v[86:87], v[86:87], v[88:89]
	v_fmac_f64_e32 v[82:83], v[82:83], v[88:89]
	v_fma_f64 v[88:89], -v[86:87], v[86:87], v[84:85]
	v_fmac_f64_e32 v[86:87], v[88:89], v[82:83]
	v_cndmask_b32_e32 v83, v87, v85, vcc
	v_cndmask_b32_e32 v82, v86, v84, vcc
	v_ldexp_f64 v[82:83], v[82:83], v1
	s_or_b64 vcc, s[58:59], s[60:61]
	v_cndmask_b32_e32 v85, v83, v114, vcc
	v_cndmask_b32_e64 v84, v82, 0, vcc
	v_frexp_mant_f64_e32 v[86:87], v[84:85]
	v_cmp_gt_f64_e64 s[2:3], s[22:23], v[86:87]
	v_cndmask_b32_e64 v19, v113, 2.0, s[2:3]
	v_mul_f64 v[86:87], v[86:87], v[18:19]
	v_add_f64 v[88:89], v[86:87], 1.0
	v_rcp_f64_e32 v[90:91], v[88:89]
	v_add_f64 v[94:95], v[88:89], -1.0
	v_add_f64 v[92:93], v[86:87], -1.0
	v_add_f64 v[86:87], v[86:87], -v[94:95]
	v_fma_f64 v[94:95], -v[88:89], v[90:91], 1.0
	v_fmac_f64_e32 v[90:91], v[94:95], v[90:91]
	v_fma_f64 v[94:95], -v[88:89], v[90:91], 1.0
	v_fmac_f64_e32 v[90:91], v[94:95], v[90:91]
	v_mul_f64 v[94:95], v[92:93], v[90:91]
	v_mul_f64 v[96:97], v[88:89], v[94:95]
	v_fma_f64 v[88:89], v[94:95], v[88:89], -v[96:97]
	v_fmac_f64_e32 v[88:89], v[94:95], v[86:87]
	v_add_f64 v[86:87], v[96:97], v[88:89]
	v_add_f64 v[98:99], v[92:93], -v[86:87]
	v_add_f64 v[96:97], v[86:87], -v[96:97]
	;; [unrolled: 1-line block ×5, first 2 shown]
	v_add_f64 v[86:87], v[88:89], v[86:87]
	v_add_f64 v[86:87], v[98:99], v[86:87]
	v_mul_f64 v[86:87], v[90:91], v[86:87]
	v_add_f64 v[88:89], v[94:95], v[86:87]
	v_add_f64 v[90:91], v[88:89], -v[94:95]
	v_add_f64 v[86:87], v[86:87], -v[90:91]
	v_mul_f64 v[90:91], v[88:89], v[88:89]
	v_pk_mov_b32 v[92:93], v[20:21], v[20:21] op_sel:[0,1]
	v_fmac_f64_e32 v[92:93], s[24:25], v[90:91]
	v_pk_mov_b32 v[94:95], v[22:23], v[22:23] op_sel:[0,1]
	v_fmac_f64_e32 v[94:95], v[90:91], v[92:93]
	;; [unrolled: 2-line block ×6, first 2 shown]
	v_ldexp_f64 v[92:93], v[88:89], 1
	v_mul_f64 v[88:89], v[88:89], v[90:91]
	v_mul_f64 v[88:89], v[88:89], v[94:95]
	v_add_f64 v[90:91], v[92:93], v[88:89]
	v_add_f64 v[92:93], v[90:91], -v[92:93]
	v_ldexp_f64 v[86:87], v[86:87], 1
	v_add_f64 v[88:89], v[88:89], -v[92:93]
	v_add_f64 v[86:87], v[86:87], v[88:89]
	v_frexp_exp_i32_f64_e32 v1, v[84:85]
	v_add_f64 v[88:89], v[90:91], v[86:87]
	v_subbrev_co_u32_e64 v1, s[2:3], 0, v1, s[2:3]
	v_add_f64 v[90:91], v[88:89], -v[90:91]
	v_add_f64 v[86:87], v[86:87], -v[90:91]
	v_cvt_f64_i32_e32 v[90:91], v1
	v_mul_f64 v[92:93], v[90:91], s[26:27]
	v_fma_f64 v[94:95], v[90:91], s[26:27], -v[92:93]
	v_fmac_f64_e32 v[94:95], s[28:29], v[90:91]
	v_add_f64 v[90:91], v[92:93], v[94:95]
	v_add_f64 v[92:93], v[90:91], -v[92:93]
	v_add_f64 v[92:93], v[94:95], -v[92:93]
	v_add_f64 v[94:95], v[90:91], v[88:89]
	v_add_f64 v[96:97], v[94:95], -v[90:91]
	v_add_f64 v[98:99], v[94:95], -v[96:97]
	;; [unrolled: 1-line block ×4, first 2 shown]
	v_add_f64 v[88:89], v[88:89], v[90:91]
	v_add_f64 v[90:91], v[92:93], v[86:87]
	v_add_f64 v[96:97], v[90:91], -v[92:93]
	v_add_f64 v[98:99], v[90:91], -v[96:97]
	v_add_f64 v[88:89], v[90:91], v[88:89]
	v_add_f64 v[92:93], v[92:93], -v[98:99]
	v_add_f64 v[86:87], v[86:87], -v[96:97]
	v_add_f64 v[90:91], v[94:95], v[88:89]
	v_add_f64 v[86:87], v[86:87], v[92:93]
	v_add_f64 v[92:93], v[90:91], -v[94:95]
	v_add_f64 v[88:89], v[88:89], -v[92:93]
	v_add_f64 v[86:87], v[86:87], v[88:89]
	v_add_f64 v[86:87], v[90:91], v[86:87]
	v_cmp_class_f64_e64 s[2:3], v[82:83], s67
	v_min_f64 v[78:79], v[78:79], v[6:7]
	v_cndmask_b32_e64 v1, v87, v83, s[2:3]
	v_cndmask_b32_e64 v8, v86, v82, s[2:3]
	v_div_scale_f64 v[82:83], s[2:3], v[80:81], v[80:81], v[78:79]
	v_rcp_f64_e32 v[86:87], v[82:83]
	v_cndmask_b32_e64 v8, v8, 0, vcc
	v_cndmask_b32_e32 v1, v1, v114, vcc
	v_cmp_ngt_f64_e32 vcc, 0, v[84:85]
	v_cndmask_b32_e32 v1, v107, v1, vcc
	v_cmp_nge_f64_e32 vcc, 0, v[84:85]
	v_cndmask_b32_e32 v6, 0, v8, vcc
	v_cmp_neq_f64_e32 vcc, 0, v[84:85]
	v_fma_f64 v[84:85], -v[82:83], v[86:87], 1.0
	v_fmac_f64_e32 v[86:87], v[86:87], v[84:85]
	v_fma_f64 v[84:85], -v[82:83], v[86:87], 1.0
	v_cndmask_b32_e32 v7, v108, v1, vcc
	v_fmac_f64_e32 v[86:87], v[86:87], v[84:85]
	v_div_scale_f64 v[84:85], vcc, v[78:79], v[80:81], v[78:79]
	v_mul_f64 v[88:89], v[84:85], v[86:87]
	v_fma_f64 v[82:83], -v[82:83], v[88:89], v[84:85]
	v_pk_mov_b32 v[84:85], v[34:35], v[34:35] op_sel:[0,1]
	s_nop 0
	v_div_fmas_f64 v[82:83], v[82:83], v[86:87], v[88:89]
	v_div_fixup_f64 v[78:79], v[82:83], v[80:81], v[78:79]
	v_mul_f64 v[80:81], v[78:79], v[78:79]
	v_pk_mov_b32 v[82:83], v[32:33], v[32:33] op_sel:[0,1]
	v_fmac_f64_e32 v[82:83], s[34:35], v[80:81]
	v_fmac_f64_e32 v[84:85], v[80:81], v[82:83]
	v_pk_mov_b32 v[82:83], v[36:37], v[36:37] op_sel:[0,1]
	v_fmac_f64_e32 v[82:83], v[80:81], v[84:85]
	v_pk_mov_b32 v[84:85], v[38:39], v[38:39] op_sel:[0,1]
	;; [unrolled: 2-line block ×17, first 2 shown]
	v_fmac_f64_e32 v[82:83], v[80:81], v[84:85]
	v_mul_f64 v[80:81], v[80:81], v[82:83]
	v_fmac_f64_e32 v[78:79], v[78:79], v[80:81]
	v_ashrrev_i32_e32 v10, 31, v11
	v_cmp_gt_i32_e32 vcc, 0, v11
	v_and_b32_e32 v19, 0x400921fb, v10
	v_and_b32_e32 v80, 0x54442d18, v10
	v_add_f64 v[10:11], -v[78:79], s[36:37]
	v_cndmask_b32_e64 v11, v79, v11, s[0:1]
	v_cndmask_b32_e64 v10, v78, v10, s[0:1]
	s_mov_b32 s38, s36
	v_add_f64 v[78:79], -v[10:11], s[38:39]
	v_cndmask_b32_e32 v1, v109, v110, vcc
	v_cndmask_b32_e32 v8, v111, v112, vcc
	;; [unrolled: 1-line block ×4, first 2 shown]
	v_cmp_eq_f64_e32 vcc, 0, v[12:13]
	v_bfi_b32 v8, s8, v8, v13
	v_cndmask_b32_e32 v10, v10, v80, vcc
	v_cndmask_b32_e32 v11, v11, v19, vcc
	s_and_b64 vcc, s[58:59], s[60:61]
	v_cndmask_b32_e32 v79, v11, v8, vcc
	v_cndmask_b32_e32 v78, v10, v1, vcc
.LBB192_56:                             ;   in Loop: Header=BB192_5 Depth=1
	s_or_b64 exec, exec, s[56:57]
                                        ; implicit-def: $vgpr80_vgpr81
.LBB192_57:                             ;   in Loop: Header=BB192_5 Depth=1
	s_andn2_saveexec_b64 s[2:3], s[54:55]
	s_cbranch_execz .LBB192_63
; %bb.58:                               ;   in Loop: Header=BB192_5 Depth=1
	v_cmp_ngt_f64_e32 vcc, s[42:43], v[80:81]
                                        ; implicit-def: $vgpr6_vgpr7
                                        ; implicit-def: $vgpr78_vgpr79
	s_and_saveexec_b64 s[54:55], vcc
	s_xor_b64 s[54:55], exec, s[54:55]
	s_cbranch_execz .LBB192_60
; %bb.59:                               ;   in Loop: Header=BB192_5 Depth=1
	v_mul_f64 v[6:7], v[80:81], v[80:81]
	v_add_f64 v[78:79], v[6:7], 1.0
	v_add_f64 v[80:81], v[78:79], -1.0
	v_add_f64 v[82:83], v[80:81], -v[78:79]
	v_add_f64 v[82:83], v[82:83], 1.0
	v_add_f64 v[80:81], v[6:7], -v[80:81]
	v_add_f64 v[80:81], v[80:81], v[82:83]
	v_frexp_mant_f64_e32 v[82:83], v[78:79]
	v_frexp_exp_i32_f64_e32 v1, v[78:79]
	v_cmp_gt_f64_e32 vcc, s[22:23], v[82:83]
	v_subbrev_co_u32_e32 v1, vcc, 0, v1, vcc
	v_sub_u32_e32 v8, 0, v1
	v_ldexp_f64 v[78:79], v[78:79], v8
	v_add_f64 v[82:83], v[78:79], -1.0
	v_add_f64 v[88:89], v[78:79], 1.0
	v_add_f64 v[84:85], v[82:83], 1.0
	v_add_f64 v[90:91], v[88:89], -1.0
	v_ldexp_f64 v[80:81], v[80:81], v8
	v_add_f64 v[84:85], v[78:79], -v[84:85]
	v_add_f64 v[78:79], v[78:79], -v[90:91]
	v_add_f64 v[78:79], v[80:81], v[78:79]
	v_add_f64 v[84:85], v[80:81], v[84:85]
	;; [unrolled: 1-line block ×3, first 2 shown]
	v_rcp_f64_e32 v[90:91], v[80:81]
	v_add_f64 v[86:87], v[82:83], v[84:85]
	v_add_f64 v[82:83], v[82:83], -v[86:87]
	v_add_f64 v[82:83], v[84:85], v[82:83]
	v_add_f64 v[84:85], v[88:89], -v[80:81]
	v_add_f64 v[78:79], v[78:79], v[84:85]
	v_fma_f64 v[84:85], -v[80:81], v[90:91], 1.0
	v_fmac_f64_e32 v[90:91], v[84:85], v[90:91]
	v_fma_f64 v[84:85], -v[80:81], v[90:91], 1.0
	v_fmac_f64_e32 v[90:91], v[84:85], v[90:91]
	v_mul_f64 v[84:85], v[86:87], v[90:91]
	v_mul_f64 v[88:89], v[80:81], v[84:85]
	v_fma_f64 v[92:93], v[84:85], v[80:81], -v[88:89]
	v_fmac_f64_e32 v[92:93], v[84:85], v[78:79]
	v_add_f64 v[94:95], v[88:89], v[92:93]
	v_add_f64 v[96:97], v[86:87], -v[94:95]
	v_add_f64 v[86:87], v[86:87], -v[96:97]
	;; [unrolled: 1-line block ×4, first 2 shown]
	v_add_f64 v[82:83], v[82:83], v[86:87]
	v_add_f64 v[86:87], v[88:89], -v[92:93]
	v_add_f64 v[82:83], v[86:87], v[82:83]
	v_add_f64 v[86:87], v[96:97], v[82:83]
	v_add_f64 v[88:89], v[96:97], -v[86:87]
	v_add_f64 v[82:83], v[82:83], v[88:89]
	v_mul_f64 v[88:89], v[90:91], v[86:87]
	v_mul_f64 v[92:93], v[80:81], v[88:89]
	v_fma_f64 v[80:81], v[88:89], v[80:81], -v[92:93]
	v_fmac_f64_e32 v[80:81], v[88:89], v[78:79]
	v_add_f64 v[78:79], v[92:93], v[80:81]
	v_add_f64 v[94:95], v[86:87], -v[78:79]
	v_add_f64 v[86:87], v[86:87], -v[94:95]
	;; [unrolled: 1-line block ×4, first 2 shown]
	v_add_f64 v[78:79], v[82:83], v[78:79]
	v_add_f64 v[80:81], v[92:93], -v[80:81]
	v_add_f64 v[78:79], v[80:81], v[78:79]
	v_add_f64 v[80:81], v[84:85], v[88:89]
	;; [unrolled: 1-line block ×3, first 2 shown]
	v_add_f64 v[82:83], v[80:81], -v[84:85]
	v_mul_f64 v[78:79], v[90:91], v[78:79]
	v_add_f64 v[82:83], v[88:89], -v[82:83]
	v_add_f64 v[78:79], v[82:83], v[78:79]
	v_add_f64 v[82:83], v[80:81], v[78:79]
	v_add_f64 v[80:81], v[82:83], -v[80:81]
	v_add_f64 v[78:79], v[78:79], -v[80:81]
	v_mul_f64 v[80:81], v[82:83], v[82:83]
	v_pk_mov_b32 v[84:85], v[20:21], v[20:21] op_sel:[0,1]
	v_fmac_f64_e32 v[84:85], s[24:25], v[80:81]
	v_pk_mov_b32 v[86:87], v[22:23], v[22:23] op_sel:[0,1]
	v_fmac_f64_e32 v[86:87], v[80:81], v[84:85]
	;; [unrolled: 2-line block ×6, first 2 shown]
	v_cvt_f64_i32_e32 v[84:85], v1
	v_mul_f64 v[88:89], v[84:85], s[26:27]
	v_fma_f64 v[90:91], v[84:85], s[26:27], -v[88:89]
	v_fmac_f64_e32 v[90:91], s[28:29], v[84:85]
	v_add_f64 v[84:85], v[88:89], v[90:91]
	v_add_f64 v[88:89], v[84:85], -v[88:89]
	v_mul_f64 v[80:81], v[82:83], v[80:81]
	v_add_f64 v[88:89], v[90:91], -v[88:89]
	v_ldexp_f64 v[90:91], v[82:83], 1
	v_mul_f64 v[80:81], v[80:81], v[86:87]
	v_add_f64 v[82:83], v[90:91], v[80:81]
	v_add_f64 v[86:87], v[82:83], -v[90:91]
	v_ldexp_f64 v[78:79], v[78:79], 1
	v_add_f64 v[80:81], v[80:81], -v[86:87]
	v_add_f64 v[78:79], v[78:79], v[80:81]
	v_add_f64 v[80:81], v[82:83], v[78:79]
	v_add_f64 v[82:83], v[80:81], -v[82:83]
	v_add_f64 v[78:79], v[78:79], -v[82:83]
	v_add_f64 v[82:83], v[84:85], v[80:81]
	v_add_f64 v[86:87], v[82:83], -v[84:85]
	v_add_f64 v[90:91], v[82:83], -v[86:87]
	;; [unrolled: 1-line block ×4, first 2 shown]
	v_add_f64 v[80:81], v[80:81], v[84:85]
	v_add_f64 v[84:85], v[88:89], v[78:79]
	v_add_f64 v[86:87], v[84:85], -v[88:89]
	v_add_f64 v[80:81], v[84:85], v[80:81]
	v_add_f64 v[90:91], v[84:85], -v[86:87]
	;; [unrolled: 2-line block ×3, first 2 shown]
	v_add_f64 v[78:79], v[78:79], -v[86:87]
	v_add_f64 v[82:83], v[84:85], -v[82:83]
	v_add_f64 v[78:79], v[78:79], v[88:89]
	v_add_f64 v[80:81], v[80:81], -v[82:83]
	v_add_f64 v[78:79], v[78:79], v[80:81]
	v_max_f64 v[80:81], |v[12:13]|, |v[12:13]|
	v_max_f64 v[82:83], |v[10:11]|, |v[10:11]|
	v_add_f64 v[78:79], v[84:85], v[78:79]
	v_max_f64 v[84:85], v[82:83], v[80:81]
	v_min_f64 v[80:81], v[82:83], v[80:81]
	v_div_scale_f64 v[82:83], s[56:57], v[84:85], v[84:85], v[80:81]
	v_rcp_f64_e32 v[86:87], v[82:83]
	v_cmp_eq_f64_e32 vcc, s[30:31], v[6:7]
	v_cndmask_b32_e32 v7, v79, v7, vcc
	v_cndmask_b32_e32 v6, v78, v6, vcc
	v_fma_f64 v[78:79], -v[82:83], v[86:87], 1.0
	v_fmac_f64_e32 v[86:87], v[86:87], v[78:79]
	v_fma_f64 v[78:79], -v[82:83], v[86:87], 1.0
	v_fmac_f64_e32 v[86:87], v[86:87], v[78:79]
	v_div_scale_f64 v[78:79], vcc, v[80:81], v[84:85], v[80:81]
	v_mul_f64 v[88:89], v[78:79], v[86:87]
	v_fma_f64 v[78:79], -v[82:83], v[88:89], v[78:79]
	v_pk_mov_b32 v[82:83], v[32:33], v[32:33] op_sel:[0,1]
	s_nop 0
	v_div_fmas_f64 v[78:79], v[78:79], v[86:87], v[88:89]
	v_div_fixup_f64 v[78:79], v[78:79], v[84:85], v[80:81]
	v_mul_f64 v[80:81], v[78:79], v[78:79]
	v_fmac_f64_e32 v[82:83], s[34:35], v[80:81]
	v_pk_mov_b32 v[84:85], v[34:35], v[34:35] op_sel:[0,1]
	v_fmac_f64_e32 v[84:85], v[80:81], v[82:83]
	v_pk_mov_b32 v[82:83], v[36:37], v[36:37] op_sel:[0,1]
	;; [unrolled: 2-line block ×18, first 2 shown]
	v_fmac_f64_e32 v[82:83], v[80:81], v[84:85]
	v_mul_f64 v[80:81], v[80:81], v[82:83]
	v_fmac_f64_e32 v[78:79], v[78:79], v[80:81]
	v_cmp_class_f64_e64 s[58:59], v[10:11], s67
	v_ashrrev_i32_e32 v10, 31, v11
	v_cmp_gt_i32_e32 vcc, 0, v11
	v_and_b32_e32 v19, 0x400921fb, v10
	v_and_b32_e32 v80, 0x54442d18, v10
	v_add_f64 v[10:11], -v[78:79], s[36:37]
	v_cndmask_b32_e64 v11, v79, v11, s[0:1]
	v_cndmask_b32_e64 v10, v78, v10, s[0:1]
	s_mov_b32 s38, s36
	v_add_f64 v[78:79], -v[10:11], s[38:39]
	v_cmp_class_f64_e64 s[56:57], v[12:13], s67
	v_cndmask_b32_e32 v1, v109, v110, vcc
	v_cndmask_b32_e32 v8, v111, v112, vcc
	v_cndmask_b32_e32 v11, v11, v79, vcc
	v_cndmask_b32_e32 v10, v10, v78, vcc
	v_cmp_eq_f64_e32 vcc, 0, v[12:13]
	v_bfi_b32 v8, s8, v8, v13
	v_cndmask_b32_e32 v10, v10, v80, vcc
	v_cndmask_b32_e32 v11, v11, v19, vcc
	s_and_b64 vcc, s[58:59], s[56:57]
	v_mul_f64 v[6:7], v[6:7], 0.5
	v_cndmask_b32_e32 v79, v11, v8, vcc
	v_cndmask_b32_e32 v78, v10, v1, vcc
                                        ; implicit-def: $vgpr80_vgpr81
.LBB192_60:                             ;   in Loop: Header=BB192_5 Depth=1
	s_andn2_saveexec_b64 s[54:55], s[54:55]
	s_cbranch_execz .LBB192_62
; %bb.61:                               ;   in Loop: Header=BB192_5 Depth=1
	v_max_f64 v[6:7], |v[12:13]|, |v[12:13]|
	v_max_f64 v[78:79], |v[10:11]|, |v[10:11]|
	v_max_f64 v[82:83], v[78:79], v[6:7]
	v_min_f64 v[78:79], v[78:79], v[6:7]
	v_div_scale_f64 v[84:85], s[56:57], v[82:83], v[82:83], v[78:79]
	v_rcp_f64_e32 v[86:87], v[84:85]
	v_mul_f64 v[6:7], v[80:81], 0.5
	v_mul_f64 v[6:7], v[80:81], v[6:7]
	v_cmp_class_f64_e64 s[58:59], v[10:11], s67
	v_fma_f64 v[80:81], -v[84:85], v[86:87], 1.0
	v_fmac_f64_e32 v[86:87], v[86:87], v[80:81]
	v_fma_f64 v[80:81], -v[84:85], v[86:87], 1.0
	v_fmac_f64_e32 v[86:87], v[86:87], v[80:81]
	v_div_scale_f64 v[80:81], vcc, v[78:79], v[82:83], v[78:79]
	v_mul_f64 v[88:89], v[80:81], v[86:87]
	v_fma_f64 v[80:81], -v[84:85], v[88:89], v[80:81]
	v_pk_mov_b32 v[84:85], v[34:35], v[34:35] op_sel:[0,1]
	s_nop 0
	v_div_fmas_f64 v[80:81], v[80:81], v[86:87], v[88:89]
	v_div_fixup_f64 v[78:79], v[80:81], v[82:83], v[78:79]
	v_mul_f64 v[80:81], v[78:79], v[78:79]
	v_pk_mov_b32 v[82:83], v[32:33], v[32:33] op_sel:[0,1]
	v_fmac_f64_e32 v[82:83], s[34:35], v[80:81]
	v_fmac_f64_e32 v[84:85], v[80:81], v[82:83]
	v_pk_mov_b32 v[82:83], v[36:37], v[36:37] op_sel:[0,1]
	v_fmac_f64_e32 v[82:83], v[80:81], v[84:85]
	v_pk_mov_b32 v[84:85], v[38:39], v[38:39] op_sel:[0,1]
	;; [unrolled: 2-line block ×17, first 2 shown]
	v_fmac_f64_e32 v[82:83], v[80:81], v[84:85]
	v_mul_f64 v[80:81], v[80:81], v[82:83]
	v_fmac_f64_e32 v[78:79], v[78:79], v[80:81]
	v_ashrrev_i32_e32 v10, 31, v11
	v_cmp_gt_i32_e32 vcc, 0, v11
	v_and_b32_e32 v19, 0x400921fb, v10
	v_and_b32_e32 v80, 0x54442d18, v10
	v_add_f64 v[10:11], -v[78:79], s[36:37]
	v_cndmask_b32_e64 v11, v79, v11, s[0:1]
	v_cndmask_b32_e64 v10, v78, v10, s[0:1]
	s_mov_b32 s38, s36
	v_add_f64 v[78:79], -v[10:11], s[38:39]
	v_cmp_class_f64_e64 s[56:57], v[12:13], s67
	v_cndmask_b32_e32 v1, v109, v110, vcc
	v_cndmask_b32_e32 v8, v111, v112, vcc
	;; [unrolled: 1-line block ×4, first 2 shown]
	v_cmp_eq_f64_e32 vcc, 0, v[12:13]
	v_bfi_b32 v8, s8, v8, v13
	v_cndmask_b32_e32 v10, v10, v80, vcc
	v_cndmask_b32_e32 v11, v11, v19, vcc
	s_and_b64 vcc, s[58:59], s[56:57]
	v_cndmask_b32_e32 v79, v11, v8, vcc
	v_cndmask_b32_e32 v78, v10, v1, vcc
.LBB192_62:                             ;   in Loop: Header=BB192_5 Depth=1
	s_or_b64 exec, exec, s[54:55]
.LBB192_63:                             ;   in Loop: Header=BB192_5 Depth=1
	s_or_b64 exec, exec, s[2:3]
.LBB192_64:                             ;   in Loop: Header=BB192_5 Depth=1
	s_andn2_saveexec_b64 s[54:55], s[6:7]
	s_cbranch_execz .LBB192_66
; %bb.65:                               ;   in Loop: Header=BB192_5 Depth=1
	v_div_scale_f64 v[6:7], s[2:3], s[44:45], s[44:45], v[10:11]
	v_rcp_f64_e32 v[78:79], v[6:7]
	v_div_scale_f64 v[80:81], vcc, v[10:11], s[44:45], v[10:11]
	s_mov_b32 s38, s36
	v_fma_f64 v[82:83], -v[6:7], v[78:79], 1.0
	v_fmac_f64_e32 v[78:79], v[78:79], v[82:83]
	v_fma_f64 v[82:83], -v[6:7], v[78:79], 1.0
	v_fmac_f64_e32 v[78:79], v[78:79], v[82:83]
	v_mul_f64 v[82:83], v[80:81], v[78:79]
	v_fma_f64 v[6:7], -v[6:7], v[82:83], v[80:81]
	v_div_scale_f64 v[80:81], s[2:3], s[44:45], s[44:45], v[12:13]
	v_rcp_f64_e32 v[84:85], v[80:81]
	v_div_fmas_f64 v[6:7], v[6:7], v[78:79], v[82:83]
	v_div_fixup_f64 v[6:7], v[6:7], s[44:45], v[10:11]
	v_cmp_class_f64_e64 s[6:7], v[6:7], s67
	v_fma_f64 v[78:79], -v[80:81], v[84:85], 1.0
	v_fmac_f64_e32 v[84:85], v[84:85], v[78:79]
	v_fma_f64 v[78:79], -v[80:81], v[84:85], 1.0
	v_fmac_f64_e32 v[84:85], v[84:85], v[78:79]
	v_div_scale_f64 v[78:79], vcc, v[12:13], s[44:45], v[12:13]
	v_mul_f64 v[82:83], v[78:79], v[84:85]
	v_fma_f64 v[78:79], -v[80:81], v[82:83], v[78:79]
	s_nop 1
	v_div_fmas_f64 v[78:79], v[78:79], v[84:85], v[82:83]
	v_div_fixup_f64 v[78:79], v[78:79], s[44:45], v[12:13]
	v_max_f64 v[80:81], |v[6:7]|, |v[78:79]|
	v_frexp_exp_i32_f64_e32 v1, v[80:81]
	v_sub_u32_e32 v8, 0, v1
	v_ldexp_f64 v[82:83], |v[78:79]|, v8
	v_ldexp_f64 v[80:81], |v[6:7]|, v8
	v_mul_f64 v[82:83], v[82:83], v[82:83]
	v_fmac_f64_e32 v[82:83], v[80:81], v[80:81]
	v_rsq_f64_e32 v[80:81], v[82:83]
	v_cmp_eq_f64_e32 vcc, 0, v[82:83]
	v_cmp_o_f64_e64 s[2:3], v[6:7], v[78:79]
	v_cmp_class_f64_e64 s[56:57], v[78:79], s67
	v_mul_f64 v[84:85], v[82:83], v[80:81]
	v_mul_f64 v[80:81], v[80:81], 0.5
	v_fma_f64 v[86:87], -v[80:81], v[84:85], 0.5
	v_fmac_f64_e32 v[84:85], v[84:85], v[86:87]
	v_fmac_f64_e32 v[80:81], v[80:81], v[86:87]
	v_fma_f64 v[86:87], -v[84:85], v[84:85], v[82:83]
	v_fmac_f64_e32 v[84:85], v[86:87], v[80:81]
	v_cndmask_b32_e32 v81, v85, v83, vcc
	v_cndmask_b32_e32 v80, v84, v82, vcc
	v_ldexp_f64 v[80:81], v[80:81], v1
	v_cndmask_b32_e64 v1, 0, v80, s[2:3]
	v_cndmask_b32_e64 v8, v107, v81, s[2:3]
	s_or_b64 vcc, s[6:7], s[56:57]
	v_cndmask_b32_e32 v79, v8, v114, vcc
	v_cndmask_b32_e64 v78, v1, 0, vcc
	v_frexp_mant_f64_e32 v[6:7], v[78:79]
	v_cmp_gt_f64_e64 s[6:7], s[22:23], v[6:7]
	v_cndmask_b32_e64 v19, v113, 2.0, s[6:7]
	v_frexp_exp_i32_f64_e32 v82, v[78:79]
	v_mul_f64 v[6:7], v[6:7], v[18:19]
	v_subbrev_co_u32_e64 v19, s[6:7], 0, v82, s[6:7]
	v_add_f64 v[82:83], v[6:7], 1.0
	v_rcp_f64_e32 v[84:85], v[82:83]
	v_add_f64 v[88:89], v[82:83], -1.0
	v_add_f64 v[86:87], v[6:7], -1.0
	v_add_f64 v[6:7], v[6:7], -v[88:89]
	v_fma_f64 v[88:89], -v[82:83], v[84:85], 1.0
	v_fmac_f64_e32 v[84:85], v[88:89], v[84:85]
	v_fma_f64 v[88:89], -v[82:83], v[84:85], 1.0
	v_fmac_f64_e32 v[84:85], v[88:89], v[84:85]
	v_mul_f64 v[88:89], v[86:87], v[84:85]
	v_mul_f64 v[90:91], v[82:83], v[88:89]
	v_fma_f64 v[82:83], v[88:89], v[82:83], -v[90:91]
	v_fmac_f64_e32 v[82:83], v[88:89], v[6:7]
	v_add_f64 v[6:7], v[90:91], v[82:83]
	v_add_f64 v[92:93], v[86:87], -v[6:7]
	v_add_f64 v[90:91], v[6:7], -v[90:91]
	;; [unrolled: 1-line block ×5, first 2 shown]
	v_add_f64 v[6:7], v[82:83], v[6:7]
	v_add_f64 v[6:7], v[92:93], v[6:7]
	v_mul_f64 v[6:7], v[84:85], v[6:7]
	v_add_f64 v[82:83], v[88:89], v[6:7]
	v_add_f64 v[84:85], v[82:83], -v[88:89]
	v_add_f64 v[6:7], v[6:7], -v[84:85]
	v_mul_f64 v[84:85], v[82:83], v[82:83]
	v_pk_mov_b32 v[86:87], v[20:21], v[20:21] op_sel:[0,1]
	v_fmac_f64_e32 v[86:87], s[24:25], v[84:85]
	v_pk_mov_b32 v[88:89], v[22:23], v[22:23] op_sel:[0,1]
	v_fmac_f64_e32 v[88:89], v[84:85], v[86:87]
	;; [unrolled: 2-line block ×6, first 2 shown]
	v_ldexp_f64 v[86:87], v[82:83], 1
	v_mul_f64 v[82:83], v[82:83], v[84:85]
	v_mul_f64 v[82:83], v[82:83], v[88:89]
	v_add_f64 v[84:85], v[86:87], v[82:83]
	v_add_f64 v[86:87], v[84:85], -v[86:87]
	v_ldexp_f64 v[6:7], v[6:7], 1
	v_add_f64 v[82:83], v[82:83], -v[86:87]
	v_add_f64 v[6:7], v[6:7], v[82:83]
	v_add_f64 v[82:83], v[84:85], v[6:7]
	v_add_f64 v[84:85], v[82:83], -v[84:85]
	v_add_f64 v[6:7], v[6:7], -v[84:85]
	v_cvt_f64_i32_e32 v[84:85], v19
	v_mul_f64 v[86:87], v[84:85], s[26:27]
	v_fma_f64 v[88:89], v[84:85], s[26:27], -v[86:87]
	v_fmac_f64_e32 v[88:89], s[28:29], v[84:85]
	v_add_f64 v[84:85], v[86:87], v[88:89]
	v_add_f64 v[86:87], v[84:85], -v[86:87]
	v_add_f64 v[86:87], v[88:89], -v[86:87]
	v_add_f64 v[88:89], v[84:85], v[82:83]
	v_add_f64 v[90:91], v[88:89], -v[84:85]
	v_add_f64 v[92:93], v[88:89], -v[90:91]
	;; [unrolled: 1-line block ×4, first 2 shown]
	v_add_f64 v[82:83], v[82:83], v[84:85]
	v_add_f64 v[84:85], v[86:87], v[6:7]
	v_add_f64 v[90:91], v[84:85], -v[86:87]
	v_add_f64 v[92:93], v[84:85], -v[90:91]
	v_add_f64 v[82:83], v[84:85], v[82:83]
	v_add_f64 v[86:87], v[86:87], -v[92:93]
	v_add_f64 v[6:7], v[6:7], -v[90:91]
	v_add_f64 v[84:85], v[88:89], v[82:83]
	v_add_f64 v[6:7], v[6:7], v[86:87]
	v_add_f64 v[86:87], v[84:85], -v[88:89]
	v_add_f64 v[82:83], v[82:83], -v[86:87]
	v_and_b32_e32 v81, 0x7fffffff, v81
	v_add_f64 v[6:7], v[6:7], v[82:83]
	v_cmp_eq_f64_e64 s[6:7], s[30:31], v[80:81]
	v_add_f64 v[6:7], v[84:85], v[6:7]
	s_and_b64 s[2:3], s[2:3], s[6:7]
	v_cndmask_b32_e64 v7, v7, v8, s[2:3]
	v_cndmask_b32_e64 v6, v6, v1, s[2:3]
	v_add_f64 v[6:7], v[6:7], 1.0
	v_cndmask_b32_e64 v1, v6, 0, vcc
	v_cndmask_b32_e32 v6, v7, v114, vcc
	v_cmp_ngt_f64_e32 vcc, 0, v[78:79]
	v_cndmask_b32_e32 v8, v107, v6, vcc
	v_max_f64 v[6:7], |v[12:13]|, |v[12:13]|
	v_max_f64 v[80:81], |v[10:11]|, |v[10:11]|
	v_max_f64 v[82:83], v[80:81], v[6:7]
	v_min_f64 v[80:81], v[80:81], v[6:7]
	v_div_scale_f64 v[84:85], s[2:3], v[82:83], v[82:83], v[80:81]
	v_rcp_f64_e32 v[86:87], v[84:85]
	v_cmp_nge_f64_e32 vcc, 0, v[78:79]
	v_cndmask_b32_e32 v6, 0, v1, vcc
	v_cmp_neq_f64_e32 vcc, 0, v[78:79]
	v_fma_f64 v[78:79], -v[84:85], v[86:87], 1.0
	v_fmac_f64_e32 v[86:87], v[86:87], v[78:79]
	v_fma_f64 v[78:79], -v[84:85], v[86:87], 1.0
	v_cndmask_b32_e32 v7, v108, v8, vcc
	v_fmac_f64_e32 v[86:87], v[86:87], v[78:79]
	v_div_scale_f64 v[78:79], vcc, v[80:81], v[82:83], v[80:81]
	v_mul_f64 v[88:89], v[78:79], v[86:87]
	v_fma_f64 v[78:79], -v[84:85], v[88:89], v[78:79]
	v_pk_mov_b32 v[84:85], v[34:35], v[34:35] op_sel:[0,1]
	s_nop 0
	v_div_fmas_f64 v[78:79], v[78:79], v[86:87], v[88:89]
	v_div_fixup_f64 v[78:79], v[78:79], v[82:83], v[80:81]
	v_mul_f64 v[80:81], v[78:79], v[78:79]
	v_pk_mov_b32 v[82:83], v[32:33], v[32:33] op_sel:[0,1]
	v_fmac_f64_e32 v[82:83], s[34:35], v[80:81]
	v_fmac_f64_e32 v[84:85], v[80:81], v[82:83]
	v_pk_mov_b32 v[82:83], v[36:37], v[36:37] op_sel:[0,1]
	v_fmac_f64_e32 v[82:83], v[80:81], v[84:85]
	v_pk_mov_b32 v[84:85], v[38:39], v[38:39] op_sel:[0,1]
	;; [unrolled: 2-line block ×17, first 2 shown]
	v_fmac_f64_e32 v[82:83], v[80:81], v[84:85]
	v_mul_f64 v[80:81], v[80:81], v[82:83]
	v_fmac_f64_e32 v[78:79], v[78:79], v[80:81]
	v_cmp_class_f64_e64 s[6:7], v[10:11], s67
	v_ashrrev_i32_e32 v10, 31, v11
	v_cmp_gt_i32_e32 vcc, 0, v11
	v_and_b32_e32 v19, 0x400921fb, v10
	v_and_b32_e32 v80, 0x54442d18, v10
	v_add_f64 v[10:11], -v[78:79], s[36:37]
	v_cndmask_b32_e64 v11, v79, v11, s[0:1]
	v_cndmask_b32_e64 v10, v78, v10, s[0:1]
	v_add_f64 v[78:79], -v[10:11], s[38:39]
	v_cmp_class_f64_e64 s[2:3], v[12:13], s67
	v_cndmask_b32_e32 v1, v109, v110, vcc
	v_cndmask_b32_e32 v8, v111, v112, vcc
	;; [unrolled: 1-line block ×4, first 2 shown]
	v_cmp_eq_f64_e32 vcc, 0, v[12:13]
	v_bfi_b32 v8, s8, v8, v13
	v_cndmask_b32_e32 v10, v10, v80, vcc
	v_cndmask_b32_e32 v11, v11, v19, vcc
	s_and_b64 vcc, s[6:7], s[2:3]
	v_cndmask_b32_e32 v79, v11, v8, vcc
	v_cndmask_b32_e32 v78, v10, v1, vcc
.LBB192_66:                             ;   in Loop: Header=BB192_5 Depth=1
	s_or_b64 exec, exec, s[54:55]
.LBB192_67:                             ;   in Loop: Header=BB192_5 Depth=1
	s_andn2_saveexec_b64 s[0:1], s[52:53]
	s_cbranch_execz .LBB192_73
; %bb.68:                               ;   in Loop: Header=BB192_5 Depth=1
	v_cmp_nlt_f64_e64 s[2:3], |v[10:11]|, s[46:47]
	v_cmp_nlt_f64_e64 s[6:7], |v[12:13]|, s[46:47]
	s_or_b64 s[2:3], s[2:3], s[6:7]
                                        ; implicit-def: $vgpr78_vgpr79
	s_and_saveexec_b64 s[6:7], s[2:3]
	s_xor_b64 s[2:3], exec, s[6:7]
; %bb.69:                               ;   in Loop: Header=BB192_5 Depth=1
	v_mul_f64 v[78:79], v[12:13], v[12:13]
	v_fmac_f64_e32 v[78:79], v[10:11], v[10:11]
; %bb.70:                               ;   in Loop: Header=BB192_5 Depth=1
	s_andn2_saveexec_b64 s[2:3], s[2:3]
; %bb.71:                               ;   in Loop: Header=BB192_5 Depth=1
	v_mul_f64 v[6:7], v[10:11], 4.0
	v_mul_f64 v[10:11], v[12:13], 4.0
	v_mul_f64 v[10:11], v[10:11], v[10:11]
	v_fmac_f64_e32 v[10:11], v[6:7], v[6:7]
	v_ldexp_f64 v[78:79], v[10:11], -4
; %bb.72:                               ;   in Loop: Header=BB192_5 Depth=1
	s_or_b64 exec, exec, s[2:3]
	v_frexp_mant_f64_e32 v[6:7], v[78:79]
	v_cmp_gt_f64_e32 vcc, s[22:23], v[6:7]
	v_cndmask_b32_e64 v19, v113, 2.0, vcc
	v_mul_f64 v[6:7], v[6:7], v[18:19]
	v_add_f64 v[10:11], v[6:7], 1.0
	v_rcp_f64_e32 v[80:81], v[10:11]
	v_add_f64 v[84:85], v[10:11], -1.0
	v_add_f64 v[82:83], v[6:7], -1.0
	v_add_f64 v[6:7], v[6:7], -v[84:85]
	v_fma_f64 v[84:85], -v[10:11], v[80:81], 1.0
	v_fmac_f64_e32 v[80:81], v[84:85], v[80:81]
	v_fma_f64 v[84:85], -v[10:11], v[80:81], 1.0
	v_fmac_f64_e32 v[80:81], v[84:85], v[80:81]
	v_mul_f64 v[84:85], v[82:83], v[80:81]
	v_mul_f64 v[86:87], v[10:11], v[84:85]
	v_fma_f64 v[10:11], v[84:85], v[10:11], -v[86:87]
	v_fmac_f64_e32 v[10:11], v[84:85], v[6:7]
	v_add_f64 v[6:7], v[86:87], v[10:11]
	v_add_f64 v[88:89], v[82:83], -v[6:7]
	v_add_f64 v[86:87], v[6:7], -v[86:87]
	;; [unrolled: 1-line block ×5, first 2 shown]
	v_add_f64 v[6:7], v[10:11], v[6:7]
	v_add_f64 v[6:7], v[88:89], v[6:7]
	v_mul_f64 v[6:7], v[80:81], v[6:7]
	v_add_f64 v[10:11], v[84:85], v[6:7]
	v_add_f64 v[80:81], v[10:11], -v[84:85]
	v_add_f64 v[6:7], v[6:7], -v[80:81]
	v_mul_f64 v[80:81], v[10:11], v[10:11]
	v_pk_mov_b32 v[82:83], v[20:21], v[20:21] op_sel:[0,1]
	v_fmac_f64_e32 v[82:83], s[24:25], v[80:81]
	v_pk_mov_b32 v[84:85], v[22:23], v[22:23] op_sel:[0,1]
	v_fmac_f64_e32 v[84:85], v[80:81], v[82:83]
	;; [unrolled: 2-line block ×6, first 2 shown]
	v_ldexp_f64 v[82:83], v[10:11], 1
	v_mul_f64 v[10:11], v[10:11], v[80:81]
	v_mul_f64 v[10:11], v[10:11], v[84:85]
	v_add_f64 v[80:81], v[82:83], v[10:11]
	v_add_f64 v[82:83], v[80:81], -v[82:83]
	v_ldexp_f64 v[6:7], v[6:7], 1
	v_add_f64 v[10:11], v[10:11], -v[82:83]
	v_add_f64 v[6:7], v[6:7], v[10:11]
	v_frexp_exp_i32_f64_e32 v1, v[78:79]
	v_add_f64 v[10:11], v[80:81], v[6:7]
	v_subbrev_co_u32_e32 v1, vcc, 0, v1, vcc
	v_add_f64 v[80:81], v[10:11], -v[80:81]
	v_add_f64 v[6:7], v[6:7], -v[80:81]
	v_cvt_f64_i32_e32 v[80:81], v1
	v_mul_f64 v[82:83], v[80:81], s[26:27]
	v_fma_f64 v[84:85], v[80:81], s[26:27], -v[82:83]
	v_fmac_f64_e32 v[84:85], s[28:29], v[80:81]
	v_add_f64 v[80:81], v[82:83], v[84:85]
	v_add_f64 v[82:83], v[80:81], -v[82:83]
	v_add_f64 v[82:83], v[84:85], -v[82:83]
	v_add_f64 v[84:85], v[80:81], v[10:11]
	v_add_f64 v[86:87], v[84:85], -v[80:81]
	v_add_f64 v[88:89], v[84:85], -v[86:87]
	;; [unrolled: 1-line block ×4, first 2 shown]
	v_add_f64 v[10:11], v[10:11], v[80:81]
	v_add_f64 v[80:81], v[82:83], v[6:7]
	v_add_f64 v[86:87], v[80:81], -v[82:83]
	v_add_f64 v[88:89], v[80:81], -v[86:87]
	v_add_f64 v[10:11], v[80:81], v[10:11]
	v_add_f64 v[82:83], v[82:83], -v[88:89]
	v_add_f64 v[6:7], v[6:7], -v[86:87]
	v_add_f64 v[80:81], v[84:85], v[10:11]
	v_add_f64 v[6:7], v[6:7], v[82:83]
	v_add_f64 v[82:83], v[80:81], -v[84:85]
	v_add_f64 v[10:11], v[10:11], -v[82:83]
	v_add_f64 v[6:7], v[6:7], v[10:11]
	v_add_f64 v[6:7], v[80:81], v[6:7]
	v_cmp_class_f64_e64 vcc, v[78:79], s67
	v_cndmask_b32_e32 v1, v6, v78, vcc
	v_cndmask_b32_e32 v6, v7, v79, vcc
	v_cmp_ngt_f64_e32 vcc, 0, v[78:79]
	v_cndmask_b32_e32 v7, v107, v6, vcc
	v_cmp_nge_f64_e32 vcc, 0, v[78:79]
	v_cndmask_b32_e32 v6, 0, v1, vcc
	v_cmp_neq_f64_e32 vcc, 0, v[78:79]
	v_mov_b32_e32 v78, 0
	v_cndmask_b32_e32 v7, v108, v7, vcc
	v_mov_b32_e32 v79, 0x7ff80000
.LBB192_73:                             ;   in Loop: Header=BB192_5 Depth=1
	s_or_b64 exec, exec, s[0:1]
	s_waitcnt vmcnt(0)
	v_cmp_o_f64_e32 vcc, v[14:15], v[16:17]
                                        ; implicit-def: $vgpr10_vgpr11
                                        ; implicit-def: $vgpr80_vgpr81
	s_and_saveexec_b64 s[0:1], vcc
	s_xor_b64 s[52:53], exec, s[0:1]
	s_cbranch_execz .LBB192_101
; %bb.74:                               ;   in Loop: Header=BB192_5 Depth=1
	v_and_b32_e32 v12, 0x7fffffff, v15
	v_and_b32_e32 v1, 0x7fffffff, v17
	v_mov_b32_e32 v8, v16
	v_cmp_lt_f64_e64 s[0:1], |v[14:15]|, |v[16:17]|
	v_cndmask_b32_e64 v83, v1, v12, s[0:1]
	v_cndmask_b32_e64 v82, v8, v14, s[0:1]
	v_cmp_nlt_f64_e32 vcc, s[16:17], v[82:83]
                                        ; implicit-def: $vgpr10_vgpr11
                                        ; implicit-def: $vgpr80_vgpr81
	s_and_saveexec_b64 s[2:3], vcc
	s_xor_b64 s[6:7], exec, s[2:3]
	s_cbranch_execz .LBB192_98
; %bb.75:                               ;   in Loop: Header=BB192_5 Depth=1
	v_cndmask_b32_e64 v87, v12, v1, s[0:1]
	v_cndmask_b32_e64 v86, v14, v8, s[0:1]
	v_cmp_neq_f64_e32 vcc, 1.0, v[86:87]
                                        ; implicit-def: $vgpr10_vgpr11
                                        ; implicit-def: $vgpr80_vgpr81
	s_and_saveexec_b64 s[2:3], vcc
	s_xor_b64 s[54:55], exec, s[2:3]
	s_cbranch_execz .LBB192_91
; %bb.76:                               ;   in Loop: Header=BB192_5 Depth=1
	v_max_f64 v[10:11], v[82:83], v[82:83]
	v_max_f64 v[80:81], v[86:87], v[86:87]
	v_min_f64 v[84:85], v[80:81], v[10:11]
	v_max_f64 v[10:11], v[80:81], v[10:11]
	v_cmp_ngt_f64_e32 vcc, s[18:19], v[84:85]
	v_cmp_nlt_f64_e64 s[2:3], s[20:21], v[10:11]
	s_and_b64 s[2:3], s[2:3], vcc
                                        ; implicit-def: $vgpr10_vgpr11
                                        ; implicit-def: $vgpr80_vgpr81
	s_and_saveexec_b64 s[56:57], s[2:3]
	s_xor_b64 s[56:57], exec, s[56:57]
	s_cbranch_execz .LBB192_88
; %bb.77:                               ;   in Loop: Header=BB192_5 Depth=1
	v_cmp_le_f64_e32 vcc, 1.0, v[86:87]
                                        ; implicit-def: $vgpr10_vgpr11
                                        ; implicit-def: $vgpr80_vgpr81
	s_and_saveexec_b64 s[2:3], vcc
	s_xor_b64 s[2:3], exec, s[2:3]
	s_cbranch_execz .LBB192_79
; %bb.78:                               ;   in Loop: Header=BB192_5 Depth=1
	v_add_f64 v[10:11], v[86:87], -1.0
	v_add_f64 v[80:81], v[86:87], 1.0
	v_mul_f64 v[80:81], v[10:11], v[80:81]
	v_fmac_f64_e32 v[80:81], v[82:83], v[82:83]
	v_add_f64 v[10:11], v[80:81], 1.0
	v_add_f64 v[82:83], v[10:11], -1.0
	v_add_f64 v[84:85], v[82:83], -v[10:11]
	v_add_f64 v[84:85], v[84:85], 1.0
	v_add_f64 v[82:83], v[80:81], -v[82:83]
	v_add_f64 v[82:83], v[82:83], v[84:85]
	v_frexp_mant_f64_e32 v[84:85], v[10:11]
	v_frexp_exp_i32_f64_e32 v1, v[10:11]
	v_cmp_gt_f64_e32 vcc, s[22:23], v[84:85]
	v_subbrev_co_u32_e32 v1, vcc, 0, v1, vcc
	v_sub_u32_e32 v8, 0, v1
	v_ldexp_f64 v[10:11], v[10:11], v8
	v_add_f64 v[84:85], v[10:11], -1.0
	v_add_f64 v[90:91], v[10:11], 1.0
	v_add_f64 v[86:87], v[84:85], 1.0
	v_add_f64 v[92:93], v[90:91], -1.0
	v_ldexp_f64 v[82:83], v[82:83], v8
	v_add_f64 v[86:87], v[10:11], -v[86:87]
	v_add_f64 v[10:11], v[10:11], -v[92:93]
	v_add_f64 v[10:11], v[82:83], v[10:11]
	v_add_f64 v[86:87], v[82:83], v[86:87]
	;; [unrolled: 1-line block ×3, first 2 shown]
	v_rcp_f64_e32 v[92:93], v[82:83]
	v_add_f64 v[88:89], v[84:85], v[86:87]
	v_add_f64 v[84:85], v[88:89], -v[84:85]
	v_add_f64 v[84:85], v[86:87], -v[84:85]
	;; [unrolled: 1-line block ×4, first 2 shown]
	v_fma_f64 v[86:87], -v[82:83], v[92:93], 1.0
	v_fmac_f64_e32 v[92:93], v[86:87], v[92:93]
	v_fma_f64 v[86:87], -v[82:83], v[92:93], 1.0
	v_fmac_f64_e32 v[92:93], v[86:87], v[92:93]
	v_mul_f64 v[86:87], v[88:89], v[92:93]
	v_mul_f64 v[90:91], v[82:83], v[86:87]
	v_fma_f64 v[94:95], v[86:87], v[82:83], -v[90:91]
	v_fmac_f64_e32 v[94:95], v[86:87], v[10:11]
	v_add_f64 v[96:97], v[90:91], v[94:95]
	v_add_f64 v[98:99], v[88:89], -v[96:97]
	v_add_f64 v[88:89], v[88:89], -v[98:99]
	;; [unrolled: 1-line block ×4, first 2 shown]
	v_add_f64 v[84:85], v[84:85], v[88:89]
	v_add_f64 v[88:89], v[90:91], -v[94:95]
	v_add_f64 v[84:85], v[88:89], v[84:85]
	v_add_f64 v[88:89], v[98:99], v[84:85]
	v_add_f64 v[90:91], v[98:99], -v[88:89]
	v_add_f64 v[84:85], v[84:85], v[90:91]
	v_mul_f64 v[90:91], v[92:93], v[88:89]
	v_mul_f64 v[94:95], v[82:83], v[90:91]
	v_fma_f64 v[82:83], v[90:91], v[82:83], -v[94:95]
	v_fmac_f64_e32 v[82:83], v[90:91], v[10:11]
	v_add_f64 v[10:11], v[94:95], v[82:83]
	v_add_f64 v[96:97], v[88:89], -v[10:11]
	v_add_f64 v[88:89], v[88:89], -v[96:97]
	;; [unrolled: 1-line block ×4, first 2 shown]
	v_add_f64 v[10:11], v[84:85], v[10:11]
	v_add_f64 v[82:83], v[94:95], -v[82:83]
	v_add_f64 v[10:11], v[82:83], v[10:11]
	v_add_f64 v[82:83], v[86:87], v[90:91]
	;; [unrolled: 1-line block ×3, first 2 shown]
	v_add_f64 v[84:85], v[82:83], -v[86:87]
	v_mul_f64 v[10:11], v[92:93], v[10:11]
	v_add_f64 v[84:85], v[90:91], -v[84:85]
	v_add_f64 v[10:11], v[84:85], v[10:11]
	v_add_f64 v[84:85], v[82:83], v[10:11]
	v_add_f64 v[82:83], v[84:85], -v[82:83]
	v_add_f64 v[10:11], v[10:11], -v[82:83]
	v_mul_f64 v[82:83], v[84:85], v[84:85]
	v_pk_mov_b32 v[86:87], v[20:21], v[20:21] op_sel:[0,1]
	v_fmac_f64_e32 v[86:87], s[24:25], v[82:83]
	v_pk_mov_b32 v[88:89], v[22:23], v[22:23] op_sel:[0,1]
	v_fmac_f64_e32 v[88:89], v[82:83], v[86:87]
	;; [unrolled: 2-line block ×6, first 2 shown]
	v_cvt_f64_i32_e32 v[86:87], v1
	v_mul_f64 v[90:91], v[86:87], s[26:27]
	v_fma_f64 v[92:93], v[86:87], s[26:27], -v[90:91]
	v_fmac_f64_e32 v[92:93], s[28:29], v[86:87]
	v_add_f64 v[86:87], v[90:91], v[92:93]
	v_add_f64 v[90:91], v[86:87], -v[90:91]
	v_mul_f64 v[82:83], v[84:85], v[82:83]
	v_add_f64 v[90:91], v[92:93], -v[90:91]
	v_ldexp_f64 v[92:93], v[84:85], 1
	v_mul_f64 v[82:83], v[82:83], v[88:89]
	v_add_f64 v[84:85], v[92:93], v[82:83]
	v_add_f64 v[88:89], v[84:85], -v[92:93]
	v_ldexp_f64 v[10:11], v[10:11], 1
	v_add_f64 v[82:83], v[82:83], -v[88:89]
	v_add_f64 v[10:11], v[10:11], v[82:83]
	v_add_f64 v[82:83], v[84:85], v[10:11]
	v_add_f64 v[84:85], v[82:83], -v[84:85]
	v_add_f64 v[10:11], v[10:11], -v[84:85]
	v_add_f64 v[84:85], v[86:87], v[82:83]
	v_add_f64 v[88:89], v[84:85], -v[86:87]
	v_add_f64 v[92:93], v[84:85], -v[88:89]
	;; [unrolled: 1-line block ×4, first 2 shown]
	v_add_f64 v[82:83], v[82:83], v[86:87]
	v_add_f64 v[86:87], v[90:91], v[10:11]
	v_add_f64 v[88:89], v[86:87], -v[90:91]
	v_add_f64 v[82:83], v[86:87], v[82:83]
	v_add_f64 v[92:93], v[86:87], -v[88:89]
	;; [unrolled: 2-line block ×3, first 2 shown]
	v_add_f64 v[10:11], v[10:11], -v[88:89]
	v_add_f64 v[84:85], v[86:87], -v[84:85]
	v_add_f64 v[10:11], v[10:11], v[90:91]
	v_add_f64 v[82:83], v[82:83], -v[84:85]
	v_add_f64 v[10:11], v[10:11], v[82:83]
	v_max_f64 v[82:83], |v[16:17]|, |v[16:17]|
	v_max_f64 v[84:85], |v[14:15]|, |v[14:15]|
	v_add_f64 v[10:11], v[86:87], v[10:11]
	v_max_f64 v[86:87], v[84:85], v[82:83]
	v_min_f64 v[82:83], v[84:85], v[82:83]
	v_div_scale_f64 v[84:85], s[58:59], v[86:87], v[86:87], v[82:83]
	v_cmp_eq_f64_e32 vcc, s[30:31], v[80:81]
	v_rcp_f64_e32 v[88:89], v[84:85]
	v_cndmask_b32_e32 v11, v11, v81, vcc
	v_cndmask_b32_e32 v10, v10, v80, vcc
	v_mul_f64 v[10:11], v[10:11], 0.5
	v_cmp_ngt_f64_e32 vcc, -1.0, v[80:81]
	v_cndmask_b32_e32 v1, v107, v11, vcc
	v_cmp_nge_f64_e32 vcc, -1.0, v[80:81]
	v_cndmask_b32_e32 v10, 0, v10, vcc
	v_cmp_neq_f64_e32 vcc, -1.0, v[80:81]
	v_fma_f64 v[80:81], -v[84:85], v[88:89], 1.0
	v_fmac_f64_e32 v[88:89], v[88:89], v[80:81]
	v_fma_f64 v[80:81], -v[84:85], v[88:89], 1.0
	v_cndmask_b32_e32 v11, v108, v1, vcc
	v_fmac_f64_e32 v[88:89], v[88:89], v[80:81]
	v_div_scale_f64 v[80:81], vcc, v[82:83], v[86:87], v[82:83]
	v_mul_f64 v[90:91], v[80:81], v[88:89]
	v_fma_f64 v[80:81], -v[84:85], v[90:91], v[80:81]
	v_pk_mov_b32 v[84:85], v[32:33], v[32:33] op_sel:[0,1]
	s_nop 0
	v_div_fmas_f64 v[80:81], v[80:81], v[88:89], v[90:91]
	v_div_fixup_f64 v[80:81], v[80:81], v[86:87], v[82:83]
	v_mul_f64 v[82:83], v[80:81], v[80:81]
	v_fmac_f64_e32 v[84:85], s[34:35], v[82:83]
	v_pk_mov_b32 v[86:87], v[34:35], v[34:35] op_sel:[0,1]
	v_fmac_f64_e32 v[86:87], v[82:83], v[84:85]
	v_pk_mov_b32 v[84:85], v[36:37], v[36:37] op_sel:[0,1]
	;; [unrolled: 2-line block ×18, first 2 shown]
	v_fmac_f64_e32 v[84:85], v[82:83], v[86:87]
	v_mul_f64 v[82:83], v[82:83], v[84:85]
	v_fmac_f64_e32 v[80:81], v[80:81], v[82:83]
	v_cmp_class_f64_e64 s[60:61], v[14:15], s67
	v_cmp_gt_i32_e32 vcc, 0, v15
	v_ashrrev_i32_e32 v12, 31, v15
	v_add_f64 v[14:15], -v[80:81], s[36:37]
	v_cndmask_b32_e64 v15, v81, v15, s[0:1]
	v_cndmask_b32_e64 v14, v80, v14, s[0:1]
	s_mov_b32 s38, s36
	v_add_f64 v[80:81], -v[14:15], s[38:39]
	v_cmp_class_f64_e64 s[58:59], v[16:17], s67
	v_cndmask_b32_e32 v1, v109, v110, vcc
	v_cndmask_b32_e32 v8, v111, v112, vcc
	v_and_b32_e32 v19, 0x400921fb, v12
	v_and_b32_e32 v12, 0x54442d18, v12
	v_cndmask_b32_e32 v15, v15, v81, vcc
	v_cndmask_b32_e32 v14, v14, v80, vcc
	v_cmp_eq_f64_e32 vcc, 0, v[16:17]
	v_bfi_b32 v8, s8, v8, v17
	v_cndmask_b32_e32 v12, v14, v12, vcc
	v_cndmask_b32_e32 v14, v15, v19, vcc
	s_and_b64 vcc, s[60:61], s[58:59]
	v_cndmask_b32_e32 v81, v14, v8, vcc
	v_cndmask_b32_e32 v80, v12, v1, vcc
                                        ; implicit-def: $vgpr82_vgpr83
                                        ; implicit-def: $vgpr86_vgpr87
.LBB192_79:                             ;   in Loop: Header=BB192_5 Depth=1
	s_andn2_saveexec_b64 s[58:59], s[2:3]
	s_cbranch_execz .LBB192_87
; %bb.80:                               ;   in Loop: Header=BB192_5 Depth=1
	v_mul_f64 v[84:85], v[82:83], v[82:83]
	v_fmac_f64_e32 v[84:85], v[86:87], v[86:87]
	v_cmp_ge_f64_e32 vcc, s[40:41], v[84:85]
                                        ; implicit-def: $vgpr10_vgpr11
                                        ; implicit-def: $vgpr80_vgpr81
	s_and_saveexec_b64 s[2:3], vcc
	s_xor_b64 s[2:3], exec, s[2:3]
	s_cbranch_execz .LBB192_82
; %bb.81:                               ;   in Loop: Header=BB192_5 Depth=1
	v_frexp_mant_f64_e32 v[10:11], v[84:85]
	v_cmp_gt_f64_e32 vcc, s[22:23], v[10:11]
	v_cndmask_b32_e64 v19, v113, 2.0, vcc
	v_mul_f64 v[10:11], v[10:11], v[18:19]
	v_add_f64 v[80:81], v[10:11], 1.0
	v_rcp_f64_e32 v[82:83], v[80:81]
	v_add_f64 v[88:89], v[80:81], -1.0
	v_add_f64 v[86:87], v[10:11], -1.0
	v_add_f64 v[10:11], v[10:11], -v[88:89]
	v_fma_f64 v[88:89], -v[80:81], v[82:83], 1.0
	v_fmac_f64_e32 v[82:83], v[88:89], v[82:83]
	v_fma_f64 v[88:89], -v[80:81], v[82:83], 1.0
	v_fmac_f64_e32 v[82:83], v[88:89], v[82:83]
	v_mul_f64 v[88:89], v[86:87], v[82:83]
	v_mul_f64 v[90:91], v[80:81], v[88:89]
	v_fma_f64 v[80:81], v[88:89], v[80:81], -v[90:91]
	v_fmac_f64_e32 v[80:81], v[88:89], v[10:11]
	v_add_f64 v[10:11], v[90:91], v[80:81]
	v_add_f64 v[92:93], v[86:87], -v[10:11]
	v_add_f64 v[90:91], v[10:11], -v[90:91]
	;; [unrolled: 1-line block ×5, first 2 shown]
	v_add_f64 v[10:11], v[80:81], v[10:11]
	v_add_f64 v[10:11], v[92:93], v[10:11]
	v_mul_f64 v[10:11], v[82:83], v[10:11]
	v_add_f64 v[80:81], v[88:89], v[10:11]
	v_add_f64 v[82:83], v[80:81], -v[88:89]
	v_add_f64 v[10:11], v[10:11], -v[82:83]
	v_mul_f64 v[82:83], v[80:81], v[80:81]
	v_pk_mov_b32 v[86:87], v[20:21], v[20:21] op_sel:[0,1]
	v_fmac_f64_e32 v[86:87], s[24:25], v[82:83]
	v_pk_mov_b32 v[88:89], v[22:23], v[22:23] op_sel:[0,1]
	v_fmac_f64_e32 v[88:89], v[82:83], v[86:87]
	v_pk_mov_b32 v[86:87], v[24:25], v[24:25] op_sel:[0,1]
	v_fmac_f64_e32 v[86:87], v[82:83], v[88:89]
	v_pk_mov_b32 v[88:89], v[26:27], v[26:27] op_sel:[0,1]
	v_fmac_f64_e32 v[88:89], v[82:83], v[86:87]
	v_pk_mov_b32 v[86:87], v[28:29], v[28:29] op_sel:[0,1]
	v_fmac_f64_e32 v[86:87], v[82:83], v[88:89]
	v_pk_mov_b32 v[88:89], v[30:31], v[30:31] op_sel:[0,1]
	v_fmac_f64_e32 v[88:89], v[82:83], v[86:87]
	v_ldexp_f64 v[86:87], v[80:81], 1
	v_mul_f64 v[80:81], v[80:81], v[82:83]
	v_mul_f64 v[80:81], v[80:81], v[88:89]
	v_add_f64 v[82:83], v[86:87], v[80:81]
	v_add_f64 v[86:87], v[82:83], -v[86:87]
	v_ldexp_f64 v[10:11], v[10:11], 1
	v_add_f64 v[80:81], v[80:81], -v[86:87]
	v_add_f64 v[10:11], v[10:11], v[80:81]
	v_frexp_exp_i32_f64_e32 v1, v[84:85]
	v_add_f64 v[80:81], v[82:83], v[10:11]
	v_subbrev_co_u32_e32 v1, vcc, 0, v1, vcc
	v_add_f64 v[82:83], v[80:81], -v[82:83]
	v_add_f64 v[10:11], v[10:11], -v[82:83]
	v_cvt_f64_i32_e32 v[82:83], v1
	v_mul_f64 v[86:87], v[82:83], s[26:27]
	v_fma_f64 v[88:89], v[82:83], s[26:27], -v[86:87]
	v_fmac_f64_e32 v[88:89], s[28:29], v[82:83]
	v_add_f64 v[82:83], v[86:87], v[88:89]
	v_add_f64 v[86:87], v[82:83], -v[86:87]
	v_add_f64 v[86:87], v[88:89], -v[86:87]
	v_add_f64 v[88:89], v[82:83], v[80:81]
	v_add_f64 v[90:91], v[88:89], -v[82:83]
	v_add_f64 v[92:93], v[88:89], -v[90:91]
	;; [unrolled: 1-line block ×4, first 2 shown]
	v_add_f64 v[80:81], v[80:81], v[82:83]
	v_add_f64 v[82:83], v[86:87], v[10:11]
	v_add_f64 v[90:91], v[82:83], -v[86:87]
	v_add_f64 v[92:93], v[82:83], -v[90:91]
	v_add_f64 v[80:81], v[82:83], v[80:81]
	v_add_f64 v[86:87], v[86:87], -v[92:93]
	v_add_f64 v[10:11], v[10:11], -v[90:91]
	v_add_f64 v[82:83], v[88:89], v[80:81]
	v_add_f64 v[10:11], v[10:11], v[86:87]
	v_add_f64 v[86:87], v[82:83], -v[88:89]
	v_add_f64 v[80:81], v[80:81], -v[86:87]
	v_add_f64 v[10:11], v[10:11], v[80:81]
	v_add_f64 v[10:11], v[82:83], v[10:11]
	v_max_f64 v[80:81], |v[16:17]|, |v[16:17]|
	v_max_f64 v[82:83], |v[14:15]|, |v[14:15]|
	v_max_f64 v[86:87], v[82:83], v[80:81]
	v_min_f64 v[80:81], v[82:83], v[80:81]
	v_div_scale_f64 v[82:83], s[60:61], v[86:87], v[86:87], v[80:81]
	v_rcp_f64_e32 v[88:89], v[82:83]
	v_cmp_neq_f64_e32 vcc, 0, v[84:85]
	v_mul_f64 v[10:11], v[10:11], 0.5
	v_cndmask_b32_e32 v11, v108, v11, vcc
	v_fma_f64 v[84:85], -v[82:83], v[88:89], 1.0
	v_fmac_f64_e32 v[88:89], v[88:89], v[84:85]
	v_fma_f64 v[84:85], -v[82:83], v[88:89], 1.0
	v_cndmask_b32_e32 v10, 0, v10, vcc
	v_fmac_f64_e32 v[88:89], v[88:89], v[84:85]
	v_div_scale_f64 v[84:85], vcc, v[80:81], v[86:87], v[80:81]
	v_mul_f64 v[90:91], v[84:85], v[88:89]
	v_fma_f64 v[82:83], -v[82:83], v[90:91], v[84:85]
	v_pk_mov_b32 v[84:85], v[32:33], v[32:33] op_sel:[0,1]
	s_nop 0
	v_div_fmas_f64 v[82:83], v[82:83], v[88:89], v[90:91]
	v_div_fixup_f64 v[80:81], v[82:83], v[86:87], v[80:81]
	v_mul_f64 v[82:83], v[80:81], v[80:81]
	v_fmac_f64_e32 v[84:85], s[34:35], v[82:83]
	v_pk_mov_b32 v[86:87], v[34:35], v[34:35] op_sel:[0,1]
	v_fmac_f64_e32 v[86:87], v[82:83], v[84:85]
	v_pk_mov_b32 v[84:85], v[36:37], v[36:37] op_sel:[0,1]
	;; [unrolled: 2-line block ×18, first 2 shown]
	v_fmac_f64_e32 v[84:85], v[82:83], v[86:87]
	v_mul_f64 v[82:83], v[82:83], v[84:85]
	v_fmac_f64_e32 v[80:81], v[80:81], v[82:83]
	v_cmp_class_f64_e64 s[62:63], v[14:15], s67
	v_cmp_gt_i32_e32 vcc, 0, v15
	v_ashrrev_i32_e32 v12, 31, v15
	v_add_f64 v[14:15], -v[80:81], s[36:37]
	v_cndmask_b32_e64 v15, v81, v15, s[0:1]
	v_cndmask_b32_e64 v14, v80, v14, s[0:1]
	s_mov_b32 s38, s36
	v_add_f64 v[80:81], -v[14:15], s[38:39]
	v_cmp_class_f64_e64 s[60:61], v[16:17], s67
	v_cndmask_b32_e32 v1, v109, v110, vcc
	v_cndmask_b32_e32 v8, v111, v112, vcc
	v_and_b32_e32 v19, 0x400921fb, v12
	v_and_b32_e32 v12, 0x54442d18, v12
	v_cndmask_b32_e32 v15, v15, v81, vcc
	v_cndmask_b32_e32 v14, v14, v80, vcc
	v_cmp_eq_f64_e32 vcc, 0, v[16:17]
	v_bfi_b32 v8, s8, v8, v17
	v_cndmask_b32_e32 v12, v14, v12, vcc
	v_cndmask_b32_e32 v14, v15, v19, vcc
	s_and_b64 vcc, s[62:63], s[60:61]
	v_cndmask_b32_e32 v81, v14, v8, vcc
	v_cndmask_b32_e32 v80, v12, v1, vcc
                                        ; implicit-def: $vgpr86_vgpr87
                                        ; implicit-def: $vgpr82_vgpr83
.LBB192_82:                             ;   in Loop: Header=BB192_5 Depth=1
	s_andn2_saveexec_b64 s[60:61], s[2:3]
	s_cbranch_execz .LBB192_86
; %bb.83:                               ;   in Loop: Header=BB192_5 Depth=1
	v_and_b32_e32 v19, 0x7ffffff8, v87
	v_add_f64 v[10:11], v[86:87], -v[18:19]
	v_and_b32_e32 v95, -8, v11
	v_mov_b32_e32 v94, v18
	v_and_b32_e32 v85, 0x7ffffff8, v83
	v_mov_b32_e32 v84, v18
	v_add_f64 v[98:99], v[10:11], -v[94:95]
	v_add_f64 v[10:11], v[82:83], -v[84:85]
	v_and_b32_e32 v97, -8, v11
	v_mov_b32_e32 v96, v18
	v_add_f64 v[88:89], v[18:19], v[18:19]
	v_add_f64 v[102:103], v[84:85], v[84:85]
	v_add_f64 v[100:101], v[10:11], -v[96:97]
	v_mul_f64 v[80:81], v[84:85], v[84:85]
	v_mul_f64 v[86:87], v[88:89], v[94:95]
	v_mul_f64 v[84:85], v[102:103], v[96:97]
	v_mul_f64 v[92:93], v[94:95], v[94:95]
	v_mul_f64 v[82:83], v[96:97], v[96:97]
	v_add_f64 v[94:95], v[94:95], v[94:95]
	v_add_f64 v[96:97], v[96:97], v[96:97]
	v_mul_f64 v[10:11], v[18:19], v[18:19]
	v_mul_f64 v[90:91], v[88:89], v[98:99]
	;; [unrolled: 1-line block ×7, first 2 shown]
	s_mov_b64 s[62:63], 0
.LBB192_84:                             ;   Parent Loop BB192_5 Depth=1
                                        ; =>  This Inner Loop Header: Depth=2
	v_cmp_nlt_f64_e32 vcc, v[10:11], v[80:81]
	v_cndmask_b32_e32 v103, v11, v81, vcc
	v_cndmask_b32_e32 v102, v10, v80, vcc
	v_cmp_nlt_f64_e64 s[2:3], v[102:103], v[86:87]
	v_cndmask_b32_e64 v105, v103, v87, s[2:3]
	v_cndmask_b32_e64 v104, v102, v86, s[2:3]
	v_cndmask_b32_e32 v11, v81, v11, vcc
	v_cndmask_b32_e32 v10, v80, v10, vcc
	s_and_b64 s[64:65], vcc, s[2:3]
	v_cmp_nlt_f64_e32 vcc, v[104:105], v[84:85]
	v_cndmask_b32_e64 v81, v87, v103, s[2:3]
	v_cndmask_b32_e64 v80, v86, v102, s[2:3]
	v_cndmask_b32_e32 v103, v105, v85, vcc
	v_cndmask_b32_e32 v102, v104, v84, vcc
	v_cmp_nlt_f64_e64 s[2:3], v[102:103], v[92:93]
	v_cndmask_b32_e32 v87, v85, v105, vcc
	v_cndmask_b32_e32 v86, v84, v104, vcc
	v_cndmask_b32_e64 v105, v103, v93, s[2:3]
	v_cndmask_b32_e64 v104, v102, v92, s[2:3]
	s_and_b64 s[72:73], vcc, s[2:3]
	v_cmp_nlt_f64_e32 vcc, v[104:105], v[82:83]
	v_cndmask_b32_e64 v85, v93, v103, s[2:3]
	v_cndmask_b32_e64 v84, v92, v102, s[2:3]
	v_cndmask_b32_e32 v103, v105, v83, vcc
	v_cndmask_b32_e32 v102, v104, v82, vcc
	v_cmp_nlt_f64_e64 s[2:3], v[102:103], v[90:91]
	v_cndmask_b32_e32 v93, v83, v105, vcc
	v_cndmask_b32_e32 v92, v82, v104, vcc
	v_cndmask_b32_e64 v105, v103, v91, s[2:3]
	v_cndmask_b32_e64 v104, v102, v90, s[2:3]
	;; [unrolled: 1-line block ×4, first 2 shown]
	s_and_b64 s[2:3], vcc, s[2:3]
	v_cmp_nlt_f64_e32 vcc, v[104:105], v[88:89]
	v_cndmask_b32_e32 v103, v105, v89, vcc
	v_cndmask_b32_e32 v102, v104, v88, vcc
	v_cndmask_b32_e32 v91, v89, v105, vcc
	v_cndmask_b32_e32 v90, v88, v104, vcc
	s_and_b64 s[2:3], s[2:3], vcc
	v_cmp_nlt_f64_e32 vcc, v[102:103], v[94:95]
	v_cndmask_b32_e32 v105, v103, v95, vcc
	v_cndmask_b32_e32 v104, v102, v94, vcc
	v_cndmask_b32_e32 v89, v95, v103, vcc
	v_cndmask_b32_e32 v88, v94, v102, vcc
	s_and_b64 s[2:3], s[2:3], vcc
	;; [unrolled: 6-line block ×4, first 2 shown]
	v_cmp_nlt_f64_e32 vcc, v[104:105], v[100:101]
	s_and_b64 s[2:3], s[2:3], vcc
	s_and_b64 s[2:3], s[2:3], s[72:73]
	s_and_b64 s[2:3], s[2:3], s[64:65]
	v_cndmask_b32_e32 v103, v105, v101, vcc
	v_cndmask_b32_e32 v102, v104, v100, vcc
	s_and_b64 s[2:3], exec, s[2:3]
	v_cndmask_b32_e32 v99, v101, v105, vcc
	v_cndmask_b32_e32 v98, v100, v104, vcc
	s_or_b64 s[62:63], s[2:3], s[62:63]
	v_pk_mov_b32 v[100:101], v[102:103], v[102:103] op_sel:[0,1]
	s_andn2_b64 exec, exec, s[62:63]
	s_cbranch_execnz .LBB192_84
; %bb.85:                               ;   in Loop: Header=BB192_5 Depth=1
	s_or_b64 exec, exec, s[62:63]
	v_add_f64 v[10:11], v[10:11], -1.0
	v_add_f64 v[10:11], v[10:11], v[80:81]
	v_add_f64 v[10:11], v[10:11], v[86:87]
	;; [unrolled: 1-line block ×11, first 2 shown]
	v_add_f64 v[10:11], v[80:81], 1.0
	v_add_f64 v[82:83], v[10:11], -1.0
	v_add_f64 v[84:85], v[82:83], -v[10:11]
	v_add_f64 v[84:85], v[84:85], 1.0
	v_add_f64 v[82:83], v[80:81], -v[82:83]
	v_add_f64 v[82:83], v[82:83], v[84:85]
	v_frexp_mant_f64_e32 v[84:85], v[10:11]
	v_frexp_exp_i32_f64_e32 v1, v[10:11]
	v_cmp_gt_f64_e32 vcc, s[22:23], v[84:85]
	v_subbrev_co_u32_e32 v1, vcc, 0, v1, vcc
	v_sub_u32_e32 v8, 0, v1
	v_ldexp_f64 v[10:11], v[10:11], v8
	v_add_f64 v[84:85], v[10:11], -1.0
	v_add_f64 v[90:91], v[10:11], 1.0
	v_add_f64 v[86:87], v[84:85], 1.0
	v_add_f64 v[92:93], v[90:91], -1.0
	v_ldexp_f64 v[82:83], v[82:83], v8
	v_add_f64 v[86:87], v[10:11], -v[86:87]
	v_add_f64 v[10:11], v[10:11], -v[92:93]
	v_add_f64 v[10:11], v[82:83], v[10:11]
	v_add_f64 v[86:87], v[82:83], v[86:87]
	;; [unrolled: 1-line block ×3, first 2 shown]
	v_rcp_f64_e32 v[92:93], v[82:83]
	v_add_f64 v[88:89], v[84:85], v[86:87]
	v_add_f64 v[84:85], v[88:89], -v[84:85]
	v_add_f64 v[84:85], v[86:87], -v[84:85]
	;; [unrolled: 1-line block ×4, first 2 shown]
	v_fma_f64 v[86:87], -v[82:83], v[92:93], 1.0
	v_fmac_f64_e32 v[92:93], v[86:87], v[92:93]
	v_fma_f64 v[86:87], -v[82:83], v[92:93], 1.0
	v_fmac_f64_e32 v[92:93], v[86:87], v[92:93]
	v_mul_f64 v[86:87], v[88:89], v[92:93]
	v_mul_f64 v[90:91], v[82:83], v[86:87]
	v_fma_f64 v[94:95], v[86:87], v[82:83], -v[90:91]
	v_fmac_f64_e32 v[94:95], v[86:87], v[10:11]
	v_add_f64 v[96:97], v[90:91], v[94:95]
	v_add_f64 v[98:99], v[88:89], -v[96:97]
	v_add_f64 v[88:89], v[88:89], -v[98:99]
	;; [unrolled: 1-line block ×4, first 2 shown]
	v_add_f64 v[84:85], v[84:85], v[88:89]
	v_add_f64 v[88:89], v[90:91], -v[94:95]
	v_add_f64 v[84:85], v[88:89], v[84:85]
	v_add_f64 v[88:89], v[98:99], v[84:85]
	v_add_f64 v[90:91], v[98:99], -v[88:89]
	v_add_f64 v[84:85], v[84:85], v[90:91]
	v_mul_f64 v[90:91], v[92:93], v[88:89]
	v_mul_f64 v[94:95], v[82:83], v[90:91]
	v_fma_f64 v[82:83], v[90:91], v[82:83], -v[94:95]
	v_fmac_f64_e32 v[82:83], v[90:91], v[10:11]
	v_add_f64 v[10:11], v[94:95], v[82:83]
	v_add_f64 v[96:97], v[88:89], -v[10:11]
	v_add_f64 v[88:89], v[88:89], -v[96:97]
	;; [unrolled: 1-line block ×4, first 2 shown]
	v_add_f64 v[10:11], v[84:85], v[10:11]
	v_add_f64 v[82:83], v[94:95], -v[82:83]
	v_add_f64 v[10:11], v[82:83], v[10:11]
	v_add_f64 v[82:83], v[86:87], v[90:91]
	;; [unrolled: 1-line block ×3, first 2 shown]
	v_add_f64 v[84:85], v[82:83], -v[86:87]
	v_mul_f64 v[10:11], v[92:93], v[10:11]
	v_add_f64 v[84:85], v[90:91], -v[84:85]
	v_add_f64 v[10:11], v[84:85], v[10:11]
	v_add_f64 v[84:85], v[82:83], v[10:11]
	v_add_f64 v[82:83], v[84:85], -v[82:83]
	v_add_f64 v[10:11], v[10:11], -v[82:83]
	v_mul_f64 v[82:83], v[84:85], v[84:85]
	v_pk_mov_b32 v[86:87], v[20:21], v[20:21] op_sel:[0,1]
	v_fmac_f64_e32 v[86:87], s[24:25], v[82:83]
	v_pk_mov_b32 v[88:89], v[22:23], v[22:23] op_sel:[0,1]
	v_fmac_f64_e32 v[88:89], v[82:83], v[86:87]
	;; [unrolled: 2-line block ×6, first 2 shown]
	v_cvt_f64_i32_e32 v[86:87], v1
	v_mul_f64 v[90:91], v[86:87], s[26:27]
	v_fma_f64 v[92:93], v[86:87], s[26:27], -v[90:91]
	v_fmac_f64_e32 v[92:93], s[28:29], v[86:87]
	v_add_f64 v[86:87], v[90:91], v[92:93]
	v_add_f64 v[90:91], v[86:87], -v[90:91]
	v_mul_f64 v[82:83], v[84:85], v[82:83]
	v_add_f64 v[90:91], v[92:93], -v[90:91]
	v_ldexp_f64 v[92:93], v[84:85], 1
	v_mul_f64 v[82:83], v[82:83], v[88:89]
	v_add_f64 v[84:85], v[92:93], v[82:83]
	v_add_f64 v[88:89], v[84:85], -v[92:93]
	v_ldexp_f64 v[10:11], v[10:11], 1
	v_add_f64 v[82:83], v[82:83], -v[88:89]
	v_add_f64 v[10:11], v[10:11], v[82:83]
	v_add_f64 v[82:83], v[84:85], v[10:11]
	v_add_f64 v[84:85], v[82:83], -v[84:85]
	v_add_f64 v[10:11], v[10:11], -v[84:85]
	v_add_f64 v[84:85], v[86:87], v[82:83]
	v_add_f64 v[88:89], v[84:85], -v[86:87]
	v_add_f64 v[92:93], v[84:85], -v[88:89]
	;; [unrolled: 1-line block ×4, first 2 shown]
	v_add_f64 v[82:83], v[82:83], v[86:87]
	v_add_f64 v[86:87], v[90:91], v[10:11]
	v_add_f64 v[88:89], v[86:87], -v[90:91]
	v_add_f64 v[82:83], v[86:87], v[82:83]
	v_add_f64 v[92:93], v[86:87], -v[88:89]
	;; [unrolled: 2-line block ×3, first 2 shown]
	v_add_f64 v[10:11], v[10:11], -v[88:89]
	v_add_f64 v[84:85], v[86:87], -v[84:85]
	v_add_f64 v[10:11], v[10:11], v[90:91]
	v_add_f64 v[82:83], v[82:83], -v[84:85]
	v_add_f64 v[10:11], v[10:11], v[82:83]
	v_max_f64 v[82:83], |v[16:17]|, |v[16:17]|
	v_max_f64 v[84:85], |v[14:15]|, |v[14:15]|
	v_add_f64 v[10:11], v[86:87], v[10:11]
	v_max_f64 v[86:87], v[84:85], v[82:83]
	v_min_f64 v[82:83], v[84:85], v[82:83]
	v_div_scale_f64 v[84:85], s[2:3], v[86:87], v[86:87], v[82:83]
	v_cmp_eq_f64_e32 vcc, s[30:31], v[80:81]
	v_rcp_f64_e32 v[88:89], v[84:85]
	v_cndmask_b32_e32 v11, v11, v81, vcc
	v_cndmask_b32_e32 v10, v10, v80, vcc
	v_mul_f64 v[10:11], v[10:11], 0.5
	v_cmp_ngt_f64_e32 vcc, -1.0, v[80:81]
	v_cndmask_b32_e32 v1, v107, v11, vcc
	v_cmp_nge_f64_e32 vcc, -1.0, v[80:81]
	v_cndmask_b32_e32 v10, 0, v10, vcc
	v_cmp_neq_f64_e32 vcc, -1.0, v[80:81]
	v_fma_f64 v[80:81], -v[84:85], v[88:89], 1.0
	v_fmac_f64_e32 v[88:89], v[88:89], v[80:81]
	v_fma_f64 v[80:81], -v[84:85], v[88:89], 1.0
	v_cndmask_b32_e32 v11, v108, v1, vcc
	v_fmac_f64_e32 v[88:89], v[88:89], v[80:81]
	v_div_scale_f64 v[80:81], vcc, v[82:83], v[86:87], v[82:83]
	v_mul_f64 v[90:91], v[80:81], v[88:89]
	v_fma_f64 v[80:81], -v[84:85], v[90:91], v[80:81]
	v_pk_mov_b32 v[84:85], v[32:33], v[32:33] op_sel:[0,1]
	s_nop 0
	v_div_fmas_f64 v[80:81], v[80:81], v[88:89], v[90:91]
	v_div_fixup_f64 v[80:81], v[80:81], v[86:87], v[82:83]
	v_mul_f64 v[82:83], v[80:81], v[80:81]
	v_fmac_f64_e32 v[84:85], s[34:35], v[82:83]
	v_pk_mov_b32 v[86:87], v[34:35], v[34:35] op_sel:[0,1]
	v_fmac_f64_e32 v[86:87], v[82:83], v[84:85]
	v_pk_mov_b32 v[84:85], v[36:37], v[36:37] op_sel:[0,1]
	;; [unrolled: 2-line block ×18, first 2 shown]
	v_fmac_f64_e32 v[84:85], v[82:83], v[86:87]
	v_mul_f64 v[82:83], v[82:83], v[84:85]
	v_fmac_f64_e32 v[80:81], v[80:81], v[82:83]
	v_cmp_class_f64_e64 s[62:63], v[14:15], s67
	v_cmp_gt_i32_e32 vcc, 0, v15
	v_ashrrev_i32_e32 v12, 31, v15
	v_add_f64 v[14:15], -v[80:81], s[36:37]
	v_cndmask_b32_e64 v15, v81, v15, s[0:1]
	v_cndmask_b32_e64 v14, v80, v14, s[0:1]
	s_mov_b32 s38, s36
	v_add_f64 v[80:81], -v[14:15], s[38:39]
	v_cmp_class_f64_e64 s[2:3], v[16:17], s67
	v_cndmask_b32_e32 v1, v109, v110, vcc
	v_cndmask_b32_e32 v8, v111, v112, vcc
	v_and_b32_e32 v19, 0x400921fb, v12
	v_and_b32_e32 v12, 0x54442d18, v12
	v_cndmask_b32_e32 v15, v15, v81, vcc
	v_cndmask_b32_e32 v14, v14, v80, vcc
	v_cmp_eq_f64_e32 vcc, 0, v[16:17]
	v_bfi_b32 v8, s8, v8, v17
	v_cndmask_b32_e32 v12, v14, v12, vcc
	v_cndmask_b32_e32 v14, v15, v19, vcc
	s_and_b64 vcc, s[62:63], s[2:3]
	v_cndmask_b32_e32 v81, v14, v8, vcc
	v_cndmask_b32_e32 v80, v12, v1, vcc
.LBB192_86:                             ;   in Loop: Header=BB192_5 Depth=1
	s_or_b64 exec, exec, s[60:61]
.LBB192_87:                             ;   in Loop: Header=BB192_5 Depth=1
	s_or_b64 exec, exec, s[58:59]
.LBB192_88:                             ;   in Loop: Header=BB192_5 Depth=1
	s_andn2_saveexec_b64 s[56:57], s[56:57]
	s_cbranch_execz .LBB192_90
; %bb.89:                               ;   in Loop: Header=BB192_5 Depth=1
	v_max_f64 v[10:11], |v[16:17]|, |v[16:17]|
	v_max_f64 v[80:81], |v[14:15]|, |v[14:15]|
	v_max_f64 v[82:83], v[80:81], v[10:11]
	v_frexp_exp_i32_f64_e32 v1, v[82:83]
	v_sub_u32_e32 v8, 0, v1
	v_ldexp_f64 v[86:87], |v[16:17]|, v8
	v_ldexp_f64 v[84:85], |v[14:15]|, v8
	v_mul_f64 v[86:87], v[86:87], v[86:87]
	v_fmac_f64_e32 v[86:87], v[84:85], v[84:85]
	v_rsq_f64_e32 v[84:85], v[86:87]
	v_cmp_eq_f64_e32 vcc, 0, v[86:87]
	v_cmp_class_f64_e64 s[58:59], v[14:15], s67
	v_cmp_class_f64_e64 s[60:61], v[16:17], s67
	v_mul_f64 v[88:89], v[86:87], v[84:85]
	v_mul_f64 v[84:85], v[84:85], 0.5
	v_fma_f64 v[90:91], -v[84:85], v[88:89], 0.5
	v_fmac_f64_e32 v[88:89], v[88:89], v[90:91]
	v_fmac_f64_e32 v[84:85], v[84:85], v[90:91]
	v_fma_f64 v[90:91], -v[88:89], v[88:89], v[86:87]
	v_fmac_f64_e32 v[88:89], v[90:91], v[84:85]
	v_cndmask_b32_e32 v85, v89, v87, vcc
	v_cndmask_b32_e32 v84, v88, v86, vcc
	v_ldexp_f64 v[84:85], v[84:85], v1
	s_or_b64 vcc, s[58:59], s[60:61]
	v_cndmask_b32_e32 v87, v85, v114, vcc
	v_cndmask_b32_e64 v86, v84, 0, vcc
	v_frexp_mant_f64_e32 v[88:89], v[86:87]
	v_cmp_gt_f64_e64 s[2:3], s[22:23], v[88:89]
	v_cndmask_b32_e64 v19, v113, 2.0, s[2:3]
	v_mul_f64 v[88:89], v[88:89], v[18:19]
	v_add_f64 v[90:91], v[88:89], 1.0
	v_rcp_f64_e32 v[92:93], v[90:91]
	v_add_f64 v[96:97], v[90:91], -1.0
	v_add_f64 v[94:95], v[88:89], -1.0
	v_add_f64 v[88:89], v[88:89], -v[96:97]
	v_fma_f64 v[96:97], -v[90:91], v[92:93], 1.0
	v_fmac_f64_e32 v[92:93], v[96:97], v[92:93]
	v_fma_f64 v[96:97], -v[90:91], v[92:93], 1.0
	v_fmac_f64_e32 v[92:93], v[96:97], v[92:93]
	v_mul_f64 v[96:97], v[94:95], v[92:93]
	v_mul_f64 v[98:99], v[90:91], v[96:97]
	v_fma_f64 v[90:91], v[96:97], v[90:91], -v[98:99]
	v_fmac_f64_e32 v[90:91], v[96:97], v[88:89]
	v_add_f64 v[88:89], v[98:99], v[90:91]
	v_add_f64 v[100:101], v[94:95], -v[88:89]
	v_add_f64 v[98:99], v[88:89], -v[98:99]
	;; [unrolled: 1-line block ×5, first 2 shown]
	v_add_f64 v[88:89], v[90:91], v[88:89]
	v_add_f64 v[88:89], v[100:101], v[88:89]
	v_mul_f64 v[88:89], v[92:93], v[88:89]
	v_add_f64 v[90:91], v[96:97], v[88:89]
	v_add_f64 v[92:93], v[90:91], -v[96:97]
	v_add_f64 v[88:89], v[88:89], -v[92:93]
	v_mul_f64 v[92:93], v[90:91], v[90:91]
	v_pk_mov_b32 v[94:95], v[20:21], v[20:21] op_sel:[0,1]
	v_fmac_f64_e32 v[94:95], s[24:25], v[92:93]
	v_pk_mov_b32 v[96:97], v[22:23], v[22:23] op_sel:[0,1]
	v_fmac_f64_e32 v[96:97], v[92:93], v[94:95]
	;; [unrolled: 2-line block ×6, first 2 shown]
	v_ldexp_f64 v[94:95], v[90:91], 1
	v_mul_f64 v[90:91], v[90:91], v[92:93]
	v_mul_f64 v[90:91], v[90:91], v[96:97]
	v_add_f64 v[92:93], v[94:95], v[90:91]
	v_add_f64 v[94:95], v[92:93], -v[94:95]
	v_ldexp_f64 v[88:89], v[88:89], 1
	v_add_f64 v[90:91], v[90:91], -v[94:95]
	v_add_f64 v[88:89], v[88:89], v[90:91]
	v_frexp_exp_i32_f64_e32 v1, v[86:87]
	v_add_f64 v[90:91], v[92:93], v[88:89]
	v_subbrev_co_u32_e64 v1, s[2:3], 0, v1, s[2:3]
	v_add_f64 v[92:93], v[90:91], -v[92:93]
	v_add_f64 v[88:89], v[88:89], -v[92:93]
	v_cvt_f64_i32_e32 v[92:93], v1
	v_mul_f64 v[94:95], v[92:93], s[26:27]
	v_fma_f64 v[96:97], v[92:93], s[26:27], -v[94:95]
	v_fmac_f64_e32 v[96:97], s[28:29], v[92:93]
	v_add_f64 v[92:93], v[94:95], v[96:97]
	v_add_f64 v[94:95], v[92:93], -v[94:95]
	v_add_f64 v[94:95], v[96:97], -v[94:95]
	v_add_f64 v[96:97], v[92:93], v[90:91]
	v_add_f64 v[98:99], v[96:97], -v[92:93]
	v_add_f64 v[100:101], v[96:97], -v[98:99]
	;; [unrolled: 1-line block ×4, first 2 shown]
	v_add_f64 v[90:91], v[90:91], v[92:93]
	v_add_f64 v[92:93], v[94:95], v[88:89]
	v_add_f64 v[98:99], v[92:93], -v[94:95]
	v_add_f64 v[100:101], v[92:93], -v[98:99]
	v_add_f64 v[90:91], v[92:93], v[90:91]
	v_add_f64 v[94:95], v[94:95], -v[100:101]
	v_add_f64 v[88:89], v[88:89], -v[98:99]
	v_add_f64 v[92:93], v[96:97], v[90:91]
	v_add_f64 v[88:89], v[88:89], v[94:95]
	v_add_f64 v[94:95], v[92:93], -v[96:97]
	v_add_f64 v[90:91], v[90:91], -v[94:95]
	v_add_f64 v[88:89], v[88:89], v[90:91]
	v_add_f64 v[88:89], v[92:93], v[88:89]
	v_cmp_class_f64_e64 s[2:3], v[84:85], s67
	v_min_f64 v[80:81], v[80:81], v[10:11]
	v_cndmask_b32_e64 v1, v89, v85, s[2:3]
	v_cndmask_b32_e64 v8, v88, v84, s[2:3]
	v_div_scale_f64 v[84:85], s[2:3], v[82:83], v[82:83], v[80:81]
	v_rcp_f64_e32 v[88:89], v[84:85]
	v_cndmask_b32_e64 v8, v8, 0, vcc
	v_cndmask_b32_e32 v1, v1, v114, vcc
	v_cmp_ngt_f64_e32 vcc, 0, v[86:87]
	v_cndmask_b32_e32 v1, v107, v1, vcc
	v_cmp_nge_f64_e32 vcc, 0, v[86:87]
	v_cndmask_b32_e32 v10, 0, v8, vcc
	v_cmp_neq_f64_e32 vcc, 0, v[86:87]
	v_fma_f64 v[86:87], -v[84:85], v[88:89], 1.0
	v_fmac_f64_e32 v[88:89], v[88:89], v[86:87]
	v_fma_f64 v[86:87], -v[84:85], v[88:89], 1.0
	v_cndmask_b32_e32 v11, v108, v1, vcc
	v_fmac_f64_e32 v[88:89], v[88:89], v[86:87]
	v_div_scale_f64 v[86:87], vcc, v[80:81], v[82:83], v[80:81]
	v_mul_f64 v[90:91], v[86:87], v[88:89]
	v_fma_f64 v[84:85], -v[84:85], v[90:91], v[86:87]
	v_pk_mov_b32 v[86:87], v[34:35], v[34:35] op_sel:[0,1]
	s_nop 0
	v_div_fmas_f64 v[84:85], v[84:85], v[88:89], v[90:91]
	v_div_fixup_f64 v[80:81], v[84:85], v[82:83], v[80:81]
	v_mul_f64 v[82:83], v[80:81], v[80:81]
	v_pk_mov_b32 v[84:85], v[32:33], v[32:33] op_sel:[0,1]
	v_fmac_f64_e32 v[84:85], s[34:35], v[82:83]
	v_fmac_f64_e32 v[86:87], v[82:83], v[84:85]
	v_pk_mov_b32 v[84:85], v[36:37], v[36:37] op_sel:[0,1]
	v_fmac_f64_e32 v[84:85], v[82:83], v[86:87]
	v_pk_mov_b32 v[86:87], v[38:39], v[38:39] op_sel:[0,1]
	v_fmac_f64_e32 v[86:87], v[82:83], v[84:85]
	v_pk_mov_b32 v[84:85], v[40:41], v[40:41] op_sel:[0,1]
	v_fmac_f64_e32 v[84:85], v[82:83], v[86:87]
	v_pk_mov_b32 v[86:87], v[42:43], v[42:43] op_sel:[0,1]
	v_fmac_f64_e32 v[86:87], v[82:83], v[84:85]
	v_pk_mov_b32 v[84:85], v[44:45], v[44:45] op_sel:[0,1]
	v_fmac_f64_e32 v[84:85], v[82:83], v[86:87]
	v_pk_mov_b32 v[86:87], v[46:47], v[46:47] op_sel:[0,1]
	v_fmac_f64_e32 v[86:87], v[82:83], v[84:85]
	v_pk_mov_b32 v[84:85], v[48:49], v[48:49] op_sel:[0,1]
	v_fmac_f64_e32 v[84:85], v[82:83], v[86:87]
	v_pk_mov_b32 v[86:87], v[50:51], v[50:51] op_sel:[0,1]
	v_fmac_f64_e32 v[86:87], v[82:83], v[84:85]
	v_pk_mov_b32 v[84:85], v[52:53], v[52:53] op_sel:[0,1]
	v_fmac_f64_e32 v[84:85], v[82:83], v[86:87]
	v_pk_mov_b32 v[86:87], v[54:55], v[54:55] op_sel:[0,1]
	v_fmac_f64_e32 v[86:87], v[82:83], v[84:85]
	v_pk_mov_b32 v[84:85], v[56:57], v[56:57] op_sel:[0,1]
	v_fmac_f64_e32 v[84:85], v[82:83], v[86:87]
	v_pk_mov_b32 v[86:87], v[58:59], v[58:59] op_sel:[0,1]
	v_fmac_f64_e32 v[86:87], v[82:83], v[84:85]
	v_pk_mov_b32 v[84:85], v[60:61], v[60:61] op_sel:[0,1]
	v_fmac_f64_e32 v[84:85], v[82:83], v[86:87]
	v_pk_mov_b32 v[86:87], v[62:63], v[62:63] op_sel:[0,1]
	v_fmac_f64_e32 v[86:87], v[82:83], v[84:85]
	v_pk_mov_b32 v[84:85], v[64:65], v[64:65] op_sel:[0,1]
	v_fmac_f64_e32 v[84:85], v[82:83], v[86:87]
	v_pk_mov_b32 v[86:87], v[66:67], v[66:67] op_sel:[0,1]
	v_fmac_f64_e32 v[86:87], v[82:83], v[84:85]
	v_pk_mov_b32 v[84:85], v[68:69], v[68:69] op_sel:[0,1]
	v_fmac_f64_e32 v[84:85], v[82:83], v[86:87]
	v_mul_f64 v[82:83], v[82:83], v[84:85]
	v_fmac_f64_e32 v[80:81], v[80:81], v[82:83]
	v_cmp_gt_i32_e32 vcc, 0, v15
	v_ashrrev_i32_e32 v12, 31, v15
	v_add_f64 v[14:15], -v[80:81], s[36:37]
	v_cndmask_b32_e64 v15, v81, v15, s[0:1]
	v_cndmask_b32_e64 v14, v80, v14, s[0:1]
	s_mov_b32 s38, s36
	v_add_f64 v[80:81], -v[14:15], s[38:39]
	v_cndmask_b32_e32 v1, v109, v110, vcc
	v_cndmask_b32_e32 v8, v111, v112, vcc
	v_and_b32_e32 v19, 0x400921fb, v12
	v_and_b32_e32 v12, 0x54442d18, v12
	v_cndmask_b32_e32 v15, v15, v81, vcc
	v_cndmask_b32_e32 v14, v14, v80, vcc
	v_cmp_eq_f64_e32 vcc, 0, v[16:17]
	v_bfi_b32 v8, s8, v8, v17
	v_cndmask_b32_e32 v12, v14, v12, vcc
	v_cndmask_b32_e32 v14, v15, v19, vcc
	s_and_b64 vcc, s[58:59], s[60:61]
	v_cndmask_b32_e32 v81, v14, v8, vcc
	v_cndmask_b32_e32 v80, v12, v1, vcc
.LBB192_90:                             ;   in Loop: Header=BB192_5 Depth=1
	s_or_b64 exec, exec, s[56:57]
                                        ; implicit-def: $vgpr82_vgpr83
.LBB192_91:                             ;   in Loop: Header=BB192_5 Depth=1
	s_andn2_saveexec_b64 s[2:3], s[54:55]
	s_cbranch_execz .LBB192_97
; %bb.92:                               ;   in Loop: Header=BB192_5 Depth=1
	v_cmp_ngt_f64_e32 vcc, s[42:43], v[82:83]
                                        ; implicit-def: $vgpr10_vgpr11
                                        ; implicit-def: $vgpr80_vgpr81
	s_and_saveexec_b64 s[54:55], vcc
	s_xor_b64 s[54:55], exec, s[54:55]
	s_cbranch_execz .LBB192_94
; %bb.93:                               ;   in Loop: Header=BB192_5 Depth=1
	v_mul_f64 v[10:11], v[82:83], v[82:83]
	v_add_f64 v[80:81], v[10:11], 1.0
	v_add_f64 v[82:83], v[80:81], -1.0
	v_add_f64 v[84:85], v[82:83], -v[80:81]
	v_add_f64 v[84:85], v[84:85], 1.0
	v_add_f64 v[82:83], v[10:11], -v[82:83]
	v_add_f64 v[82:83], v[82:83], v[84:85]
	v_frexp_mant_f64_e32 v[84:85], v[80:81]
	v_frexp_exp_i32_f64_e32 v1, v[80:81]
	v_cmp_gt_f64_e32 vcc, s[22:23], v[84:85]
	v_subbrev_co_u32_e32 v1, vcc, 0, v1, vcc
	v_sub_u32_e32 v8, 0, v1
	v_ldexp_f64 v[80:81], v[80:81], v8
	v_add_f64 v[84:85], v[80:81], -1.0
	v_add_f64 v[90:91], v[80:81], 1.0
	v_add_f64 v[86:87], v[84:85], 1.0
	v_add_f64 v[92:93], v[90:91], -1.0
	v_ldexp_f64 v[82:83], v[82:83], v8
	v_add_f64 v[86:87], v[80:81], -v[86:87]
	v_add_f64 v[80:81], v[80:81], -v[92:93]
	v_add_f64 v[80:81], v[82:83], v[80:81]
	v_add_f64 v[86:87], v[82:83], v[86:87]
	;; [unrolled: 1-line block ×3, first 2 shown]
	v_rcp_f64_e32 v[92:93], v[82:83]
	v_add_f64 v[88:89], v[84:85], v[86:87]
	v_add_f64 v[84:85], v[84:85], -v[88:89]
	v_add_f64 v[84:85], v[86:87], v[84:85]
	v_add_f64 v[86:87], v[90:91], -v[82:83]
	v_add_f64 v[80:81], v[80:81], v[86:87]
	v_fma_f64 v[86:87], -v[82:83], v[92:93], 1.0
	v_fmac_f64_e32 v[92:93], v[86:87], v[92:93]
	v_fma_f64 v[86:87], -v[82:83], v[92:93], 1.0
	v_fmac_f64_e32 v[92:93], v[86:87], v[92:93]
	v_mul_f64 v[86:87], v[88:89], v[92:93]
	v_mul_f64 v[90:91], v[82:83], v[86:87]
	v_fma_f64 v[94:95], v[86:87], v[82:83], -v[90:91]
	v_fmac_f64_e32 v[94:95], v[86:87], v[80:81]
	v_add_f64 v[96:97], v[90:91], v[94:95]
	v_add_f64 v[98:99], v[88:89], -v[96:97]
	v_add_f64 v[88:89], v[88:89], -v[98:99]
	;; [unrolled: 1-line block ×4, first 2 shown]
	v_add_f64 v[84:85], v[84:85], v[88:89]
	v_add_f64 v[88:89], v[90:91], -v[94:95]
	v_add_f64 v[84:85], v[88:89], v[84:85]
	v_add_f64 v[88:89], v[98:99], v[84:85]
	v_add_f64 v[90:91], v[98:99], -v[88:89]
	v_add_f64 v[84:85], v[84:85], v[90:91]
	v_mul_f64 v[90:91], v[92:93], v[88:89]
	v_mul_f64 v[94:95], v[82:83], v[90:91]
	v_fma_f64 v[82:83], v[90:91], v[82:83], -v[94:95]
	v_fmac_f64_e32 v[82:83], v[90:91], v[80:81]
	v_add_f64 v[80:81], v[94:95], v[82:83]
	v_add_f64 v[96:97], v[88:89], -v[80:81]
	v_add_f64 v[88:89], v[88:89], -v[96:97]
	;; [unrolled: 1-line block ×4, first 2 shown]
	v_add_f64 v[80:81], v[84:85], v[80:81]
	v_add_f64 v[82:83], v[94:95], -v[82:83]
	v_add_f64 v[80:81], v[82:83], v[80:81]
	v_add_f64 v[82:83], v[86:87], v[90:91]
	;; [unrolled: 1-line block ×3, first 2 shown]
	v_add_f64 v[84:85], v[82:83], -v[86:87]
	v_mul_f64 v[80:81], v[92:93], v[80:81]
	v_add_f64 v[84:85], v[90:91], -v[84:85]
	v_add_f64 v[80:81], v[84:85], v[80:81]
	v_add_f64 v[84:85], v[82:83], v[80:81]
	v_add_f64 v[82:83], v[84:85], -v[82:83]
	v_add_f64 v[80:81], v[80:81], -v[82:83]
	v_mul_f64 v[82:83], v[84:85], v[84:85]
	v_pk_mov_b32 v[86:87], v[20:21], v[20:21] op_sel:[0,1]
	v_fmac_f64_e32 v[86:87], s[24:25], v[82:83]
	v_pk_mov_b32 v[88:89], v[22:23], v[22:23] op_sel:[0,1]
	v_fmac_f64_e32 v[88:89], v[82:83], v[86:87]
	;; [unrolled: 2-line block ×6, first 2 shown]
	v_cvt_f64_i32_e32 v[86:87], v1
	v_mul_f64 v[90:91], v[86:87], s[26:27]
	v_fma_f64 v[92:93], v[86:87], s[26:27], -v[90:91]
	v_fmac_f64_e32 v[92:93], s[28:29], v[86:87]
	v_add_f64 v[86:87], v[90:91], v[92:93]
	v_add_f64 v[90:91], v[86:87], -v[90:91]
	v_mul_f64 v[82:83], v[84:85], v[82:83]
	v_add_f64 v[90:91], v[92:93], -v[90:91]
	v_ldexp_f64 v[92:93], v[84:85], 1
	v_mul_f64 v[82:83], v[82:83], v[88:89]
	v_add_f64 v[84:85], v[92:93], v[82:83]
	v_add_f64 v[88:89], v[84:85], -v[92:93]
	v_ldexp_f64 v[80:81], v[80:81], 1
	v_add_f64 v[82:83], v[82:83], -v[88:89]
	v_add_f64 v[80:81], v[80:81], v[82:83]
	v_add_f64 v[82:83], v[84:85], v[80:81]
	v_add_f64 v[84:85], v[82:83], -v[84:85]
	v_add_f64 v[80:81], v[80:81], -v[84:85]
	v_add_f64 v[84:85], v[86:87], v[82:83]
	v_add_f64 v[88:89], v[84:85], -v[86:87]
	v_add_f64 v[92:93], v[84:85], -v[88:89]
	;; [unrolled: 1-line block ×4, first 2 shown]
	v_add_f64 v[82:83], v[82:83], v[86:87]
	v_add_f64 v[86:87], v[90:91], v[80:81]
	v_add_f64 v[88:89], v[86:87], -v[90:91]
	v_add_f64 v[82:83], v[86:87], v[82:83]
	v_add_f64 v[92:93], v[86:87], -v[88:89]
	;; [unrolled: 2-line block ×3, first 2 shown]
	v_add_f64 v[80:81], v[80:81], -v[88:89]
	v_add_f64 v[84:85], v[86:87], -v[84:85]
	v_add_f64 v[80:81], v[80:81], v[90:91]
	v_add_f64 v[82:83], v[82:83], -v[84:85]
	v_add_f64 v[80:81], v[80:81], v[82:83]
	v_max_f64 v[82:83], |v[16:17]|, |v[16:17]|
	v_max_f64 v[84:85], |v[14:15]|, |v[14:15]|
	v_add_f64 v[80:81], v[86:87], v[80:81]
	v_max_f64 v[86:87], v[84:85], v[82:83]
	v_min_f64 v[82:83], v[84:85], v[82:83]
	v_div_scale_f64 v[84:85], s[56:57], v[86:87], v[86:87], v[82:83]
	v_rcp_f64_e32 v[88:89], v[84:85]
	v_cmp_eq_f64_e32 vcc, s[30:31], v[10:11]
	v_cndmask_b32_e32 v11, v81, v11, vcc
	v_cndmask_b32_e32 v10, v80, v10, vcc
	v_fma_f64 v[80:81], -v[84:85], v[88:89], 1.0
	v_fmac_f64_e32 v[88:89], v[88:89], v[80:81]
	v_fma_f64 v[80:81], -v[84:85], v[88:89], 1.0
	v_fmac_f64_e32 v[88:89], v[88:89], v[80:81]
	v_div_scale_f64 v[80:81], vcc, v[82:83], v[86:87], v[82:83]
	v_mul_f64 v[90:91], v[80:81], v[88:89]
	v_fma_f64 v[80:81], -v[84:85], v[90:91], v[80:81]
	v_pk_mov_b32 v[84:85], v[32:33], v[32:33] op_sel:[0,1]
	s_nop 0
	v_div_fmas_f64 v[80:81], v[80:81], v[88:89], v[90:91]
	v_div_fixup_f64 v[80:81], v[80:81], v[86:87], v[82:83]
	v_mul_f64 v[82:83], v[80:81], v[80:81]
	v_fmac_f64_e32 v[84:85], s[34:35], v[82:83]
	v_pk_mov_b32 v[86:87], v[34:35], v[34:35] op_sel:[0,1]
	v_fmac_f64_e32 v[86:87], v[82:83], v[84:85]
	v_pk_mov_b32 v[84:85], v[36:37], v[36:37] op_sel:[0,1]
	;; [unrolled: 2-line block ×18, first 2 shown]
	v_fmac_f64_e32 v[84:85], v[82:83], v[86:87]
	v_mul_f64 v[82:83], v[82:83], v[84:85]
	v_fmac_f64_e32 v[80:81], v[80:81], v[82:83]
	v_cmp_class_f64_e64 s[58:59], v[14:15], s67
	v_cmp_gt_i32_e32 vcc, 0, v15
	v_ashrrev_i32_e32 v12, 31, v15
	v_add_f64 v[14:15], -v[80:81], s[36:37]
	v_cndmask_b32_e64 v15, v81, v15, s[0:1]
	v_cndmask_b32_e64 v14, v80, v14, s[0:1]
	s_mov_b32 s38, s36
	v_add_f64 v[80:81], -v[14:15], s[38:39]
	v_cmp_class_f64_e64 s[56:57], v[16:17], s67
	v_cndmask_b32_e32 v1, v109, v110, vcc
	v_cndmask_b32_e32 v8, v111, v112, vcc
	v_and_b32_e32 v19, 0x400921fb, v12
	v_and_b32_e32 v12, 0x54442d18, v12
	v_cndmask_b32_e32 v15, v15, v81, vcc
	v_cndmask_b32_e32 v14, v14, v80, vcc
	v_cmp_eq_f64_e32 vcc, 0, v[16:17]
	v_bfi_b32 v8, s8, v8, v17
	v_cndmask_b32_e32 v12, v14, v12, vcc
	v_cndmask_b32_e32 v14, v15, v19, vcc
	s_and_b64 vcc, s[58:59], s[56:57]
	v_mul_f64 v[10:11], v[10:11], 0.5
	v_cndmask_b32_e32 v81, v14, v8, vcc
	v_cndmask_b32_e32 v80, v12, v1, vcc
                                        ; implicit-def: $vgpr82_vgpr83
.LBB192_94:                             ;   in Loop: Header=BB192_5 Depth=1
	s_andn2_saveexec_b64 s[54:55], s[54:55]
	s_cbranch_execz .LBB192_96
; %bb.95:                               ;   in Loop: Header=BB192_5 Depth=1
	v_max_f64 v[10:11], |v[16:17]|, |v[16:17]|
	v_max_f64 v[80:81], |v[14:15]|, |v[14:15]|
	v_max_f64 v[84:85], v[80:81], v[10:11]
	v_min_f64 v[80:81], v[80:81], v[10:11]
	v_div_scale_f64 v[86:87], s[56:57], v[84:85], v[84:85], v[80:81]
	v_rcp_f64_e32 v[88:89], v[86:87]
	v_mul_f64 v[10:11], v[82:83], 0.5
	v_mul_f64 v[10:11], v[82:83], v[10:11]
	v_cmp_class_f64_e64 s[58:59], v[14:15], s67
	v_fma_f64 v[82:83], -v[86:87], v[88:89], 1.0
	v_fmac_f64_e32 v[88:89], v[88:89], v[82:83]
	v_fma_f64 v[82:83], -v[86:87], v[88:89], 1.0
	v_fmac_f64_e32 v[88:89], v[88:89], v[82:83]
	v_div_scale_f64 v[82:83], vcc, v[80:81], v[84:85], v[80:81]
	v_mul_f64 v[90:91], v[82:83], v[88:89]
	v_fma_f64 v[82:83], -v[86:87], v[90:91], v[82:83]
	v_pk_mov_b32 v[86:87], v[34:35], v[34:35] op_sel:[0,1]
	s_nop 0
	v_div_fmas_f64 v[82:83], v[82:83], v[88:89], v[90:91]
	v_div_fixup_f64 v[80:81], v[82:83], v[84:85], v[80:81]
	v_mul_f64 v[82:83], v[80:81], v[80:81]
	v_pk_mov_b32 v[84:85], v[32:33], v[32:33] op_sel:[0,1]
	v_fmac_f64_e32 v[84:85], s[34:35], v[82:83]
	v_fmac_f64_e32 v[86:87], v[82:83], v[84:85]
	v_pk_mov_b32 v[84:85], v[36:37], v[36:37] op_sel:[0,1]
	v_fmac_f64_e32 v[84:85], v[82:83], v[86:87]
	v_pk_mov_b32 v[86:87], v[38:39], v[38:39] op_sel:[0,1]
	;; [unrolled: 2-line block ×17, first 2 shown]
	v_fmac_f64_e32 v[84:85], v[82:83], v[86:87]
	v_mul_f64 v[82:83], v[82:83], v[84:85]
	v_fmac_f64_e32 v[80:81], v[80:81], v[82:83]
	v_cmp_gt_i32_e32 vcc, 0, v15
	v_ashrrev_i32_e32 v12, 31, v15
	v_add_f64 v[14:15], -v[80:81], s[36:37]
	v_cndmask_b32_e64 v15, v81, v15, s[0:1]
	v_cndmask_b32_e64 v14, v80, v14, s[0:1]
	s_mov_b32 s38, s36
	v_add_f64 v[80:81], -v[14:15], s[38:39]
	v_cmp_class_f64_e64 s[56:57], v[16:17], s67
	v_cndmask_b32_e32 v1, v109, v110, vcc
	v_cndmask_b32_e32 v8, v111, v112, vcc
	v_and_b32_e32 v19, 0x400921fb, v12
	v_and_b32_e32 v12, 0x54442d18, v12
	v_cndmask_b32_e32 v15, v15, v81, vcc
	v_cndmask_b32_e32 v14, v14, v80, vcc
	v_cmp_eq_f64_e32 vcc, 0, v[16:17]
	v_bfi_b32 v8, s8, v8, v17
	v_cndmask_b32_e32 v12, v14, v12, vcc
	v_cndmask_b32_e32 v14, v15, v19, vcc
	s_and_b64 vcc, s[58:59], s[56:57]
	v_cndmask_b32_e32 v81, v14, v8, vcc
	v_cndmask_b32_e32 v80, v12, v1, vcc
.LBB192_96:                             ;   in Loop: Header=BB192_5 Depth=1
	s_or_b64 exec, exec, s[54:55]
.LBB192_97:                             ;   in Loop: Header=BB192_5 Depth=1
	s_or_b64 exec, exec, s[2:3]
.LBB192_98:                             ;   in Loop: Header=BB192_5 Depth=1
	s_andn2_saveexec_b64 s[54:55], s[6:7]
	s_cbranch_execz .LBB192_100
; %bb.99:                               ;   in Loop: Header=BB192_5 Depth=1
	v_div_scale_f64 v[10:11], s[2:3], s[44:45], s[44:45], v[14:15]
	v_rcp_f64_e32 v[80:81], v[10:11]
	v_div_scale_f64 v[82:83], vcc, v[14:15], s[44:45], v[14:15]
	s_mov_b32 s38, s36
	v_fma_f64 v[84:85], -v[10:11], v[80:81], 1.0
	v_fmac_f64_e32 v[80:81], v[80:81], v[84:85]
	v_fma_f64 v[84:85], -v[10:11], v[80:81], 1.0
	v_fmac_f64_e32 v[80:81], v[80:81], v[84:85]
	v_mul_f64 v[84:85], v[82:83], v[80:81]
	v_fma_f64 v[10:11], -v[10:11], v[84:85], v[82:83]
	v_div_scale_f64 v[82:83], s[2:3], s[44:45], s[44:45], v[16:17]
	v_rcp_f64_e32 v[86:87], v[82:83]
	v_div_fmas_f64 v[10:11], v[10:11], v[80:81], v[84:85]
	v_div_fixup_f64 v[10:11], v[10:11], s[44:45], v[14:15]
	v_cmp_class_f64_e64 s[6:7], v[10:11], s67
	v_fma_f64 v[80:81], -v[82:83], v[86:87], 1.0
	v_fmac_f64_e32 v[86:87], v[86:87], v[80:81]
	v_fma_f64 v[80:81], -v[82:83], v[86:87], 1.0
	v_fmac_f64_e32 v[86:87], v[86:87], v[80:81]
	v_div_scale_f64 v[80:81], vcc, v[16:17], s[44:45], v[16:17]
	v_mul_f64 v[84:85], v[80:81], v[86:87]
	v_fma_f64 v[80:81], -v[82:83], v[84:85], v[80:81]
	s_nop 1
	v_div_fmas_f64 v[80:81], v[80:81], v[86:87], v[84:85]
	v_div_fixup_f64 v[80:81], v[80:81], s[44:45], v[16:17]
	v_max_f64 v[82:83], |v[10:11]|, |v[80:81]|
	v_frexp_exp_i32_f64_e32 v1, v[82:83]
	v_sub_u32_e32 v8, 0, v1
	v_ldexp_f64 v[84:85], |v[80:81]|, v8
	v_ldexp_f64 v[82:83], |v[10:11]|, v8
	v_mul_f64 v[84:85], v[84:85], v[84:85]
	v_fmac_f64_e32 v[84:85], v[82:83], v[82:83]
	v_rsq_f64_e32 v[82:83], v[84:85]
	v_cmp_eq_f64_e32 vcc, 0, v[84:85]
	v_cmp_o_f64_e64 s[2:3], v[10:11], v[80:81]
	v_cmp_class_f64_e64 s[56:57], v[80:81], s67
	v_mul_f64 v[86:87], v[84:85], v[82:83]
	v_mul_f64 v[82:83], v[82:83], 0.5
	v_fma_f64 v[88:89], -v[82:83], v[86:87], 0.5
	v_fmac_f64_e32 v[86:87], v[86:87], v[88:89]
	v_fmac_f64_e32 v[82:83], v[82:83], v[88:89]
	v_fma_f64 v[88:89], -v[86:87], v[86:87], v[84:85]
	v_fmac_f64_e32 v[86:87], v[88:89], v[82:83]
	v_cndmask_b32_e32 v83, v87, v85, vcc
	v_cndmask_b32_e32 v82, v86, v84, vcc
	v_ldexp_f64 v[82:83], v[82:83], v1
	v_cndmask_b32_e64 v1, 0, v82, s[2:3]
	v_cndmask_b32_e64 v8, v107, v83, s[2:3]
	s_or_b64 vcc, s[6:7], s[56:57]
	v_cndmask_b32_e32 v81, v8, v114, vcc
	v_cndmask_b32_e64 v80, v1, 0, vcc
	v_frexp_mant_f64_e32 v[10:11], v[80:81]
	v_cmp_gt_f64_e64 s[6:7], s[22:23], v[10:11]
	v_cndmask_b32_e64 v19, v113, 2.0, s[6:7]
	v_mul_f64 v[10:11], v[10:11], v[18:19]
	v_add_f64 v[84:85], v[10:11], 1.0
	v_rcp_f64_e32 v[86:87], v[84:85]
	v_add_f64 v[90:91], v[84:85], -1.0
	v_add_f64 v[88:89], v[10:11], -1.0
	v_add_f64 v[10:11], v[10:11], -v[90:91]
	v_fma_f64 v[90:91], -v[84:85], v[86:87], 1.0
	v_fmac_f64_e32 v[86:87], v[90:91], v[86:87]
	v_fma_f64 v[90:91], -v[84:85], v[86:87], 1.0
	v_fmac_f64_e32 v[86:87], v[90:91], v[86:87]
	v_mul_f64 v[90:91], v[88:89], v[86:87]
	v_mul_f64 v[92:93], v[84:85], v[90:91]
	v_fma_f64 v[84:85], v[90:91], v[84:85], -v[92:93]
	v_fmac_f64_e32 v[84:85], v[90:91], v[10:11]
	v_add_f64 v[10:11], v[92:93], v[84:85]
	v_add_f64 v[94:95], v[88:89], -v[10:11]
	v_add_f64 v[92:93], v[10:11], -v[92:93]
	v_add_f64 v[88:89], v[88:89], -v[94:95]
	v_add_f64 v[10:11], v[88:89], -v[10:11]
	v_add_f64 v[84:85], v[92:93], -v[84:85]
	v_add_f64 v[10:11], v[84:85], v[10:11]
	v_add_f64 v[10:11], v[94:95], v[10:11]
	v_mul_f64 v[10:11], v[86:87], v[10:11]
	v_add_f64 v[84:85], v[90:91], v[10:11]
	v_add_f64 v[86:87], v[84:85], -v[90:91]
	v_add_f64 v[10:11], v[10:11], -v[86:87]
	v_mul_f64 v[86:87], v[84:85], v[84:85]
	v_pk_mov_b32 v[88:89], v[20:21], v[20:21] op_sel:[0,1]
	v_fmac_f64_e32 v[88:89], s[24:25], v[86:87]
	v_pk_mov_b32 v[90:91], v[22:23], v[22:23] op_sel:[0,1]
	v_fmac_f64_e32 v[90:91], v[86:87], v[88:89]
	;; [unrolled: 2-line block ×6, first 2 shown]
	v_ldexp_f64 v[88:89], v[84:85], 1
	v_mul_f64 v[84:85], v[84:85], v[86:87]
	v_mul_f64 v[84:85], v[84:85], v[90:91]
	v_add_f64 v[86:87], v[88:89], v[84:85]
	v_add_f64 v[88:89], v[86:87], -v[88:89]
	v_ldexp_f64 v[10:11], v[10:11], 1
	v_add_f64 v[84:85], v[84:85], -v[88:89]
	v_add_f64 v[10:11], v[10:11], v[84:85]
	v_frexp_exp_i32_f64_e32 v12, v[80:81]
	v_add_f64 v[84:85], v[86:87], v[10:11]
	v_subbrev_co_u32_e64 v12, s[6:7], 0, v12, s[6:7]
	v_add_f64 v[86:87], v[84:85], -v[86:87]
	v_add_f64 v[10:11], v[10:11], -v[86:87]
	v_cvt_f64_i32_e32 v[86:87], v12
	v_mul_f64 v[88:89], v[86:87], s[26:27]
	v_fma_f64 v[90:91], v[86:87], s[26:27], -v[88:89]
	v_fmac_f64_e32 v[90:91], s[28:29], v[86:87]
	v_add_f64 v[86:87], v[88:89], v[90:91]
	v_add_f64 v[88:89], v[86:87], -v[88:89]
	v_add_f64 v[88:89], v[90:91], -v[88:89]
	v_add_f64 v[90:91], v[86:87], v[84:85]
	v_add_f64 v[92:93], v[90:91], -v[86:87]
	v_add_f64 v[94:95], v[90:91], -v[92:93]
	;; [unrolled: 1-line block ×4, first 2 shown]
	v_add_f64 v[84:85], v[84:85], v[86:87]
	v_add_f64 v[86:87], v[88:89], v[10:11]
	v_add_f64 v[92:93], v[86:87], -v[88:89]
	v_add_f64 v[94:95], v[86:87], -v[92:93]
	v_add_f64 v[84:85], v[86:87], v[84:85]
	v_add_f64 v[88:89], v[88:89], -v[94:95]
	v_add_f64 v[10:11], v[10:11], -v[92:93]
	v_add_f64 v[86:87], v[90:91], v[84:85]
	v_add_f64 v[10:11], v[10:11], v[88:89]
	v_add_f64 v[88:89], v[86:87], -v[90:91]
	v_add_f64 v[84:85], v[84:85], -v[88:89]
	v_and_b32_e32 v83, 0x7fffffff, v83
	v_add_f64 v[10:11], v[10:11], v[84:85]
	v_cmp_eq_f64_e64 s[6:7], s[30:31], v[82:83]
	v_add_f64 v[10:11], v[86:87], v[10:11]
	s_and_b64 s[2:3], s[2:3], s[6:7]
	v_cndmask_b32_e64 v11, v11, v8, s[2:3]
	v_cndmask_b32_e64 v10, v10, v1, s[2:3]
	v_add_f64 v[10:11], v[10:11], 1.0
	v_cndmask_b32_e64 v1, v10, 0, vcc
	v_cndmask_b32_e32 v8, v11, v114, vcc
	v_max_f64 v[10:11], |v[16:17]|, |v[16:17]|
	v_max_f64 v[82:83], |v[14:15]|, |v[14:15]|
	v_max_f64 v[84:85], v[82:83], v[10:11]
	v_min_f64 v[82:83], v[82:83], v[10:11]
	v_div_scale_f64 v[86:87], s[2:3], v[84:85], v[84:85], v[82:83]
	v_rcp_f64_e32 v[88:89], v[86:87]
	v_cmp_ngt_f64_e32 vcc, 0, v[80:81]
	v_cndmask_b32_e32 v8, v107, v8, vcc
	v_cmp_nge_f64_e32 vcc, 0, v[80:81]
	v_cndmask_b32_e32 v10, 0, v1, vcc
	v_cmp_neq_f64_e32 vcc, 0, v[80:81]
	v_fma_f64 v[80:81], -v[86:87], v[88:89], 1.0
	v_fmac_f64_e32 v[88:89], v[88:89], v[80:81]
	v_fma_f64 v[80:81], -v[86:87], v[88:89], 1.0
	v_cndmask_b32_e32 v11, v108, v8, vcc
	v_fmac_f64_e32 v[88:89], v[88:89], v[80:81]
	v_div_scale_f64 v[80:81], vcc, v[82:83], v[84:85], v[82:83]
	v_mul_f64 v[90:91], v[80:81], v[88:89]
	v_fma_f64 v[80:81], -v[86:87], v[90:91], v[80:81]
	v_pk_mov_b32 v[86:87], v[34:35], v[34:35] op_sel:[0,1]
	s_nop 0
	v_div_fmas_f64 v[80:81], v[80:81], v[88:89], v[90:91]
	v_div_fixup_f64 v[80:81], v[80:81], v[84:85], v[82:83]
	v_mul_f64 v[82:83], v[80:81], v[80:81]
	v_pk_mov_b32 v[84:85], v[32:33], v[32:33] op_sel:[0,1]
	v_fmac_f64_e32 v[84:85], s[34:35], v[82:83]
	v_fmac_f64_e32 v[86:87], v[82:83], v[84:85]
	v_pk_mov_b32 v[84:85], v[36:37], v[36:37] op_sel:[0,1]
	v_fmac_f64_e32 v[84:85], v[82:83], v[86:87]
	v_pk_mov_b32 v[86:87], v[38:39], v[38:39] op_sel:[0,1]
	;; [unrolled: 2-line block ×17, first 2 shown]
	v_fmac_f64_e32 v[84:85], v[82:83], v[86:87]
	v_mul_f64 v[82:83], v[82:83], v[84:85]
	v_fmac_f64_e32 v[80:81], v[80:81], v[82:83]
	v_cmp_class_f64_e64 s[6:7], v[14:15], s67
	v_cmp_gt_i32_e32 vcc, 0, v15
	v_ashrrev_i32_e32 v12, 31, v15
	v_add_f64 v[14:15], -v[80:81], s[36:37]
	v_cndmask_b32_e64 v15, v81, v15, s[0:1]
	v_cndmask_b32_e64 v14, v80, v14, s[0:1]
	v_add_f64 v[80:81], -v[14:15], s[38:39]
	v_cmp_class_f64_e64 s[2:3], v[16:17], s67
	v_cndmask_b32_e32 v1, v109, v110, vcc
	v_cndmask_b32_e32 v8, v111, v112, vcc
	v_and_b32_e32 v19, 0x400921fb, v12
	v_and_b32_e32 v12, 0x54442d18, v12
	v_cndmask_b32_e32 v15, v15, v81, vcc
	v_cndmask_b32_e32 v14, v14, v80, vcc
	v_cmp_eq_f64_e32 vcc, 0, v[16:17]
	v_bfi_b32 v8, s8, v8, v17
	v_cndmask_b32_e32 v12, v14, v12, vcc
	v_cndmask_b32_e32 v14, v15, v19, vcc
	s_and_b64 vcc, s[6:7], s[2:3]
	v_cndmask_b32_e32 v81, v14, v8, vcc
	v_cndmask_b32_e32 v80, v12, v1, vcc
.LBB192_100:                            ;   in Loop: Header=BB192_5 Depth=1
	s_or_b64 exec, exec, s[54:55]
.LBB192_101:                            ;   in Loop: Header=BB192_5 Depth=1
	s_andn2_saveexec_b64 s[0:1], s[52:53]
	s_cbranch_execz .LBB192_107
; %bb.102:                              ;   in Loop: Header=BB192_5 Depth=1
	v_cmp_nlt_f64_e64 s[2:3], |v[14:15]|, s[46:47]
	v_cmp_nlt_f64_e64 s[6:7], |v[16:17]|, s[46:47]
	s_or_b64 s[2:3], s[2:3], s[6:7]
                                        ; implicit-def: $vgpr80_vgpr81
	s_and_saveexec_b64 s[6:7], s[2:3]
	s_xor_b64 s[2:3], exec, s[6:7]
; %bb.103:                              ;   in Loop: Header=BB192_5 Depth=1
	v_mul_f64 v[80:81], v[16:17], v[16:17]
	v_fmac_f64_e32 v[80:81], v[14:15], v[14:15]
; %bb.104:                              ;   in Loop: Header=BB192_5 Depth=1
	s_andn2_saveexec_b64 s[2:3], s[2:3]
; %bb.105:                              ;   in Loop: Header=BB192_5 Depth=1
	v_mul_f64 v[10:11], v[14:15], 4.0
	v_mul_f64 v[14:15], v[16:17], 4.0
	v_mul_f64 v[14:15], v[14:15], v[14:15]
	v_fmac_f64_e32 v[14:15], v[10:11], v[10:11]
	v_ldexp_f64 v[80:81], v[14:15], -4
; %bb.106:                              ;   in Loop: Header=BB192_5 Depth=1
	s_or_b64 exec, exec, s[2:3]
	v_frexp_mant_f64_e32 v[10:11], v[80:81]
	v_cmp_gt_f64_e32 vcc, s[22:23], v[10:11]
	v_cndmask_b32_e64 v19, v113, 2.0, vcc
	v_mul_f64 v[10:11], v[10:11], v[18:19]
	v_add_f64 v[14:15], v[10:11], 1.0
	v_rcp_f64_e32 v[82:83], v[14:15]
	v_add_f64 v[86:87], v[14:15], -1.0
	v_add_f64 v[84:85], v[10:11], -1.0
	v_add_f64 v[10:11], v[10:11], -v[86:87]
	v_fma_f64 v[86:87], -v[14:15], v[82:83], 1.0
	v_fmac_f64_e32 v[82:83], v[86:87], v[82:83]
	v_fma_f64 v[86:87], -v[14:15], v[82:83], 1.0
	v_fmac_f64_e32 v[82:83], v[86:87], v[82:83]
	v_mul_f64 v[86:87], v[84:85], v[82:83]
	v_mul_f64 v[88:89], v[14:15], v[86:87]
	v_fma_f64 v[14:15], v[86:87], v[14:15], -v[88:89]
	v_fmac_f64_e32 v[14:15], v[86:87], v[10:11]
	v_add_f64 v[10:11], v[88:89], v[14:15]
	v_add_f64 v[90:91], v[84:85], -v[10:11]
	v_add_f64 v[88:89], v[10:11], -v[88:89]
	v_add_f64 v[84:85], v[84:85], -v[90:91]
	v_add_f64 v[10:11], v[84:85], -v[10:11]
	v_add_f64 v[14:15], v[88:89], -v[14:15]
	v_add_f64 v[10:11], v[14:15], v[10:11]
	v_add_f64 v[10:11], v[90:91], v[10:11]
	v_mul_f64 v[10:11], v[82:83], v[10:11]
	v_add_f64 v[14:15], v[86:87], v[10:11]
	v_add_f64 v[82:83], v[14:15], -v[86:87]
	v_add_f64 v[10:11], v[10:11], -v[82:83]
	v_mul_f64 v[82:83], v[14:15], v[14:15]
	v_pk_mov_b32 v[84:85], v[20:21], v[20:21] op_sel:[0,1]
	v_fmac_f64_e32 v[84:85], s[24:25], v[82:83]
	v_pk_mov_b32 v[86:87], v[22:23], v[22:23] op_sel:[0,1]
	v_fmac_f64_e32 v[86:87], v[82:83], v[84:85]
	;; [unrolled: 2-line block ×6, first 2 shown]
	v_ldexp_f64 v[84:85], v[14:15], 1
	v_mul_f64 v[14:15], v[14:15], v[82:83]
	v_mul_f64 v[14:15], v[14:15], v[86:87]
	v_add_f64 v[82:83], v[84:85], v[14:15]
	v_add_f64 v[84:85], v[82:83], -v[84:85]
	v_ldexp_f64 v[10:11], v[10:11], 1
	v_add_f64 v[14:15], v[14:15], -v[84:85]
	v_add_f64 v[10:11], v[10:11], v[14:15]
	v_frexp_exp_i32_f64_e32 v1, v[80:81]
	v_add_f64 v[14:15], v[82:83], v[10:11]
	v_subbrev_co_u32_e32 v1, vcc, 0, v1, vcc
	v_add_f64 v[82:83], v[14:15], -v[82:83]
	v_add_f64 v[10:11], v[10:11], -v[82:83]
	v_cvt_f64_i32_e32 v[82:83], v1
	v_mul_f64 v[84:85], v[82:83], s[26:27]
	v_fma_f64 v[86:87], v[82:83], s[26:27], -v[84:85]
	v_fmac_f64_e32 v[86:87], s[28:29], v[82:83]
	v_add_f64 v[82:83], v[84:85], v[86:87]
	v_add_f64 v[84:85], v[82:83], -v[84:85]
	v_add_f64 v[84:85], v[86:87], -v[84:85]
	v_add_f64 v[86:87], v[82:83], v[14:15]
	v_add_f64 v[88:89], v[86:87], -v[82:83]
	v_add_f64 v[90:91], v[86:87], -v[88:89]
	;; [unrolled: 1-line block ×4, first 2 shown]
	v_add_f64 v[14:15], v[14:15], v[82:83]
	v_add_f64 v[82:83], v[84:85], v[10:11]
	v_add_f64 v[88:89], v[82:83], -v[84:85]
	v_add_f64 v[90:91], v[82:83], -v[88:89]
	v_add_f64 v[14:15], v[82:83], v[14:15]
	v_add_f64 v[84:85], v[84:85], -v[90:91]
	v_add_f64 v[10:11], v[10:11], -v[88:89]
	v_add_f64 v[82:83], v[86:87], v[14:15]
	v_add_f64 v[10:11], v[10:11], v[84:85]
	v_add_f64 v[84:85], v[82:83], -v[86:87]
	v_add_f64 v[14:15], v[14:15], -v[84:85]
	v_add_f64 v[10:11], v[10:11], v[14:15]
	v_add_f64 v[10:11], v[82:83], v[10:11]
	v_cmp_class_f64_e64 vcc, v[80:81], s67
	v_cndmask_b32_e32 v1, v10, v80, vcc
	v_cndmask_b32_e32 v8, v11, v81, vcc
	v_cmp_ngt_f64_e32 vcc, 0, v[80:81]
	v_cndmask_b32_e32 v8, v107, v8, vcc
	v_cmp_nge_f64_e32 vcc, 0, v[80:81]
	v_cndmask_b32_e32 v10, 0, v1, vcc
	v_cmp_neq_f64_e32 vcc, 0, v[80:81]
	v_mov_b32_e32 v80, 0
	v_cndmask_b32_e32 v11, v108, v8, vcc
	v_mov_b32_e32 v81, 0x7ff80000
.LBB192_107:                            ;   in Loop: Header=BB192_5 Depth=1
	s_or_b64 exec, exec, s[0:1]
	v_cmp_o_f64_e32 vcc, v[2:3], v[4:5]
                                        ; implicit-def: $vgpr14_vgpr15
                                        ; implicit-def: $vgpr82_vgpr83
	s_and_saveexec_b64 s[0:1], vcc
	s_xor_b64 s[52:53], exec, s[0:1]
	s_cbranch_execz .LBB192_135
; %bb.108:                              ;   in Loop: Header=BB192_5 Depth=1
	v_and_b32_e32 v12, 0x7fffffff, v3
	v_and_b32_e32 v1, 0x7fffffff, v5
	v_mov_b32_e32 v8, v4
	v_cmp_lt_f64_e64 s[0:1], |v[2:3]|, |v[4:5]|
	v_cndmask_b32_e64 v85, v1, v12, s[0:1]
	v_cndmask_b32_e64 v84, v8, v2, s[0:1]
	v_cmp_nlt_f64_e32 vcc, s[16:17], v[84:85]
                                        ; implicit-def: $vgpr14_vgpr15
                                        ; implicit-def: $vgpr82_vgpr83
	s_and_saveexec_b64 s[2:3], vcc
	s_xor_b64 s[6:7], exec, s[2:3]
	s_cbranch_execz .LBB192_132
; %bb.109:                              ;   in Loop: Header=BB192_5 Depth=1
	v_cndmask_b32_e64 v89, v12, v1, s[0:1]
	v_cndmask_b32_e64 v88, v2, v8, s[0:1]
	v_cmp_neq_f64_e32 vcc, 1.0, v[88:89]
                                        ; implicit-def: $vgpr14_vgpr15
                                        ; implicit-def: $vgpr82_vgpr83
	s_and_saveexec_b64 s[2:3], vcc
	s_xor_b64 s[54:55], exec, s[2:3]
	s_cbranch_execz .LBB192_125
; %bb.110:                              ;   in Loop: Header=BB192_5 Depth=1
	v_max_f64 v[14:15], v[84:85], v[84:85]
	v_max_f64 v[82:83], v[88:89], v[88:89]
	v_min_f64 v[86:87], v[82:83], v[14:15]
	v_max_f64 v[14:15], v[82:83], v[14:15]
	v_cmp_ngt_f64_e32 vcc, s[18:19], v[86:87]
	v_cmp_nlt_f64_e64 s[2:3], s[20:21], v[14:15]
	s_and_b64 s[2:3], s[2:3], vcc
                                        ; implicit-def: $vgpr14_vgpr15
                                        ; implicit-def: $vgpr82_vgpr83
	s_and_saveexec_b64 s[56:57], s[2:3]
	s_xor_b64 s[56:57], exec, s[56:57]
	s_cbranch_execz .LBB192_122
; %bb.111:                              ;   in Loop: Header=BB192_5 Depth=1
	v_cmp_le_f64_e32 vcc, 1.0, v[88:89]
                                        ; implicit-def: $vgpr14_vgpr15
                                        ; implicit-def: $vgpr82_vgpr83
	s_and_saveexec_b64 s[2:3], vcc
	s_xor_b64 s[2:3], exec, s[2:3]
	s_cbranch_execz .LBB192_113
; %bb.112:                              ;   in Loop: Header=BB192_5 Depth=1
	v_add_f64 v[14:15], v[88:89], -1.0
	v_add_f64 v[82:83], v[88:89], 1.0
	v_mul_f64 v[82:83], v[14:15], v[82:83]
	v_fmac_f64_e32 v[82:83], v[84:85], v[84:85]
	v_add_f64 v[14:15], v[82:83], 1.0
	v_add_f64 v[84:85], v[14:15], -1.0
	v_add_f64 v[86:87], v[84:85], -v[14:15]
	v_add_f64 v[86:87], v[86:87], 1.0
	v_add_f64 v[84:85], v[82:83], -v[84:85]
	v_add_f64 v[84:85], v[84:85], v[86:87]
	v_frexp_mant_f64_e32 v[86:87], v[14:15]
	v_frexp_exp_i32_f64_e32 v1, v[14:15]
	v_cmp_gt_f64_e32 vcc, s[22:23], v[86:87]
	v_subbrev_co_u32_e32 v1, vcc, 0, v1, vcc
	v_sub_u32_e32 v8, 0, v1
	v_ldexp_f64 v[14:15], v[14:15], v8
	v_add_f64 v[86:87], v[14:15], -1.0
	v_add_f64 v[92:93], v[14:15], 1.0
	v_add_f64 v[88:89], v[86:87], 1.0
	v_add_f64 v[94:95], v[92:93], -1.0
	v_ldexp_f64 v[84:85], v[84:85], v8
	v_add_f64 v[88:89], v[14:15], -v[88:89]
	v_add_f64 v[14:15], v[14:15], -v[94:95]
	v_add_f64 v[14:15], v[84:85], v[14:15]
	v_add_f64 v[88:89], v[84:85], v[88:89]
	;; [unrolled: 1-line block ×3, first 2 shown]
	v_rcp_f64_e32 v[94:95], v[84:85]
	v_add_f64 v[90:91], v[86:87], v[88:89]
	v_add_f64 v[86:87], v[90:91], -v[86:87]
	v_add_f64 v[86:87], v[88:89], -v[86:87]
	;; [unrolled: 1-line block ×4, first 2 shown]
	v_fma_f64 v[88:89], -v[84:85], v[94:95], 1.0
	v_fmac_f64_e32 v[94:95], v[88:89], v[94:95]
	v_fma_f64 v[88:89], -v[84:85], v[94:95], 1.0
	v_fmac_f64_e32 v[94:95], v[88:89], v[94:95]
	v_mul_f64 v[88:89], v[90:91], v[94:95]
	v_mul_f64 v[92:93], v[84:85], v[88:89]
	v_fma_f64 v[96:97], v[88:89], v[84:85], -v[92:93]
	v_fmac_f64_e32 v[96:97], v[88:89], v[14:15]
	v_add_f64 v[98:99], v[92:93], v[96:97]
	v_add_f64 v[100:101], v[90:91], -v[98:99]
	v_add_f64 v[90:91], v[90:91], -v[100:101]
	;; [unrolled: 1-line block ×4, first 2 shown]
	v_add_f64 v[86:87], v[86:87], v[90:91]
	v_add_f64 v[90:91], v[92:93], -v[96:97]
	v_add_f64 v[86:87], v[90:91], v[86:87]
	v_add_f64 v[90:91], v[100:101], v[86:87]
	v_add_f64 v[92:93], v[100:101], -v[90:91]
	v_add_f64 v[86:87], v[86:87], v[92:93]
	v_mul_f64 v[92:93], v[94:95], v[90:91]
	v_mul_f64 v[96:97], v[84:85], v[92:93]
	v_fma_f64 v[84:85], v[92:93], v[84:85], -v[96:97]
	v_fmac_f64_e32 v[84:85], v[92:93], v[14:15]
	v_add_f64 v[14:15], v[96:97], v[84:85]
	v_add_f64 v[98:99], v[90:91], -v[14:15]
	v_add_f64 v[90:91], v[90:91], -v[98:99]
	;; [unrolled: 1-line block ×4, first 2 shown]
	v_add_f64 v[14:15], v[86:87], v[14:15]
	v_add_f64 v[84:85], v[96:97], -v[84:85]
	v_add_f64 v[14:15], v[84:85], v[14:15]
	v_add_f64 v[84:85], v[88:89], v[92:93]
	v_add_f64 v[14:15], v[98:99], v[14:15]
	v_add_f64 v[86:87], v[84:85], -v[88:89]
	v_mul_f64 v[14:15], v[94:95], v[14:15]
	v_add_f64 v[86:87], v[92:93], -v[86:87]
	v_add_f64 v[14:15], v[86:87], v[14:15]
	v_add_f64 v[86:87], v[84:85], v[14:15]
	v_add_f64 v[84:85], v[86:87], -v[84:85]
	v_add_f64 v[14:15], v[14:15], -v[84:85]
	v_mul_f64 v[84:85], v[86:87], v[86:87]
	v_pk_mov_b32 v[88:89], v[20:21], v[20:21] op_sel:[0,1]
	v_fmac_f64_e32 v[88:89], s[24:25], v[84:85]
	v_pk_mov_b32 v[90:91], v[22:23], v[22:23] op_sel:[0,1]
	v_fmac_f64_e32 v[90:91], v[84:85], v[88:89]
	;; [unrolled: 2-line block ×6, first 2 shown]
	v_cvt_f64_i32_e32 v[88:89], v1
	v_mul_f64 v[92:93], v[88:89], s[26:27]
	v_fma_f64 v[94:95], v[88:89], s[26:27], -v[92:93]
	v_fmac_f64_e32 v[94:95], s[28:29], v[88:89]
	v_add_f64 v[88:89], v[92:93], v[94:95]
	v_add_f64 v[92:93], v[88:89], -v[92:93]
	v_mul_f64 v[84:85], v[86:87], v[84:85]
	v_add_f64 v[92:93], v[94:95], -v[92:93]
	v_ldexp_f64 v[94:95], v[86:87], 1
	v_mul_f64 v[84:85], v[84:85], v[90:91]
	v_add_f64 v[86:87], v[94:95], v[84:85]
	v_add_f64 v[90:91], v[86:87], -v[94:95]
	v_ldexp_f64 v[14:15], v[14:15], 1
	v_add_f64 v[84:85], v[84:85], -v[90:91]
	v_add_f64 v[14:15], v[14:15], v[84:85]
	v_add_f64 v[84:85], v[86:87], v[14:15]
	v_add_f64 v[86:87], v[84:85], -v[86:87]
	v_add_f64 v[14:15], v[14:15], -v[86:87]
	v_add_f64 v[86:87], v[88:89], v[84:85]
	v_add_f64 v[90:91], v[86:87], -v[88:89]
	v_add_f64 v[94:95], v[86:87], -v[90:91]
	;; [unrolled: 1-line block ×4, first 2 shown]
	v_add_f64 v[84:85], v[84:85], v[88:89]
	v_add_f64 v[88:89], v[92:93], v[14:15]
	v_add_f64 v[90:91], v[88:89], -v[92:93]
	v_add_f64 v[84:85], v[88:89], v[84:85]
	v_add_f64 v[94:95], v[88:89], -v[90:91]
	;; [unrolled: 2-line block ×3, first 2 shown]
	v_add_f64 v[14:15], v[14:15], -v[90:91]
	v_add_f64 v[86:87], v[88:89], -v[86:87]
	v_add_f64 v[14:15], v[14:15], v[92:93]
	v_add_f64 v[84:85], v[84:85], -v[86:87]
	v_add_f64 v[14:15], v[14:15], v[84:85]
	v_max_f64 v[84:85], |v[4:5]|, |v[4:5]|
	v_max_f64 v[86:87], |v[2:3]|, |v[2:3]|
	v_add_f64 v[14:15], v[88:89], v[14:15]
	v_max_f64 v[88:89], v[86:87], v[84:85]
	v_min_f64 v[84:85], v[86:87], v[84:85]
	v_div_scale_f64 v[86:87], s[58:59], v[88:89], v[88:89], v[84:85]
	v_cmp_eq_f64_e32 vcc, s[30:31], v[82:83]
	v_rcp_f64_e32 v[90:91], v[86:87]
	v_cndmask_b32_e32 v15, v15, v83, vcc
	v_cndmask_b32_e32 v14, v14, v82, vcc
	v_mul_f64 v[14:15], v[14:15], 0.5
	v_cmp_ngt_f64_e32 vcc, -1.0, v[82:83]
	v_cndmask_b32_e32 v1, v107, v15, vcc
	v_cmp_nge_f64_e32 vcc, -1.0, v[82:83]
	v_cndmask_b32_e32 v14, 0, v14, vcc
	v_cmp_neq_f64_e32 vcc, -1.0, v[82:83]
	v_fma_f64 v[82:83], -v[86:87], v[90:91], 1.0
	v_fmac_f64_e32 v[90:91], v[90:91], v[82:83]
	v_fma_f64 v[82:83], -v[86:87], v[90:91], 1.0
	v_cndmask_b32_e32 v15, v108, v1, vcc
	v_fmac_f64_e32 v[90:91], v[90:91], v[82:83]
	v_div_scale_f64 v[82:83], vcc, v[84:85], v[88:89], v[84:85]
	v_mul_f64 v[92:93], v[82:83], v[90:91]
	v_fma_f64 v[82:83], -v[86:87], v[92:93], v[82:83]
	v_pk_mov_b32 v[86:87], v[32:33], v[32:33] op_sel:[0,1]
	s_nop 0
	v_div_fmas_f64 v[82:83], v[82:83], v[90:91], v[92:93]
	v_div_fixup_f64 v[82:83], v[82:83], v[88:89], v[84:85]
	v_mul_f64 v[84:85], v[82:83], v[82:83]
	v_fmac_f64_e32 v[86:87], s[34:35], v[84:85]
	v_pk_mov_b32 v[88:89], v[34:35], v[34:35] op_sel:[0,1]
	v_fmac_f64_e32 v[88:89], v[84:85], v[86:87]
	v_pk_mov_b32 v[86:87], v[36:37], v[36:37] op_sel:[0,1]
	;; [unrolled: 2-line block ×18, first 2 shown]
	v_fmac_f64_e32 v[86:87], v[84:85], v[88:89]
	v_cmp_gt_i32_e32 vcc, 0, v3
	v_mul_f64 v[84:85], v[84:85], v[86:87]
	v_cmp_class_f64_e64 s[60:61], v[2:3], s67
	v_cndmask_b32_e32 v2, v111, v112, vcc
	v_fmac_f64_e32 v[82:83], v[82:83], v[84:85]
	v_bfi_b32 v8, s8, v2, v5
	v_ashrrev_i32_e32 v2, 31, v3
	v_and_b32_e32 v12, 0x400921fb, v2
	v_and_b32_e32 v16, 0x54442d18, v2
	v_add_f64 v[2:3], -v[82:83], s[36:37]
	v_cndmask_b32_e64 v3, v83, v3, s[0:1]
	v_cndmask_b32_e64 v2, v82, v2, s[0:1]
	s_mov_b32 s38, s36
	v_add_f64 v[82:83], -v[2:3], s[38:39]
	v_cmp_class_f64_e64 s[58:59], v[4:5], s67
	v_cndmask_b32_e32 v1, v109, v110, vcc
	v_cndmask_b32_e32 v3, v3, v83, vcc
	v_cndmask_b32_e32 v2, v2, v82, vcc
	v_cmp_eq_f64_e32 vcc, 0, v[4:5]
	v_cndmask_b32_e32 v2, v2, v16, vcc
	v_cndmask_b32_e32 v3, v3, v12, vcc
	s_and_b64 vcc, s[60:61], s[58:59]
	v_cndmask_b32_e32 v83, v3, v8, vcc
	v_cndmask_b32_e32 v82, v2, v1, vcc
                                        ; implicit-def: $vgpr84_vgpr85
                                        ; implicit-def: $vgpr88_vgpr89
.LBB192_113:                            ;   in Loop: Header=BB192_5 Depth=1
	s_andn2_saveexec_b64 s[58:59], s[2:3]
	s_cbranch_execz .LBB192_121
; %bb.114:                              ;   in Loop: Header=BB192_5 Depth=1
	v_mul_f64 v[86:87], v[84:85], v[84:85]
	v_fmac_f64_e32 v[86:87], v[88:89], v[88:89]
	v_cmp_ge_f64_e32 vcc, s[40:41], v[86:87]
                                        ; implicit-def: $vgpr14_vgpr15
                                        ; implicit-def: $vgpr82_vgpr83
	s_and_saveexec_b64 s[2:3], vcc
	s_xor_b64 s[2:3], exec, s[2:3]
	s_cbranch_execz .LBB192_116
; %bb.115:                              ;   in Loop: Header=BB192_5 Depth=1
	v_frexp_mant_f64_e32 v[14:15], v[86:87]
	v_cmp_gt_f64_e32 vcc, s[22:23], v[14:15]
	v_cndmask_b32_e64 v19, v113, 2.0, vcc
	v_mul_f64 v[14:15], v[14:15], v[18:19]
	v_add_f64 v[82:83], v[14:15], 1.0
	v_rcp_f64_e32 v[84:85], v[82:83]
	v_add_f64 v[90:91], v[82:83], -1.0
	v_add_f64 v[88:89], v[14:15], -1.0
	v_add_f64 v[14:15], v[14:15], -v[90:91]
	v_fma_f64 v[90:91], -v[82:83], v[84:85], 1.0
	v_fmac_f64_e32 v[84:85], v[90:91], v[84:85]
	v_fma_f64 v[90:91], -v[82:83], v[84:85], 1.0
	v_fmac_f64_e32 v[84:85], v[90:91], v[84:85]
	v_mul_f64 v[90:91], v[88:89], v[84:85]
	v_mul_f64 v[92:93], v[82:83], v[90:91]
	v_fma_f64 v[82:83], v[90:91], v[82:83], -v[92:93]
	v_fmac_f64_e32 v[82:83], v[90:91], v[14:15]
	v_add_f64 v[14:15], v[92:93], v[82:83]
	v_add_f64 v[94:95], v[88:89], -v[14:15]
	v_add_f64 v[92:93], v[14:15], -v[92:93]
	;; [unrolled: 1-line block ×5, first 2 shown]
	v_add_f64 v[14:15], v[82:83], v[14:15]
	v_add_f64 v[14:15], v[94:95], v[14:15]
	v_mul_f64 v[14:15], v[84:85], v[14:15]
	v_add_f64 v[82:83], v[90:91], v[14:15]
	v_add_f64 v[84:85], v[82:83], -v[90:91]
	v_add_f64 v[14:15], v[14:15], -v[84:85]
	v_mul_f64 v[84:85], v[82:83], v[82:83]
	v_pk_mov_b32 v[88:89], v[20:21], v[20:21] op_sel:[0,1]
	v_fmac_f64_e32 v[88:89], s[24:25], v[84:85]
	v_pk_mov_b32 v[90:91], v[22:23], v[22:23] op_sel:[0,1]
	v_fmac_f64_e32 v[90:91], v[84:85], v[88:89]
	;; [unrolled: 2-line block ×6, first 2 shown]
	v_ldexp_f64 v[88:89], v[82:83], 1
	v_mul_f64 v[82:83], v[82:83], v[84:85]
	v_mul_f64 v[82:83], v[82:83], v[90:91]
	v_add_f64 v[84:85], v[88:89], v[82:83]
	v_add_f64 v[88:89], v[84:85], -v[88:89]
	v_ldexp_f64 v[14:15], v[14:15], 1
	v_add_f64 v[82:83], v[82:83], -v[88:89]
	v_add_f64 v[14:15], v[14:15], v[82:83]
	v_frexp_exp_i32_f64_e32 v1, v[86:87]
	v_add_f64 v[82:83], v[84:85], v[14:15]
	v_subbrev_co_u32_e32 v1, vcc, 0, v1, vcc
	v_add_f64 v[84:85], v[82:83], -v[84:85]
	v_add_f64 v[14:15], v[14:15], -v[84:85]
	v_cvt_f64_i32_e32 v[84:85], v1
	v_mul_f64 v[88:89], v[84:85], s[26:27]
	v_fma_f64 v[90:91], v[84:85], s[26:27], -v[88:89]
	v_fmac_f64_e32 v[90:91], s[28:29], v[84:85]
	v_add_f64 v[84:85], v[88:89], v[90:91]
	v_add_f64 v[88:89], v[84:85], -v[88:89]
	v_add_f64 v[88:89], v[90:91], -v[88:89]
	v_add_f64 v[90:91], v[84:85], v[82:83]
	v_add_f64 v[92:93], v[90:91], -v[84:85]
	v_add_f64 v[94:95], v[90:91], -v[92:93]
	;; [unrolled: 1-line block ×4, first 2 shown]
	v_add_f64 v[82:83], v[82:83], v[84:85]
	v_add_f64 v[84:85], v[88:89], v[14:15]
	v_add_f64 v[92:93], v[84:85], -v[88:89]
	v_add_f64 v[94:95], v[84:85], -v[92:93]
	v_add_f64 v[82:83], v[84:85], v[82:83]
	v_add_f64 v[88:89], v[88:89], -v[94:95]
	v_add_f64 v[14:15], v[14:15], -v[92:93]
	v_add_f64 v[84:85], v[90:91], v[82:83]
	v_add_f64 v[14:15], v[14:15], v[88:89]
	v_add_f64 v[88:89], v[84:85], -v[90:91]
	v_add_f64 v[82:83], v[82:83], -v[88:89]
	v_add_f64 v[14:15], v[14:15], v[82:83]
	v_add_f64 v[14:15], v[84:85], v[14:15]
	v_max_f64 v[82:83], |v[4:5]|, |v[4:5]|
	v_max_f64 v[84:85], |v[2:3]|, |v[2:3]|
	v_max_f64 v[88:89], v[84:85], v[82:83]
	v_min_f64 v[82:83], v[84:85], v[82:83]
	v_div_scale_f64 v[84:85], s[60:61], v[88:89], v[88:89], v[82:83]
	v_rcp_f64_e32 v[90:91], v[84:85]
	v_cmp_neq_f64_e32 vcc, 0, v[86:87]
	v_mul_f64 v[14:15], v[14:15], 0.5
	v_cndmask_b32_e32 v15, v108, v15, vcc
	v_fma_f64 v[86:87], -v[84:85], v[90:91], 1.0
	v_fmac_f64_e32 v[90:91], v[90:91], v[86:87]
	v_fma_f64 v[86:87], -v[84:85], v[90:91], 1.0
	v_cndmask_b32_e32 v14, 0, v14, vcc
	v_fmac_f64_e32 v[90:91], v[90:91], v[86:87]
	v_div_scale_f64 v[86:87], vcc, v[82:83], v[88:89], v[82:83]
	v_mul_f64 v[92:93], v[86:87], v[90:91]
	v_fma_f64 v[84:85], -v[84:85], v[92:93], v[86:87]
	v_pk_mov_b32 v[86:87], v[32:33], v[32:33] op_sel:[0,1]
	s_nop 0
	v_div_fmas_f64 v[84:85], v[84:85], v[90:91], v[92:93]
	v_div_fixup_f64 v[82:83], v[84:85], v[88:89], v[82:83]
	v_mul_f64 v[84:85], v[82:83], v[82:83]
	v_fmac_f64_e32 v[86:87], s[34:35], v[84:85]
	v_pk_mov_b32 v[88:89], v[34:35], v[34:35] op_sel:[0,1]
	v_fmac_f64_e32 v[88:89], v[84:85], v[86:87]
	v_pk_mov_b32 v[86:87], v[36:37], v[36:37] op_sel:[0,1]
	;; [unrolled: 2-line block ×18, first 2 shown]
	v_fmac_f64_e32 v[86:87], v[84:85], v[88:89]
	v_cmp_gt_i32_e32 vcc, 0, v3
	v_mul_f64 v[84:85], v[84:85], v[86:87]
	v_cmp_class_f64_e64 s[62:63], v[2:3], s67
	v_cndmask_b32_e32 v2, v111, v112, vcc
	v_fmac_f64_e32 v[82:83], v[82:83], v[84:85]
	v_bfi_b32 v8, s8, v2, v5
	v_ashrrev_i32_e32 v2, 31, v3
	v_and_b32_e32 v12, 0x400921fb, v2
	v_and_b32_e32 v16, 0x54442d18, v2
	v_add_f64 v[2:3], -v[82:83], s[36:37]
	v_cndmask_b32_e64 v3, v83, v3, s[0:1]
	v_cndmask_b32_e64 v2, v82, v2, s[0:1]
	s_mov_b32 s38, s36
	v_add_f64 v[82:83], -v[2:3], s[38:39]
	v_cmp_class_f64_e64 s[60:61], v[4:5], s67
	v_cndmask_b32_e32 v1, v109, v110, vcc
	v_cndmask_b32_e32 v3, v3, v83, vcc
	v_cndmask_b32_e32 v2, v2, v82, vcc
	v_cmp_eq_f64_e32 vcc, 0, v[4:5]
	v_cndmask_b32_e32 v2, v2, v16, vcc
	v_cndmask_b32_e32 v3, v3, v12, vcc
	s_and_b64 vcc, s[62:63], s[60:61]
	v_cndmask_b32_e32 v83, v3, v8, vcc
	v_cndmask_b32_e32 v82, v2, v1, vcc
                                        ; implicit-def: $vgpr88_vgpr89
                                        ; implicit-def: $vgpr84_vgpr85
.LBB192_116:                            ;   in Loop: Header=BB192_5 Depth=1
	s_andn2_saveexec_b64 s[60:61], s[2:3]
	s_cbranch_execz .LBB192_120
; %bb.117:                              ;   in Loop: Header=BB192_5 Depth=1
	v_and_b32_e32 v19, 0x7ffffff8, v89
	v_add_f64 v[14:15], v[88:89], -v[18:19]
	v_and_b32_e32 v97, -8, v15
	v_mov_b32_e32 v96, v18
	v_and_b32_e32 v87, 0x7ffffff8, v85
	v_mov_b32_e32 v86, v18
	v_add_f64 v[100:101], v[14:15], -v[96:97]
	v_add_f64 v[14:15], v[84:85], -v[86:87]
	v_and_b32_e32 v99, -8, v15
	v_mov_b32_e32 v98, v18
	v_add_f64 v[90:91], v[18:19], v[18:19]
	v_add_f64 v[104:105], v[86:87], v[86:87]
	v_add_f64 v[102:103], v[14:15], -v[98:99]
	v_mul_f64 v[82:83], v[86:87], v[86:87]
	v_mul_f64 v[88:89], v[90:91], v[96:97]
	;; [unrolled: 1-line block ×5, first 2 shown]
	v_add_f64 v[96:97], v[96:97], v[96:97]
	v_add_f64 v[98:99], v[98:99], v[98:99]
	v_mul_f64 v[14:15], v[18:19], v[18:19]
	v_mul_f64 v[92:93], v[90:91], v[100:101]
	;; [unrolled: 1-line block ×7, first 2 shown]
	s_mov_b64 s[62:63], 0
.LBB192_118:                            ;   Parent Loop BB192_5 Depth=1
                                        ; =>  This Inner Loop Header: Depth=2
	v_cmp_nlt_f64_e32 vcc, v[14:15], v[82:83]
	v_cndmask_b32_e32 v105, v15, v83, vcc
	v_cndmask_b32_e32 v104, v14, v82, vcc
	v_cmp_nlt_f64_e64 s[2:3], v[104:105], v[88:89]
	v_cndmask_b32_e64 v117, v105, v89, s[2:3]
	v_cndmask_b32_e64 v116, v104, v88, s[2:3]
	v_cndmask_b32_e32 v15, v83, v15, vcc
	v_cndmask_b32_e32 v14, v82, v14, vcc
	s_and_b64 s[64:65], vcc, s[2:3]
	v_cmp_nlt_f64_e32 vcc, v[116:117], v[86:87]
	v_cndmask_b32_e64 v83, v89, v105, s[2:3]
	v_cndmask_b32_e64 v82, v88, v104, s[2:3]
	v_cndmask_b32_e32 v105, v117, v87, vcc
	v_cndmask_b32_e32 v104, v116, v86, vcc
	v_cmp_nlt_f64_e64 s[2:3], v[104:105], v[94:95]
	v_cndmask_b32_e32 v89, v87, v117, vcc
	v_cndmask_b32_e32 v88, v86, v116, vcc
	v_cndmask_b32_e64 v117, v105, v95, s[2:3]
	v_cndmask_b32_e64 v116, v104, v94, s[2:3]
	s_and_b64 s[72:73], vcc, s[2:3]
	v_cmp_nlt_f64_e32 vcc, v[116:117], v[84:85]
	v_cndmask_b32_e64 v87, v95, v105, s[2:3]
	v_cndmask_b32_e64 v86, v94, v104, s[2:3]
	v_cndmask_b32_e32 v105, v117, v85, vcc
	v_cndmask_b32_e32 v104, v116, v84, vcc
	v_cmp_nlt_f64_e64 s[2:3], v[104:105], v[92:93]
	v_cndmask_b32_e32 v95, v85, v117, vcc
	v_cndmask_b32_e32 v94, v84, v116, vcc
	v_cndmask_b32_e64 v117, v105, v93, s[2:3]
	v_cndmask_b32_e64 v116, v104, v92, s[2:3]
	;; [unrolled: 1-line block ×4, first 2 shown]
	s_and_b64 s[2:3], vcc, s[2:3]
	v_cmp_nlt_f64_e32 vcc, v[116:117], v[90:91]
	v_cndmask_b32_e32 v105, v117, v91, vcc
	v_cndmask_b32_e32 v104, v116, v90, vcc
	v_cndmask_b32_e32 v93, v91, v117, vcc
	v_cndmask_b32_e32 v92, v90, v116, vcc
	s_and_b64 s[2:3], s[2:3], vcc
	v_cmp_nlt_f64_e32 vcc, v[104:105], v[96:97]
	v_cndmask_b32_e32 v117, v105, v97, vcc
	v_cndmask_b32_e32 v116, v104, v96, vcc
	v_cndmask_b32_e32 v91, v97, v105, vcc
	v_cndmask_b32_e32 v90, v96, v104, vcc
	s_and_b64 s[2:3], s[2:3], vcc
	;; [unrolled: 6-line block ×4, first 2 shown]
	v_cmp_nlt_f64_e32 vcc, v[116:117], v[102:103]
	s_and_b64 s[2:3], s[2:3], vcc
	s_and_b64 s[2:3], s[2:3], s[72:73]
	s_and_b64 s[2:3], s[2:3], s[64:65]
	v_cndmask_b32_e32 v105, v117, v103, vcc
	v_cndmask_b32_e32 v104, v116, v102, vcc
	s_and_b64 s[2:3], exec, s[2:3]
	v_cndmask_b32_e32 v101, v103, v117, vcc
	v_cndmask_b32_e32 v100, v102, v116, vcc
	s_or_b64 s[62:63], s[2:3], s[62:63]
	v_pk_mov_b32 v[102:103], v[104:105], v[104:105] op_sel:[0,1]
	s_andn2_b64 exec, exec, s[62:63]
	s_cbranch_execnz .LBB192_118
; %bb.119:                              ;   in Loop: Header=BB192_5 Depth=1
	s_or_b64 exec, exec, s[62:63]
	v_add_f64 v[14:15], v[14:15], -1.0
	v_add_f64 v[14:15], v[14:15], v[82:83]
	v_add_f64 v[14:15], v[14:15], v[88:89]
	;; [unrolled: 1-line block ×11, first 2 shown]
	v_add_f64 v[14:15], v[82:83], 1.0
	v_add_f64 v[84:85], v[14:15], -1.0
	v_add_f64 v[86:87], v[84:85], -v[14:15]
	v_add_f64 v[86:87], v[86:87], 1.0
	v_add_f64 v[84:85], v[82:83], -v[84:85]
	v_add_f64 v[84:85], v[84:85], v[86:87]
	v_frexp_mant_f64_e32 v[86:87], v[14:15]
	v_frexp_exp_i32_f64_e32 v1, v[14:15]
	v_cmp_gt_f64_e32 vcc, s[22:23], v[86:87]
	v_subbrev_co_u32_e32 v1, vcc, 0, v1, vcc
	v_sub_u32_e32 v8, 0, v1
	v_ldexp_f64 v[14:15], v[14:15], v8
	v_add_f64 v[86:87], v[14:15], -1.0
	v_add_f64 v[92:93], v[14:15], 1.0
	v_add_f64 v[88:89], v[86:87], 1.0
	v_add_f64 v[94:95], v[92:93], -1.0
	v_ldexp_f64 v[84:85], v[84:85], v8
	v_add_f64 v[88:89], v[14:15], -v[88:89]
	v_add_f64 v[14:15], v[14:15], -v[94:95]
	v_add_f64 v[14:15], v[84:85], v[14:15]
	v_add_f64 v[88:89], v[84:85], v[88:89]
	;; [unrolled: 1-line block ×3, first 2 shown]
	v_rcp_f64_e32 v[94:95], v[84:85]
	v_add_f64 v[90:91], v[86:87], v[88:89]
	v_add_f64 v[86:87], v[90:91], -v[86:87]
	v_add_f64 v[86:87], v[88:89], -v[86:87]
	;; [unrolled: 1-line block ×4, first 2 shown]
	v_fma_f64 v[88:89], -v[84:85], v[94:95], 1.0
	v_fmac_f64_e32 v[94:95], v[88:89], v[94:95]
	v_fma_f64 v[88:89], -v[84:85], v[94:95], 1.0
	v_fmac_f64_e32 v[94:95], v[88:89], v[94:95]
	v_mul_f64 v[88:89], v[90:91], v[94:95]
	v_mul_f64 v[92:93], v[84:85], v[88:89]
	v_fma_f64 v[96:97], v[88:89], v[84:85], -v[92:93]
	v_fmac_f64_e32 v[96:97], v[88:89], v[14:15]
	v_add_f64 v[98:99], v[92:93], v[96:97]
	v_add_f64 v[100:101], v[90:91], -v[98:99]
	v_add_f64 v[90:91], v[90:91], -v[100:101]
	;; [unrolled: 1-line block ×4, first 2 shown]
	v_add_f64 v[86:87], v[86:87], v[90:91]
	v_add_f64 v[90:91], v[92:93], -v[96:97]
	v_add_f64 v[86:87], v[90:91], v[86:87]
	v_add_f64 v[90:91], v[100:101], v[86:87]
	v_add_f64 v[92:93], v[100:101], -v[90:91]
	v_add_f64 v[86:87], v[86:87], v[92:93]
	v_mul_f64 v[92:93], v[94:95], v[90:91]
	v_mul_f64 v[96:97], v[84:85], v[92:93]
	v_fma_f64 v[84:85], v[92:93], v[84:85], -v[96:97]
	v_fmac_f64_e32 v[84:85], v[92:93], v[14:15]
	v_add_f64 v[14:15], v[96:97], v[84:85]
	v_add_f64 v[98:99], v[90:91], -v[14:15]
	v_add_f64 v[90:91], v[90:91], -v[98:99]
	;; [unrolled: 1-line block ×4, first 2 shown]
	v_add_f64 v[14:15], v[86:87], v[14:15]
	v_add_f64 v[84:85], v[96:97], -v[84:85]
	v_add_f64 v[14:15], v[84:85], v[14:15]
	v_add_f64 v[84:85], v[88:89], v[92:93]
	;; [unrolled: 1-line block ×3, first 2 shown]
	v_add_f64 v[86:87], v[84:85], -v[88:89]
	v_mul_f64 v[14:15], v[94:95], v[14:15]
	v_add_f64 v[86:87], v[92:93], -v[86:87]
	v_add_f64 v[14:15], v[86:87], v[14:15]
	v_add_f64 v[86:87], v[84:85], v[14:15]
	v_add_f64 v[84:85], v[86:87], -v[84:85]
	v_add_f64 v[14:15], v[14:15], -v[84:85]
	v_mul_f64 v[84:85], v[86:87], v[86:87]
	v_pk_mov_b32 v[88:89], v[20:21], v[20:21] op_sel:[0,1]
	v_fmac_f64_e32 v[88:89], s[24:25], v[84:85]
	v_pk_mov_b32 v[90:91], v[22:23], v[22:23] op_sel:[0,1]
	v_fmac_f64_e32 v[90:91], v[84:85], v[88:89]
	;; [unrolled: 2-line block ×6, first 2 shown]
	v_cvt_f64_i32_e32 v[88:89], v1
	v_mul_f64 v[92:93], v[88:89], s[26:27]
	v_fma_f64 v[94:95], v[88:89], s[26:27], -v[92:93]
	v_fmac_f64_e32 v[94:95], s[28:29], v[88:89]
	v_add_f64 v[88:89], v[92:93], v[94:95]
	v_add_f64 v[92:93], v[88:89], -v[92:93]
	v_mul_f64 v[84:85], v[86:87], v[84:85]
	v_add_f64 v[92:93], v[94:95], -v[92:93]
	v_ldexp_f64 v[94:95], v[86:87], 1
	v_mul_f64 v[84:85], v[84:85], v[90:91]
	v_add_f64 v[86:87], v[94:95], v[84:85]
	v_add_f64 v[90:91], v[86:87], -v[94:95]
	v_ldexp_f64 v[14:15], v[14:15], 1
	v_add_f64 v[84:85], v[84:85], -v[90:91]
	v_add_f64 v[14:15], v[14:15], v[84:85]
	v_add_f64 v[84:85], v[86:87], v[14:15]
	v_add_f64 v[86:87], v[84:85], -v[86:87]
	v_add_f64 v[14:15], v[14:15], -v[86:87]
	v_add_f64 v[86:87], v[88:89], v[84:85]
	v_add_f64 v[90:91], v[86:87], -v[88:89]
	v_add_f64 v[94:95], v[86:87], -v[90:91]
	;; [unrolled: 1-line block ×4, first 2 shown]
	v_add_f64 v[84:85], v[84:85], v[88:89]
	v_add_f64 v[88:89], v[92:93], v[14:15]
	v_add_f64 v[90:91], v[88:89], -v[92:93]
	v_add_f64 v[84:85], v[88:89], v[84:85]
	v_add_f64 v[94:95], v[88:89], -v[90:91]
	;; [unrolled: 2-line block ×3, first 2 shown]
	v_add_f64 v[14:15], v[14:15], -v[90:91]
	v_add_f64 v[86:87], v[88:89], -v[86:87]
	v_add_f64 v[14:15], v[14:15], v[92:93]
	v_add_f64 v[84:85], v[84:85], -v[86:87]
	v_add_f64 v[14:15], v[14:15], v[84:85]
	v_max_f64 v[84:85], |v[4:5]|, |v[4:5]|
	v_max_f64 v[86:87], |v[2:3]|, |v[2:3]|
	v_add_f64 v[14:15], v[88:89], v[14:15]
	v_max_f64 v[88:89], v[86:87], v[84:85]
	v_min_f64 v[84:85], v[86:87], v[84:85]
	v_div_scale_f64 v[86:87], s[2:3], v[88:89], v[88:89], v[84:85]
	v_cmp_eq_f64_e32 vcc, s[30:31], v[82:83]
	v_rcp_f64_e32 v[90:91], v[86:87]
	v_cndmask_b32_e32 v15, v15, v83, vcc
	v_cndmask_b32_e32 v14, v14, v82, vcc
	v_mul_f64 v[14:15], v[14:15], 0.5
	v_cmp_ngt_f64_e32 vcc, -1.0, v[82:83]
	v_cndmask_b32_e32 v1, v107, v15, vcc
	v_cmp_nge_f64_e32 vcc, -1.0, v[82:83]
	v_cndmask_b32_e32 v14, 0, v14, vcc
	v_cmp_neq_f64_e32 vcc, -1.0, v[82:83]
	v_fma_f64 v[82:83], -v[86:87], v[90:91], 1.0
	v_fmac_f64_e32 v[90:91], v[90:91], v[82:83]
	v_fma_f64 v[82:83], -v[86:87], v[90:91], 1.0
	v_cndmask_b32_e32 v15, v108, v1, vcc
	v_fmac_f64_e32 v[90:91], v[90:91], v[82:83]
	v_div_scale_f64 v[82:83], vcc, v[84:85], v[88:89], v[84:85]
	v_mul_f64 v[92:93], v[82:83], v[90:91]
	v_fma_f64 v[82:83], -v[86:87], v[92:93], v[82:83]
	v_pk_mov_b32 v[86:87], v[32:33], v[32:33] op_sel:[0,1]
	s_nop 0
	v_div_fmas_f64 v[82:83], v[82:83], v[90:91], v[92:93]
	v_div_fixup_f64 v[82:83], v[82:83], v[88:89], v[84:85]
	v_mul_f64 v[84:85], v[82:83], v[82:83]
	v_fmac_f64_e32 v[86:87], s[34:35], v[84:85]
	v_pk_mov_b32 v[88:89], v[34:35], v[34:35] op_sel:[0,1]
	v_fmac_f64_e32 v[88:89], v[84:85], v[86:87]
	v_pk_mov_b32 v[86:87], v[36:37], v[36:37] op_sel:[0,1]
	;; [unrolled: 2-line block ×18, first 2 shown]
	v_fmac_f64_e32 v[86:87], v[84:85], v[88:89]
	v_cmp_gt_i32_e32 vcc, 0, v3
	v_mul_f64 v[84:85], v[84:85], v[86:87]
	v_cmp_class_f64_e64 s[62:63], v[2:3], s67
	v_cndmask_b32_e32 v2, v111, v112, vcc
	v_fmac_f64_e32 v[82:83], v[82:83], v[84:85]
	v_bfi_b32 v8, s8, v2, v5
	v_ashrrev_i32_e32 v2, 31, v3
	v_and_b32_e32 v12, 0x400921fb, v2
	v_and_b32_e32 v16, 0x54442d18, v2
	v_add_f64 v[2:3], -v[82:83], s[36:37]
	v_cndmask_b32_e64 v3, v83, v3, s[0:1]
	v_cndmask_b32_e64 v2, v82, v2, s[0:1]
	s_mov_b32 s38, s36
	v_add_f64 v[82:83], -v[2:3], s[38:39]
	v_cmp_class_f64_e64 s[2:3], v[4:5], s67
	v_cndmask_b32_e32 v1, v109, v110, vcc
	v_cndmask_b32_e32 v3, v3, v83, vcc
	;; [unrolled: 1-line block ×3, first 2 shown]
	v_cmp_eq_f64_e32 vcc, 0, v[4:5]
	v_cndmask_b32_e32 v2, v2, v16, vcc
	v_cndmask_b32_e32 v3, v3, v12, vcc
	s_and_b64 vcc, s[62:63], s[2:3]
	v_cndmask_b32_e32 v83, v3, v8, vcc
	v_cndmask_b32_e32 v82, v2, v1, vcc
.LBB192_120:                            ;   in Loop: Header=BB192_5 Depth=1
	s_or_b64 exec, exec, s[60:61]
.LBB192_121:                            ;   in Loop: Header=BB192_5 Depth=1
	s_or_b64 exec, exec, s[58:59]
.LBB192_122:                            ;   in Loop: Header=BB192_5 Depth=1
	s_andn2_saveexec_b64 s[56:57], s[56:57]
	s_cbranch_execz .LBB192_124
; %bb.123:                              ;   in Loop: Header=BB192_5 Depth=1
	v_max_f64 v[14:15], |v[4:5]|, |v[4:5]|
	v_max_f64 v[82:83], |v[2:3]|, |v[2:3]|
	v_max_f64 v[84:85], v[82:83], v[14:15]
	v_frexp_exp_i32_f64_e32 v1, v[84:85]
	v_sub_u32_e32 v8, 0, v1
	v_ldexp_f64 v[88:89], |v[4:5]|, v8
	v_ldexp_f64 v[86:87], |v[2:3]|, v8
	v_mul_f64 v[88:89], v[88:89], v[88:89]
	v_fmac_f64_e32 v[88:89], v[86:87], v[86:87]
	v_rsq_f64_e32 v[86:87], v[88:89]
	v_cmp_eq_f64_e32 vcc, 0, v[88:89]
	v_cmp_class_f64_e64 s[58:59], v[2:3], s67
	v_cmp_class_f64_e64 s[60:61], v[4:5], s67
	v_mul_f64 v[90:91], v[88:89], v[86:87]
	v_mul_f64 v[86:87], v[86:87], 0.5
	v_fma_f64 v[92:93], -v[86:87], v[90:91], 0.5
	v_fmac_f64_e32 v[90:91], v[90:91], v[92:93]
	v_fmac_f64_e32 v[86:87], v[86:87], v[92:93]
	v_fma_f64 v[92:93], -v[90:91], v[90:91], v[88:89]
	v_fmac_f64_e32 v[90:91], v[92:93], v[86:87]
	v_cndmask_b32_e32 v87, v91, v89, vcc
	v_cndmask_b32_e32 v86, v90, v88, vcc
	v_ldexp_f64 v[86:87], v[86:87], v1
	s_or_b64 vcc, s[58:59], s[60:61]
	v_cndmask_b32_e32 v89, v87, v114, vcc
	v_cndmask_b32_e64 v88, v86, 0, vcc
	v_frexp_mant_f64_e32 v[90:91], v[88:89]
	v_cmp_gt_f64_e64 s[2:3], s[22:23], v[90:91]
	v_cndmask_b32_e64 v19, v113, 2.0, s[2:3]
	v_mul_f64 v[90:91], v[90:91], v[18:19]
	v_add_f64 v[92:93], v[90:91], 1.0
	v_rcp_f64_e32 v[94:95], v[92:93]
	v_add_f64 v[98:99], v[92:93], -1.0
	v_add_f64 v[96:97], v[90:91], -1.0
	v_add_f64 v[90:91], v[90:91], -v[98:99]
	v_fma_f64 v[98:99], -v[92:93], v[94:95], 1.0
	v_fmac_f64_e32 v[94:95], v[98:99], v[94:95]
	v_fma_f64 v[98:99], -v[92:93], v[94:95], 1.0
	v_fmac_f64_e32 v[94:95], v[98:99], v[94:95]
	v_mul_f64 v[98:99], v[96:97], v[94:95]
	v_mul_f64 v[100:101], v[92:93], v[98:99]
	v_fma_f64 v[92:93], v[98:99], v[92:93], -v[100:101]
	v_fmac_f64_e32 v[92:93], v[98:99], v[90:91]
	v_add_f64 v[90:91], v[100:101], v[92:93]
	v_add_f64 v[102:103], v[96:97], -v[90:91]
	v_add_f64 v[100:101], v[90:91], -v[100:101]
	;; [unrolled: 1-line block ×5, first 2 shown]
	v_add_f64 v[90:91], v[92:93], v[90:91]
	v_add_f64 v[90:91], v[102:103], v[90:91]
	v_mul_f64 v[90:91], v[94:95], v[90:91]
	v_add_f64 v[92:93], v[98:99], v[90:91]
	v_add_f64 v[94:95], v[92:93], -v[98:99]
	v_add_f64 v[90:91], v[90:91], -v[94:95]
	v_mul_f64 v[94:95], v[92:93], v[92:93]
	v_pk_mov_b32 v[96:97], v[20:21], v[20:21] op_sel:[0,1]
	v_fmac_f64_e32 v[96:97], s[24:25], v[94:95]
	v_pk_mov_b32 v[98:99], v[22:23], v[22:23] op_sel:[0,1]
	v_fmac_f64_e32 v[98:99], v[94:95], v[96:97]
	;; [unrolled: 2-line block ×6, first 2 shown]
	v_ldexp_f64 v[96:97], v[92:93], 1
	v_mul_f64 v[92:93], v[92:93], v[94:95]
	v_mul_f64 v[92:93], v[92:93], v[98:99]
	v_add_f64 v[94:95], v[96:97], v[92:93]
	v_add_f64 v[96:97], v[94:95], -v[96:97]
	v_ldexp_f64 v[90:91], v[90:91], 1
	v_add_f64 v[92:93], v[92:93], -v[96:97]
	v_add_f64 v[90:91], v[90:91], v[92:93]
	v_frexp_exp_i32_f64_e32 v1, v[88:89]
	v_add_f64 v[92:93], v[94:95], v[90:91]
	v_subbrev_co_u32_e64 v1, s[2:3], 0, v1, s[2:3]
	v_add_f64 v[94:95], v[92:93], -v[94:95]
	v_add_f64 v[90:91], v[90:91], -v[94:95]
	v_cvt_f64_i32_e32 v[94:95], v1
	v_mul_f64 v[96:97], v[94:95], s[26:27]
	v_fma_f64 v[98:99], v[94:95], s[26:27], -v[96:97]
	v_fmac_f64_e32 v[98:99], s[28:29], v[94:95]
	v_add_f64 v[94:95], v[96:97], v[98:99]
	v_add_f64 v[96:97], v[94:95], -v[96:97]
	v_add_f64 v[96:97], v[98:99], -v[96:97]
	v_add_f64 v[98:99], v[94:95], v[92:93]
	v_add_f64 v[100:101], v[98:99], -v[94:95]
	v_add_f64 v[102:103], v[98:99], -v[100:101]
	;; [unrolled: 1-line block ×4, first 2 shown]
	v_add_f64 v[92:93], v[92:93], v[94:95]
	v_add_f64 v[94:95], v[96:97], v[90:91]
	v_add_f64 v[100:101], v[94:95], -v[96:97]
	v_add_f64 v[102:103], v[94:95], -v[100:101]
	v_add_f64 v[92:93], v[94:95], v[92:93]
	v_add_f64 v[96:97], v[96:97], -v[102:103]
	v_add_f64 v[90:91], v[90:91], -v[100:101]
	v_add_f64 v[94:95], v[98:99], v[92:93]
	v_add_f64 v[90:91], v[90:91], v[96:97]
	v_add_f64 v[96:97], v[94:95], -v[98:99]
	v_add_f64 v[92:93], v[92:93], -v[96:97]
	v_add_f64 v[90:91], v[90:91], v[92:93]
	v_add_f64 v[90:91], v[94:95], v[90:91]
	v_cmp_class_f64_e64 s[2:3], v[86:87], s67
	v_min_f64 v[82:83], v[82:83], v[14:15]
	v_cndmask_b32_e64 v1, v91, v87, s[2:3]
	v_cndmask_b32_e64 v2, v90, v86, s[2:3]
	v_div_scale_f64 v[86:87], s[2:3], v[84:85], v[84:85], v[82:83]
	v_rcp_f64_e32 v[90:91], v[86:87]
	v_cndmask_b32_e64 v2, v2, 0, vcc
	v_cndmask_b32_e32 v1, v1, v114, vcc
	v_cmp_ngt_f64_e32 vcc, 0, v[88:89]
	v_cndmask_b32_e32 v1, v107, v1, vcc
	v_cmp_nge_f64_e32 vcc, 0, v[88:89]
	v_cndmask_b32_e32 v14, 0, v2, vcc
	v_cmp_neq_f64_e32 vcc, 0, v[88:89]
	v_fma_f64 v[88:89], -v[86:87], v[90:91], 1.0
	v_fmac_f64_e32 v[90:91], v[90:91], v[88:89]
	v_fma_f64 v[88:89], -v[86:87], v[90:91], 1.0
	v_cndmask_b32_e32 v15, v108, v1, vcc
	v_fmac_f64_e32 v[90:91], v[90:91], v[88:89]
	v_div_scale_f64 v[88:89], vcc, v[82:83], v[84:85], v[82:83]
	v_mul_f64 v[92:93], v[88:89], v[90:91]
	v_fma_f64 v[86:87], -v[86:87], v[92:93], v[88:89]
	v_pk_mov_b32 v[88:89], v[34:35], v[34:35] op_sel:[0,1]
	s_nop 0
	v_div_fmas_f64 v[86:87], v[86:87], v[90:91], v[92:93]
	v_div_fixup_f64 v[82:83], v[86:87], v[84:85], v[82:83]
	v_mul_f64 v[84:85], v[82:83], v[82:83]
	v_pk_mov_b32 v[86:87], v[32:33], v[32:33] op_sel:[0,1]
	v_fmac_f64_e32 v[86:87], s[34:35], v[84:85]
	v_fmac_f64_e32 v[88:89], v[84:85], v[86:87]
	v_pk_mov_b32 v[86:87], v[36:37], v[36:37] op_sel:[0,1]
	v_fmac_f64_e32 v[86:87], v[84:85], v[88:89]
	v_pk_mov_b32 v[88:89], v[38:39], v[38:39] op_sel:[0,1]
	;; [unrolled: 2-line block ×17, first 2 shown]
	v_fmac_f64_e32 v[86:87], v[84:85], v[88:89]
	v_cmp_gt_i32_e32 vcc, 0, v3
	v_mul_f64 v[84:85], v[84:85], v[86:87]
	v_cndmask_b32_e32 v2, v111, v112, vcc
	v_fmac_f64_e32 v[82:83], v[82:83], v[84:85]
	v_bfi_b32 v8, s8, v2, v5
	v_ashrrev_i32_e32 v2, 31, v3
	v_and_b32_e32 v12, 0x400921fb, v2
	v_and_b32_e32 v16, 0x54442d18, v2
	v_add_f64 v[2:3], -v[82:83], s[36:37]
	v_cndmask_b32_e64 v3, v83, v3, s[0:1]
	v_cndmask_b32_e64 v2, v82, v2, s[0:1]
	s_mov_b32 s38, s36
	v_add_f64 v[82:83], -v[2:3], s[38:39]
	v_cndmask_b32_e32 v1, v109, v110, vcc
	v_cndmask_b32_e32 v3, v3, v83, vcc
	;; [unrolled: 1-line block ×3, first 2 shown]
	v_cmp_eq_f64_e32 vcc, 0, v[4:5]
	v_cndmask_b32_e32 v2, v2, v16, vcc
	v_cndmask_b32_e32 v3, v3, v12, vcc
	s_and_b64 vcc, s[58:59], s[60:61]
	v_cndmask_b32_e32 v83, v3, v8, vcc
	v_cndmask_b32_e32 v82, v2, v1, vcc
.LBB192_124:                            ;   in Loop: Header=BB192_5 Depth=1
	s_or_b64 exec, exec, s[56:57]
                                        ; implicit-def: $vgpr84_vgpr85
.LBB192_125:                            ;   in Loop: Header=BB192_5 Depth=1
	s_andn2_saveexec_b64 s[2:3], s[54:55]
	s_cbranch_execz .LBB192_131
; %bb.126:                              ;   in Loop: Header=BB192_5 Depth=1
	v_cmp_ngt_f64_e32 vcc, s[42:43], v[84:85]
                                        ; implicit-def: $vgpr14_vgpr15
                                        ; implicit-def: $vgpr82_vgpr83
	s_and_saveexec_b64 s[54:55], vcc
	s_xor_b64 s[54:55], exec, s[54:55]
	s_cbranch_execz .LBB192_128
; %bb.127:                              ;   in Loop: Header=BB192_5 Depth=1
	v_mul_f64 v[14:15], v[84:85], v[84:85]
	v_add_f64 v[82:83], v[14:15], 1.0
	v_add_f64 v[84:85], v[82:83], -1.0
	v_add_f64 v[86:87], v[84:85], -v[82:83]
	v_add_f64 v[86:87], v[86:87], 1.0
	v_add_f64 v[84:85], v[14:15], -v[84:85]
	v_add_f64 v[84:85], v[84:85], v[86:87]
	v_frexp_mant_f64_e32 v[86:87], v[82:83]
	v_frexp_exp_i32_f64_e32 v1, v[82:83]
	v_cmp_gt_f64_e32 vcc, s[22:23], v[86:87]
	v_subbrev_co_u32_e32 v1, vcc, 0, v1, vcc
	v_sub_u32_e32 v8, 0, v1
	v_ldexp_f64 v[82:83], v[82:83], v8
	v_add_f64 v[86:87], v[82:83], -1.0
	v_add_f64 v[92:93], v[82:83], 1.0
	v_add_f64 v[88:89], v[86:87], 1.0
	v_add_f64 v[94:95], v[92:93], -1.0
	v_ldexp_f64 v[84:85], v[84:85], v8
	v_add_f64 v[88:89], v[82:83], -v[88:89]
	v_add_f64 v[82:83], v[82:83], -v[94:95]
	v_add_f64 v[82:83], v[84:85], v[82:83]
	v_add_f64 v[88:89], v[84:85], v[88:89]
	;; [unrolled: 1-line block ×3, first 2 shown]
	v_rcp_f64_e32 v[94:95], v[84:85]
	v_add_f64 v[90:91], v[86:87], v[88:89]
	v_add_f64 v[86:87], v[86:87], -v[90:91]
	v_add_f64 v[86:87], v[88:89], v[86:87]
	v_add_f64 v[88:89], v[92:93], -v[84:85]
	v_add_f64 v[82:83], v[82:83], v[88:89]
	v_fma_f64 v[88:89], -v[84:85], v[94:95], 1.0
	v_fmac_f64_e32 v[94:95], v[88:89], v[94:95]
	v_fma_f64 v[88:89], -v[84:85], v[94:95], 1.0
	v_fmac_f64_e32 v[94:95], v[88:89], v[94:95]
	v_mul_f64 v[88:89], v[90:91], v[94:95]
	v_mul_f64 v[92:93], v[84:85], v[88:89]
	v_fma_f64 v[96:97], v[88:89], v[84:85], -v[92:93]
	v_fmac_f64_e32 v[96:97], v[88:89], v[82:83]
	v_add_f64 v[98:99], v[92:93], v[96:97]
	v_add_f64 v[100:101], v[90:91], -v[98:99]
	v_add_f64 v[90:91], v[90:91], -v[100:101]
	;; [unrolled: 1-line block ×4, first 2 shown]
	v_add_f64 v[86:87], v[86:87], v[90:91]
	v_add_f64 v[90:91], v[92:93], -v[96:97]
	v_add_f64 v[86:87], v[90:91], v[86:87]
	v_add_f64 v[90:91], v[100:101], v[86:87]
	v_add_f64 v[92:93], v[100:101], -v[90:91]
	v_add_f64 v[86:87], v[86:87], v[92:93]
	v_mul_f64 v[92:93], v[94:95], v[90:91]
	v_mul_f64 v[96:97], v[84:85], v[92:93]
	v_fma_f64 v[84:85], v[92:93], v[84:85], -v[96:97]
	v_fmac_f64_e32 v[84:85], v[92:93], v[82:83]
	v_add_f64 v[82:83], v[96:97], v[84:85]
	v_add_f64 v[98:99], v[90:91], -v[82:83]
	v_add_f64 v[90:91], v[90:91], -v[98:99]
	;; [unrolled: 1-line block ×4, first 2 shown]
	v_add_f64 v[82:83], v[86:87], v[82:83]
	v_add_f64 v[84:85], v[96:97], -v[84:85]
	v_add_f64 v[82:83], v[84:85], v[82:83]
	v_add_f64 v[84:85], v[88:89], v[92:93]
	v_add_f64 v[82:83], v[98:99], v[82:83]
	v_add_f64 v[86:87], v[84:85], -v[88:89]
	v_mul_f64 v[82:83], v[94:95], v[82:83]
	v_add_f64 v[86:87], v[92:93], -v[86:87]
	v_add_f64 v[82:83], v[86:87], v[82:83]
	v_add_f64 v[86:87], v[84:85], v[82:83]
	v_add_f64 v[84:85], v[86:87], -v[84:85]
	v_add_f64 v[82:83], v[82:83], -v[84:85]
	v_mul_f64 v[84:85], v[86:87], v[86:87]
	v_pk_mov_b32 v[88:89], v[20:21], v[20:21] op_sel:[0,1]
	v_fmac_f64_e32 v[88:89], s[24:25], v[84:85]
	v_pk_mov_b32 v[90:91], v[22:23], v[22:23] op_sel:[0,1]
	v_fmac_f64_e32 v[90:91], v[84:85], v[88:89]
	v_pk_mov_b32 v[88:89], v[24:25], v[24:25] op_sel:[0,1]
	v_fmac_f64_e32 v[88:89], v[84:85], v[90:91]
	v_pk_mov_b32 v[90:91], v[26:27], v[26:27] op_sel:[0,1]
	v_fmac_f64_e32 v[90:91], v[84:85], v[88:89]
	v_pk_mov_b32 v[88:89], v[28:29], v[28:29] op_sel:[0,1]
	v_fmac_f64_e32 v[88:89], v[84:85], v[90:91]
	v_pk_mov_b32 v[90:91], v[30:31], v[30:31] op_sel:[0,1]
	v_fmac_f64_e32 v[90:91], v[84:85], v[88:89]
	v_cvt_f64_i32_e32 v[88:89], v1
	v_mul_f64 v[92:93], v[88:89], s[26:27]
	v_fma_f64 v[94:95], v[88:89], s[26:27], -v[92:93]
	v_fmac_f64_e32 v[94:95], s[28:29], v[88:89]
	v_add_f64 v[88:89], v[92:93], v[94:95]
	v_add_f64 v[92:93], v[88:89], -v[92:93]
	v_mul_f64 v[84:85], v[86:87], v[84:85]
	v_add_f64 v[92:93], v[94:95], -v[92:93]
	v_ldexp_f64 v[94:95], v[86:87], 1
	v_mul_f64 v[84:85], v[84:85], v[90:91]
	v_add_f64 v[86:87], v[94:95], v[84:85]
	v_add_f64 v[90:91], v[86:87], -v[94:95]
	v_ldexp_f64 v[82:83], v[82:83], 1
	v_add_f64 v[84:85], v[84:85], -v[90:91]
	v_add_f64 v[82:83], v[82:83], v[84:85]
	v_add_f64 v[84:85], v[86:87], v[82:83]
	v_add_f64 v[86:87], v[84:85], -v[86:87]
	v_add_f64 v[82:83], v[82:83], -v[86:87]
	v_add_f64 v[86:87], v[88:89], v[84:85]
	v_add_f64 v[90:91], v[86:87], -v[88:89]
	v_add_f64 v[94:95], v[86:87], -v[90:91]
	;; [unrolled: 1-line block ×4, first 2 shown]
	v_add_f64 v[84:85], v[84:85], v[88:89]
	v_add_f64 v[88:89], v[92:93], v[82:83]
	v_add_f64 v[90:91], v[88:89], -v[92:93]
	v_add_f64 v[84:85], v[88:89], v[84:85]
	v_add_f64 v[94:95], v[88:89], -v[90:91]
	;; [unrolled: 2-line block ×3, first 2 shown]
	v_add_f64 v[82:83], v[82:83], -v[90:91]
	v_add_f64 v[86:87], v[88:89], -v[86:87]
	v_add_f64 v[82:83], v[82:83], v[92:93]
	v_add_f64 v[84:85], v[84:85], -v[86:87]
	v_add_f64 v[82:83], v[82:83], v[84:85]
	v_max_f64 v[84:85], |v[4:5]|, |v[4:5]|
	v_max_f64 v[86:87], |v[2:3]|, |v[2:3]|
	v_add_f64 v[82:83], v[88:89], v[82:83]
	v_max_f64 v[88:89], v[86:87], v[84:85]
	v_min_f64 v[84:85], v[86:87], v[84:85]
	v_div_scale_f64 v[86:87], s[56:57], v[88:89], v[88:89], v[84:85]
	v_rcp_f64_e32 v[90:91], v[86:87]
	v_cmp_eq_f64_e32 vcc, s[30:31], v[14:15]
	v_cndmask_b32_e32 v15, v83, v15, vcc
	v_cndmask_b32_e32 v14, v82, v14, vcc
	v_fma_f64 v[82:83], -v[86:87], v[90:91], 1.0
	v_fmac_f64_e32 v[90:91], v[90:91], v[82:83]
	v_fma_f64 v[82:83], -v[86:87], v[90:91], 1.0
	v_fmac_f64_e32 v[90:91], v[90:91], v[82:83]
	v_div_scale_f64 v[82:83], vcc, v[84:85], v[88:89], v[84:85]
	v_mul_f64 v[92:93], v[82:83], v[90:91]
	v_fma_f64 v[82:83], -v[86:87], v[92:93], v[82:83]
	v_pk_mov_b32 v[86:87], v[32:33], v[32:33] op_sel:[0,1]
	s_nop 0
	v_div_fmas_f64 v[82:83], v[82:83], v[90:91], v[92:93]
	v_div_fixup_f64 v[82:83], v[82:83], v[88:89], v[84:85]
	v_mul_f64 v[84:85], v[82:83], v[82:83]
	v_fmac_f64_e32 v[86:87], s[34:35], v[84:85]
	v_pk_mov_b32 v[88:89], v[34:35], v[34:35] op_sel:[0,1]
	v_fmac_f64_e32 v[88:89], v[84:85], v[86:87]
	v_pk_mov_b32 v[86:87], v[36:37], v[36:37] op_sel:[0,1]
	;; [unrolled: 2-line block ×18, first 2 shown]
	v_fmac_f64_e32 v[86:87], v[84:85], v[88:89]
	v_cmp_gt_i32_e32 vcc, 0, v3
	v_mul_f64 v[84:85], v[84:85], v[86:87]
	v_cmp_class_f64_e64 s[58:59], v[2:3], s67
	v_cndmask_b32_e32 v2, v111, v112, vcc
	v_fmac_f64_e32 v[82:83], v[82:83], v[84:85]
	v_bfi_b32 v8, s8, v2, v5
	v_ashrrev_i32_e32 v2, 31, v3
	v_and_b32_e32 v12, 0x400921fb, v2
	v_and_b32_e32 v16, 0x54442d18, v2
	v_add_f64 v[2:3], -v[82:83], s[36:37]
	v_cndmask_b32_e64 v3, v83, v3, s[0:1]
	v_cndmask_b32_e64 v2, v82, v2, s[0:1]
	s_mov_b32 s38, s36
	v_add_f64 v[82:83], -v[2:3], s[38:39]
	v_cmp_class_f64_e64 s[56:57], v[4:5], s67
	v_cndmask_b32_e32 v1, v109, v110, vcc
	v_cndmask_b32_e32 v3, v3, v83, vcc
	;; [unrolled: 1-line block ×3, first 2 shown]
	v_cmp_eq_f64_e32 vcc, 0, v[4:5]
	v_cndmask_b32_e32 v2, v2, v16, vcc
	v_cndmask_b32_e32 v3, v3, v12, vcc
	s_and_b64 vcc, s[58:59], s[56:57]
	v_mul_f64 v[14:15], v[14:15], 0.5
	v_cndmask_b32_e32 v83, v3, v8, vcc
	v_cndmask_b32_e32 v82, v2, v1, vcc
                                        ; implicit-def: $vgpr84_vgpr85
.LBB192_128:                            ;   in Loop: Header=BB192_5 Depth=1
	s_andn2_saveexec_b64 s[54:55], s[54:55]
	s_cbranch_execz .LBB192_130
; %bb.129:                              ;   in Loop: Header=BB192_5 Depth=1
	v_max_f64 v[14:15], |v[4:5]|, |v[4:5]|
	v_max_f64 v[82:83], |v[2:3]|, |v[2:3]|
	v_max_f64 v[86:87], v[82:83], v[14:15]
	v_min_f64 v[82:83], v[82:83], v[14:15]
	v_div_scale_f64 v[88:89], s[56:57], v[86:87], v[86:87], v[82:83]
	v_rcp_f64_e32 v[90:91], v[88:89]
	v_mul_f64 v[14:15], v[84:85], 0.5
	v_mul_f64 v[14:15], v[84:85], v[14:15]
	v_cmp_class_f64_e64 s[58:59], v[2:3], s67
	v_fma_f64 v[84:85], -v[88:89], v[90:91], 1.0
	v_fmac_f64_e32 v[90:91], v[90:91], v[84:85]
	v_fma_f64 v[84:85], -v[88:89], v[90:91], 1.0
	v_fmac_f64_e32 v[90:91], v[90:91], v[84:85]
	v_div_scale_f64 v[84:85], vcc, v[82:83], v[86:87], v[82:83]
	v_mul_f64 v[92:93], v[84:85], v[90:91]
	v_fma_f64 v[84:85], -v[88:89], v[92:93], v[84:85]
	v_pk_mov_b32 v[88:89], v[34:35], v[34:35] op_sel:[0,1]
	s_nop 0
	v_div_fmas_f64 v[84:85], v[84:85], v[90:91], v[92:93]
	v_div_fixup_f64 v[82:83], v[84:85], v[86:87], v[82:83]
	v_mul_f64 v[84:85], v[82:83], v[82:83]
	v_pk_mov_b32 v[86:87], v[32:33], v[32:33] op_sel:[0,1]
	v_fmac_f64_e32 v[86:87], s[34:35], v[84:85]
	v_fmac_f64_e32 v[88:89], v[84:85], v[86:87]
	v_pk_mov_b32 v[86:87], v[36:37], v[36:37] op_sel:[0,1]
	v_fmac_f64_e32 v[86:87], v[84:85], v[88:89]
	v_pk_mov_b32 v[88:89], v[38:39], v[38:39] op_sel:[0,1]
	;; [unrolled: 2-line block ×17, first 2 shown]
	v_fmac_f64_e32 v[86:87], v[84:85], v[88:89]
	v_cmp_gt_i32_e32 vcc, 0, v3
	v_mul_f64 v[84:85], v[84:85], v[86:87]
	v_cndmask_b32_e32 v2, v111, v112, vcc
	v_fmac_f64_e32 v[82:83], v[82:83], v[84:85]
	v_bfi_b32 v8, s8, v2, v5
	v_ashrrev_i32_e32 v2, 31, v3
	v_and_b32_e32 v12, 0x400921fb, v2
	v_and_b32_e32 v16, 0x54442d18, v2
	v_add_f64 v[2:3], -v[82:83], s[36:37]
	v_cndmask_b32_e64 v3, v83, v3, s[0:1]
	v_cndmask_b32_e64 v2, v82, v2, s[0:1]
	s_mov_b32 s38, s36
	v_add_f64 v[82:83], -v[2:3], s[38:39]
	v_cmp_class_f64_e64 s[56:57], v[4:5], s67
	v_cndmask_b32_e32 v1, v109, v110, vcc
	v_cndmask_b32_e32 v3, v3, v83, vcc
	v_cndmask_b32_e32 v2, v2, v82, vcc
	v_cmp_eq_f64_e32 vcc, 0, v[4:5]
	v_cndmask_b32_e32 v2, v2, v16, vcc
	v_cndmask_b32_e32 v3, v3, v12, vcc
	s_and_b64 vcc, s[58:59], s[56:57]
	v_cndmask_b32_e32 v83, v3, v8, vcc
	v_cndmask_b32_e32 v82, v2, v1, vcc
.LBB192_130:                            ;   in Loop: Header=BB192_5 Depth=1
	s_or_b64 exec, exec, s[54:55]
.LBB192_131:                            ;   in Loop: Header=BB192_5 Depth=1
	s_or_b64 exec, exec, s[2:3]
.LBB192_132:                            ;   in Loop: Header=BB192_5 Depth=1
	s_andn2_saveexec_b64 s[54:55], s[6:7]
	s_cbranch_execz .LBB192_134
; %bb.133:                              ;   in Loop: Header=BB192_5 Depth=1
	v_div_scale_f64 v[14:15], s[2:3], s[44:45], s[44:45], v[2:3]
	v_rcp_f64_e32 v[82:83], v[14:15]
	v_div_scale_f64 v[84:85], vcc, v[2:3], s[44:45], v[2:3]
	s_mov_b32 s38, s36
	v_fma_f64 v[86:87], -v[14:15], v[82:83], 1.0
	v_fmac_f64_e32 v[82:83], v[82:83], v[86:87]
	v_fma_f64 v[86:87], -v[14:15], v[82:83], 1.0
	v_fmac_f64_e32 v[82:83], v[82:83], v[86:87]
	v_mul_f64 v[86:87], v[84:85], v[82:83]
	v_fma_f64 v[14:15], -v[14:15], v[86:87], v[84:85]
	v_div_scale_f64 v[84:85], s[2:3], s[44:45], s[44:45], v[4:5]
	v_rcp_f64_e32 v[88:89], v[84:85]
	v_div_fmas_f64 v[14:15], v[14:15], v[82:83], v[86:87]
	v_div_fixup_f64 v[14:15], v[14:15], s[44:45], v[2:3]
	v_cmp_class_f64_e64 s[6:7], v[14:15], s67
	v_fma_f64 v[82:83], -v[84:85], v[88:89], 1.0
	v_fmac_f64_e32 v[88:89], v[88:89], v[82:83]
	v_fma_f64 v[82:83], -v[84:85], v[88:89], 1.0
	v_fmac_f64_e32 v[88:89], v[88:89], v[82:83]
	v_div_scale_f64 v[82:83], vcc, v[4:5], s[44:45], v[4:5]
	v_mul_f64 v[86:87], v[82:83], v[88:89]
	v_fma_f64 v[82:83], -v[84:85], v[86:87], v[82:83]
	s_nop 1
	v_div_fmas_f64 v[82:83], v[82:83], v[88:89], v[86:87]
	v_div_fixup_f64 v[82:83], v[82:83], s[44:45], v[4:5]
	v_max_f64 v[84:85], |v[14:15]|, |v[82:83]|
	v_frexp_exp_i32_f64_e32 v1, v[84:85]
	v_sub_u32_e32 v8, 0, v1
	v_ldexp_f64 v[86:87], |v[82:83]|, v8
	v_ldexp_f64 v[84:85], |v[14:15]|, v8
	v_mul_f64 v[86:87], v[86:87], v[86:87]
	v_fmac_f64_e32 v[86:87], v[84:85], v[84:85]
	v_rsq_f64_e32 v[84:85], v[86:87]
	v_cmp_eq_f64_e32 vcc, 0, v[86:87]
	v_cmp_o_f64_e64 s[2:3], v[14:15], v[82:83]
	v_cmp_class_f64_e64 s[56:57], v[82:83], s67
	v_mul_f64 v[88:89], v[86:87], v[84:85]
	v_mul_f64 v[84:85], v[84:85], 0.5
	v_fma_f64 v[90:91], -v[84:85], v[88:89], 0.5
	v_fmac_f64_e32 v[88:89], v[88:89], v[90:91]
	v_fmac_f64_e32 v[84:85], v[84:85], v[90:91]
	v_fma_f64 v[90:91], -v[88:89], v[88:89], v[86:87]
	v_fmac_f64_e32 v[88:89], v[90:91], v[84:85]
	v_cndmask_b32_e32 v85, v89, v87, vcc
	v_cndmask_b32_e32 v84, v88, v86, vcc
	v_ldexp_f64 v[84:85], v[84:85], v1
	v_cndmask_b32_e64 v1, 0, v84, s[2:3]
	v_cndmask_b32_e64 v8, v107, v85, s[2:3]
	s_or_b64 vcc, s[6:7], s[56:57]
	v_cndmask_b32_e32 v83, v8, v114, vcc
	v_cndmask_b32_e64 v82, v1, 0, vcc
	v_frexp_mant_f64_e32 v[14:15], v[82:83]
	v_cmp_gt_f64_e64 s[6:7], s[22:23], v[14:15]
	v_cndmask_b32_e64 v19, v113, 2.0, s[6:7]
	v_mul_f64 v[14:15], v[14:15], v[18:19]
	v_add_f64 v[86:87], v[14:15], 1.0
	v_rcp_f64_e32 v[88:89], v[86:87]
	v_add_f64 v[92:93], v[86:87], -1.0
	v_add_f64 v[90:91], v[14:15], -1.0
	v_add_f64 v[14:15], v[14:15], -v[92:93]
	v_fma_f64 v[92:93], -v[86:87], v[88:89], 1.0
	v_fmac_f64_e32 v[88:89], v[92:93], v[88:89]
	v_fma_f64 v[92:93], -v[86:87], v[88:89], 1.0
	v_fmac_f64_e32 v[88:89], v[92:93], v[88:89]
	v_mul_f64 v[92:93], v[90:91], v[88:89]
	v_mul_f64 v[94:95], v[86:87], v[92:93]
	v_fma_f64 v[86:87], v[92:93], v[86:87], -v[94:95]
	v_fmac_f64_e32 v[86:87], v[92:93], v[14:15]
	v_add_f64 v[14:15], v[94:95], v[86:87]
	v_add_f64 v[96:97], v[90:91], -v[14:15]
	v_add_f64 v[94:95], v[14:15], -v[94:95]
	;; [unrolled: 1-line block ×5, first 2 shown]
	v_add_f64 v[14:15], v[86:87], v[14:15]
	v_add_f64 v[14:15], v[96:97], v[14:15]
	v_mul_f64 v[14:15], v[88:89], v[14:15]
	v_add_f64 v[86:87], v[92:93], v[14:15]
	v_add_f64 v[88:89], v[86:87], -v[92:93]
	v_add_f64 v[14:15], v[14:15], -v[88:89]
	v_mul_f64 v[88:89], v[86:87], v[86:87]
	v_pk_mov_b32 v[90:91], v[20:21], v[20:21] op_sel:[0,1]
	v_fmac_f64_e32 v[90:91], s[24:25], v[88:89]
	v_pk_mov_b32 v[92:93], v[22:23], v[22:23] op_sel:[0,1]
	v_fmac_f64_e32 v[92:93], v[88:89], v[90:91]
	;; [unrolled: 2-line block ×6, first 2 shown]
	v_ldexp_f64 v[90:91], v[86:87], 1
	v_mul_f64 v[86:87], v[86:87], v[88:89]
	v_mul_f64 v[86:87], v[86:87], v[92:93]
	v_add_f64 v[88:89], v[90:91], v[86:87]
	v_add_f64 v[90:91], v[88:89], -v[90:91]
	v_ldexp_f64 v[14:15], v[14:15], 1
	v_add_f64 v[86:87], v[86:87], -v[90:91]
	v_add_f64 v[14:15], v[14:15], v[86:87]
	v_frexp_exp_i32_f64_e32 v12, v[82:83]
	v_add_f64 v[86:87], v[88:89], v[14:15]
	v_subbrev_co_u32_e64 v12, s[6:7], 0, v12, s[6:7]
	v_add_f64 v[88:89], v[86:87], -v[88:89]
	v_add_f64 v[14:15], v[14:15], -v[88:89]
	v_cvt_f64_i32_e32 v[88:89], v12
	v_mul_f64 v[90:91], v[88:89], s[26:27]
	v_fma_f64 v[92:93], v[88:89], s[26:27], -v[90:91]
	v_fmac_f64_e32 v[92:93], s[28:29], v[88:89]
	v_add_f64 v[88:89], v[90:91], v[92:93]
	v_add_f64 v[90:91], v[88:89], -v[90:91]
	v_add_f64 v[90:91], v[92:93], -v[90:91]
	v_add_f64 v[92:93], v[88:89], v[86:87]
	v_add_f64 v[94:95], v[92:93], -v[88:89]
	v_add_f64 v[96:97], v[92:93], -v[94:95]
	;; [unrolled: 1-line block ×4, first 2 shown]
	v_add_f64 v[86:87], v[86:87], v[88:89]
	v_add_f64 v[88:89], v[90:91], v[14:15]
	v_add_f64 v[94:95], v[88:89], -v[90:91]
	v_add_f64 v[96:97], v[88:89], -v[94:95]
	v_add_f64 v[86:87], v[88:89], v[86:87]
	v_add_f64 v[90:91], v[90:91], -v[96:97]
	v_add_f64 v[14:15], v[14:15], -v[94:95]
	v_add_f64 v[88:89], v[92:93], v[86:87]
	v_add_f64 v[14:15], v[14:15], v[90:91]
	v_add_f64 v[90:91], v[88:89], -v[92:93]
	v_add_f64 v[86:87], v[86:87], -v[90:91]
	v_and_b32_e32 v85, 0x7fffffff, v85
	v_add_f64 v[14:15], v[14:15], v[86:87]
	v_cmp_eq_f64_e64 s[6:7], s[30:31], v[84:85]
	v_add_f64 v[14:15], v[88:89], v[14:15]
	s_and_b64 s[2:3], s[2:3], s[6:7]
	v_cndmask_b32_e64 v15, v15, v8, s[2:3]
	v_cndmask_b32_e64 v14, v14, v1, s[2:3]
	v_add_f64 v[14:15], v[14:15], 1.0
	v_cndmask_b32_e64 v1, v14, 0, vcc
	v_cndmask_b32_e32 v8, v15, v114, vcc
	v_max_f64 v[14:15], |v[4:5]|, |v[4:5]|
	v_max_f64 v[84:85], |v[2:3]|, |v[2:3]|
	v_max_f64 v[86:87], v[84:85], v[14:15]
	v_min_f64 v[84:85], v[84:85], v[14:15]
	v_div_scale_f64 v[88:89], s[2:3], v[86:87], v[86:87], v[84:85]
	v_rcp_f64_e32 v[90:91], v[88:89]
	v_cmp_ngt_f64_e32 vcc, 0, v[82:83]
	v_cndmask_b32_e32 v8, v107, v8, vcc
	v_cmp_nge_f64_e32 vcc, 0, v[82:83]
	v_cndmask_b32_e32 v14, 0, v1, vcc
	v_cmp_neq_f64_e32 vcc, 0, v[82:83]
	v_fma_f64 v[82:83], -v[88:89], v[90:91], 1.0
	v_fmac_f64_e32 v[90:91], v[90:91], v[82:83]
	v_fma_f64 v[82:83], -v[88:89], v[90:91], 1.0
	v_cndmask_b32_e32 v15, v108, v8, vcc
	v_fmac_f64_e32 v[90:91], v[90:91], v[82:83]
	v_div_scale_f64 v[82:83], vcc, v[84:85], v[86:87], v[84:85]
	v_mul_f64 v[92:93], v[82:83], v[90:91]
	v_fma_f64 v[82:83], -v[88:89], v[92:93], v[82:83]
	v_pk_mov_b32 v[88:89], v[34:35], v[34:35] op_sel:[0,1]
	s_nop 0
	v_div_fmas_f64 v[82:83], v[82:83], v[90:91], v[92:93]
	v_div_fixup_f64 v[82:83], v[82:83], v[86:87], v[84:85]
	v_mul_f64 v[84:85], v[82:83], v[82:83]
	v_pk_mov_b32 v[86:87], v[32:33], v[32:33] op_sel:[0,1]
	v_fmac_f64_e32 v[86:87], s[34:35], v[84:85]
	v_fmac_f64_e32 v[88:89], v[84:85], v[86:87]
	v_pk_mov_b32 v[86:87], v[36:37], v[36:37] op_sel:[0,1]
	v_fmac_f64_e32 v[86:87], v[84:85], v[88:89]
	v_pk_mov_b32 v[88:89], v[38:39], v[38:39] op_sel:[0,1]
	;; [unrolled: 2-line block ×17, first 2 shown]
	v_fmac_f64_e32 v[86:87], v[84:85], v[88:89]
	v_cmp_gt_i32_e32 vcc, 0, v3
	v_mul_f64 v[84:85], v[84:85], v[86:87]
	v_cmp_class_f64_e64 s[6:7], v[2:3], s67
	v_cndmask_b32_e32 v2, v111, v112, vcc
	v_fmac_f64_e32 v[82:83], v[82:83], v[84:85]
	v_bfi_b32 v8, s8, v2, v5
	v_ashrrev_i32_e32 v2, 31, v3
	v_and_b32_e32 v12, 0x400921fb, v2
	v_and_b32_e32 v16, 0x54442d18, v2
	v_add_f64 v[2:3], -v[82:83], s[36:37]
	v_cndmask_b32_e64 v3, v83, v3, s[0:1]
	v_cndmask_b32_e64 v2, v82, v2, s[0:1]
	v_add_f64 v[82:83], -v[2:3], s[38:39]
	v_cmp_class_f64_e64 s[2:3], v[4:5], s67
	v_cndmask_b32_e32 v1, v109, v110, vcc
	v_cndmask_b32_e32 v3, v3, v83, vcc
	;; [unrolled: 1-line block ×3, first 2 shown]
	v_cmp_eq_f64_e32 vcc, 0, v[4:5]
	v_cndmask_b32_e32 v2, v2, v16, vcc
	v_cndmask_b32_e32 v3, v3, v12, vcc
	s_and_b64 vcc, s[6:7], s[2:3]
	v_cndmask_b32_e32 v83, v3, v8, vcc
	v_cndmask_b32_e32 v82, v2, v1, vcc
.LBB192_134:                            ;   in Loop: Header=BB192_5 Depth=1
	s_or_b64 exec, exec, s[54:55]
.LBB192_135:                            ;   in Loop: Header=BB192_5 Depth=1
	s_andn2_saveexec_b64 s[0:1], s[52:53]
	s_cbranch_execz .LBB192_4
; %bb.136:                              ;   in Loop: Header=BB192_5 Depth=1
	v_cmp_nlt_f64_e64 s[2:3], |v[2:3]|, s[46:47]
	v_cmp_nlt_f64_e64 s[6:7], |v[4:5]|, s[46:47]
	s_or_b64 s[2:3], s[2:3], s[6:7]
                                        ; implicit-def: $vgpr82_vgpr83
	s_and_saveexec_b64 s[6:7], s[2:3]
	s_xor_b64 s[2:3], exec, s[6:7]
; %bb.137:                              ;   in Loop: Header=BB192_5 Depth=1
	v_mul_f64 v[82:83], v[4:5], v[4:5]
	v_fmac_f64_e32 v[82:83], v[2:3], v[2:3]
; %bb.138:                              ;   in Loop: Header=BB192_5 Depth=1
	s_andn2_saveexec_b64 s[2:3], s[2:3]
	s_cbranch_execz .LBB192_3
; %bb.139:                              ;   in Loop: Header=BB192_5 Depth=1
	v_mul_f64 v[14:15], v[4:5], 4.0
	v_mul_f64 v[2:3], v[2:3], 4.0
	v_mul_f64 v[14:15], v[14:15], v[14:15]
	v_fmac_f64_e32 v[14:15], v[2:3], v[2:3]
	v_ldexp_f64 v[82:83], v[14:15], -4
	s_branch .LBB192_3
.LBB192_140:
	s_or_b64 exec, exec, s[10:11]
	s_mov_b64 s[0:1], 0
.LBB192_141:
	s_andn2_b64 vcc, exec, s[0:1]
	s_cbranch_vccnz .LBB192_297
; %bb.142:
	v_cmp_lt_i64_e64 s[0:1], s[14:15], 1
	s_and_b64 vcc, exec, s[0:1]
	s_cbranch_vccnz .LBB192_297
; %bb.143:
	s_load_dword s0, s[4:5], 0xc5c
	v_mov_b32_e32 v2, 0x10000
	v_mov_b32_e32 v3, 0
	v_cmp_lt_u64_e32 vcc, s[14:15], v[2:3]
	s_mov_b32 s2, 0
	s_waitcnt lgkmcnt(0)
	s_and_b32 s71, s0, 0xffff
	s_and_b64 s[0:1], vcc, exec
	s_mov_b32 s20, 0x85ebc8a0
	s_mov_b32 s22, 0x4ad4b81f
	;; [unrolled: 1-line block ×15, first 2 shown]
	s_cselect_b32 s17, s15, 0
	s_cselect_b32 s16, s14, 0x10000
	s_lshl_b32 s72, s71, 1
	s_mul_i32 s73, s71, 3
	s_mov_b32 s74, s2
	s_lshl_b32 s75, s71, 2
	s_mov_b64 s[18:19], 0
	v_mov_b32_e32 v110, s2
	v_mov_b32_e32 v111, s2
	s_brev_b32 s76, -2
	s_mov_b32 s21, 0x7fd1ccf3
	s_mov_b32 s23, 0x358dee7a
	;; [unrolled: 1-line block ×9, first 2 shown]
	s_movk_i32 s77, 0x204
	s_mov_b32 s41, 0x3ff921fb
	s_mov_b32 s43, 0x400921fb
	;; [unrolled: 1-line block ×5, first 2 shown]
	s_brev_b32 s51, 4
	s_mov_b32 s53, 0x3ff71547
	v_mov_b32_e32 v18, 0x6b47b09a
	v_mov_b32_e32 v19, 0x3fc38538
	;; [unrolled: 1-line block ×59, first 2 shown]
	s_branch .LBB192_145
.LBB192_144:                            ;   in Loop: Header=BB192_145 Depth=1
	s_or_b64 exec, exec, s[0:1]
	s_add_u32 s18, s18, s75
	s_addc_u32 s19, s19, 0
	v_pk_mov_b32 v[2:3], s[14:15], s[14:15] op_sel:[0,1]
	v_cmp_ge_i64_e32 vcc, s[18:19], v[2:3]
	v_mov_b32_e32 v2, 0xffff
	v_mov_b32_e32 v3, 0
	v_cmp_gt_u64_e64 s[0:1], s[18:19], v[2:3]
	s_or_b64 s[0:1], vcc, s[0:1]
	s_and_b64 vcc, exec, s[0:1]
	s_cbranch_vccnz .LBB192_297
.LBB192_145:                            ; =>This Loop Header: Depth=1
                                        ;     Child Loop BB192_164 Depth 2
                                        ;     Child Loop BB192_198 Depth 2
                                        ;     Child Loop BB192_232 Depth 2
                                        ;     Child Loop BB192_271 Depth 2
	v_mov_b32_e32 v1, s19
	v_add_co_u32_e32 v70, vcc, s18, v0
	v_addc_co_u32_e32 v71, vcc, 0, v1, vcc
	v_pk_mov_b32 v[4:5], 0, 0
	v_cmp_gt_u64_e64 s[0:1], s[16:17], v[70:71]
	v_pk_mov_b32 v[12:13], v[4:5], v[4:5] op_sel:[0,1]
	v_pk_mov_b32 v[10:11], v[4:5], v[4:5] op_sel:[0,1]
	s_and_saveexec_b64 s[2:3], s[0:1]
	s_cbranch_execz .LBB192_147
; %bb.146:                              ;   in Loop: Header=BB192_145 Depth=1
	v_lshlrev_b64 v[2:3], 4, v[70:71]
	v_mov_b32_e32 v1, s68
	v_add_co_u32_e32 v2, vcc, s33, v2
	v_addc_co_u32_e32 v3, vcc, v1, v3, vcc
	global_load_dwordx4 v[10:13], v[2:3], off
.LBB192_147:                            ;   in Loop: Header=BB192_145 Depth=1
	s_or_b64 exec, exec, s[2:3]
	v_add_co_u32_e32 v72, vcc, s71, v70
	v_addc_co_u32_e32 v73, vcc, v71, v110, vcc
	v_cmp_gt_u64_e64 s[2:3], s[16:17], v[72:73]
	v_pk_mov_b32 v[2:3], v[4:5], v[4:5] op_sel:[0,1]
	s_and_saveexec_b64 s[4:5], s[2:3]
	s_cbranch_execz .LBB192_149
; %bb.148:                              ;   in Loop: Header=BB192_145 Depth=1
	v_lshlrev_b64 v[2:3], 4, v[72:73]
	v_mov_b32_e32 v1, s68
	v_add_co_u32_e32 v2, vcc, s33, v2
	v_addc_co_u32_e32 v3, vcc, v1, v3, vcc
	global_load_dwordx4 v[2:5], v[2:3], off
.LBB192_149:                            ;   in Loop: Header=BB192_145 Depth=1
	s_or_b64 exec, exec, s[4:5]
	v_add_co_u32_e32 v74, vcc, s72, v70
	v_addc_co_u32_e32 v75, vcc, v71, v111, vcc
	v_pk_mov_b32 v[8:9], 0, 0
	v_cmp_gt_u64_e64 s[4:5], s[16:17], v[74:75]
	v_pk_mov_b32 v[16:17], v[8:9], v[8:9] op_sel:[0,1]
	v_pk_mov_b32 v[14:15], v[8:9], v[8:9] op_sel:[0,1]
	s_and_saveexec_b64 s[6:7], s[4:5]
	s_cbranch_execz .LBB192_151
; %bb.150:                              ;   in Loop: Header=BB192_145 Depth=1
	v_lshlrev_b64 v[6:7], 4, v[74:75]
	v_mov_b32_e32 v1, s68
	v_add_co_u32_e32 v6, vcc, s33, v6
	v_addc_co_u32_e32 v7, vcc, v1, v7, vcc
	global_load_dwordx4 v[14:17], v[6:7], off
.LBB192_151:                            ;   in Loop: Header=BB192_145 Depth=1
	s_or_b64 exec, exec, s[6:7]
	v_mov_b32_e32 v1, s74
	v_add_co_u32_e32 v76, vcc, s73, v70
	v_addc_co_u32_e32 v77, vcc, v71, v1, vcc
	v_cmp_gt_u64_e64 s[6:7], s[16:17], v[76:77]
	v_pk_mov_b32 v[6:7], v[8:9], v[8:9] op_sel:[0,1]
	s_and_saveexec_b64 s[8:9], s[6:7]
	s_cbranch_execz .LBB192_153
; %bb.152:                              ;   in Loop: Header=BB192_145 Depth=1
	v_lshlrev_b64 v[6:7], 4, v[76:77]
	v_mov_b32_e32 v1, s68
	v_add_co_u32_e32 v6, vcc, s33, v6
	v_addc_co_u32_e32 v7, vcc, v1, v7, vcc
	global_load_dwordx4 v[6:9], v[6:7], off
.LBB192_153:                            ;   in Loop: Header=BB192_145 Depth=1
	s_or_b64 exec, exec, s[8:9]
	s_waitcnt vmcnt(0)
	v_cmp_o_f64_e32 vcc, v[10:11], v[12:13]
                                        ; implicit-def: $vgpr78_vgpr79
                                        ; implicit-def: $vgpr80_vgpr81
	s_and_saveexec_b64 s[8:9], vcc
	s_xor_b64 s[54:55], exec, s[8:9]
	s_cbranch_execz .LBB192_181
; %bb.154:                              ;   in Loop: Header=BB192_145 Depth=1
	v_and_b32_e32 v69, 0x7fffffff, v11
	v_and_b32_e32 v1, 0x7fffffff, v13
	v_mov_b32_e32 v84, v12
	v_cmp_lt_f64_e64 s[8:9], |v[10:11]|, |v[12:13]|
	v_cndmask_b32_e64 v83, v1, v69, s[8:9]
	v_cndmask_b32_e64 v82, v84, v10, s[8:9]
	v_cmp_nlt_f64_e32 vcc, s[20:21], v[82:83]
                                        ; implicit-def: $vgpr78_vgpr79
                                        ; implicit-def: $vgpr80_vgpr81
	s_and_saveexec_b64 s[10:11], vcc
	s_xor_b64 s[12:13], exec, s[10:11]
	s_cbranch_execz .LBB192_178
; %bb.155:                              ;   in Loop: Header=BB192_145 Depth=1
	v_cndmask_b32_e64 v87, v69, v1, s[8:9]
	v_cndmask_b32_e64 v86, v10, v84, s[8:9]
	v_cmp_neq_f64_e32 vcc, 1.0, v[86:87]
                                        ; implicit-def: $vgpr78_vgpr79
                                        ; implicit-def: $vgpr80_vgpr81
	s_and_saveexec_b64 s[10:11], vcc
	s_xor_b64 s[56:57], exec, s[10:11]
	s_cbranch_execz .LBB192_171
; %bb.156:                              ;   in Loop: Header=BB192_145 Depth=1
	v_max_f64 v[78:79], v[82:83], v[82:83]
	v_max_f64 v[80:81], v[86:87], v[86:87]
	v_min_f64 v[84:85], v[80:81], v[78:79]
	v_max_f64 v[78:79], v[80:81], v[78:79]
	v_cmp_ngt_f64_e32 vcc, s[22:23], v[84:85]
	v_cmp_nlt_f64_e64 s[10:11], s[24:25], v[78:79]
	s_and_b64 s[10:11], s[10:11], vcc
                                        ; implicit-def: $vgpr78_vgpr79
                                        ; implicit-def: $vgpr80_vgpr81
	s_and_saveexec_b64 s[58:59], s[10:11]
	s_xor_b64 s[58:59], exec, s[58:59]
	s_cbranch_execz .LBB192_168
; %bb.157:                              ;   in Loop: Header=BB192_145 Depth=1
	v_cmp_le_f64_e32 vcc, 1.0, v[86:87]
                                        ; implicit-def: $vgpr78_vgpr79
                                        ; implicit-def: $vgpr80_vgpr81
	s_and_saveexec_b64 s[10:11], vcc
	s_xor_b64 s[10:11], exec, s[10:11]
	s_cbranch_execz .LBB192_159
; %bb.158:                              ;   in Loop: Header=BB192_145 Depth=1
	v_add_f64 v[78:79], v[86:87], -1.0
	v_add_f64 v[80:81], v[86:87], 1.0
	v_mul_f64 v[80:81], v[78:79], v[80:81]
	v_fmac_f64_e32 v[80:81], v[82:83], v[82:83]
	v_add_f64 v[78:79], v[80:81], 1.0
	v_add_f64 v[82:83], v[78:79], -1.0
	v_add_f64 v[84:85], v[82:83], -v[78:79]
	v_add_f64 v[84:85], v[84:85], 1.0
	v_add_f64 v[82:83], v[80:81], -v[82:83]
	v_add_f64 v[82:83], v[82:83], v[84:85]
	v_frexp_mant_f64_e32 v[84:85], v[78:79]
	v_frexp_exp_i32_f64_e32 v1, v[78:79]
	v_cmp_gt_f64_e32 vcc, s[26:27], v[84:85]
	v_subbrev_co_u32_e32 v1, vcc, 0, v1, vcc
	v_sub_u32_e32 v69, 0, v1
	v_ldexp_f64 v[78:79], v[78:79], v69
	v_add_f64 v[84:85], v[78:79], -1.0
	v_add_f64 v[90:91], v[78:79], 1.0
	v_add_f64 v[86:87], v[84:85], 1.0
	v_add_f64 v[92:93], v[90:91], -1.0
	v_ldexp_f64 v[82:83], v[82:83], v69
	v_add_f64 v[86:87], v[78:79], -v[86:87]
	v_add_f64 v[78:79], v[78:79], -v[92:93]
	v_add_f64 v[78:79], v[82:83], v[78:79]
	v_add_f64 v[86:87], v[82:83], v[86:87]
	;; [unrolled: 1-line block ×3, first 2 shown]
	v_rcp_f64_e32 v[92:93], v[82:83]
	v_add_f64 v[88:89], v[84:85], v[86:87]
	v_add_f64 v[84:85], v[88:89], -v[84:85]
	v_add_f64 v[84:85], v[86:87], -v[84:85]
	;; [unrolled: 1-line block ×4, first 2 shown]
	v_fma_f64 v[86:87], -v[82:83], v[92:93], 1.0
	v_fmac_f64_e32 v[92:93], v[86:87], v[92:93]
	v_fma_f64 v[86:87], -v[82:83], v[92:93], 1.0
	v_fmac_f64_e32 v[92:93], v[86:87], v[92:93]
	v_mul_f64 v[86:87], v[88:89], v[92:93]
	v_mul_f64 v[90:91], v[82:83], v[86:87]
	v_fma_f64 v[94:95], v[86:87], v[82:83], -v[90:91]
	v_fmac_f64_e32 v[94:95], v[86:87], v[78:79]
	v_add_f64 v[96:97], v[90:91], v[94:95]
	v_add_f64 v[98:99], v[88:89], -v[96:97]
	v_add_f64 v[88:89], v[88:89], -v[98:99]
	;; [unrolled: 1-line block ×4, first 2 shown]
	v_add_f64 v[84:85], v[84:85], v[88:89]
	v_add_f64 v[88:89], v[90:91], -v[94:95]
	v_add_f64 v[84:85], v[88:89], v[84:85]
	v_add_f64 v[88:89], v[98:99], v[84:85]
	v_add_f64 v[90:91], v[98:99], -v[88:89]
	v_add_f64 v[84:85], v[84:85], v[90:91]
	v_mul_f64 v[90:91], v[92:93], v[88:89]
	v_mul_f64 v[94:95], v[82:83], v[90:91]
	v_fma_f64 v[82:83], v[90:91], v[82:83], -v[94:95]
	v_fmac_f64_e32 v[82:83], v[90:91], v[78:79]
	v_add_f64 v[78:79], v[94:95], v[82:83]
	v_add_f64 v[96:97], v[88:89], -v[78:79]
	v_add_f64 v[88:89], v[88:89], -v[96:97]
	;; [unrolled: 1-line block ×4, first 2 shown]
	v_add_f64 v[78:79], v[84:85], v[78:79]
	v_add_f64 v[82:83], v[94:95], -v[82:83]
	v_add_f64 v[78:79], v[82:83], v[78:79]
	v_add_f64 v[82:83], v[86:87], v[90:91]
	;; [unrolled: 1-line block ×3, first 2 shown]
	v_add_f64 v[84:85], v[82:83], -v[86:87]
	v_mul_f64 v[78:79], v[92:93], v[78:79]
	v_add_f64 v[84:85], v[90:91], -v[84:85]
	v_add_f64 v[78:79], v[84:85], v[78:79]
	v_add_f64 v[84:85], v[82:83], v[78:79]
	v_add_f64 v[82:83], v[84:85], -v[82:83]
	v_add_f64 v[78:79], v[78:79], -v[82:83]
	v_mul_f64 v[82:83], v[84:85], v[84:85]
	v_pk_mov_b32 v[86:87], v[18:19], v[18:19] op_sel:[0,1]
	v_fmac_f64_e32 v[86:87], s[28:29], v[82:83]
	v_pk_mov_b32 v[88:89], v[20:21], v[20:21] op_sel:[0,1]
	v_fmac_f64_e32 v[88:89], v[82:83], v[86:87]
	;; [unrolled: 2-line block ×6, first 2 shown]
	v_cvt_f64_i32_e32 v[86:87], v1
	v_mul_f64 v[90:91], v[86:87], s[30:31]
	v_fma_f64 v[92:93], v[86:87], s[30:31], -v[90:91]
	v_fmac_f64_e32 v[92:93], s[34:35], v[86:87]
	v_add_f64 v[86:87], v[90:91], v[92:93]
	v_add_f64 v[90:91], v[86:87], -v[90:91]
	v_mul_f64 v[82:83], v[84:85], v[82:83]
	v_add_f64 v[90:91], v[92:93], -v[90:91]
	v_ldexp_f64 v[92:93], v[84:85], 1
	v_mul_f64 v[82:83], v[82:83], v[88:89]
	v_add_f64 v[84:85], v[92:93], v[82:83]
	v_add_f64 v[88:89], v[84:85], -v[92:93]
	v_ldexp_f64 v[78:79], v[78:79], 1
	v_add_f64 v[82:83], v[82:83], -v[88:89]
	v_add_f64 v[78:79], v[78:79], v[82:83]
	v_add_f64 v[82:83], v[84:85], v[78:79]
	v_add_f64 v[84:85], v[82:83], -v[84:85]
	v_add_f64 v[78:79], v[78:79], -v[84:85]
	v_add_f64 v[84:85], v[86:87], v[82:83]
	v_add_f64 v[88:89], v[84:85], -v[86:87]
	v_add_f64 v[92:93], v[84:85], -v[88:89]
	;; [unrolled: 1-line block ×4, first 2 shown]
	v_add_f64 v[82:83], v[82:83], v[86:87]
	v_add_f64 v[86:87], v[90:91], v[78:79]
	v_add_f64 v[88:89], v[86:87], -v[90:91]
	v_add_f64 v[82:83], v[86:87], v[82:83]
	v_add_f64 v[92:93], v[86:87], -v[88:89]
	;; [unrolled: 2-line block ×3, first 2 shown]
	v_add_f64 v[78:79], v[78:79], -v[88:89]
	v_add_f64 v[84:85], v[86:87], -v[84:85]
	v_add_f64 v[78:79], v[78:79], v[90:91]
	v_add_f64 v[82:83], v[82:83], -v[84:85]
	v_add_f64 v[78:79], v[78:79], v[82:83]
	v_max_f64 v[82:83], |v[12:13]|, |v[12:13]|
	v_max_f64 v[84:85], |v[10:11]|, |v[10:11]|
	v_add_f64 v[78:79], v[86:87], v[78:79]
	v_max_f64 v[86:87], v[84:85], v[82:83]
	v_min_f64 v[82:83], v[84:85], v[82:83]
	v_div_scale_f64 v[84:85], s[60:61], v[86:87], v[86:87], v[82:83]
	v_cmp_eq_f64_e32 vcc, s[36:37], v[80:81]
	v_rcp_f64_e32 v[88:89], v[84:85]
	v_cndmask_b32_e32 v79, v79, v81, vcc
	v_cndmask_b32_e32 v78, v78, v80, vcc
	v_mul_f64 v[78:79], v[78:79], 0.5
	v_cmp_ngt_f64_e32 vcc, -1.0, v[80:81]
	v_cndmask_b32_e32 v1, v112, v79, vcc
	v_cmp_nge_f64_e32 vcc, -1.0, v[80:81]
	v_cndmask_b32_e32 v78, 0, v78, vcc
	v_cmp_neq_f64_e32 vcc, -1.0, v[80:81]
	v_fma_f64 v[80:81], -v[84:85], v[88:89], 1.0
	v_fmac_f64_e32 v[88:89], v[88:89], v[80:81]
	v_fma_f64 v[80:81], -v[84:85], v[88:89], 1.0
	v_cndmask_b32_e32 v79, v113, v1, vcc
	v_fmac_f64_e32 v[88:89], v[88:89], v[80:81]
	v_div_scale_f64 v[80:81], vcc, v[82:83], v[86:87], v[82:83]
	v_mul_f64 v[90:91], v[80:81], v[88:89]
	v_fma_f64 v[80:81], -v[84:85], v[90:91], v[80:81]
	v_pk_mov_b32 v[84:85], v[30:31], v[30:31] op_sel:[0,1]
	s_nop 0
	v_div_fmas_f64 v[80:81], v[80:81], v[88:89], v[90:91]
	v_div_fixup_f64 v[80:81], v[80:81], v[86:87], v[82:83]
	v_mul_f64 v[82:83], v[80:81], v[80:81]
	v_fmac_f64_e32 v[84:85], s[38:39], v[82:83]
	v_pk_mov_b32 v[86:87], v[32:33], v[32:33] op_sel:[0,1]
	v_fmac_f64_e32 v[86:87], v[82:83], v[84:85]
	v_pk_mov_b32 v[84:85], v[34:35], v[34:35] op_sel:[0,1]
	;; [unrolled: 2-line block ×18, first 2 shown]
	v_fmac_f64_e32 v[84:85], v[82:83], v[86:87]
	v_cmp_gt_i32_e32 vcc, 0, v11
	v_mul_f64 v[82:83], v[82:83], v[84:85]
	v_cmp_class_f64_e64 s[62:63], v[10:11], s77
	v_cndmask_b32_e32 v10, v116, v117, vcc
	v_fmac_f64_e32 v[80:81], v[80:81], v[82:83]
	v_bfi_b32 v69, s76, v10, v13
	v_ashrrev_i32_e32 v10, 31, v11
	v_and_b32_e32 v82, 0x400921fb, v10
	v_and_b32_e32 v83, 0x54442d18, v10
	v_add_f64 v[10:11], -v[80:81], s[40:41]
	v_cndmask_b32_e64 v11, v81, v11, s[8:9]
	v_cndmask_b32_e64 v10, v80, v10, s[8:9]
	s_mov_b32 s42, s40
	v_add_f64 v[80:81], -v[10:11], s[42:43]
	v_cmp_class_f64_e64 s[60:61], v[12:13], s77
	v_cndmask_b32_e32 v1, v114, v115, vcc
	v_cndmask_b32_e32 v11, v11, v81, vcc
	;; [unrolled: 1-line block ×3, first 2 shown]
	v_cmp_eq_f64_e32 vcc, 0, v[12:13]
	v_cndmask_b32_e32 v10, v10, v83, vcc
	v_cndmask_b32_e32 v11, v11, v82, vcc
	s_and_b64 vcc, s[60:61], s[62:63]
	v_cndmask_b32_e32 v81, v11, v69, vcc
	v_cndmask_b32_e32 v80, v10, v1, vcc
                                        ; implicit-def: $vgpr82_vgpr83
                                        ; implicit-def: $vgpr86_vgpr87
.LBB192_159:                            ;   in Loop: Header=BB192_145 Depth=1
	s_andn2_saveexec_b64 s[60:61], s[10:11]
	s_cbranch_execz .LBB192_167
; %bb.160:                              ;   in Loop: Header=BB192_145 Depth=1
	v_mul_f64 v[84:85], v[82:83], v[82:83]
	v_fmac_f64_e32 v[84:85], v[86:87], v[86:87]
	v_cmp_ge_f64_e32 vcc, s[44:45], v[84:85]
                                        ; implicit-def: $vgpr78_vgpr79
                                        ; implicit-def: $vgpr80_vgpr81
	s_and_saveexec_b64 s[10:11], vcc
	s_xor_b64 s[10:11], exec, s[10:11]
	s_cbranch_execz .LBB192_162
; %bb.161:                              ;   in Loop: Header=BB192_145 Depth=1
	v_frexp_mant_f64_e32 v[78:79], v[84:85]
	v_cmp_gt_f64_e32 vcc, s[26:27], v[78:79]
	v_cndmask_b32_e64 v69, v118, 2.0, vcc
	v_mul_f64 v[78:79], v[78:79], v[68:69]
	v_add_f64 v[80:81], v[78:79], 1.0
	v_rcp_f64_e32 v[82:83], v[80:81]
	v_add_f64 v[88:89], v[80:81], -1.0
	v_add_f64 v[86:87], v[78:79], -1.0
	v_add_f64 v[78:79], v[78:79], -v[88:89]
	v_fma_f64 v[88:89], -v[80:81], v[82:83], 1.0
	v_fmac_f64_e32 v[82:83], v[88:89], v[82:83]
	v_fma_f64 v[88:89], -v[80:81], v[82:83], 1.0
	v_fmac_f64_e32 v[82:83], v[88:89], v[82:83]
	v_mul_f64 v[88:89], v[86:87], v[82:83]
	v_mul_f64 v[90:91], v[80:81], v[88:89]
	v_fma_f64 v[80:81], v[88:89], v[80:81], -v[90:91]
	v_fmac_f64_e32 v[80:81], v[88:89], v[78:79]
	v_add_f64 v[78:79], v[90:91], v[80:81]
	v_add_f64 v[92:93], v[86:87], -v[78:79]
	v_add_f64 v[90:91], v[78:79], -v[90:91]
	;; [unrolled: 1-line block ×5, first 2 shown]
	v_add_f64 v[78:79], v[80:81], v[78:79]
	v_add_f64 v[78:79], v[92:93], v[78:79]
	v_mul_f64 v[78:79], v[82:83], v[78:79]
	v_add_f64 v[80:81], v[88:89], v[78:79]
	v_add_f64 v[82:83], v[80:81], -v[88:89]
	v_add_f64 v[78:79], v[78:79], -v[82:83]
	v_mul_f64 v[82:83], v[80:81], v[80:81]
	v_pk_mov_b32 v[86:87], v[18:19], v[18:19] op_sel:[0,1]
	v_fmac_f64_e32 v[86:87], s[28:29], v[82:83]
	v_pk_mov_b32 v[88:89], v[20:21], v[20:21] op_sel:[0,1]
	v_fmac_f64_e32 v[88:89], v[82:83], v[86:87]
	;; [unrolled: 2-line block ×6, first 2 shown]
	v_ldexp_f64 v[86:87], v[80:81], 1
	v_mul_f64 v[80:81], v[80:81], v[82:83]
	v_mul_f64 v[80:81], v[80:81], v[88:89]
	v_add_f64 v[82:83], v[86:87], v[80:81]
	v_add_f64 v[86:87], v[82:83], -v[86:87]
	v_ldexp_f64 v[78:79], v[78:79], 1
	v_add_f64 v[80:81], v[80:81], -v[86:87]
	v_add_f64 v[78:79], v[78:79], v[80:81]
	v_frexp_exp_i32_f64_e32 v1, v[84:85]
	v_add_f64 v[80:81], v[82:83], v[78:79]
	v_subbrev_co_u32_e32 v1, vcc, 0, v1, vcc
	v_add_f64 v[82:83], v[80:81], -v[82:83]
	v_add_f64 v[78:79], v[78:79], -v[82:83]
	v_cvt_f64_i32_e32 v[82:83], v1
	v_mul_f64 v[86:87], v[82:83], s[30:31]
	v_fma_f64 v[88:89], v[82:83], s[30:31], -v[86:87]
	v_fmac_f64_e32 v[88:89], s[34:35], v[82:83]
	v_add_f64 v[82:83], v[86:87], v[88:89]
	v_add_f64 v[86:87], v[82:83], -v[86:87]
	v_add_f64 v[86:87], v[88:89], -v[86:87]
	v_add_f64 v[88:89], v[82:83], v[80:81]
	v_add_f64 v[90:91], v[88:89], -v[82:83]
	v_add_f64 v[92:93], v[88:89], -v[90:91]
	;; [unrolled: 1-line block ×4, first 2 shown]
	v_add_f64 v[80:81], v[80:81], v[82:83]
	v_add_f64 v[82:83], v[86:87], v[78:79]
	v_add_f64 v[90:91], v[82:83], -v[86:87]
	v_add_f64 v[92:93], v[82:83], -v[90:91]
	v_add_f64 v[80:81], v[82:83], v[80:81]
	v_add_f64 v[86:87], v[86:87], -v[92:93]
	v_add_f64 v[78:79], v[78:79], -v[90:91]
	v_add_f64 v[82:83], v[88:89], v[80:81]
	v_add_f64 v[78:79], v[78:79], v[86:87]
	v_add_f64 v[86:87], v[82:83], -v[88:89]
	v_add_f64 v[80:81], v[80:81], -v[86:87]
	v_add_f64 v[78:79], v[78:79], v[80:81]
	v_add_f64 v[78:79], v[82:83], v[78:79]
	v_max_f64 v[80:81], |v[12:13]|, |v[12:13]|
	v_max_f64 v[82:83], |v[10:11]|, |v[10:11]|
	v_max_f64 v[86:87], v[82:83], v[80:81]
	v_min_f64 v[80:81], v[82:83], v[80:81]
	v_div_scale_f64 v[82:83], s[62:63], v[86:87], v[86:87], v[80:81]
	v_rcp_f64_e32 v[88:89], v[82:83]
	v_cmp_neq_f64_e32 vcc, 0, v[84:85]
	v_mul_f64 v[78:79], v[78:79], 0.5
	v_cndmask_b32_e32 v79, v113, v79, vcc
	v_fma_f64 v[84:85], -v[82:83], v[88:89], 1.0
	v_fmac_f64_e32 v[88:89], v[88:89], v[84:85]
	v_fma_f64 v[84:85], -v[82:83], v[88:89], 1.0
	v_cndmask_b32_e32 v78, 0, v78, vcc
	v_fmac_f64_e32 v[88:89], v[88:89], v[84:85]
	v_div_scale_f64 v[84:85], vcc, v[80:81], v[86:87], v[80:81]
	v_mul_f64 v[90:91], v[84:85], v[88:89]
	v_fma_f64 v[82:83], -v[82:83], v[90:91], v[84:85]
	v_pk_mov_b32 v[84:85], v[30:31], v[30:31] op_sel:[0,1]
	s_nop 0
	v_div_fmas_f64 v[82:83], v[82:83], v[88:89], v[90:91]
	v_div_fixup_f64 v[80:81], v[82:83], v[86:87], v[80:81]
	v_mul_f64 v[82:83], v[80:81], v[80:81]
	v_fmac_f64_e32 v[84:85], s[38:39], v[82:83]
	v_pk_mov_b32 v[86:87], v[32:33], v[32:33] op_sel:[0,1]
	v_fmac_f64_e32 v[86:87], v[82:83], v[84:85]
	v_pk_mov_b32 v[84:85], v[34:35], v[34:35] op_sel:[0,1]
	;; [unrolled: 2-line block ×18, first 2 shown]
	v_fmac_f64_e32 v[84:85], v[82:83], v[86:87]
	v_cmp_gt_i32_e32 vcc, 0, v11
	v_mul_f64 v[82:83], v[82:83], v[84:85]
	v_cmp_class_f64_e64 s[64:65], v[10:11], s77
	v_cndmask_b32_e32 v10, v116, v117, vcc
	v_fmac_f64_e32 v[80:81], v[80:81], v[82:83]
	v_bfi_b32 v69, s76, v10, v13
	v_ashrrev_i32_e32 v10, 31, v11
	v_and_b32_e32 v82, 0x400921fb, v10
	v_and_b32_e32 v83, 0x54442d18, v10
	v_add_f64 v[10:11], -v[80:81], s[40:41]
	v_cndmask_b32_e64 v11, v81, v11, s[8:9]
	v_cndmask_b32_e64 v10, v80, v10, s[8:9]
	s_mov_b32 s42, s40
	v_add_f64 v[80:81], -v[10:11], s[42:43]
	v_cmp_class_f64_e64 s[62:63], v[12:13], s77
	v_cndmask_b32_e32 v1, v114, v115, vcc
	v_cndmask_b32_e32 v11, v11, v81, vcc
	;; [unrolled: 1-line block ×3, first 2 shown]
	v_cmp_eq_f64_e32 vcc, 0, v[12:13]
	v_cndmask_b32_e32 v10, v10, v83, vcc
	v_cndmask_b32_e32 v11, v11, v82, vcc
	s_and_b64 vcc, s[62:63], s[64:65]
	v_cndmask_b32_e32 v81, v11, v69, vcc
	v_cndmask_b32_e32 v80, v10, v1, vcc
                                        ; implicit-def: $vgpr86_vgpr87
                                        ; implicit-def: $vgpr82_vgpr83
.LBB192_162:                            ;   in Loop: Header=BB192_145 Depth=1
	s_andn2_saveexec_b64 s[62:63], s[10:11]
	s_cbranch_execz .LBB192_166
; %bb.163:                              ;   in Loop: Header=BB192_145 Depth=1
	v_and_b32_e32 v69, 0x7ffffff8, v87
	v_add_f64 v[78:79], v[86:87], -v[68:69]
	v_and_b32_e32 v95, -8, v79
	v_mov_b32_e32 v94, v68
	v_and_b32_e32 v85, 0x7ffffff8, v83
	v_mov_b32_e32 v84, v68
	v_add_f64 v[98:99], v[78:79], -v[94:95]
	v_add_f64 v[78:79], v[82:83], -v[84:85]
	v_and_b32_e32 v97, -8, v79
	v_mov_b32_e32 v96, v68
	v_add_f64 v[88:89], v[68:69], v[68:69]
	v_add_f64 v[102:103], v[84:85], v[84:85]
	v_add_f64 v[100:101], v[78:79], -v[96:97]
	v_mul_f64 v[80:81], v[84:85], v[84:85]
	v_mul_f64 v[86:87], v[88:89], v[94:95]
	;; [unrolled: 1-line block ×5, first 2 shown]
	v_add_f64 v[94:95], v[94:95], v[94:95]
	v_add_f64 v[96:97], v[96:97], v[96:97]
	v_mul_f64 v[78:79], v[68:69], v[68:69]
	v_mul_f64 v[90:91], v[88:89], v[98:99]
	;; [unrolled: 1-line block ×7, first 2 shown]
	s_mov_b64 s[64:65], 0
.LBB192_164:                            ;   Parent Loop BB192_145 Depth=1
                                        ; =>  This Inner Loop Header: Depth=2
	v_cmp_nlt_f64_e32 vcc, v[78:79], v[80:81]
	v_cndmask_b32_e32 v103, v79, v81, vcc
	v_cndmask_b32_e32 v102, v78, v80, vcc
	v_cmp_nlt_f64_e64 s[10:11], v[102:103], v[86:87]
	v_cndmask_b32_e64 v105, v103, v87, s[10:11]
	v_cndmask_b32_e64 v104, v102, v86, s[10:11]
	v_cndmask_b32_e32 v79, v81, v79, vcc
	v_cndmask_b32_e32 v78, v80, v78, vcc
	s_and_b64 s[66:67], vcc, s[10:11]
	v_cmp_nlt_f64_e32 vcc, v[104:105], v[84:85]
	v_cndmask_b32_e64 v81, v87, v103, s[10:11]
	v_cndmask_b32_e64 v80, v86, v102, s[10:11]
	v_cndmask_b32_e32 v103, v105, v85, vcc
	v_cndmask_b32_e32 v102, v104, v84, vcc
	v_cmp_nlt_f64_e64 s[10:11], v[102:103], v[92:93]
	v_cndmask_b32_e32 v87, v85, v105, vcc
	v_cndmask_b32_e32 v86, v84, v104, vcc
	v_cndmask_b32_e64 v105, v103, v93, s[10:11]
	v_cndmask_b32_e64 v104, v102, v92, s[10:11]
	s_and_b64 s[78:79], vcc, s[10:11]
	v_cmp_nlt_f64_e32 vcc, v[104:105], v[82:83]
	v_cndmask_b32_e64 v85, v93, v103, s[10:11]
	v_cndmask_b32_e64 v84, v92, v102, s[10:11]
	v_cndmask_b32_e32 v103, v105, v83, vcc
	v_cndmask_b32_e32 v102, v104, v82, vcc
	v_cmp_nlt_f64_e64 s[10:11], v[102:103], v[90:91]
	v_cndmask_b32_e32 v93, v83, v105, vcc
	v_cndmask_b32_e32 v92, v82, v104, vcc
	v_cndmask_b32_e64 v105, v103, v91, s[10:11]
	v_cndmask_b32_e64 v104, v102, v90, s[10:11]
	;; [unrolled: 1-line block ×4, first 2 shown]
	s_and_b64 s[10:11], vcc, s[10:11]
	v_cmp_nlt_f64_e32 vcc, v[104:105], v[88:89]
	v_cndmask_b32_e32 v103, v105, v89, vcc
	v_cndmask_b32_e32 v102, v104, v88, vcc
	v_cndmask_b32_e32 v91, v89, v105, vcc
	v_cndmask_b32_e32 v90, v88, v104, vcc
	s_and_b64 s[10:11], s[10:11], vcc
	v_cmp_nlt_f64_e32 vcc, v[102:103], v[94:95]
	v_cndmask_b32_e32 v105, v103, v95, vcc
	v_cndmask_b32_e32 v104, v102, v94, vcc
	v_cndmask_b32_e32 v89, v95, v103, vcc
	v_cndmask_b32_e32 v88, v94, v102, vcc
	s_and_b64 s[10:11], s[10:11], vcc
	;; [unrolled: 6-line block ×4, first 2 shown]
	v_cmp_nlt_f64_e32 vcc, v[104:105], v[100:101]
	s_and_b64 s[10:11], s[10:11], vcc
	s_and_b64 s[10:11], s[10:11], s[78:79]
	s_and_b64 s[10:11], s[10:11], s[66:67]
	v_cndmask_b32_e32 v103, v105, v101, vcc
	v_cndmask_b32_e32 v102, v104, v100, vcc
	s_and_b64 s[10:11], exec, s[10:11]
	v_cndmask_b32_e32 v99, v101, v105, vcc
	v_cndmask_b32_e32 v98, v100, v104, vcc
	s_or_b64 s[64:65], s[10:11], s[64:65]
	v_pk_mov_b32 v[100:101], v[102:103], v[102:103] op_sel:[0,1]
	s_andn2_b64 exec, exec, s[64:65]
	s_cbranch_execnz .LBB192_164
; %bb.165:                              ;   in Loop: Header=BB192_145 Depth=1
	s_or_b64 exec, exec, s[64:65]
	v_add_f64 v[78:79], v[78:79], -1.0
	v_add_f64 v[78:79], v[78:79], v[80:81]
	v_add_f64 v[78:79], v[78:79], v[86:87]
	;; [unrolled: 1-line block ×11, first 2 shown]
	v_add_f64 v[78:79], v[80:81], 1.0
	v_add_f64 v[82:83], v[78:79], -1.0
	v_add_f64 v[84:85], v[82:83], -v[78:79]
	v_add_f64 v[84:85], v[84:85], 1.0
	v_add_f64 v[82:83], v[80:81], -v[82:83]
	v_add_f64 v[82:83], v[82:83], v[84:85]
	v_frexp_mant_f64_e32 v[84:85], v[78:79]
	v_frexp_exp_i32_f64_e32 v1, v[78:79]
	v_cmp_gt_f64_e32 vcc, s[26:27], v[84:85]
	v_subbrev_co_u32_e32 v1, vcc, 0, v1, vcc
	v_sub_u32_e32 v69, 0, v1
	v_ldexp_f64 v[78:79], v[78:79], v69
	v_add_f64 v[84:85], v[78:79], -1.0
	v_add_f64 v[90:91], v[78:79], 1.0
	v_add_f64 v[86:87], v[84:85], 1.0
	v_add_f64 v[92:93], v[90:91], -1.0
	v_ldexp_f64 v[82:83], v[82:83], v69
	v_add_f64 v[86:87], v[78:79], -v[86:87]
	v_add_f64 v[78:79], v[78:79], -v[92:93]
	v_add_f64 v[78:79], v[82:83], v[78:79]
	v_add_f64 v[86:87], v[82:83], v[86:87]
	;; [unrolled: 1-line block ×3, first 2 shown]
	v_rcp_f64_e32 v[92:93], v[82:83]
	v_add_f64 v[88:89], v[84:85], v[86:87]
	v_add_f64 v[84:85], v[88:89], -v[84:85]
	v_add_f64 v[84:85], v[86:87], -v[84:85]
	;; [unrolled: 1-line block ×4, first 2 shown]
	v_fma_f64 v[86:87], -v[82:83], v[92:93], 1.0
	v_fmac_f64_e32 v[92:93], v[86:87], v[92:93]
	v_fma_f64 v[86:87], -v[82:83], v[92:93], 1.0
	v_fmac_f64_e32 v[92:93], v[86:87], v[92:93]
	v_mul_f64 v[86:87], v[88:89], v[92:93]
	v_mul_f64 v[90:91], v[82:83], v[86:87]
	v_fma_f64 v[94:95], v[86:87], v[82:83], -v[90:91]
	v_fmac_f64_e32 v[94:95], v[86:87], v[78:79]
	v_add_f64 v[96:97], v[90:91], v[94:95]
	v_add_f64 v[98:99], v[88:89], -v[96:97]
	v_add_f64 v[88:89], v[88:89], -v[98:99]
	;; [unrolled: 1-line block ×4, first 2 shown]
	v_add_f64 v[84:85], v[84:85], v[88:89]
	v_add_f64 v[88:89], v[90:91], -v[94:95]
	v_add_f64 v[84:85], v[88:89], v[84:85]
	v_add_f64 v[88:89], v[98:99], v[84:85]
	v_add_f64 v[90:91], v[98:99], -v[88:89]
	v_add_f64 v[84:85], v[84:85], v[90:91]
	v_mul_f64 v[90:91], v[92:93], v[88:89]
	v_mul_f64 v[94:95], v[82:83], v[90:91]
	v_fma_f64 v[82:83], v[90:91], v[82:83], -v[94:95]
	v_fmac_f64_e32 v[82:83], v[90:91], v[78:79]
	v_add_f64 v[78:79], v[94:95], v[82:83]
	v_add_f64 v[96:97], v[88:89], -v[78:79]
	v_add_f64 v[88:89], v[88:89], -v[96:97]
	;; [unrolled: 1-line block ×4, first 2 shown]
	v_add_f64 v[78:79], v[84:85], v[78:79]
	v_add_f64 v[82:83], v[94:95], -v[82:83]
	v_add_f64 v[78:79], v[82:83], v[78:79]
	v_add_f64 v[82:83], v[86:87], v[90:91]
	;; [unrolled: 1-line block ×3, first 2 shown]
	v_add_f64 v[84:85], v[82:83], -v[86:87]
	v_mul_f64 v[78:79], v[92:93], v[78:79]
	v_add_f64 v[84:85], v[90:91], -v[84:85]
	v_add_f64 v[78:79], v[84:85], v[78:79]
	v_add_f64 v[84:85], v[82:83], v[78:79]
	v_add_f64 v[82:83], v[84:85], -v[82:83]
	v_add_f64 v[78:79], v[78:79], -v[82:83]
	v_mul_f64 v[82:83], v[84:85], v[84:85]
	v_pk_mov_b32 v[86:87], v[18:19], v[18:19] op_sel:[0,1]
	v_fmac_f64_e32 v[86:87], s[28:29], v[82:83]
	v_pk_mov_b32 v[88:89], v[20:21], v[20:21] op_sel:[0,1]
	v_fmac_f64_e32 v[88:89], v[82:83], v[86:87]
	;; [unrolled: 2-line block ×6, first 2 shown]
	v_cvt_f64_i32_e32 v[86:87], v1
	v_mul_f64 v[90:91], v[86:87], s[30:31]
	v_fma_f64 v[92:93], v[86:87], s[30:31], -v[90:91]
	v_fmac_f64_e32 v[92:93], s[34:35], v[86:87]
	v_add_f64 v[86:87], v[90:91], v[92:93]
	v_add_f64 v[90:91], v[86:87], -v[90:91]
	v_mul_f64 v[82:83], v[84:85], v[82:83]
	v_add_f64 v[90:91], v[92:93], -v[90:91]
	v_ldexp_f64 v[92:93], v[84:85], 1
	v_mul_f64 v[82:83], v[82:83], v[88:89]
	v_add_f64 v[84:85], v[92:93], v[82:83]
	v_add_f64 v[88:89], v[84:85], -v[92:93]
	v_ldexp_f64 v[78:79], v[78:79], 1
	v_add_f64 v[82:83], v[82:83], -v[88:89]
	v_add_f64 v[78:79], v[78:79], v[82:83]
	v_add_f64 v[82:83], v[84:85], v[78:79]
	v_add_f64 v[84:85], v[82:83], -v[84:85]
	v_add_f64 v[78:79], v[78:79], -v[84:85]
	v_add_f64 v[84:85], v[86:87], v[82:83]
	v_add_f64 v[88:89], v[84:85], -v[86:87]
	v_add_f64 v[92:93], v[84:85], -v[88:89]
	;; [unrolled: 1-line block ×4, first 2 shown]
	v_add_f64 v[82:83], v[82:83], v[86:87]
	v_add_f64 v[86:87], v[90:91], v[78:79]
	v_add_f64 v[88:89], v[86:87], -v[90:91]
	v_add_f64 v[82:83], v[86:87], v[82:83]
	v_add_f64 v[92:93], v[86:87], -v[88:89]
	;; [unrolled: 2-line block ×3, first 2 shown]
	v_add_f64 v[78:79], v[78:79], -v[88:89]
	v_add_f64 v[84:85], v[86:87], -v[84:85]
	v_add_f64 v[78:79], v[78:79], v[90:91]
	v_add_f64 v[82:83], v[82:83], -v[84:85]
	v_add_f64 v[78:79], v[78:79], v[82:83]
	v_max_f64 v[82:83], |v[12:13]|, |v[12:13]|
	v_max_f64 v[84:85], |v[10:11]|, |v[10:11]|
	v_add_f64 v[78:79], v[86:87], v[78:79]
	v_max_f64 v[86:87], v[84:85], v[82:83]
	v_min_f64 v[82:83], v[84:85], v[82:83]
	v_div_scale_f64 v[84:85], s[10:11], v[86:87], v[86:87], v[82:83]
	v_cmp_eq_f64_e32 vcc, s[36:37], v[80:81]
	v_rcp_f64_e32 v[88:89], v[84:85]
	v_cndmask_b32_e32 v79, v79, v81, vcc
	v_cndmask_b32_e32 v78, v78, v80, vcc
	v_mul_f64 v[78:79], v[78:79], 0.5
	v_cmp_ngt_f64_e32 vcc, -1.0, v[80:81]
	v_cndmask_b32_e32 v1, v112, v79, vcc
	v_cmp_nge_f64_e32 vcc, -1.0, v[80:81]
	v_cndmask_b32_e32 v78, 0, v78, vcc
	v_cmp_neq_f64_e32 vcc, -1.0, v[80:81]
	v_fma_f64 v[80:81], -v[84:85], v[88:89], 1.0
	v_fmac_f64_e32 v[88:89], v[88:89], v[80:81]
	v_fma_f64 v[80:81], -v[84:85], v[88:89], 1.0
	v_cndmask_b32_e32 v79, v113, v1, vcc
	v_fmac_f64_e32 v[88:89], v[88:89], v[80:81]
	v_div_scale_f64 v[80:81], vcc, v[82:83], v[86:87], v[82:83]
	v_mul_f64 v[90:91], v[80:81], v[88:89]
	v_fma_f64 v[80:81], -v[84:85], v[90:91], v[80:81]
	v_pk_mov_b32 v[84:85], v[30:31], v[30:31] op_sel:[0,1]
	s_nop 0
	v_div_fmas_f64 v[80:81], v[80:81], v[88:89], v[90:91]
	v_div_fixup_f64 v[80:81], v[80:81], v[86:87], v[82:83]
	v_mul_f64 v[82:83], v[80:81], v[80:81]
	v_fmac_f64_e32 v[84:85], s[38:39], v[82:83]
	v_pk_mov_b32 v[86:87], v[32:33], v[32:33] op_sel:[0,1]
	v_fmac_f64_e32 v[86:87], v[82:83], v[84:85]
	v_pk_mov_b32 v[84:85], v[34:35], v[34:35] op_sel:[0,1]
	;; [unrolled: 2-line block ×18, first 2 shown]
	v_fmac_f64_e32 v[84:85], v[82:83], v[86:87]
	v_cmp_gt_i32_e32 vcc, 0, v11
	v_mul_f64 v[82:83], v[82:83], v[84:85]
	v_cmp_class_f64_e64 s[64:65], v[10:11], s77
	v_cndmask_b32_e32 v10, v116, v117, vcc
	v_fmac_f64_e32 v[80:81], v[80:81], v[82:83]
	v_bfi_b32 v69, s76, v10, v13
	v_ashrrev_i32_e32 v10, 31, v11
	v_and_b32_e32 v82, 0x400921fb, v10
	v_and_b32_e32 v83, 0x54442d18, v10
	v_add_f64 v[10:11], -v[80:81], s[40:41]
	v_cndmask_b32_e64 v11, v81, v11, s[8:9]
	v_cndmask_b32_e64 v10, v80, v10, s[8:9]
	s_mov_b32 s42, s40
	v_add_f64 v[80:81], -v[10:11], s[42:43]
	v_cmp_class_f64_e64 s[10:11], v[12:13], s77
	v_cndmask_b32_e32 v1, v114, v115, vcc
	v_cndmask_b32_e32 v11, v11, v81, vcc
	;; [unrolled: 1-line block ×3, first 2 shown]
	v_cmp_eq_f64_e32 vcc, 0, v[12:13]
	v_cndmask_b32_e32 v10, v10, v83, vcc
	v_cndmask_b32_e32 v11, v11, v82, vcc
	s_and_b64 vcc, s[10:11], s[64:65]
	v_cndmask_b32_e32 v81, v11, v69, vcc
	v_cndmask_b32_e32 v80, v10, v1, vcc
.LBB192_166:                            ;   in Loop: Header=BB192_145 Depth=1
	s_or_b64 exec, exec, s[62:63]
.LBB192_167:                            ;   in Loop: Header=BB192_145 Depth=1
	s_or_b64 exec, exec, s[60:61]
.LBB192_168:                            ;   in Loop: Header=BB192_145 Depth=1
	s_andn2_saveexec_b64 s[58:59], s[58:59]
	s_cbranch_execz .LBB192_170
; %bb.169:                              ;   in Loop: Header=BB192_145 Depth=1
	v_max_f64 v[78:79], |v[12:13]|, |v[12:13]|
	v_max_f64 v[80:81], |v[10:11]|, |v[10:11]|
	v_max_f64 v[82:83], v[80:81], v[78:79]
	v_frexp_exp_i32_f64_e32 v1, v[82:83]
	v_sub_u32_e32 v69, 0, v1
	v_ldexp_f64 v[86:87], |v[12:13]|, v69
	v_ldexp_f64 v[84:85], |v[10:11]|, v69
	v_mul_f64 v[86:87], v[86:87], v[86:87]
	v_fmac_f64_e32 v[86:87], v[84:85], v[84:85]
	v_rsq_f64_e32 v[84:85], v[86:87]
	v_cmp_eq_f64_e32 vcc, 0, v[86:87]
	v_cmp_class_f64_e64 s[60:61], v[10:11], s77
	v_cmp_class_f64_e64 s[62:63], v[12:13], s77
	v_mul_f64 v[88:89], v[86:87], v[84:85]
	v_mul_f64 v[84:85], v[84:85], 0.5
	v_fma_f64 v[90:91], -v[84:85], v[88:89], 0.5
	v_fmac_f64_e32 v[88:89], v[88:89], v[90:91]
	v_fmac_f64_e32 v[84:85], v[84:85], v[90:91]
	v_fma_f64 v[90:91], -v[88:89], v[88:89], v[86:87]
	v_fmac_f64_e32 v[88:89], v[90:91], v[84:85]
	v_cndmask_b32_e32 v85, v89, v87, vcc
	v_cndmask_b32_e32 v84, v88, v86, vcc
	v_ldexp_f64 v[84:85], v[84:85], v1
	s_or_b64 vcc, s[62:63], s[60:61]
	v_cndmask_b32_e32 v87, v85, v119, vcc
	v_cndmask_b32_e64 v86, v84, 0, vcc
	v_frexp_mant_f64_e32 v[88:89], v[86:87]
	v_cmp_gt_f64_e64 s[10:11], s[26:27], v[88:89]
	v_cndmask_b32_e64 v69, v118, 2.0, s[10:11]
	v_mul_f64 v[88:89], v[88:89], v[68:69]
	v_add_f64 v[90:91], v[88:89], 1.0
	v_rcp_f64_e32 v[92:93], v[90:91]
	v_add_f64 v[96:97], v[90:91], -1.0
	v_add_f64 v[94:95], v[88:89], -1.0
	v_add_f64 v[88:89], v[88:89], -v[96:97]
	v_fma_f64 v[96:97], -v[90:91], v[92:93], 1.0
	v_fmac_f64_e32 v[92:93], v[96:97], v[92:93]
	v_fma_f64 v[96:97], -v[90:91], v[92:93], 1.0
	v_fmac_f64_e32 v[92:93], v[96:97], v[92:93]
	v_mul_f64 v[96:97], v[94:95], v[92:93]
	v_mul_f64 v[98:99], v[90:91], v[96:97]
	v_fma_f64 v[90:91], v[96:97], v[90:91], -v[98:99]
	v_fmac_f64_e32 v[90:91], v[96:97], v[88:89]
	v_add_f64 v[88:89], v[98:99], v[90:91]
	v_add_f64 v[100:101], v[94:95], -v[88:89]
	v_add_f64 v[98:99], v[88:89], -v[98:99]
	;; [unrolled: 1-line block ×5, first 2 shown]
	v_add_f64 v[88:89], v[90:91], v[88:89]
	v_add_f64 v[88:89], v[100:101], v[88:89]
	v_mul_f64 v[88:89], v[92:93], v[88:89]
	v_add_f64 v[90:91], v[96:97], v[88:89]
	v_add_f64 v[92:93], v[90:91], -v[96:97]
	v_add_f64 v[88:89], v[88:89], -v[92:93]
	v_mul_f64 v[92:93], v[90:91], v[90:91]
	v_pk_mov_b32 v[94:95], v[18:19], v[18:19] op_sel:[0,1]
	v_fmac_f64_e32 v[94:95], s[28:29], v[92:93]
	v_pk_mov_b32 v[96:97], v[20:21], v[20:21] op_sel:[0,1]
	v_fmac_f64_e32 v[96:97], v[92:93], v[94:95]
	;; [unrolled: 2-line block ×6, first 2 shown]
	v_ldexp_f64 v[94:95], v[90:91], 1
	v_mul_f64 v[90:91], v[90:91], v[92:93]
	v_mul_f64 v[90:91], v[90:91], v[96:97]
	v_add_f64 v[92:93], v[94:95], v[90:91]
	v_add_f64 v[94:95], v[92:93], -v[94:95]
	v_ldexp_f64 v[88:89], v[88:89], 1
	v_add_f64 v[90:91], v[90:91], -v[94:95]
	v_add_f64 v[88:89], v[88:89], v[90:91]
	v_frexp_exp_i32_f64_e32 v1, v[86:87]
	v_add_f64 v[90:91], v[92:93], v[88:89]
	v_subbrev_co_u32_e64 v1, s[10:11], 0, v1, s[10:11]
	v_add_f64 v[92:93], v[90:91], -v[92:93]
	v_add_f64 v[88:89], v[88:89], -v[92:93]
	v_cvt_f64_i32_e32 v[92:93], v1
	v_mul_f64 v[94:95], v[92:93], s[30:31]
	v_fma_f64 v[96:97], v[92:93], s[30:31], -v[94:95]
	v_fmac_f64_e32 v[96:97], s[34:35], v[92:93]
	v_add_f64 v[92:93], v[94:95], v[96:97]
	v_add_f64 v[94:95], v[92:93], -v[94:95]
	v_add_f64 v[94:95], v[96:97], -v[94:95]
	v_add_f64 v[96:97], v[92:93], v[90:91]
	v_add_f64 v[98:99], v[96:97], -v[92:93]
	v_add_f64 v[100:101], v[96:97], -v[98:99]
	;; [unrolled: 1-line block ×4, first 2 shown]
	v_add_f64 v[90:91], v[90:91], v[92:93]
	v_add_f64 v[92:93], v[94:95], v[88:89]
	v_add_f64 v[98:99], v[92:93], -v[94:95]
	v_add_f64 v[100:101], v[92:93], -v[98:99]
	v_add_f64 v[90:91], v[92:93], v[90:91]
	v_add_f64 v[94:95], v[94:95], -v[100:101]
	v_add_f64 v[88:89], v[88:89], -v[98:99]
	v_add_f64 v[92:93], v[96:97], v[90:91]
	v_add_f64 v[88:89], v[88:89], v[94:95]
	v_add_f64 v[94:95], v[92:93], -v[96:97]
	v_add_f64 v[90:91], v[90:91], -v[94:95]
	v_add_f64 v[88:89], v[88:89], v[90:91]
	v_add_f64 v[88:89], v[92:93], v[88:89]
	v_cmp_class_f64_e64 s[10:11], v[84:85], s77
	v_min_f64 v[80:81], v[80:81], v[78:79]
	v_cndmask_b32_e64 v1, v89, v85, s[10:11]
	v_cndmask_b32_e64 v10, v88, v84, s[10:11]
	v_div_scale_f64 v[84:85], s[10:11], v[82:83], v[82:83], v[80:81]
	v_rcp_f64_e32 v[88:89], v[84:85]
	v_cndmask_b32_e64 v10, v10, 0, vcc
	v_cndmask_b32_e32 v1, v1, v119, vcc
	v_cmp_ngt_f64_e32 vcc, 0, v[86:87]
	v_cndmask_b32_e32 v1, v112, v1, vcc
	v_cmp_nge_f64_e32 vcc, 0, v[86:87]
	v_cndmask_b32_e32 v78, 0, v10, vcc
	v_cmp_neq_f64_e32 vcc, 0, v[86:87]
	v_fma_f64 v[86:87], -v[84:85], v[88:89], 1.0
	v_fmac_f64_e32 v[88:89], v[88:89], v[86:87]
	v_fma_f64 v[86:87], -v[84:85], v[88:89], 1.0
	v_cndmask_b32_e32 v79, v113, v1, vcc
	v_fmac_f64_e32 v[88:89], v[88:89], v[86:87]
	v_div_scale_f64 v[86:87], vcc, v[80:81], v[82:83], v[80:81]
	v_mul_f64 v[90:91], v[86:87], v[88:89]
	v_fma_f64 v[84:85], -v[84:85], v[90:91], v[86:87]
	v_pk_mov_b32 v[86:87], v[32:33], v[32:33] op_sel:[0,1]
	s_nop 0
	v_div_fmas_f64 v[84:85], v[84:85], v[88:89], v[90:91]
	v_div_fixup_f64 v[80:81], v[84:85], v[82:83], v[80:81]
	v_mul_f64 v[82:83], v[80:81], v[80:81]
	v_pk_mov_b32 v[84:85], v[30:31], v[30:31] op_sel:[0,1]
	v_fmac_f64_e32 v[84:85], s[38:39], v[82:83]
	v_fmac_f64_e32 v[86:87], v[82:83], v[84:85]
	v_pk_mov_b32 v[84:85], v[34:35], v[34:35] op_sel:[0,1]
	v_fmac_f64_e32 v[84:85], v[82:83], v[86:87]
	v_pk_mov_b32 v[86:87], v[36:37], v[36:37] op_sel:[0,1]
	;; [unrolled: 2-line block ×17, first 2 shown]
	v_fmac_f64_e32 v[84:85], v[82:83], v[86:87]
	v_cmp_gt_i32_e32 vcc, 0, v11
	v_mul_f64 v[82:83], v[82:83], v[84:85]
	v_cndmask_b32_e32 v10, v116, v117, vcc
	v_fmac_f64_e32 v[80:81], v[80:81], v[82:83]
	v_bfi_b32 v69, s76, v10, v13
	v_ashrrev_i32_e32 v10, 31, v11
	v_and_b32_e32 v82, 0x400921fb, v10
	v_and_b32_e32 v83, 0x54442d18, v10
	v_add_f64 v[10:11], -v[80:81], s[40:41]
	v_cndmask_b32_e64 v11, v81, v11, s[8:9]
	v_cndmask_b32_e64 v10, v80, v10, s[8:9]
	s_mov_b32 s42, s40
	v_add_f64 v[80:81], -v[10:11], s[42:43]
	v_cndmask_b32_e32 v1, v114, v115, vcc
	v_cndmask_b32_e32 v11, v11, v81, vcc
	;; [unrolled: 1-line block ×3, first 2 shown]
	v_cmp_eq_f64_e32 vcc, 0, v[12:13]
	v_cndmask_b32_e32 v10, v10, v83, vcc
	v_cndmask_b32_e32 v11, v11, v82, vcc
	s_and_b64 vcc, s[62:63], s[60:61]
	v_cndmask_b32_e32 v81, v11, v69, vcc
	v_cndmask_b32_e32 v80, v10, v1, vcc
.LBB192_170:                            ;   in Loop: Header=BB192_145 Depth=1
	s_or_b64 exec, exec, s[58:59]
                                        ; implicit-def: $vgpr82_vgpr83
.LBB192_171:                            ;   in Loop: Header=BB192_145 Depth=1
	s_andn2_saveexec_b64 s[10:11], s[56:57]
	s_cbranch_execz .LBB192_177
; %bb.172:                              ;   in Loop: Header=BB192_145 Depth=1
	v_cmp_ngt_f64_e32 vcc, s[46:47], v[82:83]
                                        ; implicit-def: $vgpr78_vgpr79
                                        ; implicit-def: $vgpr80_vgpr81
	s_and_saveexec_b64 s[56:57], vcc
	s_xor_b64 s[56:57], exec, s[56:57]
	s_cbranch_execz .LBB192_174
; %bb.173:                              ;   in Loop: Header=BB192_145 Depth=1
	v_mul_f64 v[78:79], v[82:83], v[82:83]
	v_add_f64 v[80:81], v[78:79], 1.0
	v_add_f64 v[82:83], v[80:81], -1.0
	v_add_f64 v[84:85], v[82:83], -v[80:81]
	v_add_f64 v[84:85], v[84:85], 1.0
	v_add_f64 v[82:83], v[78:79], -v[82:83]
	v_add_f64 v[82:83], v[82:83], v[84:85]
	v_frexp_mant_f64_e32 v[84:85], v[80:81]
	v_frexp_exp_i32_f64_e32 v1, v[80:81]
	v_cmp_gt_f64_e32 vcc, s[26:27], v[84:85]
	v_subbrev_co_u32_e32 v1, vcc, 0, v1, vcc
	v_sub_u32_e32 v69, 0, v1
	v_ldexp_f64 v[80:81], v[80:81], v69
	v_add_f64 v[84:85], v[80:81], -1.0
	v_add_f64 v[90:91], v[80:81], 1.0
	v_add_f64 v[86:87], v[84:85], 1.0
	v_add_f64 v[92:93], v[90:91], -1.0
	v_ldexp_f64 v[82:83], v[82:83], v69
	v_add_f64 v[86:87], v[80:81], -v[86:87]
	v_add_f64 v[80:81], v[80:81], -v[92:93]
	v_add_f64 v[80:81], v[82:83], v[80:81]
	v_add_f64 v[86:87], v[82:83], v[86:87]
	;; [unrolled: 1-line block ×3, first 2 shown]
	v_rcp_f64_e32 v[92:93], v[82:83]
	v_add_f64 v[88:89], v[84:85], v[86:87]
	v_add_f64 v[84:85], v[84:85], -v[88:89]
	v_add_f64 v[84:85], v[86:87], v[84:85]
	v_add_f64 v[86:87], v[90:91], -v[82:83]
	v_add_f64 v[80:81], v[80:81], v[86:87]
	v_fma_f64 v[86:87], -v[82:83], v[92:93], 1.0
	v_fmac_f64_e32 v[92:93], v[86:87], v[92:93]
	v_fma_f64 v[86:87], -v[82:83], v[92:93], 1.0
	v_fmac_f64_e32 v[92:93], v[86:87], v[92:93]
	v_mul_f64 v[86:87], v[88:89], v[92:93]
	v_mul_f64 v[90:91], v[82:83], v[86:87]
	v_fma_f64 v[94:95], v[86:87], v[82:83], -v[90:91]
	v_fmac_f64_e32 v[94:95], v[86:87], v[80:81]
	v_add_f64 v[96:97], v[90:91], v[94:95]
	v_add_f64 v[98:99], v[88:89], -v[96:97]
	v_add_f64 v[88:89], v[88:89], -v[98:99]
	;; [unrolled: 1-line block ×4, first 2 shown]
	v_add_f64 v[84:85], v[84:85], v[88:89]
	v_add_f64 v[88:89], v[90:91], -v[94:95]
	v_add_f64 v[84:85], v[88:89], v[84:85]
	v_add_f64 v[88:89], v[98:99], v[84:85]
	v_add_f64 v[90:91], v[98:99], -v[88:89]
	v_add_f64 v[84:85], v[84:85], v[90:91]
	v_mul_f64 v[90:91], v[92:93], v[88:89]
	v_mul_f64 v[94:95], v[82:83], v[90:91]
	v_fma_f64 v[82:83], v[90:91], v[82:83], -v[94:95]
	v_fmac_f64_e32 v[82:83], v[90:91], v[80:81]
	v_add_f64 v[80:81], v[94:95], v[82:83]
	v_add_f64 v[96:97], v[88:89], -v[80:81]
	v_add_f64 v[88:89], v[88:89], -v[96:97]
	;; [unrolled: 1-line block ×4, first 2 shown]
	v_add_f64 v[80:81], v[84:85], v[80:81]
	v_add_f64 v[82:83], v[94:95], -v[82:83]
	v_add_f64 v[80:81], v[82:83], v[80:81]
	v_add_f64 v[82:83], v[86:87], v[90:91]
	;; [unrolled: 1-line block ×3, first 2 shown]
	v_add_f64 v[84:85], v[82:83], -v[86:87]
	v_mul_f64 v[80:81], v[92:93], v[80:81]
	v_add_f64 v[84:85], v[90:91], -v[84:85]
	v_add_f64 v[80:81], v[84:85], v[80:81]
	v_add_f64 v[84:85], v[82:83], v[80:81]
	v_add_f64 v[82:83], v[84:85], -v[82:83]
	v_add_f64 v[80:81], v[80:81], -v[82:83]
	v_mul_f64 v[82:83], v[84:85], v[84:85]
	v_pk_mov_b32 v[86:87], v[18:19], v[18:19] op_sel:[0,1]
	v_fmac_f64_e32 v[86:87], s[28:29], v[82:83]
	v_pk_mov_b32 v[88:89], v[20:21], v[20:21] op_sel:[0,1]
	v_fmac_f64_e32 v[88:89], v[82:83], v[86:87]
	;; [unrolled: 2-line block ×6, first 2 shown]
	v_cvt_f64_i32_e32 v[86:87], v1
	v_mul_f64 v[90:91], v[86:87], s[30:31]
	v_fma_f64 v[92:93], v[86:87], s[30:31], -v[90:91]
	v_fmac_f64_e32 v[92:93], s[34:35], v[86:87]
	v_add_f64 v[86:87], v[90:91], v[92:93]
	v_add_f64 v[90:91], v[86:87], -v[90:91]
	v_mul_f64 v[82:83], v[84:85], v[82:83]
	v_add_f64 v[90:91], v[92:93], -v[90:91]
	v_ldexp_f64 v[92:93], v[84:85], 1
	v_mul_f64 v[82:83], v[82:83], v[88:89]
	v_add_f64 v[84:85], v[92:93], v[82:83]
	v_add_f64 v[88:89], v[84:85], -v[92:93]
	v_ldexp_f64 v[80:81], v[80:81], 1
	v_add_f64 v[82:83], v[82:83], -v[88:89]
	v_add_f64 v[80:81], v[80:81], v[82:83]
	v_add_f64 v[82:83], v[84:85], v[80:81]
	v_add_f64 v[84:85], v[82:83], -v[84:85]
	v_add_f64 v[80:81], v[80:81], -v[84:85]
	v_add_f64 v[84:85], v[86:87], v[82:83]
	v_add_f64 v[88:89], v[84:85], -v[86:87]
	v_add_f64 v[92:93], v[84:85], -v[88:89]
	;; [unrolled: 1-line block ×4, first 2 shown]
	v_add_f64 v[82:83], v[82:83], v[86:87]
	v_add_f64 v[86:87], v[90:91], v[80:81]
	v_add_f64 v[88:89], v[86:87], -v[90:91]
	v_add_f64 v[82:83], v[86:87], v[82:83]
	v_add_f64 v[92:93], v[86:87], -v[88:89]
	;; [unrolled: 2-line block ×3, first 2 shown]
	v_add_f64 v[80:81], v[80:81], -v[88:89]
	v_add_f64 v[84:85], v[86:87], -v[84:85]
	v_add_f64 v[80:81], v[80:81], v[90:91]
	v_add_f64 v[82:83], v[82:83], -v[84:85]
	v_add_f64 v[80:81], v[80:81], v[82:83]
	v_max_f64 v[82:83], |v[12:13]|, |v[12:13]|
	v_max_f64 v[84:85], |v[10:11]|, |v[10:11]|
	v_add_f64 v[80:81], v[86:87], v[80:81]
	v_max_f64 v[86:87], v[84:85], v[82:83]
	v_min_f64 v[82:83], v[84:85], v[82:83]
	v_div_scale_f64 v[84:85], s[58:59], v[86:87], v[86:87], v[82:83]
	v_rcp_f64_e32 v[88:89], v[84:85]
	v_cmp_eq_f64_e32 vcc, s[36:37], v[78:79]
	v_cndmask_b32_e32 v79, v81, v79, vcc
	v_cndmask_b32_e32 v78, v80, v78, vcc
	v_fma_f64 v[80:81], -v[84:85], v[88:89], 1.0
	v_fmac_f64_e32 v[88:89], v[88:89], v[80:81]
	v_fma_f64 v[80:81], -v[84:85], v[88:89], 1.0
	v_fmac_f64_e32 v[88:89], v[88:89], v[80:81]
	v_div_scale_f64 v[80:81], vcc, v[82:83], v[86:87], v[82:83]
	v_mul_f64 v[90:91], v[80:81], v[88:89]
	v_fma_f64 v[80:81], -v[84:85], v[90:91], v[80:81]
	v_pk_mov_b32 v[84:85], v[30:31], v[30:31] op_sel:[0,1]
	s_nop 0
	v_div_fmas_f64 v[80:81], v[80:81], v[88:89], v[90:91]
	v_div_fixup_f64 v[80:81], v[80:81], v[86:87], v[82:83]
	v_mul_f64 v[82:83], v[80:81], v[80:81]
	v_fmac_f64_e32 v[84:85], s[38:39], v[82:83]
	v_pk_mov_b32 v[86:87], v[32:33], v[32:33] op_sel:[0,1]
	v_fmac_f64_e32 v[86:87], v[82:83], v[84:85]
	v_pk_mov_b32 v[84:85], v[34:35], v[34:35] op_sel:[0,1]
	;; [unrolled: 2-line block ×18, first 2 shown]
	v_fmac_f64_e32 v[84:85], v[82:83], v[86:87]
	v_cmp_gt_i32_e32 vcc, 0, v11
	v_mul_f64 v[82:83], v[82:83], v[84:85]
	v_cmp_class_f64_e64 s[60:61], v[10:11], s77
	v_cndmask_b32_e32 v10, v116, v117, vcc
	v_fmac_f64_e32 v[80:81], v[80:81], v[82:83]
	v_bfi_b32 v69, s76, v10, v13
	v_ashrrev_i32_e32 v10, 31, v11
	v_and_b32_e32 v82, 0x400921fb, v10
	v_and_b32_e32 v83, 0x54442d18, v10
	v_add_f64 v[10:11], -v[80:81], s[40:41]
	v_cndmask_b32_e64 v11, v81, v11, s[8:9]
	v_cndmask_b32_e64 v10, v80, v10, s[8:9]
	s_mov_b32 s42, s40
	v_add_f64 v[80:81], -v[10:11], s[42:43]
	v_cmp_class_f64_e64 s[58:59], v[12:13], s77
	v_cndmask_b32_e32 v1, v114, v115, vcc
	v_cndmask_b32_e32 v11, v11, v81, vcc
	;; [unrolled: 1-line block ×3, first 2 shown]
	v_cmp_eq_f64_e32 vcc, 0, v[12:13]
	v_cndmask_b32_e32 v10, v10, v83, vcc
	v_cndmask_b32_e32 v11, v11, v82, vcc
	s_and_b64 vcc, s[58:59], s[60:61]
	v_mul_f64 v[78:79], v[78:79], 0.5
	v_cndmask_b32_e32 v81, v11, v69, vcc
	v_cndmask_b32_e32 v80, v10, v1, vcc
                                        ; implicit-def: $vgpr82_vgpr83
.LBB192_174:                            ;   in Loop: Header=BB192_145 Depth=1
	s_andn2_saveexec_b64 s[56:57], s[56:57]
	s_cbranch_execz .LBB192_176
; %bb.175:                              ;   in Loop: Header=BB192_145 Depth=1
	v_max_f64 v[78:79], |v[12:13]|, |v[12:13]|
	v_max_f64 v[80:81], |v[10:11]|, |v[10:11]|
	v_max_f64 v[84:85], v[80:81], v[78:79]
	v_min_f64 v[80:81], v[80:81], v[78:79]
	v_div_scale_f64 v[86:87], s[58:59], v[84:85], v[84:85], v[80:81]
	v_rcp_f64_e32 v[88:89], v[86:87]
	v_mul_f64 v[78:79], v[82:83], 0.5
	v_mul_f64 v[78:79], v[82:83], v[78:79]
	v_cmp_class_f64_e64 s[60:61], v[10:11], s77
	v_fma_f64 v[82:83], -v[86:87], v[88:89], 1.0
	v_fmac_f64_e32 v[88:89], v[88:89], v[82:83]
	v_fma_f64 v[82:83], -v[86:87], v[88:89], 1.0
	v_fmac_f64_e32 v[88:89], v[88:89], v[82:83]
	v_div_scale_f64 v[82:83], vcc, v[80:81], v[84:85], v[80:81]
	v_mul_f64 v[90:91], v[82:83], v[88:89]
	v_fma_f64 v[82:83], -v[86:87], v[90:91], v[82:83]
	v_pk_mov_b32 v[86:87], v[32:33], v[32:33] op_sel:[0,1]
	s_nop 0
	v_div_fmas_f64 v[82:83], v[82:83], v[88:89], v[90:91]
	v_div_fixup_f64 v[80:81], v[82:83], v[84:85], v[80:81]
	v_mul_f64 v[82:83], v[80:81], v[80:81]
	v_pk_mov_b32 v[84:85], v[30:31], v[30:31] op_sel:[0,1]
	v_fmac_f64_e32 v[84:85], s[38:39], v[82:83]
	v_fmac_f64_e32 v[86:87], v[82:83], v[84:85]
	v_pk_mov_b32 v[84:85], v[34:35], v[34:35] op_sel:[0,1]
	v_fmac_f64_e32 v[84:85], v[82:83], v[86:87]
	v_pk_mov_b32 v[86:87], v[36:37], v[36:37] op_sel:[0,1]
	;; [unrolled: 2-line block ×17, first 2 shown]
	v_fmac_f64_e32 v[84:85], v[82:83], v[86:87]
	v_cmp_gt_i32_e32 vcc, 0, v11
	v_mul_f64 v[82:83], v[82:83], v[84:85]
	v_cndmask_b32_e32 v10, v116, v117, vcc
	v_fmac_f64_e32 v[80:81], v[80:81], v[82:83]
	v_bfi_b32 v69, s76, v10, v13
	v_ashrrev_i32_e32 v10, 31, v11
	v_and_b32_e32 v82, 0x400921fb, v10
	v_and_b32_e32 v83, 0x54442d18, v10
	v_add_f64 v[10:11], -v[80:81], s[40:41]
	v_cndmask_b32_e64 v11, v81, v11, s[8:9]
	v_cndmask_b32_e64 v10, v80, v10, s[8:9]
	s_mov_b32 s42, s40
	v_add_f64 v[80:81], -v[10:11], s[42:43]
	v_cmp_class_f64_e64 s[58:59], v[12:13], s77
	v_cndmask_b32_e32 v1, v114, v115, vcc
	v_cndmask_b32_e32 v11, v11, v81, vcc
	v_cndmask_b32_e32 v10, v10, v80, vcc
	v_cmp_eq_f64_e32 vcc, 0, v[12:13]
	v_cndmask_b32_e32 v10, v10, v83, vcc
	v_cndmask_b32_e32 v11, v11, v82, vcc
	s_and_b64 vcc, s[58:59], s[60:61]
	v_cndmask_b32_e32 v81, v11, v69, vcc
	v_cndmask_b32_e32 v80, v10, v1, vcc
.LBB192_176:                            ;   in Loop: Header=BB192_145 Depth=1
	s_or_b64 exec, exec, s[56:57]
.LBB192_177:                            ;   in Loop: Header=BB192_145 Depth=1
	s_or_b64 exec, exec, s[10:11]
.LBB192_178:                            ;   in Loop: Header=BB192_145 Depth=1
	s_andn2_saveexec_b64 s[56:57], s[12:13]
	s_cbranch_execz .LBB192_180
; %bb.179:                              ;   in Loop: Header=BB192_145 Depth=1
	v_div_scale_f64 v[78:79], s[10:11], s[48:49], s[48:49], v[10:11]
	v_rcp_f64_e32 v[80:81], v[78:79]
	v_div_scale_f64 v[82:83], vcc, v[10:11], s[48:49], v[10:11]
	s_mov_b32 s42, s40
	v_fma_f64 v[84:85], -v[78:79], v[80:81], 1.0
	v_fmac_f64_e32 v[80:81], v[80:81], v[84:85]
	v_fma_f64 v[84:85], -v[78:79], v[80:81], 1.0
	v_fmac_f64_e32 v[80:81], v[80:81], v[84:85]
	v_mul_f64 v[84:85], v[82:83], v[80:81]
	v_fma_f64 v[78:79], -v[78:79], v[84:85], v[82:83]
	v_div_scale_f64 v[82:83], s[10:11], s[48:49], s[48:49], v[12:13]
	v_rcp_f64_e32 v[86:87], v[82:83]
	v_div_fmas_f64 v[78:79], v[78:79], v[80:81], v[84:85]
	v_div_fixup_f64 v[78:79], v[78:79], s[48:49], v[10:11]
	v_cmp_class_f64_e64 s[12:13], v[78:79], s77
	v_fma_f64 v[80:81], -v[82:83], v[86:87], 1.0
	v_fmac_f64_e32 v[86:87], v[86:87], v[80:81]
	v_fma_f64 v[80:81], -v[82:83], v[86:87], 1.0
	v_fmac_f64_e32 v[86:87], v[86:87], v[80:81]
	v_div_scale_f64 v[80:81], vcc, v[12:13], s[48:49], v[12:13]
	v_mul_f64 v[84:85], v[80:81], v[86:87]
	v_fma_f64 v[80:81], -v[82:83], v[84:85], v[80:81]
	s_nop 1
	v_div_fmas_f64 v[80:81], v[80:81], v[86:87], v[84:85]
	v_div_fixup_f64 v[80:81], v[80:81], s[48:49], v[12:13]
	v_max_f64 v[82:83], |v[78:79]|, |v[80:81]|
	v_frexp_exp_i32_f64_e32 v1, v[82:83]
	v_sub_u32_e32 v69, 0, v1
	v_ldexp_f64 v[84:85], |v[80:81]|, v69
	v_ldexp_f64 v[82:83], |v[78:79]|, v69
	v_mul_f64 v[84:85], v[84:85], v[84:85]
	v_fmac_f64_e32 v[84:85], v[82:83], v[82:83]
	v_rsq_f64_e32 v[82:83], v[84:85]
	v_cmp_eq_f64_e32 vcc, 0, v[84:85]
	v_cmp_o_f64_e64 s[10:11], v[78:79], v[80:81]
	v_cmp_class_f64_e64 s[58:59], v[80:81], s77
	v_mul_f64 v[86:87], v[84:85], v[82:83]
	v_mul_f64 v[82:83], v[82:83], 0.5
	v_fma_f64 v[88:89], -v[82:83], v[86:87], 0.5
	v_fmac_f64_e32 v[86:87], v[86:87], v[88:89]
	v_fmac_f64_e32 v[82:83], v[82:83], v[88:89]
	v_fma_f64 v[88:89], -v[86:87], v[86:87], v[84:85]
	v_fmac_f64_e32 v[86:87], v[88:89], v[82:83]
	v_cndmask_b32_e32 v83, v87, v85, vcc
	v_cndmask_b32_e32 v82, v86, v84, vcc
	v_ldexp_f64 v[82:83], v[82:83], v1
	v_cndmask_b32_e64 v1, 0, v82, s[10:11]
	v_cndmask_b32_e64 v96, v112, v83, s[10:11]
	s_or_b64 vcc, s[58:59], s[12:13]
	v_cndmask_b32_e32 v81, v96, v119, vcc
	v_cndmask_b32_e64 v80, v1, 0, vcc
	v_frexp_mant_f64_e32 v[78:79], v[80:81]
	v_cmp_gt_f64_e64 s[12:13], s[26:27], v[78:79]
	v_cndmask_b32_e64 v69, v118, 2.0, s[12:13]
	v_frexp_exp_i32_f64_e32 v84, v[80:81]
	v_mul_f64 v[78:79], v[78:79], v[68:69]
	v_subbrev_co_u32_e64 v69, s[12:13], 0, v84, s[12:13]
	v_add_f64 v[84:85], v[78:79], 1.0
	v_rcp_f64_e32 v[86:87], v[84:85]
	v_add_f64 v[90:91], v[84:85], -1.0
	v_add_f64 v[88:89], v[78:79], -1.0
	v_add_f64 v[78:79], v[78:79], -v[90:91]
	v_fma_f64 v[90:91], -v[84:85], v[86:87], 1.0
	v_fmac_f64_e32 v[86:87], v[90:91], v[86:87]
	v_fma_f64 v[90:91], -v[84:85], v[86:87], 1.0
	v_fmac_f64_e32 v[86:87], v[90:91], v[86:87]
	v_mul_f64 v[90:91], v[88:89], v[86:87]
	v_mul_f64 v[92:93], v[84:85], v[90:91]
	v_fma_f64 v[84:85], v[90:91], v[84:85], -v[92:93]
	v_fmac_f64_e32 v[84:85], v[90:91], v[78:79]
	v_add_f64 v[78:79], v[92:93], v[84:85]
	v_add_f64 v[94:95], v[88:89], -v[78:79]
	v_add_f64 v[92:93], v[78:79], -v[92:93]
	;; [unrolled: 1-line block ×5, first 2 shown]
	v_add_f64 v[78:79], v[84:85], v[78:79]
	v_add_f64 v[78:79], v[94:95], v[78:79]
	v_mul_f64 v[78:79], v[86:87], v[78:79]
	v_add_f64 v[84:85], v[90:91], v[78:79]
	v_add_f64 v[86:87], v[84:85], -v[90:91]
	v_add_f64 v[78:79], v[78:79], -v[86:87]
	v_mul_f64 v[86:87], v[84:85], v[84:85]
	v_pk_mov_b32 v[88:89], v[18:19], v[18:19] op_sel:[0,1]
	v_fmac_f64_e32 v[88:89], s[28:29], v[86:87]
	v_pk_mov_b32 v[90:91], v[20:21], v[20:21] op_sel:[0,1]
	v_fmac_f64_e32 v[90:91], v[86:87], v[88:89]
	;; [unrolled: 2-line block ×6, first 2 shown]
	v_ldexp_f64 v[88:89], v[84:85], 1
	v_mul_f64 v[84:85], v[84:85], v[86:87]
	v_mul_f64 v[84:85], v[84:85], v[90:91]
	v_add_f64 v[86:87], v[88:89], v[84:85]
	v_add_f64 v[88:89], v[86:87], -v[88:89]
	v_ldexp_f64 v[78:79], v[78:79], 1
	v_add_f64 v[84:85], v[84:85], -v[88:89]
	v_add_f64 v[78:79], v[78:79], v[84:85]
	v_add_f64 v[84:85], v[86:87], v[78:79]
	v_add_f64 v[86:87], v[84:85], -v[86:87]
	v_add_f64 v[78:79], v[78:79], -v[86:87]
	v_cvt_f64_i32_e32 v[86:87], v69
	v_mul_f64 v[88:89], v[86:87], s[30:31]
	v_fma_f64 v[90:91], v[86:87], s[30:31], -v[88:89]
	v_fmac_f64_e32 v[90:91], s[34:35], v[86:87]
	v_add_f64 v[86:87], v[88:89], v[90:91]
	v_add_f64 v[88:89], v[86:87], -v[88:89]
	v_add_f64 v[88:89], v[90:91], -v[88:89]
	v_add_f64 v[90:91], v[86:87], v[84:85]
	v_add_f64 v[92:93], v[90:91], -v[86:87]
	v_add_f64 v[94:95], v[90:91], -v[92:93]
	;; [unrolled: 1-line block ×4, first 2 shown]
	v_add_f64 v[84:85], v[84:85], v[86:87]
	v_add_f64 v[86:87], v[88:89], v[78:79]
	v_add_f64 v[92:93], v[86:87], -v[88:89]
	v_add_f64 v[94:95], v[86:87], -v[92:93]
	v_add_f64 v[84:85], v[86:87], v[84:85]
	v_add_f64 v[88:89], v[88:89], -v[94:95]
	v_add_f64 v[78:79], v[78:79], -v[92:93]
	v_add_f64 v[86:87], v[90:91], v[84:85]
	v_add_f64 v[78:79], v[78:79], v[88:89]
	v_add_f64 v[88:89], v[86:87], -v[90:91]
	v_add_f64 v[84:85], v[84:85], -v[88:89]
	v_and_b32_e32 v83, 0x7fffffff, v83
	v_add_f64 v[78:79], v[78:79], v[84:85]
	v_cmp_eq_f64_e64 s[12:13], s[36:37], v[82:83]
	v_add_f64 v[78:79], v[86:87], v[78:79]
	s_and_b64 s[10:11], s[10:11], s[12:13]
	v_cndmask_b32_e64 v79, v79, v96, s[10:11]
	v_cndmask_b32_e64 v78, v78, v1, s[10:11]
	v_add_f64 v[78:79], v[78:79], 1.0
	v_cndmask_b32_e64 v1, v78, 0, vcc
	v_cndmask_b32_e32 v69, v79, v119, vcc
	v_max_f64 v[78:79], |v[12:13]|, |v[12:13]|
	v_max_f64 v[82:83], |v[10:11]|, |v[10:11]|
	v_max_f64 v[84:85], v[82:83], v[78:79]
	v_min_f64 v[82:83], v[82:83], v[78:79]
	v_div_scale_f64 v[86:87], s[10:11], v[84:85], v[84:85], v[82:83]
	v_rcp_f64_e32 v[88:89], v[86:87]
	v_cmp_ngt_f64_e32 vcc, 0, v[80:81]
	v_cndmask_b32_e32 v69, v112, v69, vcc
	v_cmp_nge_f64_e32 vcc, 0, v[80:81]
	v_cndmask_b32_e32 v78, 0, v1, vcc
	v_cmp_neq_f64_e32 vcc, 0, v[80:81]
	v_fma_f64 v[80:81], -v[86:87], v[88:89], 1.0
	v_fmac_f64_e32 v[88:89], v[88:89], v[80:81]
	v_fma_f64 v[80:81], -v[86:87], v[88:89], 1.0
	v_cndmask_b32_e32 v79, v113, v69, vcc
	v_fmac_f64_e32 v[88:89], v[88:89], v[80:81]
	v_div_scale_f64 v[80:81], vcc, v[82:83], v[84:85], v[82:83]
	v_mul_f64 v[90:91], v[80:81], v[88:89]
	v_fma_f64 v[80:81], -v[86:87], v[90:91], v[80:81]
	v_pk_mov_b32 v[86:87], v[32:33], v[32:33] op_sel:[0,1]
	s_nop 0
	v_div_fmas_f64 v[80:81], v[80:81], v[88:89], v[90:91]
	v_div_fixup_f64 v[80:81], v[80:81], v[84:85], v[82:83]
	v_mul_f64 v[82:83], v[80:81], v[80:81]
	v_pk_mov_b32 v[84:85], v[30:31], v[30:31] op_sel:[0,1]
	v_fmac_f64_e32 v[84:85], s[38:39], v[82:83]
	v_fmac_f64_e32 v[86:87], v[82:83], v[84:85]
	v_pk_mov_b32 v[84:85], v[34:35], v[34:35] op_sel:[0,1]
	v_fmac_f64_e32 v[84:85], v[82:83], v[86:87]
	v_pk_mov_b32 v[86:87], v[36:37], v[36:37] op_sel:[0,1]
	;; [unrolled: 2-line block ×17, first 2 shown]
	v_fmac_f64_e32 v[84:85], v[82:83], v[86:87]
	v_cmp_gt_i32_e32 vcc, 0, v11
	v_mul_f64 v[82:83], v[82:83], v[84:85]
	v_cmp_class_f64_e64 s[12:13], v[10:11], s77
	v_cndmask_b32_e32 v10, v116, v117, vcc
	v_fmac_f64_e32 v[80:81], v[80:81], v[82:83]
	v_bfi_b32 v69, s76, v10, v13
	v_ashrrev_i32_e32 v10, 31, v11
	v_and_b32_e32 v82, 0x400921fb, v10
	v_and_b32_e32 v83, 0x54442d18, v10
	v_add_f64 v[10:11], -v[80:81], s[40:41]
	v_cndmask_b32_e64 v11, v81, v11, s[8:9]
	v_cndmask_b32_e64 v10, v80, v10, s[8:9]
	v_add_f64 v[80:81], -v[10:11], s[42:43]
	v_cmp_class_f64_e64 s[10:11], v[12:13], s77
	v_cndmask_b32_e32 v1, v114, v115, vcc
	v_cndmask_b32_e32 v11, v11, v81, vcc
	;; [unrolled: 1-line block ×3, first 2 shown]
	v_cmp_eq_f64_e32 vcc, 0, v[12:13]
	v_cndmask_b32_e32 v10, v10, v83, vcc
	v_cndmask_b32_e32 v11, v11, v82, vcc
	s_and_b64 vcc, s[10:11], s[12:13]
	v_cndmask_b32_e32 v81, v11, v69, vcc
	v_cndmask_b32_e32 v80, v10, v1, vcc
.LBB192_180:                            ;   in Loop: Header=BB192_145 Depth=1
	s_or_b64 exec, exec, s[56:57]
.LBB192_181:                            ;   in Loop: Header=BB192_145 Depth=1
	s_andn2_saveexec_b64 s[8:9], s[54:55]
	s_cbranch_execz .LBB192_187
; %bb.182:                              ;   in Loop: Header=BB192_145 Depth=1
	v_cmp_nlt_f64_e64 s[10:11], |v[10:11]|, s[50:51]
	v_cmp_nlt_f64_e64 s[12:13], |v[12:13]|, s[50:51]
	s_or_b64 s[10:11], s[12:13], s[10:11]
                                        ; implicit-def: $vgpr80_vgpr81
	s_and_saveexec_b64 s[12:13], s[10:11]
	s_xor_b64 s[10:11], exec, s[12:13]
; %bb.183:                              ;   in Loop: Header=BB192_145 Depth=1
	v_mul_f64 v[80:81], v[10:11], v[10:11]
	v_fmac_f64_e32 v[80:81], v[12:13], v[12:13]
; %bb.184:                              ;   in Loop: Header=BB192_145 Depth=1
	s_andn2_saveexec_b64 s[10:11], s[10:11]
; %bb.185:                              ;   in Loop: Header=BB192_145 Depth=1
	v_mul_f64 v[10:11], v[10:11], 4.0
	v_mul_f64 v[78:79], v[12:13], 4.0
	v_mul_f64 v[10:11], v[10:11], v[10:11]
	v_fmac_f64_e32 v[10:11], v[78:79], v[78:79]
	v_ldexp_f64 v[80:81], v[10:11], -4
; %bb.186:                              ;   in Loop: Header=BB192_145 Depth=1
	s_or_b64 exec, exec, s[10:11]
	v_frexp_mant_f64_e32 v[10:11], v[80:81]
	v_cmp_gt_f64_e32 vcc, s[26:27], v[10:11]
	v_cndmask_b32_e64 v69, v118, 2.0, vcc
	v_mul_f64 v[10:11], v[10:11], v[68:69]
	v_add_f64 v[78:79], v[10:11], 1.0
	v_rcp_f64_e32 v[82:83], v[78:79]
	v_add_f64 v[86:87], v[78:79], -1.0
	v_add_f64 v[84:85], v[10:11], -1.0
	v_add_f64 v[10:11], v[10:11], -v[86:87]
	v_fma_f64 v[86:87], -v[78:79], v[82:83], 1.0
	v_fmac_f64_e32 v[82:83], v[86:87], v[82:83]
	v_fma_f64 v[86:87], -v[78:79], v[82:83], 1.0
	v_fmac_f64_e32 v[82:83], v[86:87], v[82:83]
	v_mul_f64 v[86:87], v[84:85], v[82:83]
	v_mul_f64 v[88:89], v[78:79], v[86:87]
	v_fma_f64 v[78:79], v[86:87], v[78:79], -v[88:89]
	v_fmac_f64_e32 v[78:79], v[86:87], v[10:11]
	v_add_f64 v[10:11], v[88:89], v[78:79]
	v_add_f64 v[90:91], v[84:85], -v[10:11]
	v_add_f64 v[88:89], v[10:11], -v[88:89]
	;; [unrolled: 1-line block ×5, first 2 shown]
	v_add_f64 v[10:11], v[78:79], v[10:11]
	v_add_f64 v[10:11], v[90:91], v[10:11]
	v_mul_f64 v[10:11], v[82:83], v[10:11]
	v_add_f64 v[78:79], v[86:87], v[10:11]
	v_add_f64 v[82:83], v[78:79], -v[86:87]
	v_add_f64 v[10:11], v[10:11], -v[82:83]
	v_mul_f64 v[82:83], v[78:79], v[78:79]
	v_pk_mov_b32 v[84:85], v[18:19], v[18:19] op_sel:[0,1]
	v_fmac_f64_e32 v[84:85], s[28:29], v[82:83]
	v_pk_mov_b32 v[86:87], v[20:21], v[20:21] op_sel:[0,1]
	v_fmac_f64_e32 v[86:87], v[82:83], v[84:85]
	;; [unrolled: 2-line block ×6, first 2 shown]
	v_ldexp_f64 v[84:85], v[78:79], 1
	v_mul_f64 v[78:79], v[78:79], v[82:83]
	v_mul_f64 v[78:79], v[78:79], v[86:87]
	v_add_f64 v[82:83], v[84:85], v[78:79]
	v_add_f64 v[84:85], v[82:83], -v[84:85]
	v_ldexp_f64 v[10:11], v[10:11], 1
	v_add_f64 v[78:79], v[78:79], -v[84:85]
	v_add_f64 v[10:11], v[10:11], v[78:79]
	v_frexp_exp_i32_f64_e32 v1, v[80:81]
	v_add_f64 v[78:79], v[82:83], v[10:11]
	v_subbrev_co_u32_e32 v1, vcc, 0, v1, vcc
	v_add_f64 v[82:83], v[78:79], -v[82:83]
	v_add_f64 v[10:11], v[10:11], -v[82:83]
	v_cvt_f64_i32_e32 v[82:83], v1
	v_mul_f64 v[84:85], v[82:83], s[30:31]
	v_fma_f64 v[86:87], v[82:83], s[30:31], -v[84:85]
	v_fmac_f64_e32 v[86:87], s[34:35], v[82:83]
	v_add_f64 v[82:83], v[84:85], v[86:87]
	v_add_f64 v[84:85], v[82:83], -v[84:85]
	v_add_f64 v[84:85], v[86:87], -v[84:85]
	v_add_f64 v[86:87], v[82:83], v[78:79]
	v_add_f64 v[88:89], v[86:87], -v[82:83]
	v_add_f64 v[90:91], v[86:87], -v[88:89]
	;; [unrolled: 1-line block ×4, first 2 shown]
	v_add_f64 v[78:79], v[78:79], v[82:83]
	v_add_f64 v[82:83], v[84:85], v[10:11]
	v_add_f64 v[88:89], v[82:83], -v[84:85]
	v_add_f64 v[90:91], v[82:83], -v[88:89]
	v_add_f64 v[78:79], v[82:83], v[78:79]
	v_add_f64 v[84:85], v[84:85], -v[90:91]
	v_add_f64 v[10:11], v[10:11], -v[88:89]
	v_add_f64 v[82:83], v[86:87], v[78:79]
	v_add_f64 v[10:11], v[10:11], v[84:85]
	v_add_f64 v[84:85], v[82:83], -v[86:87]
	v_add_f64 v[78:79], v[78:79], -v[84:85]
	v_add_f64 v[10:11], v[10:11], v[78:79]
	v_add_f64 v[10:11], v[82:83], v[10:11]
	v_cmp_class_f64_e64 vcc, v[80:81], s77
	v_cndmask_b32_e32 v1, v10, v80, vcc
	v_cndmask_b32_e32 v10, v11, v81, vcc
	v_cmp_ngt_f64_e32 vcc, 0, v[80:81]
	v_cndmask_b32_e32 v10, v112, v10, vcc
	v_cmp_nge_f64_e32 vcc, 0, v[80:81]
	v_cndmask_b32_e32 v78, 0, v1, vcc
	v_cmp_neq_f64_e32 vcc, 0, v[80:81]
	v_mov_b32_e32 v80, 0
	v_cndmask_b32_e32 v79, v113, v10, vcc
	v_mov_b32_e32 v81, 0x7ff80000
.LBB192_187:                            ;   in Loop: Header=BB192_145 Depth=1
	s_or_b64 exec, exec, s[8:9]
	v_cmp_o_f64_e32 vcc, v[2:3], v[4:5]
                                        ; implicit-def: $vgpr10_vgpr11
                                        ; implicit-def: $vgpr82_vgpr83
	s_and_saveexec_b64 s[8:9], vcc
	s_xor_b64 s[54:55], exec, s[8:9]
	s_cbranch_execz .LBB192_215
; %bb.188:                              ;   in Loop: Header=BB192_145 Depth=1
	v_and_b32_e32 v69, 0x7fffffff, v3
	v_and_b32_e32 v1, 0x7fffffff, v5
	v_mov_b32_e32 v12, v4
	v_cmp_lt_f64_e64 s[8:9], |v[2:3]|, |v[4:5]|
	v_cndmask_b32_e64 v85, v1, v69, s[8:9]
	v_cndmask_b32_e64 v84, v12, v2, s[8:9]
	v_cmp_nlt_f64_e32 vcc, s[20:21], v[84:85]
                                        ; implicit-def: $vgpr10_vgpr11
                                        ; implicit-def: $vgpr82_vgpr83
	s_and_saveexec_b64 s[10:11], vcc
	s_xor_b64 s[12:13], exec, s[10:11]
	s_cbranch_execz .LBB192_212
; %bb.189:                              ;   in Loop: Header=BB192_145 Depth=1
	v_cndmask_b32_e64 v89, v69, v1, s[8:9]
	v_cndmask_b32_e64 v88, v2, v12, s[8:9]
	v_cmp_neq_f64_e32 vcc, 1.0, v[88:89]
                                        ; implicit-def: $vgpr10_vgpr11
                                        ; implicit-def: $vgpr82_vgpr83
	s_and_saveexec_b64 s[10:11], vcc
	s_xor_b64 s[56:57], exec, s[10:11]
	s_cbranch_execz .LBB192_205
; %bb.190:                              ;   in Loop: Header=BB192_145 Depth=1
	v_max_f64 v[10:11], v[84:85], v[84:85]
	v_max_f64 v[82:83], v[88:89], v[88:89]
	v_min_f64 v[86:87], v[82:83], v[10:11]
	v_max_f64 v[10:11], v[82:83], v[10:11]
	v_cmp_ngt_f64_e32 vcc, s[22:23], v[86:87]
	v_cmp_nlt_f64_e64 s[10:11], s[24:25], v[10:11]
	s_and_b64 s[10:11], s[10:11], vcc
                                        ; implicit-def: $vgpr10_vgpr11
                                        ; implicit-def: $vgpr82_vgpr83
	s_and_saveexec_b64 s[58:59], s[10:11]
	s_xor_b64 s[58:59], exec, s[58:59]
	s_cbranch_execz .LBB192_202
; %bb.191:                              ;   in Loop: Header=BB192_145 Depth=1
	v_cmp_le_f64_e32 vcc, 1.0, v[88:89]
                                        ; implicit-def: $vgpr10_vgpr11
                                        ; implicit-def: $vgpr82_vgpr83
	s_and_saveexec_b64 s[10:11], vcc
	s_xor_b64 s[10:11], exec, s[10:11]
	s_cbranch_execz .LBB192_193
; %bb.192:                              ;   in Loop: Header=BB192_145 Depth=1
	v_add_f64 v[10:11], v[88:89], -1.0
	v_add_f64 v[82:83], v[88:89], 1.0
	v_mul_f64 v[82:83], v[10:11], v[82:83]
	v_fmac_f64_e32 v[82:83], v[84:85], v[84:85]
	v_add_f64 v[10:11], v[82:83], 1.0
	v_add_f64 v[84:85], v[10:11], -1.0
	v_add_f64 v[86:87], v[84:85], -v[10:11]
	v_add_f64 v[86:87], v[86:87], 1.0
	v_add_f64 v[84:85], v[82:83], -v[84:85]
	v_add_f64 v[84:85], v[84:85], v[86:87]
	v_frexp_mant_f64_e32 v[86:87], v[10:11]
	v_frexp_exp_i32_f64_e32 v1, v[10:11]
	v_cmp_gt_f64_e32 vcc, s[26:27], v[86:87]
	v_subbrev_co_u32_e32 v1, vcc, 0, v1, vcc
	v_sub_u32_e32 v12, 0, v1
	v_ldexp_f64 v[10:11], v[10:11], v12
	v_add_f64 v[86:87], v[10:11], -1.0
	v_add_f64 v[92:93], v[10:11], 1.0
	v_add_f64 v[88:89], v[86:87], 1.0
	v_add_f64 v[94:95], v[92:93], -1.0
	v_ldexp_f64 v[84:85], v[84:85], v12
	v_add_f64 v[88:89], v[10:11], -v[88:89]
	v_add_f64 v[10:11], v[10:11], -v[94:95]
	v_add_f64 v[10:11], v[84:85], v[10:11]
	v_add_f64 v[88:89], v[84:85], v[88:89]
	;; [unrolled: 1-line block ×3, first 2 shown]
	v_rcp_f64_e32 v[94:95], v[84:85]
	v_add_f64 v[90:91], v[86:87], v[88:89]
	v_add_f64 v[86:87], v[90:91], -v[86:87]
	v_add_f64 v[86:87], v[88:89], -v[86:87]
	;; [unrolled: 1-line block ×4, first 2 shown]
	v_fma_f64 v[88:89], -v[84:85], v[94:95], 1.0
	v_fmac_f64_e32 v[94:95], v[88:89], v[94:95]
	v_fma_f64 v[88:89], -v[84:85], v[94:95], 1.0
	v_fmac_f64_e32 v[94:95], v[88:89], v[94:95]
	v_mul_f64 v[88:89], v[90:91], v[94:95]
	v_mul_f64 v[92:93], v[84:85], v[88:89]
	v_fma_f64 v[96:97], v[88:89], v[84:85], -v[92:93]
	v_fmac_f64_e32 v[96:97], v[88:89], v[10:11]
	v_add_f64 v[98:99], v[92:93], v[96:97]
	v_add_f64 v[100:101], v[90:91], -v[98:99]
	v_add_f64 v[90:91], v[90:91], -v[100:101]
	;; [unrolled: 1-line block ×4, first 2 shown]
	v_add_f64 v[86:87], v[86:87], v[90:91]
	v_add_f64 v[90:91], v[92:93], -v[96:97]
	v_add_f64 v[86:87], v[90:91], v[86:87]
	v_add_f64 v[90:91], v[100:101], v[86:87]
	v_add_f64 v[92:93], v[100:101], -v[90:91]
	v_add_f64 v[86:87], v[86:87], v[92:93]
	v_mul_f64 v[92:93], v[94:95], v[90:91]
	v_mul_f64 v[96:97], v[84:85], v[92:93]
	v_fma_f64 v[84:85], v[92:93], v[84:85], -v[96:97]
	v_fmac_f64_e32 v[84:85], v[92:93], v[10:11]
	v_add_f64 v[10:11], v[96:97], v[84:85]
	v_add_f64 v[98:99], v[90:91], -v[10:11]
	v_add_f64 v[90:91], v[90:91], -v[98:99]
	;; [unrolled: 1-line block ×4, first 2 shown]
	v_add_f64 v[10:11], v[86:87], v[10:11]
	v_add_f64 v[84:85], v[96:97], -v[84:85]
	v_add_f64 v[10:11], v[84:85], v[10:11]
	v_add_f64 v[84:85], v[88:89], v[92:93]
	;; [unrolled: 1-line block ×3, first 2 shown]
	v_add_f64 v[86:87], v[84:85], -v[88:89]
	v_mul_f64 v[10:11], v[94:95], v[10:11]
	v_add_f64 v[86:87], v[92:93], -v[86:87]
	v_add_f64 v[10:11], v[86:87], v[10:11]
	v_add_f64 v[86:87], v[84:85], v[10:11]
	v_add_f64 v[84:85], v[86:87], -v[84:85]
	v_add_f64 v[10:11], v[10:11], -v[84:85]
	v_mul_f64 v[84:85], v[86:87], v[86:87]
	v_pk_mov_b32 v[88:89], v[18:19], v[18:19] op_sel:[0,1]
	v_fmac_f64_e32 v[88:89], s[28:29], v[84:85]
	v_pk_mov_b32 v[90:91], v[20:21], v[20:21] op_sel:[0,1]
	v_fmac_f64_e32 v[90:91], v[84:85], v[88:89]
	;; [unrolled: 2-line block ×6, first 2 shown]
	v_cvt_f64_i32_e32 v[88:89], v1
	v_mul_f64 v[92:93], v[88:89], s[30:31]
	v_fma_f64 v[94:95], v[88:89], s[30:31], -v[92:93]
	v_fmac_f64_e32 v[94:95], s[34:35], v[88:89]
	v_add_f64 v[88:89], v[92:93], v[94:95]
	v_add_f64 v[92:93], v[88:89], -v[92:93]
	v_mul_f64 v[84:85], v[86:87], v[84:85]
	v_add_f64 v[92:93], v[94:95], -v[92:93]
	v_ldexp_f64 v[94:95], v[86:87], 1
	v_mul_f64 v[84:85], v[84:85], v[90:91]
	v_add_f64 v[86:87], v[94:95], v[84:85]
	v_add_f64 v[90:91], v[86:87], -v[94:95]
	v_ldexp_f64 v[10:11], v[10:11], 1
	v_add_f64 v[84:85], v[84:85], -v[90:91]
	v_add_f64 v[10:11], v[10:11], v[84:85]
	v_add_f64 v[84:85], v[86:87], v[10:11]
	v_add_f64 v[86:87], v[84:85], -v[86:87]
	v_add_f64 v[10:11], v[10:11], -v[86:87]
	v_add_f64 v[86:87], v[88:89], v[84:85]
	v_add_f64 v[90:91], v[86:87], -v[88:89]
	v_add_f64 v[94:95], v[86:87], -v[90:91]
	;; [unrolled: 1-line block ×4, first 2 shown]
	v_add_f64 v[84:85], v[84:85], v[88:89]
	v_add_f64 v[88:89], v[92:93], v[10:11]
	v_add_f64 v[90:91], v[88:89], -v[92:93]
	v_add_f64 v[84:85], v[88:89], v[84:85]
	v_add_f64 v[94:95], v[88:89], -v[90:91]
	;; [unrolled: 2-line block ×3, first 2 shown]
	v_add_f64 v[10:11], v[10:11], -v[90:91]
	v_add_f64 v[86:87], v[88:89], -v[86:87]
	v_add_f64 v[10:11], v[10:11], v[92:93]
	v_add_f64 v[84:85], v[84:85], -v[86:87]
	v_add_f64 v[10:11], v[10:11], v[84:85]
	v_max_f64 v[84:85], |v[4:5]|, |v[4:5]|
	v_max_f64 v[86:87], |v[2:3]|, |v[2:3]|
	v_add_f64 v[10:11], v[88:89], v[10:11]
	v_max_f64 v[88:89], v[86:87], v[84:85]
	v_min_f64 v[84:85], v[86:87], v[84:85]
	v_div_scale_f64 v[86:87], s[60:61], v[88:89], v[88:89], v[84:85]
	v_cmp_eq_f64_e32 vcc, s[36:37], v[82:83]
	v_rcp_f64_e32 v[90:91], v[86:87]
	v_cndmask_b32_e32 v11, v11, v83, vcc
	v_cndmask_b32_e32 v10, v10, v82, vcc
	v_mul_f64 v[10:11], v[10:11], 0.5
	v_cmp_ngt_f64_e32 vcc, -1.0, v[82:83]
	v_cndmask_b32_e32 v1, v112, v11, vcc
	v_cmp_nge_f64_e32 vcc, -1.0, v[82:83]
	v_cndmask_b32_e32 v10, 0, v10, vcc
	v_cmp_neq_f64_e32 vcc, -1.0, v[82:83]
	v_fma_f64 v[82:83], -v[86:87], v[90:91], 1.0
	v_fmac_f64_e32 v[90:91], v[90:91], v[82:83]
	v_fma_f64 v[82:83], -v[86:87], v[90:91], 1.0
	v_cndmask_b32_e32 v11, v113, v1, vcc
	v_fmac_f64_e32 v[90:91], v[90:91], v[82:83]
	v_div_scale_f64 v[82:83], vcc, v[84:85], v[88:89], v[84:85]
	v_mul_f64 v[92:93], v[82:83], v[90:91]
	v_fma_f64 v[82:83], -v[86:87], v[92:93], v[82:83]
	v_pk_mov_b32 v[86:87], v[30:31], v[30:31] op_sel:[0,1]
	s_nop 0
	v_div_fmas_f64 v[82:83], v[82:83], v[90:91], v[92:93]
	v_div_fixup_f64 v[82:83], v[82:83], v[88:89], v[84:85]
	v_mul_f64 v[84:85], v[82:83], v[82:83]
	v_fmac_f64_e32 v[86:87], s[38:39], v[84:85]
	v_pk_mov_b32 v[88:89], v[32:33], v[32:33] op_sel:[0,1]
	v_fmac_f64_e32 v[88:89], v[84:85], v[86:87]
	v_pk_mov_b32 v[86:87], v[34:35], v[34:35] op_sel:[0,1]
	;; [unrolled: 2-line block ×18, first 2 shown]
	v_fmac_f64_e32 v[86:87], v[84:85], v[88:89]
	v_cmp_gt_i32_e32 vcc, 0, v3
	v_mul_f64 v[84:85], v[84:85], v[86:87]
	v_cmp_class_f64_e64 s[62:63], v[2:3], s77
	v_cndmask_b32_e32 v2, v116, v117, vcc
	v_fmac_f64_e32 v[82:83], v[82:83], v[84:85]
	v_bfi_b32 v12, s76, v2, v5
	v_ashrrev_i32_e32 v2, 31, v3
	v_and_b32_e32 v69, 0x400921fb, v2
	v_and_b32_e32 v84, 0x54442d18, v2
	v_add_f64 v[2:3], -v[82:83], s[40:41]
	v_cndmask_b32_e64 v3, v83, v3, s[8:9]
	v_cndmask_b32_e64 v2, v82, v2, s[8:9]
	s_mov_b32 s42, s40
	v_add_f64 v[82:83], -v[2:3], s[42:43]
	v_cmp_class_f64_e64 s[60:61], v[4:5], s77
	v_cndmask_b32_e32 v1, v114, v115, vcc
	v_cndmask_b32_e32 v3, v3, v83, vcc
	;; [unrolled: 1-line block ×3, first 2 shown]
	v_cmp_eq_f64_e32 vcc, 0, v[4:5]
	v_cndmask_b32_e32 v2, v2, v84, vcc
	v_cndmask_b32_e32 v3, v3, v69, vcc
	s_and_b64 vcc, s[60:61], s[62:63]
	v_cndmask_b32_e32 v83, v3, v12, vcc
	v_cndmask_b32_e32 v82, v2, v1, vcc
                                        ; implicit-def: $vgpr84_vgpr85
                                        ; implicit-def: $vgpr88_vgpr89
.LBB192_193:                            ;   in Loop: Header=BB192_145 Depth=1
	s_andn2_saveexec_b64 s[60:61], s[10:11]
	s_cbranch_execz .LBB192_201
; %bb.194:                              ;   in Loop: Header=BB192_145 Depth=1
	v_mul_f64 v[86:87], v[84:85], v[84:85]
	v_fmac_f64_e32 v[86:87], v[88:89], v[88:89]
	v_cmp_ge_f64_e32 vcc, s[44:45], v[86:87]
                                        ; implicit-def: $vgpr10_vgpr11
                                        ; implicit-def: $vgpr82_vgpr83
	s_and_saveexec_b64 s[10:11], vcc
	s_xor_b64 s[10:11], exec, s[10:11]
	s_cbranch_execz .LBB192_196
; %bb.195:                              ;   in Loop: Header=BB192_145 Depth=1
	v_frexp_mant_f64_e32 v[10:11], v[86:87]
	v_cmp_gt_f64_e32 vcc, s[26:27], v[10:11]
	v_cndmask_b32_e64 v69, v118, 2.0, vcc
	v_mul_f64 v[10:11], v[10:11], v[68:69]
	v_add_f64 v[82:83], v[10:11], 1.0
	v_rcp_f64_e32 v[84:85], v[82:83]
	v_add_f64 v[90:91], v[82:83], -1.0
	v_add_f64 v[88:89], v[10:11], -1.0
	v_add_f64 v[10:11], v[10:11], -v[90:91]
	v_fma_f64 v[90:91], -v[82:83], v[84:85], 1.0
	v_fmac_f64_e32 v[84:85], v[90:91], v[84:85]
	v_fma_f64 v[90:91], -v[82:83], v[84:85], 1.0
	v_fmac_f64_e32 v[84:85], v[90:91], v[84:85]
	v_mul_f64 v[90:91], v[88:89], v[84:85]
	v_mul_f64 v[92:93], v[82:83], v[90:91]
	v_fma_f64 v[82:83], v[90:91], v[82:83], -v[92:93]
	v_fmac_f64_e32 v[82:83], v[90:91], v[10:11]
	v_add_f64 v[10:11], v[92:93], v[82:83]
	v_add_f64 v[94:95], v[88:89], -v[10:11]
	v_add_f64 v[92:93], v[10:11], -v[92:93]
	;; [unrolled: 1-line block ×5, first 2 shown]
	v_add_f64 v[10:11], v[82:83], v[10:11]
	v_add_f64 v[10:11], v[94:95], v[10:11]
	v_mul_f64 v[10:11], v[84:85], v[10:11]
	v_add_f64 v[82:83], v[90:91], v[10:11]
	v_add_f64 v[84:85], v[82:83], -v[90:91]
	v_add_f64 v[10:11], v[10:11], -v[84:85]
	v_mul_f64 v[84:85], v[82:83], v[82:83]
	v_pk_mov_b32 v[88:89], v[18:19], v[18:19] op_sel:[0,1]
	v_fmac_f64_e32 v[88:89], s[28:29], v[84:85]
	v_pk_mov_b32 v[90:91], v[20:21], v[20:21] op_sel:[0,1]
	v_fmac_f64_e32 v[90:91], v[84:85], v[88:89]
	;; [unrolled: 2-line block ×6, first 2 shown]
	v_ldexp_f64 v[88:89], v[82:83], 1
	v_mul_f64 v[82:83], v[82:83], v[84:85]
	v_mul_f64 v[82:83], v[82:83], v[90:91]
	v_add_f64 v[84:85], v[88:89], v[82:83]
	v_add_f64 v[88:89], v[84:85], -v[88:89]
	v_ldexp_f64 v[10:11], v[10:11], 1
	v_add_f64 v[82:83], v[82:83], -v[88:89]
	v_add_f64 v[10:11], v[10:11], v[82:83]
	v_frexp_exp_i32_f64_e32 v1, v[86:87]
	v_add_f64 v[82:83], v[84:85], v[10:11]
	v_subbrev_co_u32_e32 v1, vcc, 0, v1, vcc
	v_add_f64 v[84:85], v[82:83], -v[84:85]
	v_add_f64 v[10:11], v[10:11], -v[84:85]
	v_cvt_f64_i32_e32 v[84:85], v1
	v_mul_f64 v[88:89], v[84:85], s[30:31]
	v_fma_f64 v[90:91], v[84:85], s[30:31], -v[88:89]
	v_fmac_f64_e32 v[90:91], s[34:35], v[84:85]
	v_add_f64 v[84:85], v[88:89], v[90:91]
	v_add_f64 v[88:89], v[84:85], -v[88:89]
	v_add_f64 v[88:89], v[90:91], -v[88:89]
	v_add_f64 v[90:91], v[84:85], v[82:83]
	v_add_f64 v[92:93], v[90:91], -v[84:85]
	v_add_f64 v[94:95], v[90:91], -v[92:93]
	;; [unrolled: 1-line block ×4, first 2 shown]
	v_add_f64 v[82:83], v[82:83], v[84:85]
	v_add_f64 v[84:85], v[88:89], v[10:11]
	v_add_f64 v[92:93], v[84:85], -v[88:89]
	v_add_f64 v[94:95], v[84:85], -v[92:93]
	v_add_f64 v[82:83], v[84:85], v[82:83]
	v_add_f64 v[88:89], v[88:89], -v[94:95]
	v_add_f64 v[10:11], v[10:11], -v[92:93]
	v_add_f64 v[84:85], v[90:91], v[82:83]
	v_add_f64 v[10:11], v[10:11], v[88:89]
	v_add_f64 v[88:89], v[84:85], -v[90:91]
	v_add_f64 v[82:83], v[82:83], -v[88:89]
	v_add_f64 v[10:11], v[10:11], v[82:83]
	v_add_f64 v[10:11], v[84:85], v[10:11]
	v_max_f64 v[82:83], |v[4:5]|, |v[4:5]|
	v_max_f64 v[84:85], |v[2:3]|, |v[2:3]|
	v_max_f64 v[88:89], v[84:85], v[82:83]
	v_min_f64 v[82:83], v[84:85], v[82:83]
	v_div_scale_f64 v[84:85], s[62:63], v[88:89], v[88:89], v[82:83]
	v_rcp_f64_e32 v[90:91], v[84:85]
	v_cmp_neq_f64_e32 vcc, 0, v[86:87]
	v_mul_f64 v[10:11], v[10:11], 0.5
	v_cndmask_b32_e32 v11, v113, v11, vcc
	v_fma_f64 v[86:87], -v[84:85], v[90:91], 1.0
	v_fmac_f64_e32 v[90:91], v[90:91], v[86:87]
	v_fma_f64 v[86:87], -v[84:85], v[90:91], 1.0
	v_cndmask_b32_e32 v10, 0, v10, vcc
	v_fmac_f64_e32 v[90:91], v[90:91], v[86:87]
	v_div_scale_f64 v[86:87], vcc, v[82:83], v[88:89], v[82:83]
	v_mul_f64 v[92:93], v[86:87], v[90:91]
	v_fma_f64 v[84:85], -v[84:85], v[92:93], v[86:87]
	v_pk_mov_b32 v[86:87], v[30:31], v[30:31] op_sel:[0,1]
	s_nop 0
	v_div_fmas_f64 v[84:85], v[84:85], v[90:91], v[92:93]
	v_div_fixup_f64 v[82:83], v[84:85], v[88:89], v[82:83]
	v_mul_f64 v[84:85], v[82:83], v[82:83]
	v_fmac_f64_e32 v[86:87], s[38:39], v[84:85]
	v_pk_mov_b32 v[88:89], v[32:33], v[32:33] op_sel:[0,1]
	v_fmac_f64_e32 v[88:89], v[84:85], v[86:87]
	v_pk_mov_b32 v[86:87], v[34:35], v[34:35] op_sel:[0,1]
	;; [unrolled: 2-line block ×18, first 2 shown]
	v_fmac_f64_e32 v[86:87], v[84:85], v[88:89]
	v_cmp_gt_i32_e32 vcc, 0, v3
	v_mul_f64 v[84:85], v[84:85], v[86:87]
	v_cmp_class_f64_e64 s[64:65], v[2:3], s77
	v_cndmask_b32_e32 v2, v116, v117, vcc
	v_fmac_f64_e32 v[82:83], v[82:83], v[84:85]
	v_bfi_b32 v12, s76, v2, v5
	v_ashrrev_i32_e32 v2, 31, v3
	v_and_b32_e32 v69, 0x400921fb, v2
	v_and_b32_e32 v84, 0x54442d18, v2
	v_add_f64 v[2:3], -v[82:83], s[40:41]
	v_cndmask_b32_e64 v3, v83, v3, s[8:9]
	v_cndmask_b32_e64 v2, v82, v2, s[8:9]
	s_mov_b32 s42, s40
	v_add_f64 v[82:83], -v[2:3], s[42:43]
	v_cmp_class_f64_e64 s[62:63], v[4:5], s77
	v_cndmask_b32_e32 v1, v114, v115, vcc
	v_cndmask_b32_e32 v3, v3, v83, vcc
	;; [unrolled: 1-line block ×3, first 2 shown]
	v_cmp_eq_f64_e32 vcc, 0, v[4:5]
	v_cndmask_b32_e32 v2, v2, v84, vcc
	v_cndmask_b32_e32 v3, v3, v69, vcc
	s_and_b64 vcc, s[62:63], s[64:65]
	v_cndmask_b32_e32 v83, v3, v12, vcc
	v_cndmask_b32_e32 v82, v2, v1, vcc
                                        ; implicit-def: $vgpr88_vgpr89
                                        ; implicit-def: $vgpr84_vgpr85
.LBB192_196:                            ;   in Loop: Header=BB192_145 Depth=1
	s_andn2_saveexec_b64 s[62:63], s[10:11]
	s_cbranch_execz .LBB192_200
; %bb.197:                              ;   in Loop: Header=BB192_145 Depth=1
	v_and_b32_e32 v69, 0x7ffffff8, v89
	v_add_f64 v[10:11], v[88:89], -v[68:69]
	v_and_b32_e32 v97, -8, v11
	v_mov_b32_e32 v96, v68
	v_and_b32_e32 v87, 0x7ffffff8, v85
	v_mov_b32_e32 v86, v68
	v_add_f64 v[100:101], v[10:11], -v[96:97]
	v_add_f64 v[10:11], v[84:85], -v[86:87]
	v_and_b32_e32 v99, -8, v11
	v_mov_b32_e32 v98, v68
	v_add_f64 v[90:91], v[68:69], v[68:69]
	v_add_f64 v[104:105], v[86:87], v[86:87]
	v_add_f64 v[102:103], v[10:11], -v[98:99]
	v_mul_f64 v[82:83], v[86:87], v[86:87]
	v_mul_f64 v[88:89], v[90:91], v[96:97]
	;; [unrolled: 1-line block ×5, first 2 shown]
	v_add_f64 v[96:97], v[96:97], v[96:97]
	v_add_f64 v[98:99], v[98:99], v[98:99]
	v_mul_f64 v[10:11], v[68:69], v[68:69]
	v_mul_f64 v[92:93], v[90:91], v[100:101]
	;; [unrolled: 1-line block ×7, first 2 shown]
	s_mov_b64 s[64:65], 0
.LBB192_198:                            ;   Parent Loop BB192_145 Depth=1
                                        ; =>  This Inner Loop Header: Depth=2
	v_cmp_nlt_f64_e32 vcc, v[10:11], v[82:83]
	v_cndmask_b32_e32 v105, v11, v83, vcc
	v_cndmask_b32_e32 v104, v10, v82, vcc
	v_cmp_nlt_f64_e64 s[10:11], v[104:105], v[88:89]
	v_cndmask_b32_e64 v107, v105, v89, s[10:11]
	v_cndmask_b32_e64 v106, v104, v88, s[10:11]
	v_cndmask_b32_e32 v11, v83, v11, vcc
	v_cndmask_b32_e32 v10, v82, v10, vcc
	s_and_b64 s[66:67], vcc, s[10:11]
	v_cmp_nlt_f64_e32 vcc, v[106:107], v[86:87]
	v_cndmask_b32_e64 v83, v89, v105, s[10:11]
	v_cndmask_b32_e64 v82, v88, v104, s[10:11]
	v_cndmask_b32_e32 v105, v107, v87, vcc
	v_cndmask_b32_e32 v104, v106, v86, vcc
	v_cmp_nlt_f64_e64 s[10:11], v[104:105], v[94:95]
	v_cndmask_b32_e32 v89, v87, v107, vcc
	v_cndmask_b32_e32 v88, v86, v106, vcc
	v_cndmask_b32_e64 v107, v105, v95, s[10:11]
	v_cndmask_b32_e64 v106, v104, v94, s[10:11]
	s_and_b64 s[78:79], vcc, s[10:11]
	v_cmp_nlt_f64_e32 vcc, v[106:107], v[84:85]
	v_cndmask_b32_e64 v87, v95, v105, s[10:11]
	v_cndmask_b32_e64 v86, v94, v104, s[10:11]
	v_cndmask_b32_e32 v105, v107, v85, vcc
	v_cndmask_b32_e32 v104, v106, v84, vcc
	v_cmp_nlt_f64_e64 s[10:11], v[104:105], v[92:93]
	v_cndmask_b32_e32 v95, v85, v107, vcc
	v_cndmask_b32_e32 v94, v84, v106, vcc
	v_cndmask_b32_e64 v107, v105, v93, s[10:11]
	v_cndmask_b32_e64 v106, v104, v92, s[10:11]
	;; [unrolled: 1-line block ×4, first 2 shown]
	s_and_b64 s[10:11], vcc, s[10:11]
	v_cmp_nlt_f64_e32 vcc, v[106:107], v[90:91]
	v_cndmask_b32_e32 v105, v107, v91, vcc
	v_cndmask_b32_e32 v104, v106, v90, vcc
	v_cndmask_b32_e32 v93, v91, v107, vcc
	v_cndmask_b32_e32 v92, v90, v106, vcc
	s_and_b64 s[10:11], s[10:11], vcc
	v_cmp_nlt_f64_e32 vcc, v[104:105], v[96:97]
	v_cndmask_b32_e32 v107, v105, v97, vcc
	v_cndmask_b32_e32 v106, v104, v96, vcc
	v_cndmask_b32_e32 v91, v97, v105, vcc
	v_cndmask_b32_e32 v90, v96, v104, vcc
	s_and_b64 s[10:11], s[10:11], vcc
	;; [unrolled: 6-line block ×4, first 2 shown]
	v_cmp_nlt_f64_e32 vcc, v[106:107], v[102:103]
	s_and_b64 s[10:11], s[10:11], vcc
	s_and_b64 s[10:11], s[10:11], s[78:79]
	s_and_b64 s[10:11], s[10:11], s[66:67]
	v_cndmask_b32_e32 v105, v107, v103, vcc
	v_cndmask_b32_e32 v104, v106, v102, vcc
	s_and_b64 s[10:11], exec, s[10:11]
	v_cndmask_b32_e32 v101, v103, v107, vcc
	v_cndmask_b32_e32 v100, v102, v106, vcc
	s_or_b64 s[64:65], s[10:11], s[64:65]
	v_pk_mov_b32 v[102:103], v[104:105], v[104:105] op_sel:[0,1]
	s_andn2_b64 exec, exec, s[64:65]
	s_cbranch_execnz .LBB192_198
; %bb.199:                              ;   in Loop: Header=BB192_145 Depth=1
	s_or_b64 exec, exec, s[64:65]
	v_add_f64 v[10:11], v[10:11], -1.0
	v_add_f64 v[10:11], v[10:11], v[82:83]
	v_add_f64 v[10:11], v[10:11], v[88:89]
	v_add_f64 v[10:11], v[10:11], v[86:87]
	v_add_f64 v[10:11], v[10:11], v[94:95]
	v_add_f64 v[10:11], v[10:11], v[84:85]
	v_add_f64 v[10:11], v[10:11], v[92:93]
	v_add_f64 v[10:11], v[10:11], v[90:91]
	v_add_f64 v[10:11], v[10:11], v[96:97]
	v_add_f64 v[10:11], v[10:11], v[98:99]
	v_add_f64 v[10:11], v[10:11], v[100:101]
	v_add_f64 v[82:83], v[104:105], v[10:11]
	v_add_f64 v[10:11], v[82:83], 1.0
	v_add_f64 v[84:85], v[10:11], -1.0
	v_add_f64 v[86:87], v[84:85], -v[10:11]
	v_add_f64 v[86:87], v[86:87], 1.0
	v_add_f64 v[84:85], v[82:83], -v[84:85]
	v_add_f64 v[84:85], v[84:85], v[86:87]
	v_frexp_mant_f64_e32 v[86:87], v[10:11]
	v_frexp_exp_i32_f64_e32 v1, v[10:11]
	v_cmp_gt_f64_e32 vcc, s[26:27], v[86:87]
	v_subbrev_co_u32_e32 v1, vcc, 0, v1, vcc
	v_sub_u32_e32 v12, 0, v1
	v_ldexp_f64 v[10:11], v[10:11], v12
	v_add_f64 v[86:87], v[10:11], -1.0
	v_add_f64 v[92:93], v[10:11], 1.0
	v_add_f64 v[88:89], v[86:87], 1.0
	v_add_f64 v[94:95], v[92:93], -1.0
	v_ldexp_f64 v[84:85], v[84:85], v12
	v_add_f64 v[88:89], v[10:11], -v[88:89]
	v_add_f64 v[10:11], v[10:11], -v[94:95]
	v_add_f64 v[10:11], v[84:85], v[10:11]
	v_add_f64 v[88:89], v[84:85], v[88:89]
	;; [unrolled: 1-line block ×3, first 2 shown]
	v_rcp_f64_e32 v[94:95], v[84:85]
	v_add_f64 v[90:91], v[86:87], v[88:89]
	v_add_f64 v[86:87], v[90:91], -v[86:87]
	v_add_f64 v[86:87], v[88:89], -v[86:87]
	;; [unrolled: 1-line block ×4, first 2 shown]
	v_fma_f64 v[88:89], -v[84:85], v[94:95], 1.0
	v_fmac_f64_e32 v[94:95], v[88:89], v[94:95]
	v_fma_f64 v[88:89], -v[84:85], v[94:95], 1.0
	v_fmac_f64_e32 v[94:95], v[88:89], v[94:95]
	v_mul_f64 v[88:89], v[90:91], v[94:95]
	v_mul_f64 v[92:93], v[84:85], v[88:89]
	v_fma_f64 v[96:97], v[88:89], v[84:85], -v[92:93]
	v_fmac_f64_e32 v[96:97], v[88:89], v[10:11]
	v_add_f64 v[98:99], v[92:93], v[96:97]
	v_add_f64 v[100:101], v[90:91], -v[98:99]
	v_add_f64 v[90:91], v[90:91], -v[100:101]
	;; [unrolled: 1-line block ×4, first 2 shown]
	v_add_f64 v[86:87], v[86:87], v[90:91]
	v_add_f64 v[90:91], v[92:93], -v[96:97]
	v_add_f64 v[86:87], v[90:91], v[86:87]
	v_add_f64 v[90:91], v[100:101], v[86:87]
	v_add_f64 v[92:93], v[100:101], -v[90:91]
	v_add_f64 v[86:87], v[86:87], v[92:93]
	v_mul_f64 v[92:93], v[94:95], v[90:91]
	v_mul_f64 v[96:97], v[84:85], v[92:93]
	v_fma_f64 v[84:85], v[92:93], v[84:85], -v[96:97]
	v_fmac_f64_e32 v[84:85], v[92:93], v[10:11]
	v_add_f64 v[10:11], v[96:97], v[84:85]
	v_add_f64 v[98:99], v[90:91], -v[10:11]
	v_add_f64 v[90:91], v[90:91], -v[98:99]
	;; [unrolled: 1-line block ×4, first 2 shown]
	v_add_f64 v[10:11], v[86:87], v[10:11]
	v_add_f64 v[84:85], v[96:97], -v[84:85]
	v_add_f64 v[10:11], v[84:85], v[10:11]
	v_add_f64 v[84:85], v[88:89], v[92:93]
	;; [unrolled: 1-line block ×3, first 2 shown]
	v_add_f64 v[86:87], v[84:85], -v[88:89]
	v_mul_f64 v[10:11], v[94:95], v[10:11]
	v_add_f64 v[86:87], v[92:93], -v[86:87]
	v_add_f64 v[10:11], v[86:87], v[10:11]
	v_add_f64 v[86:87], v[84:85], v[10:11]
	v_add_f64 v[84:85], v[86:87], -v[84:85]
	v_add_f64 v[10:11], v[10:11], -v[84:85]
	v_mul_f64 v[84:85], v[86:87], v[86:87]
	v_pk_mov_b32 v[88:89], v[18:19], v[18:19] op_sel:[0,1]
	v_fmac_f64_e32 v[88:89], s[28:29], v[84:85]
	v_pk_mov_b32 v[90:91], v[20:21], v[20:21] op_sel:[0,1]
	v_fmac_f64_e32 v[90:91], v[84:85], v[88:89]
	;; [unrolled: 2-line block ×6, first 2 shown]
	v_cvt_f64_i32_e32 v[88:89], v1
	v_mul_f64 v[92:93], v[88:89], s[30:31]
	v_fma_f64 v[94:95], v[88:89], s[30:31], -v[92:93]
	v_fmac_f64_e32 v[94:95], s[34:35], v[88:89]
	v_add_f64 v[88:89], v[92:93], v[94:95]
	v_add_f64 v[92:93], v[88:89], -v[92:93]
	v_mul_f64 v[84:85], v[86:87], v[84:85]
	v_add_f64 v[92:93], v[94:95], -v[92:93]
	v_ldexp_f64 v[94:95], v[86:87], 1
	v_mul_f64 v[84:85], v[84:85], v[90:91]
	v_add_f64 v[86:87], v[94:95], v[84:85]
	v_add_f64 v[90:91], v[86:87], -v[94:95]
	v_ldexp_f64 v[10:11], v[10:11], 1
	v_add_f64 v[84:85], v[84:85], -v[90:91]
	v_add_f64 v[10:11], v[10:11], v[84:85]
	v_add_f64 v[84:85], v[86:87], v[10:11]
	v_add_f64 v[86:87], v[84:85], -v[86:87]
	v_add_f64 v[10:11], v[10:11], -v[86:87]
	v_add_f64 v[86:87], v[88:89], v[84:85]
	v_add_f64 v[90:91], v[86:87], -v[88:89]
	v_add_f64 v[94:95], v[86:87], -v[90:91]
	;; [unrolled: 1-line block ×4, first 2 shown]
	v_add_f64 v[84:85], v[84:85], v[88:89]
	v_add_f64 v[88:89], v[92:93], v[10:11]
	v_add_f64 v[90:91], v[88:89], -v[92:93]
	v_add_f64 v[84:85], v[88:89], v[84:85]
	v_add_f64 v[94:95], v[88:89], -v[90:91]
	;; [unrolled: 2-line block ×3, first 2 shown]
	v_add_f64 v[10:11], v[10:11], -v[90:91]
	v_add_f64 v[86:87], v[88:89], -v[86:87]
	v_add_f64 v[10:11], v[10:11], v[92:93]
	v_add_f64 v[84:85], v[84:85], -v[86:87]
	v_add_f64 v[10:11], v[10:11], v[84:85]
	v_max_f64 v[84:85], |v[4:5]|, |v[4:5]|
	v_max_f64 v[86:87], |v[2:3]|, |v[2:3]|
	v_add_f64 v[10:11], v[88:89], v[10:11]
	v_max_f64 v[88:89], v[86:87], v[84:85]
	v_min_f64 v[84:85], v[86:87], v[84:85]
	v_div_scale_f64 v[86:87], s[10:11], v[88:89], v[88:89], v[84:85]
	v_cmp_eq_f64_e32 vcc, s[36:37], v[82:83]
	v_rcp_f64_e32 v[90:91], v[86:87]
	v_cndmask_b32_e32 v11, v11, v83, vcc
	v_cndmask_b32_e32 v10, v10, v82, vcc
	v_mul_f64 v[10:11], v[10:11], 0.5
	v_cmp_ngt_f64_e32 vcc, -1.0, v[82:83]
	v_cndmask_b32_e32 v1, v112, v11, vcc
	v_cmp_nge_f64_e32 vcc, -1.0, v[82:83]
	v_cndmask_b32_e32 v10, 0, v10, vcc
	v_cmp_neq_f64_e32 vcc, -1.0, v[82:83]
	v_fma_f64 v[82:83], -v[86:87], v[90:91], 1.0
	v_fmac_f64_e32 v[90:91], v[90:91], v[82:83]
	v_fma_f64 v[82:83], -v[86:87], v[90:91], 1.0
	v_cndmask_b32_e32 v11, v113, v1, vcc
	v_fmac_f64_e32 v[90:91], v[90:91], v[82:83]
	v_div_scale_f64 v[82:83], vcc, v[84:85], v[88:89], v[84:85]
	v_mul_f64 v[92:93], v[82:83], v[90:91]
	v_fma_f64 v[82:83], -v[86:87], v[92:93], v[82:83]
	v_pk_mov_b32 v[86:87], v[30:31], v[30:31] op_sel:[0,1]
	s_nop 0
	v_div_fmas_f64 v[82:83], v[82:83], v[90:91], v[92:93]
	v_div_fixup_f64 v[82:83], v[82:83], v[88:89], v[84:85]
	v_mul_f64 v[84:85], v[82:83], v[82:83]
	v_fmac_f64_e32 v[86:87], s[38:39], v[84:85]
	v_pk_mov_b32 v[88:89], v[32:33], v[32:33] op_sel:[0,1]
	v_fmac_f64_e32 v[88:89], v[84:85], v[86:87]
	v_pk_mov_b32 v[86:87], v[34:35], v[34:35] op_sel:[0,1]
	;; [unrolled: 2-line block ×18, first 2 shown]
	v_fmac_f64_e32 v[86:87], v[84:85], v[88:89]
	v_cmp_gt_i32_e32 vcc, 0, v3
	v_mul_f64 v[84:85], v[84:85], v[86:87]
	v_cmp_class_f64_e64 s[64:65], v[2:3], s77
	v_cndmask_b32_e32 v2, v116, v117, vcc
	v_fmac_f64_e32 v[82:83], v[82:83], v[84:85]
	v_bfi_b32 v12, s76, v2, v5
	v_ashrrev_i32_e32 v2, 31, v3
	v_and_b32_e32 v69, 0x400921fb, v2
	v_and_b32_e32 v84, 0x54442d18, v2
	v_add_f64 v[2:3], -v[82:83], s[40:41]
	v_cndmask_b32_e64 v3, v83, v3, s[8:9]
	v_cndmask_b32_e64 v2, v82, v2, s[8:9]
	s_mov_b32 s42, s40
	v_add_f64 v[82:83], -v[2:3], s[42:43]
	v_cmp_class_f64_e64 s[10:11], v[4:5], s77
	v_cndmask_b32_e32 v1, v114, v115, vcc
	v_cndmask_b32_e32 v3, v3, v83, vcc
	;; [unrolled: 1-line block ×3, first 2 shown]
	v_cmp_eq_f64_e32 vcc, 0, v[4:5]
	v_cndmask_b32_e32 v2, v2, v84, vcc
	v_cndmask_b32_e32 v3, v3, v69, vcc
	s_and_b64 vcc, s[10:11], s[64:65]
	v_cndmask_b32_e32 v83, v3, v12, vcc
	v_cndmask_b32_e32 v82, v2, v1, vcc
.LBB192_200:                            ;   in Loop: Header=BB192_145 Depth=1
	s_or_b64 exec, exec, s[62:63]
.LBB192_201:                            ;   in Loop: Header=BB192_145 Depth=1
	s_or_b64 exec, exec, s[60:61]
.LBB192_202:                            ;   in Loop: Header=BB192_145 Depth=1
	s_andn2_saveexec_b64 s[58:59], s[58:59]
	s_cbranch_execz .LBB192_204
; %bb.203:                              ;   in Loop: Header=BB192_145 Depth=1
	v_max_f64 v[10:11], |v[4:5]|, |v[4:5]|
	v_max_f64 v[82:83], |v[2:3]|, |v[2:3]|
	v_max_f64 v[84:85], v[82:83], v[10:11]
	v_frexp_exp_i32_f64_e32 v1, v[84:85]
	v_sub_u32_e32 v12, 0, v1
	v_ldexp_f64 v[88:89], |v[4:5]|, v12
	v_ldexp_f64 v[86:87], |v[2:3]|, v12
	v_mul_f64 v[88:89], v[88:89], v[88:89]
	v_fmac_f64_e32 v[88:89], v[86:87], v[86:87]
	v_rsq_f64_e32 v[86:87], v[88:89]
	v_cmp_eq_f64_e32 vcc, 0, v[88:89]
	v_cmp_class_f64_e64 s[60:61], v[2:3], s77
	v_cmp_class_f64_e64 s[62:63], v[4:5], s77
	v_mul_f64 v[90:91], v[88:89], v[86:87]
	v_mul_f64 v[86:87], v[86:87], 0.5
	v_fma_f64 v[92:93], -v[86:87], v[90:91], 0.5
	v_fmac_f64_e32 v[90:91], v[90:91], v[92:93]
	v_fmac_f64_e32 v[86:87], v[86:87], v[92:93]
	v_fma_f64 v[92:93], -v[90:91], v[90:91], v[88:89]
	v_fmac_f64_e32 v[90:91], v[92:93], v[86:87]
	v_cndmask_b32_e32 v87, v91, v89, vcc
	v_cndmask_b32_e32 v86, v90, v88, vcc
	v_ldexp_f64 v[86:87], v[86:87], v1
	s_or_b64 vcc, s[62:63], s[60:61]
	v_cndmask_b32_e32 v89, v87, v119, vcc
	v_cndmask_b32_e64 v88, v86, 0, vcc
	v_frexp_mant_f64_e32 v[90:91], v[88:89]
	v_cmp_gt_f64_e64 s[10:11], s[26:27], v[90:91]
	v_cndmask_b32_e64 v69, v118, 2.0, s[10:11]
	v_mul_f64 v[90:91], v[90:91], v[68:69]
	v_add_f64 v[92:93], v[90:91], 1.0
	v_rcp_f64_e32 v[94:95], v[92:93]
	v_add_f64 v[98:99], v[92:93], -1.0
	v_add_f64 v[96:97], v[90:91], -1.0
	v_add_f64 v[90:91], v[90:91], -v[98:99]
	v_fma_f64 v[98:99], -v[92:93], v[94:95], 1.0
	v_fmac_f64_e32 v[94:95], v[98:99], v[94:95]
	v_fma_f64 v[98:99], -v[92:93], v[94:95], 1.0
	v_fmac_f64_e32 v[94:95], v[98:99], v[94:95]
	v_mul_f64 v[98:99], v[96:97], v[94:95]
	v_mul_f64 v[100:101], v[92:93], v[98:99]
	v_fma_f64 v[92:93], v[98:99], v[92:93], -v[100:101]
	v_fmac_f64_e32 v[92:93], v[98:99], v[90:91]
	v_add_f64 v[90:91], v[100:101], v[92:93]
	v_add_f64 v[102:103], v[96:97], -v[90:91]
	v_add_f64 v[100:101], v[90:91], -v[100:101]
	;; [unrolled: 1-line block ×5, first 2 shown]
	v_add_f64 v[90:91], v[92:93], v[90:91]
	v_add_f64 v[90:91], v[102:103], v[90:91]
	v_mul_f64 v[90:91], v[94:95], v[90:91]
	v_add_f64 v[92:93], v[98:99], v[90:91]
	v_add_f64 v[94:95], v[92:93], -v[98:99]
	v_add_f64 v[90:91], v[90:91], -v[94:95]
	v_mul_f64 v[94:95], v[92:93], v[92:93]
	v_pk_mov_b32 v[96:97], v[18:19], v[18:19] op_sel:[0,1]
	v_fmac_f64_e32 v[96:97], s[28:29], v[94:95]
	v_pk_mov_b32 v[98:99], v[20:21], v[20:21] op_sel:[0,1]
	v_fmac_f64_e32 v[98:99], v[94:95], v[96:97]
	;; [unrolled: 2-line block ×6, first 2 shown]
	v_ldexp_f64 v[96:97], v[92:93], 1
	v_mul_f64 v[92:93], v[92:93], v[94:95]
	v_mul_f64 v[92:93], v[92:93], v[98:99]
	v_add_f64 v[94:95], v[96:97], v[92:93]
	v_add_f64 v[96:97], v[94:95], -v[96:97]
	v_ldexp_f64 v[90:91], v[90:91], 1
	v_add_f64 v[92:93], v[92:93], -v[96:97]
	v_add_f64 v[90:91], v[90:91], v[92:93]
	v_frexp_exp_i32_f64_e32 v1, v[88:89]
	v_add_f64 v[92:93], v[94:95], v[90:91]
	v_subbrev_co_u32_e64 v1, s[10:11], 0, v1, s[10:11]
	v_add_f64 v[94:95], v[92:93], -v[94:95]
	v_add_f64 v[90:91], v[90:91], -v[94:95]
	v_cvt_f64_i32_e32 v[94:95], v1
	v_mul_f64 v[96:97], v[94:95], s[30:31]
	v_fma_f64 v[98:99], v[94:95], s[30:31], -v[96:97]
	v_fmac_f64_e32 v[98:99], s[34:35], v[94:95]
	v_add_f64 v[94:95], v[96:97], v[98:99]
	v_add_f64 v[96:97], v[94:95], -v[96:97]
	v_add_f64 v[96:97], v[98:99], -v[96:97]
	v_add_f64 v[98:99], v[94:95], v[92:93]
	v_add_f64 v[100:101], v[98:99], -v[94:95]
	v_add_f64 v[102:103], v[98:99], -v[100:101]
	;; [unrolled: 1-line block ×4, first 2 shown]
	v_add_f64 v[92:93], v[92:93], v[94:95]
	v_add_f64 v[94:95], v[96:97], v[90:91]
	v_add_f64 v[100:101], v[94:95], -v[96:97]
	v_add_f64 v[102:103], v[94:95], -v[100:101]
	v_add_f64 v[92:93], v[94:95], v[92:93]
	v_add_f64 v[96:97], v[96:97], -v[102:103]
	v_add_f64 v[90:91], v[90:91], -v[100:101]
	v_add_f64 v[94:95], v[98:99], v[92:93]
	v_add_f64 v[90:91], v[90:91], v[96:97]
	v_add_f64 v[96:97], v[94:95], -v[98:99]
	v_add_f64 v[92:93], v[92:93], -v[96:97]
	v_add_f64 v[90:91], v[90:91], v[92:93]
	v_add_f64 v[90:91], v[94:95], v[90:91]
	v_cmp_class_f64_e64 s[10:11], v[86:87], s77
	v_min_f64 v[82:83], v[82:83], v[10:11]
	v_cndmask_b32_e64 v1, v91, v87, s[10:11]
	v_cndmask_b32_e64 v2, v90, v86, s[10:11]
	v_div_scale_f64 v[86:87], s[10:11], v[84:85], v[84:85], v[82:83]
	v_rcp_f64_e32 v[90:91], v[86:87]
	v_cndmask_b32_e64 v2, v2, 0, vcc
	v_cndmask_b32_e32 v1, v1, v119, vcc
	v_cmp_ngt_f64_e32 vcc, 0, v[88:89]
	v_cndmask_b32_e32 v1, v112, v1, vcc
	v_cmp_nge_f64_e32 vcc, 0, v[88:89]
	v_cndmask_b32_e32 v10, 0, v2, vcc
	v_cmp_neq_f64_e32 vcc, 0, v[88:89]
	v_fma_f64 v[88:89], -v[86:87], v[90:91], 1.0
	v_fmac_f64_e32 v[90:91], v[90:91], v[88:89]
	v_fma_f64 v[88:89], -v[86:87], v[90:91], 1.0
	v_cndmask_b32_e32 v11, v113, v1, vcc
	v_fmac_f64_e32 v[90:91], v[90:91], v[88:89]
	v_div_scale_f64 v[88:89], vcc, v[82:83], v[84:85], v[82:83]
	v_mul_f64 v[92:93], v[88:89], v[90:91]
	v_fma_f64 v[86:87], -v[86:87], v[92:93], v[88:89]
	v_pk_mov_b32 v[88:89], v[32:33], v[32:33] op_sel:[0,1]
	s_nop 0
	v_div_fmas_f64 v[86:87], v[86:87], v[90:91], v[92:93]
	v_div_fixup_f64 v[82:83], v[86:87], v[84:85], v[82:83]
	v_mul_f64 v[84:85], v[82:83], v[82:83]
	v_pk_mov_b32 v[86:87], v[30:31], v[30:31] op_sel:[0,1]
	v_fmac_f64_e32 v[86:87], s[38:39], v[84:85]
	v_fmac_f64_e32 v[88:89], v[84:85], v[86:87]
	v_pk_mov_b32 v[86:87], v[34:35], v[34:35] op_sel:[0,1]
	v_fmac_f64_e32 v[86:87], v[84:85], v[88:89]
	v_pk_mov_b32 v[88:89], v[36:37], v[36:37] op_sel:[0,1]
	;; [unrolled: 2-line block ×17, first 2 shown]
	v_fmac_f64_e32 v[86:87], v[84:85], v[88:89]
	v_cmp_gt_i32_e32 vcc, 0, v3
	v_mul_f64 v[84:85], v[84:85], v[86:87]
	v_cndmask_b32_e32 v2, v116, v117, vcc
	v_fmac_f64_e32 v[82:83], v[82:83], v[84:85]
	v_bfi_b32 v12, s76, v2, v5
	v_ashrrev_i32_e32 v2, 31, v3
	v_and_b32_e32 v69, 0x400921fb, v2
	v_and_b32_e32 v84, 0x54442d18, v2
	v_add_f64 v[2:3], -v[82:83], s[40:41]
	v_cndmask_b32_e64 v3, v83, v3, s[8:9]
	v_cndmask_b32_e64 v2, v82, v2, s[8:9]
	s_mov_b32 s42, s40
	v_add_f64 v[82:83], -v[2:3], s[42:43]
	v_cndmask_b32_e32 v1, v114, v115, vcc
	v_cndmask_b32_e32 v3, v3, v83, vcc
	;; [unrolled: 1-line block ×3, first 2 shown]
	v_cmp_eq_f64_e32 vcc, 0, v[4:5]
	v_cndmask_b32_e32 v2, v2, v84, vcc
	v_cndmask_b32_e32 v3, v3, v69, vcc
	s_and_b64 vcc, s[62:63], s[60:61]
	v_cndmask_b32_e32 v83, v3, v12, vcc
	v_cndmask_b32_e32 v82, v2, v1, vcc
.LBB192_204:                            ;   in Loop: Header=BB192_145 Depth=1
	s_or_b64 exec, exec, s[58:59]
                                        ; implicit-def: $vgpr84_vgpr85
.LBB192_205:                            ;   in Loop: Header=BB192_145 Depth=1
	s_andn2_saveexec_b64 s[10:11], s[56:57]
	s_cbranch_execz .LBB192_211
; %bb.206:                              ;   in Loop: Header=BB192_145 Depth=1
	v_cmp_ngt_f64_e32 vcc, s[46:47], v[84:85]
                                        ; implicit-def: $vgpr10_vgpr11
                                        ; implicit-def: $vgpr82_vgpr83
	s_and_saveexec_b64 s[56:57], vcc
	s_xor_b64 s[56:57], exec, s[56:57]
	s_cbranch_execz .LBB192_208
; %bb.207:                              ;   in Loop: Header=BB192_145 Depth=1
	v_mul_f64 v[10:11], v[84:85], v[84:85]
	v_add_f64 v[82:83], v[10:11], 1.0
	v_add_f64 v[84:85], v[82:83], -1.0
	v_add_f64 v[86:87], v[84:85], -v[82:83]
	v_add_f64 v[86:87], v[86:87], 1.0
	v_add_f64 v[84:85], v[10:11], -v[84:85]
	v_add_f64 v[84:85], v[84:85], v[86:87]
	v_frexp_mant_f64_e32 v[86:87], v[82:83]
	v_frexp_exp_i32_f64_e32 v1, v[82:83]
	v_cmp_gt_f64_e32 vcc, s[26:27], v[86:87]
	v_subbrev_co_u32_e32 v1, vcc, 0, v1, vcc
	v_sub_u32_e32 v12, 0, v1
	v_ldexp_f64 v[82:83], v[82:83], v12
	v_add_f64 v[86:87], v[82:83], -1.0
	v_add_f64 v[92:93], v[82:83], 1.0
	v_add_f64 v[88:89], v[86:87], 1.0
	v_add_f64 v[94:95], v[92:93], -1.0
	v_ldexp_f64 v[84:85], v[84:85], v12
	v_add_f64 v[88:89], v[82:83], -v[88:89]
	v_add_f64 v[82:83], v[82:83], -v[94:95]
	v_add_f64 v[82:83], v[84:85], v[82:83]
	v_add_f64 v[88:89], v[84:85], v[88:89]
	;; [unrolled: 1-line block ×3, first 2 shown]
	v_rcp_f64_e32 v[94:95], v[84:85]
	v_add_f64 v[90:91], v[86:87], v[88:89]
	v_add_f64 v[86:87], v[86:87], -v[90:91]
	v_add_f64 v[86:87], v[88:89], v[86:87]
	v_add_f64 v[88:89], v[92:93], -v[84:85]
	v_add_f64 v[82:83], v[82:83], v[88:89]
	v_fma_f64 v[88:89], -v[84:85], v[94:95], 1.0
	v_fmac_f64_e32 v[94:95], v[88:89], v[94:95]
	v_fma_f64 v[88:89], -v[84:85], v[94:95], 1.0
	v_fmac_f64_e32 v[94:95], v[88:89], v[94:95]
	v_mul_f64 v[88:89], v[90:91], v[94:95]
	v_mul_f64 v[92:93], v[84:85], v[88:89]
	v_fma_f64 v[96:97], v[88:89], v[84:85], -v[92:93]
	v_fmac_f64_e32 v[96:97], v[88:89], v[82:83]
	v_add_f64 v[98:99], v[92:93], v[96:97]
	v_add_f64 v[100:101], v[90:91], -v[98:99]
	v_add_f64 v[90:91], v[90:91], -v[100:101]
	;; [unrolled: 1-line block ×4, first 2 shown]
	v_add_f64 v[86:87], v[86:87], v[90:91]
	v_add_f64 v[90:91], v[92:93], -v[96:97]
	v_add_f64 v[86:87], v[90:91], v[86:87]
	v_add_f64 v[90:91], v[100:101], v[86:87]
	v_add_f64 v[92:93], v[100:101], -v[90:91]
	v_add_f64 v[86:87], v[86:87], v[92:93]
	v_mul_f64 v[92:93], v[94:95], v[90:91]
	v_mul_f64 v[96:97], v[84:85], v[92:93]
	v_fma_f64 v[84:85], v[92:93], v[84:85], -v[96:97]
	v_fmac_f64_e32 v[84:85], v[92:93], v[82:83]
	v_add_f64 v[82:83], v[96:97], v[84:85]
	v_add_f64 v[98:99], v[90:91], -v[82:83]
	v_add_f64 v[90:91], v[90:91], -v[98:99]
	;; [unrolled: 1-line block ×4, first 2 shown]
	v_add_f64 v[82:83], v[86:87], v[82:83]
	v_add_f64 v[84:85], v[96:97], -v[84:85]
	v_add_f64 v[82:83], v[84:85], v[82:83]
	v_add_f64 v[84:85], v[88:89], v[92:93]
	;; [unrolled: 1-line block ×3, first 2 shown]
	v_add_f64 v[86:87], v[84:85], -v[88:89]
	v_mul_f64 v[82:83], v[94:95], v[82:83]
	v_add_f64 v[86:87], v[92:93], -v[86:87]
	v_add_f64 v[82:83], v[86:87], v[82:83]
	v_add_f64 v[86:87], v[84:85], v[82:83]
	v_add_f64 v[84:85], v[86:87], -v[84:85]
	v_add_f64 v[82:83], v[82:83], -v[84:85]
	v_mul_f64 v[84:85], v[86:87], v[86:87]
	v_pk_mov_b32 v[88:89], v[18:19], v[18:19] op_sel:[0,1]
	v_fmac_f64_e32 v[88:89], s[28:29], v[84:85]
	v_pk_mov_b32 v[90:91], v[20:21], v[20:21] op_sel:[0,1]
	v_fmac_f64_e32 v[90:91], v[84:85], v[88:89]
	;; [unrolled: 2-line block ×6, first 2 shown]
	v_cvt_f64_i32_e32 v[88:89], v1
	v_mul_f64 v[92:93], v[88:89], s[30:31]
	v_fma_f64 v[94:95], v[88:89], s[30:31], -v[92:93]
	v_fmac_f64_e32 v[94:95], s[34:35], v[88:89]
	v_add_f64 v[88:89], v[92:93], v[94:95]
	v_add_f64 v[92:93], v[88:89], -v[92:93]
	v_mul_f64 v[84:85], v[86:87], v[84:85]
	v_add_f64 v[92:93], v[94:95], -v[92:93]
	v_ldexp_f64 v[94:95], v[86:87], 1
	v_mul_f64 v[84:85], v[84:85], v[90:91]
	v_add_f64 v[86:87], v[94:95], v[84:85]
	v_add_f64 v[90:91], v[86:87], -v[94:95]
	v_ldexp_f64 v[82:83], v[82:83], 1
	v_add_f64 v[84:85], v[84:85], -v[90:91]
	v_add_f64 v[82:83], v[82:83], v[84:85]
	v_add_f64 v[84:85], v[86:87], v[82:83]
	v_add_f64 v[86:87], v[84:85], -v[86:87]
	v_add_f64 v[82:83], v[82:83], -v[86:87]
	v_add_f64 v[86:87], v[88:89], v[84:85]
	v_add_f64 v[90:91], v[86:87], -v[88:89]
	v_add_f64 v[94:95], v[86:87], -v[90:91]
	;; [unrolled: 1-line block ×4, first 2 shown]
	v_add_f64 v[84:85], v[84:85], v[88:89]
	v_add_f64 v[88:89], v[92:93], v[82:83]
	v_add_f64 v[90:91], v[88:89], -v[92:93]
	v_add_f64 v[84:85], v[88:89], v[84:85]
	v_add_f64 v[94:95], v[88:89], -v[90:91]
	;; [unrolled: 2-line block ×3, first 2 shown]
	v_add_f64 v[82:83], v[82:83], -v[90:91]
	v_add_f64 v[86:87], v[88:89], -v[86:87]
	v_add_f64 v[82:83], v[82:83], v[92:93]
	v_add_f64 v[84:85], v[84:85], -v[86:87]
	v_add_f64 v[82:83], v[82:83], v[84:85]
	v_max_f64 v[84:85], |v[4:5]|, |v[4:5]|
	v_max_f64 v[86:87], |v[2:3]|, |v[2:3]|
	v_add_f64 v[82:83], v[88:89], v[82:83]
	v_max_f64 v[88:89], v[86:87], v[84:85]
	v_min_f64 v[84:85], v[86:87], v[84:85]
	v_div_scale_f64 v[86:87], s[58:59], v[88:89], v[88:89], v[84:85]
	v_rcp_f64_e32 v[90:91], v[86:87]
	v_cmp_eq_f64_e32 vcc, s[36:37], v[10:11]
	v_cndmask_b32_e32 v11, v83, v11, vcc
	v_cndmask_b32_e32 v10, v82, v10, vcc
	v_fma_f64 v[82:83], -v[86:87], v[90:91], 1.0
	v_fmac_f64_e32 v[90:91], v[90:91], v[82:83]
	v_fma_f64 v[82:83], -v[86:87], v[90:91], 1.0
	v_fmac_f64_e32 v[90:91], v[90:91], v[82:83]
	v_div_scale_f64 v[82:83], vcc, v[84:85], v[88:89], v[84:85]
	v_mul_f64 v[92:93], v[82:83], v[90:91]
	v_fma_f64 v[82:83], -v[86:87], v[92:93], v[82:83]
	v_pk_mov_b32 v[86:87], v[30:31], v[30:31] op_sel:[0,1]
	s_nop 0
	v_div_fmas_f64 v[82:83], v[82:83], v[90:91], v[92:93]
	v_div_fixup_f64 v[82:83], v[82:83], v[88:89], v[84:85]
	v_mul_f64 v[84:85], v[82:83], v[82:83]
	v_fmac_f64_e32 v[86:87], s[38:39], v[84:85]
	v_pk_mov_b32 v[88:89], v[32:33], v[32:33] op_sel:[0,1]
	v_fmac_f64_e32 v[88:89], v[84:85], v[86:87]
	v_pk_mov_b32 v[86:87], v[34:35], v[34:35] op_sel:[0,1]
	;; [unrolled: 2-line block ×18, first 2 shown]
	v_fmac_f64_e32 v[86:87], v[84:85], v[88:89]
	v_cmp_gt_i32_e32 vcc, 0, v3
	v_mul_f64 v[84:85], v[84:85], v[86:87]
	v_cmp_class_f64_e64 s[60:61], v[2:3], s77
	v_cndmask_b32_e32 v2, v116, v117, vcc
	v_fmac_f64_e32 v[82:83], v[82:83], v[84:85]
	v_bfi_b32 v12, s76, v2, v5
	v_ashrrev_i32_e32 v2, 31, v3
	v_and_b32_e32 v69, 0x400921fb, v2
	v_and_b32_e32 v84, 0x54442d18, v2
	v_add_f64 v[2:3], -v[82:83], s[40:41]
	v_cndmask_b32_e64 v3, v83, v3, s[8:9]
	v_cndmask_b32_e64 v2, v82, v2, s[8:9]
	s_mov_b32 s42, s40
	v_add_f64 v[82:83], -v[2:3], s[42:43]
	v_cmp_class_f64_e64 s[58:59], v[4:5], s77
	v_cndmask_b32_e32 v1, v114, v115, vcc
	v_cndmask_b32_e32 v3, v3, v83, vcc
	;; [unrolled: 1-line block ×3, first 2 shown]
	v_cmp_eq_f64_e32 vcc, 0, v[4:5]
	v_cndmask_b32_e32 v2, v2, v84, vcc
	v_cndmask_b32_e32 v3, v3, v69, vcc
	s_and_b64 vcc, s[58:59], s[60:61]
	v_mul_f64 v[10:11], v[10:11], 0.5
	v_cndmask_b32_e32 v83, v3, v12, vcc
	v_cndmask_b32_e32 v82, v2, v1, vcc
                                        ; implicit-def: $vgpr84_vgpr85
.LBB192_208:                            ;   in Loop: Header=BB192_145 Depth=1
	s_andn2_saveexec_b64 s[56:57], s[56:57]
	s_cbranch_execz .LBB192_210
; %bb.209:                              ;   in Loop: Header=BB192_145 Depth=1
	v_max_f64 v[10:11], |v[4:5]|, |v[4:5]|
	v_max_f64 v[82:83], |v[2:3]|, |v[2:3]|
	v_max_f64 v[86:87], v[82:83], v[10:11]
	v_min_f64 v[82:83], v[82:83], v[10:11]
	v_div_scale_f64 v[88:89], s[58:59], v[86:87], v[86:87], v[82:83]
	v_rcp_f64_e32 v[90:91], v[88:89]
	v_mul_f64 v[10:11], v[84:85], 0.5
	v_mul_f64 v[10:11], v[84:85], v[10:11]
	v_cmp_class_f64_e64 s[60:61], v[2:3], s77
	v_fma_f64 v[84:85], -v[88:89], v[90:91], 1.0
	v_fmac_f64_e32 v[90:91], v[90:91], v[84:85]
	v_fma_f64 v[84:85], -v[88:89], v[90:91], 1.0
	v_fmac_f64_e32 v[90:91], v[90:91], v[84:85]
	v_div_scale_f64 v[84:85], vcc, v[82:83], v[86:87], v[82:83]
	v_mul_f64 v[92:93], v[84:85], v[90:91]
	v_fma_f64 v[84:85], -v[88:89], v[92:93], v[84:85]
	v_pk_mov_b32 v[88:89], v[32:33], v[32:33] op_sel:[0,1]
	s_nop 0
	v_div_fmas_f64 v[84:85], v[84:85], v[90:91], v[92:93]
	v_div_fixup_f64 v[82:83], v[84:85], v[86:87], v[82:83]
	v_mul_f64 v[84:85], v[82:83], v[82:83]
	v_pk_mov_b32 v[86:87], v[30:31], v[30:31] op_sel:[0,1]
	v_fmac_f64_e32 v[86:87], s[38:39], v[84:85]
	v_fmac_f64_e32 v[88:89], v[84:85], v[86:87]
	v_pk_mov_b32 v[86:87], v[34:35], v[34:35] op_sel:[0,1]
	v_fmac_f64_e32 v[86:87], v[84:85], v[88:89]
	v_pk_mov_b32 v[88:89], v[36:37], v[36:37] op_sel:[0,1]
	;; [unrolled: 2-line block ×17, first 2 shown]
	v_fmac_f64_e32 v[86:87], v[84:85], v[88:89]
	v_cmp_gt_i32_e32 vcc, 0, v3
	v_mul_f64 v[84:85], v[84:85], v[86:87]
	v_cndmask_b32_e32 v2, v116, v117, vcc
	v_fmac_f64_e32 v[82:83], v[82:83], v[84:85]
	v_bfi_b32 v12, s76, v2, v5
	v_ashrrev_i32_e32 v2, 31, v3
	v_and_b32_e32 v69, 0x400921fb, v2
	v_and_b32_e32 v84, 0x54442d18, v2
	v_add_f64 v[2:3], -v[82:83], s[40:41]
	v_cndmask_b32_e64 v3, v83, v3, s[8:9]
	v_cndmask_b32_e64 v2, v82, v2, s[8:9]
	s_mov_b32 s42, s40
	v_add_f64 v[82:83], -v[2:3], s[42:43]
	v_cmp_class_f64_e64 s[58:59], v[4:5], s77
	v_cndmask_b32_e32 v1, v114, v115, vcc
	v_cndmask_b32_e32 v3, v3, v83, vcc
	;; [unrolled: 1-line block ×3, first 2 shown]
	v_cmp_eq_f64_e32 vcc, 0, v[4:5]
	v_cndmask_b32_e32 v2, v2, v84, vcc
	v_cndmask_b32_e32 v3, v3, v69, vcc
	s_and_b64 vcc, s[58:59], s[60:61]
	v_cndmask_b32_e32 v83, v3, v12, vcc
	v_cndmask_b32_e32 v82, v2, v1, vcc
.LBB192_210:                            ;   in Loop: Header=BB192_145 Depth=1
	s_or_b64 exec, exec, s[56:57]
.LBB192_211:                            ;   in Loop: Header=BB192_145 Depth=1
	s_or_b64 exec, exec, s[10:11]
.LBB192_212:                            ;   in Loop: Header=BB192_145 Depth=1
	s_andn2_saveexec_b64 s[56:57], s[12:13]
	s_cbranch_execz .LBB192_214
; %bb.213:                              ;   in Loop: Header=BB192_145 Depth=1
	v_div_scale_f64 v[10:11], s[10:11], s[48:49], s[48:49], v[2:3]
	v_rcp_f64_e32 v[82:83], v[10:11]
	v_div_scale_f64 v[84:85], vcc, v[2:3], s[48:49], v[2:3]
	s_mov_b32 s42, s40
	v_fma_f64 v[86:87], -v[10:11], v[82:83], 1.0
	v_fmac_f64_e32 v[82:83], v[82:83], v[86:87]
	v_fma_f64 v[86:87], -v[10:11], v[82:83], 1.0
	v_fmac_f64_e32 v[82:83], v[82:83], v[86:87]
	v_mul_f64 v[86:87], v[84:85], v[82:83]
	v_fma_f64 v[10:11], -v[10:11], v[86:87], v[84:85]
	v_div_scale_f64 v[84:85], s[10:11], s[48:49], s[48:49], v[4:5]
	v_rcp_f64_e32 v[88:89], v[84:85]
	v_div_fmas_f64 v[10:11], v[10:11], v[82:83], v[86:87]
	v_div_fixup_f64 v[10:11], v[10:11], s[48:49], v[2:3]
	v_cmp_class_f64_e64 s[12:13], v[10:11], s77
	v_fma_f64 v[82:83], -v[84:85], v[88:89], 1.0
	v_fmac_f64_e32 v[88:89], v[88:89], v[82:83]
	v_fma_f64 v[82:83], -v[84:85], v[88:89], 1.0
	v_fmac_f64_e32 v[88:89], v[88:89], v[82:83]
	v_div_scale_f64 v[82:83], vcc, v[4:5], s[48:49], v[4:5]
	v_mul_f64 v[86:87], v[82:83], v[88:89]
	v_fma_f64 v[82:83], -v[84:85], v[86:87], v[82:83]
	s_nop 1
	v_div_fmas_f64 v[82:83], v[82:83], v[88:89], v[86:87]
	v_div_fixup_f64 v[82:83], v[82:83], s[48:49], v[4:5]
	v_max_f64 v[84:85], |v[10:11]|, |v[82:83]|
	v_frexp_exp_i32_f64_e32 v1, v[84:85]
	v_sub_u32_e32 v12, 0, v1
	v_ldexp_f64 v[86:87], |v[82:83]|, v12
	v_ldexp_f64 v[84:85], |v[10:11]|, v12
	v_mul_f64 v[86:87], v[86:87], v[86:87]
	v_fmac_f64_e32 v[86:87], v[84:85], v[84:85]
	v_rsq_f64_e32 v[84:85], v[86:87]
	v_cmp_eq_f64_e32 vcc, 0, v[86:87]
	v_cmp_o_f64_e64 s[10:11], v[10:11], v[82:83]
	v_cmp_class_f64_e64 s[58:59], v[82:83], s77
	v_mul_f64 v[88:89], v[86:87], v[84:85]
	v_mul_f64 v[84:85], v[84:85], 0.5
	v_fma_f64 v[90:91], -v[84:85], v[88:89], 0.5
	v_fmac_f64_e32 v[88:89], v[88:89], v[90:91]
	v_fmac_f64_e32 v[84:85], v[84:85], v[90:91]
	v_fma_f64 v[90:91], -v[88:89], v[88:89], v[86:87]
	v_fmac_f64_e32 v[88:89], v[90:91], v[84:85]
	v_cndmask_b32_e32 v85, v89, v87, vcc
	v_cndmask_b32_e32 v84, v88, v86, vcc
	v_ldexp_f64 v[84:85], v[84:85], v1
	v_cndmask_b32_e64 v1, 0, v84, s[10:11]
	v_cndmask_b32_e64 v12, v112, v85, s[10:11]
	s_or_b64 vcc, s[58:59], s[12:13]
	v_cndmask_b32_e32 v83, v12, v119, vcc
	v_cndmask_b32_e64 v82, v1, 0, vcc
	v_frexp_mant_f64_e32 v[10:11], v[82:83]
	v_cmp_gt_f64_e64 s[12:13], s[26:27], v[10:11]
	v_cndmask_b32_e64 v69, v118, 2.0, s[12:13]
	v_frexp_exp_i32_f64_e32 v86, v[82:83]
	v_mul_f64 v[10:11], v[10:11], v[68:69]
	v_subbrev_co_u32_e64 v69, s[12:13], 0, v86, s[12:13]
	v_add_f64 v[86:87], v[10:11], 1.0
	v_rcp_f64_e32 v[88:89], v[86:87]
	v_add_f64 v[92:93], v[86:87], -1.0
	v_add_f64 v[90:91], v[10:11], -1.0
	v_add_f64 v[10:11], v[10:11], -v[92:93]
	v_fma_f64 v[92:93], -v[86:87], v[88:89], 1.0
	v_fmac_f64_e32 v[88:89], v[92:93], v[88:89]
	v_fma_f64 v[92:93], -v[86:87], v[88:89], 1.0
	v_fmac_f64_e32 v[88:89], v[92:93], v[88:89]
	v_mul_f64 v[92:93], v[90:91], v[88:89]
	v_mul_f64 v[94:95], v[86:87], v[92:93]
	v_fma_f64 v[86:87], v[92:93], v[86:87], -v[94:95]
	v_fmac_f64_e32 v[86:87], v[92:93], v[10:11]
	v_add_f64 v[10:11], v[94:95], v[86:87]
	v_add_f64 v[96:97], v[90:91], -v[10:11]
	v_add_f64 v[94:95], v[10:11], -v[94:95]
	;; [unrolled: 1-line block ×5, first 2 shown]
	v_add_f64 v[10:11], v[86:87], v[10:11]
	v_add_f64 v[10:11], v[96:97], v[10:11]
	v_mul_f64 v[10:11], v[88:89], v[10:11]
	v_add_f64 v[86:87], v[92:93], v[10:11]
	v_add_f64 v[88:89], v[86:87], -v[92:93]
	v_add_f64 v[10:11], v[10:11], -v[88:89]
	v_mul_f64 v[88:89], v[86:87], v[86:87]
	v_pk_mov_b32 v[90:91], v[18:19], v[18:19] op_sel:[0,1]
	v_fmac_f64_e32 v[90:91], s[28:29], v[88:89]
	v_pk_mov_b32 v[92:93], v[20:21], v[20:21] op_sel:[0,1]
	v_fmac_f64_e32 v[92:93], v[88:89], v[90:91]
	v_pk_mov_b32 v[90:91], v[22:23], v[22:23] op_sel:[0,1]
	v_fmac_f64_e32 v[90:91], v[88:89], v[92:93]
	v_pk_mov_b32 v[92:93], v[24:25], v[24:25] op_sel:[0,1]
	v_fmac_f64_e32 v[92:93], v[88:89], v[90:91]
	v_pk_mov_b32 v[90:91], v[26:27], v[26:27] op_sel:[0,1]
	v_fmac_f64_e32 v[90:91], v[88:89], v[92:93]
	v_pk_mov_b32 v[92:93], v[28:29], v[28:29] op_sel:[0,1]
	v_fmac_f64_e32 v[92:93], v[88:89], v[90:91]
	v_ldexp_f64 v[90:91], v[86:87], 1
	v_mul_f64 v[86:87], v[86:87], v[88:89]
	v_mul_f64 v[86:87], v[86:87], v[92:93]
	v_add_f64 v[88:89], v[90:91], v[86:87]
	v_add_f64 v[90:91], v[88:89], -v[90:91]
	v_ldexp_f64 v[10:11], v[10:11], 1
	v_add_f64 v[86:87], v[86:87], -v[90:91]
	v_add_f64 v[10:11], v[10:11], v[86:87]
	v_add_f64 v[86:87], v[88:89], v[10:11]
	v_add_f64 v[88:89], v[86:87], -v[88:89]
	v_add_f64 v[10:11], v[10:11], -v[88:89]
	v_cvt_f64_i32_e32 v[88:89], v69
	v_mul_f64 v[90:91], v[88:89], s[30:31]
	v_fma_f64 v[92:93], v[88:89], s[30:31], -v[90:91]
	v_fmac_f64_e32 v[92:93], s[34:35], v[88:89]
	v_add_f64 v[88:89], v[90:91], v[92:93]
	v_add_f64 v[90:91], v[88:89], -v[90:91]
	v_add_f64 v[90:91], v[92:93], -v[90:91]
	v_add_f64 v[92:93], v[88:89], v[86:87]
	v_add_f64 v[94:95], v[92:93], -v[88:89]
	v_add_f64 v[96:97], v[92:93], -v[94:95]
	;; [unrolled: 1-line block ×4, first 2 shown]
	v_add_f64 v[86:87], v[86:87], v[88:89]
	v_add_f64 v[88:89], v[90:91], v[10:11]
	v_add_f64 v[94:95], v[88:89], -v[90:91]
	v_add_f64 v[96:97], v[88:89], -v[94:95]
	v_add_f64 v[86:87], v[88:89], v[86:87]
	v_add_f64 v[90:91], v[90:91], -v[96:97]
	v_add_f64 v[10:11], v[10:11], -v[94:95]
	v_add_f64 v[88:89], v[92:93], v[86:87]
	v_add_f64 v[10:11], v[10:11], v[90:91]
	v_add_f64 v[90:91], v[88:89], -v[92:93]
	v_add_f64 v[86:87], v[86:87], -v[90:91]
	v_and_b32_e32 v85, 0x7fffffff, v85
	v_add_f64 v[10:11], v[10:11], v[86:87]
	v_cmp_eq_f64_e64 s[12:13], s[36:37], v[84:85]
	v_add_f64 v[10:11], v[88:89], v[10:11]
	s_and_b64 s[10:11], s[10:11], s[12:13]
	v_cndmask_b32_e64 v11, v11, v12, s[10:11]
	v_cndmask_b32_e64 v10, v10, v1, s[10:11]
	v_add_f64 v[10:11], v[10:11], 1.0
	v_cndmask_b32_e64 v1, v10, 0, vcc
	v_cndmask_b32_e32 v10, v11, v119, vcc
	v_cmp_ngt_f64_e32 vcc, 0, v[82:83]
	v_cndmask_b32_e32 v12, v112, v10, vcc
	v_max_f64 v[10:11], |v[4:5]|, |v[4:5]|
	v_max_f64 v[84:85], |v[2:3]|, |v[2:3]|
	v_max_f64 v[86:87], v[84:85], v[10:11]
	v_min_f64 v[84:85], v[84:85], v[10:11]
	v_div_scale_f64 v[88:89], s[10:11], v[86:87], v[86:87], v[84:85]
	v_rcp_f64_e32 v[90:91], v[88:89]
	v_cmp_nge_f64_e32 vcc, 0, v[82:83]
	v_cndmask_b32_e32 v10, 0, v1, vcc
	v_cmp_neq_f64_e32 vcc, 0, v[82:83]
	v_fma_f64 v[82:83], -v[88:89], v[90:91], 1.0
	v_fmac_f64_e32 v[90:91], v[90:91], v[82:83]
	v_fma_f64 v[82:83], -v[88:89], v[90:91], 1.0
	v_cndmask_b32_e32 v11, v113, v12, vcc
	v_fmac_f64_e32 v[90:91], v[90:91], v[82:83]
	v_div_scale_f64 v[82:83], vcc, v[84:85], v[86:87], v[84:85]
	v_mul_f64 v[92:93], v[82:83], v[90:91]
	v_fma_f64 v[82:83], -v[88:89], v[92:93], v[82:83]
	v_pk_mov_b32 v[88:89], v[32:33], v[32:33] op_sel:[0,1]
	s_nop 0
	v_div_fmas_f64 v[82:83], v[82:83], v[90:91], v[92:93]
	v_div_fixup_f64 v[82:83], v[82:83], v[86:87], v[84:85]
	v_mul_f64 v[84:85], v[82:83], v[82:83]
	v_pk_mov_b32 v[86:87], v[30:31], v[30:31] op_sel:[0,1]
	v_fmac_f64_e32 v[86:87], s[38:39], v[84:85]
	v_fmac_f64_e32 v[88:89], v[84:85], v[86:87]
	v_pk_mov_b32 v[86:87], v[34:35], v[34:35] op_sel:[0,1]
	v_fmac_f64_e32 v[86:87], v[84:85], v[88:89]
	v_pk_mov_b32 v[88:89], v[36:37], v[36:37] op_sel:[0,1]
	;; [unrolled: 2-line block ×17, first 2 shown]
	v_fmac_f64_e32 v[86:87], v[84:85], v[88:89]
	v_cmp_gt_i32_e32 vcc, 0, v3
	v_mul_f64 v[84:85], v[84:85], v[86:87]
	v_cmp_class_f64_e64 s[12:13], v[2:3], s77
	v_cndmask_b32_e32 v2, v116, v117, vcc
	v_fmac_f64_e32 v[82:83], v[82:83], v[84:85]
	v_bfi_b32 v12, s76, v2, v5
	v_ashrrev_i32_e32 v2, 31, v3
	v_and_b32_e32 v69, 0x400921fb, v2
	v_and_b32_e32 v84, 0x54442d18, v2
	v_add_f64 v[2:3], -v[82:83], s[40:41]
	v_cndmask_b32_e64 v3, v83, v3, s[8:9]
	v_cndmask_b32_e64 v2, v82, v2, s[8:9]
	v_add_f64 v[82:83], -v[2:3], s[42:43]
	v_cmp_class_f64_e64 s[10:11], v[4:5], s77
	v_cndmask_b32_e32 v1, v114, v115, vcc
	v_cndmask_b32_e32 v3, v3, v83, vcc
	;; [unrolled: 1-line block ×3, first 2 shown]
	v_cmp_eq_f64_e32 vcc, 0, v[4:5]
	v_cndmask_b32_e32 v2, v2, v84, vcc
	v_cndmask_b32_e32 v3, v3, v69, vcc
	s_and_b64 vcc, s[10:11], s[12:13]
	v_cndmask_b32_e32 v83, v3, v12, vcc
	v_cndmask_b32_e32 v82, v2, v1, vcc
.LBB192_214:                            ;   in Loop: Header=BB192_145 Depth=1
	s_or_b64 exec, exec, s[56:57]
.LBB192_215:                            ;   in Loop: Header=BB192_145 Depth=1
	s_andn2_saveexec_b64 s[8:9], s[54:55]
	s_cbranch_execz .LBB192_221
; %bb.216:                              ;   in Loop: Header=BB192_145 Depth=1
	v_cmp_nlt_f64_e64 s[10:11], |v[2:3]|, s[50:51]
	v_cmp_nlt_f64_e64 s[12:13], |v[4:5]|, s[50:51]
	s_or_b64 s[10:11], s[12:13], s[10:11]
                                        ; implicit-def: $vgpr82_vgpr83
	s_and_saveexec_b64 s[12:13], s[10:11]
	s_xor_b64 s[10:11], exec, s[12:13]
; %bb.217:                              ;   in Loop: Header=BB192_145 Depth=1
	v_mul_f64 v[82:83], v[2:3], v[2:3]
	v_fmac_f64_e32 v[82:83], v[4:5], v[4:5]
; %bb.218:                              ;   in Loop: Header=BB192_145 Depth=1
	s_andn2_saveexec_b64 s[10:11], s[10:11]
; %bb.219:                              ;   in Loop: Header=BB192_145 Depth=1
	v_mul_f64 v[2:3], v[2:3], 4.0
	v_mul_f64 v[10:11], v[4:5], 4.0
	v_mul_f64 v[2:3], v[2:3], v[2:3]
	v_fmac_f64_e32 v[2:3], v[10:11], v[10:11]
	v_ldexp_f64 v[82:83], v[2:3], -4
; %bb.220:                              ;   in Loop: Header=BB192_145 Depth=1
	s_or_b64 exec, exec, s[10:11]
	v_frexp_mant_f64_e32 v[2:3], v[82:83]
	v_cmp_gt_f64_e32 vcc, s[26:27], v[2:3]
	v_cndmask_b32_e64 v69, v118, 2.0, vcc
	v_mul_f64 v[2:3], v[2:3], v[68:69]
	v_add_f64 v[10:11], v[2:3], 1.0
	v_rcp_f64_e32 v[84:85], v[10:11]
	v_add_f64 v[88:89], v[10:11], -1.0
	v_add_f64 v[86:87], v[2:3], -1.0
	v_add_f64 v[2:3], v[2:3], -v[88:89]
	v_fma_f64 v[88:89], -v[10:11], v[84:85], 1.0
	v_fmac_f64_e32 v[84:85], v[88:89], v[84:85]
	v_fma_f64 v[88:89], -v[10:11], v[84:85], 1.0
	v_fmac_f64_e32 v[84:85], v[88:89], v[84:85]
	v_mul_f64 v[88:89], v[86:87], v[84:85]
	v_mul_f64 v[90:91], v[10:11], v[88:89]
	v_fma_f64 v[10:11], v[88:89], v[10:11], -v[90:91]
	v_fmac_f64_e32 v[10:11], v[88:89], v[2:3]
	v_add_f64 v[2:3], v[90:91], v[10:11]
	v_add_f64 v[92:93], v[86:87], -v[2:3]
	v_add_f64 v[90:91], v[2:3], -v[90:91]
	;; [unrolled: 1-line block ×5, first 2 shown]
	v_add_f64 v[2:3], v[10:11], v[2:3]
	v_add_f64 v[2:3], v[92:93], v[2:3]
	v_mul_f64 v[2:3], v[84:85], v[2:3]
	v_add_f64 v[10:11], v[88:89], v[2:3]
	v_add_f64 v[84:85], v[10:11], -v[88:89]
	v_add_f64 v[2:3], v[2:3], -v[84:85]
	v_mul_f64 v[84:85], v[10:11], v[10:11]
	v_pk_mov_b32 v[86:87], v[18:19], v[18:19] op_sel:[0,1]
	v_fmac_f64_e32 v[86:87], s[28:29], v[84:85]
	v_pk_mov_b32 v[88:89], v[20:21], v[20:21] op_sel:[0,1]
	v_fmac_f64_e32 v[88:89], v[84:85], v[86:87]
	;; [unrolled: 2-line block ×6, first 2 shown]
	v_ldexp_f64 v[86:87], v[10:11], 1
	v_mul_f64 v[10:11], v[10:11], v[84:85]
	v_mul_f64 v[10:11], v[10:11], v[88:89]
	v_add_f64 v[84:85], v[86:87], v[10:11]
	v_add_f64 v[86:87], v[84:85], -v[86:87]
	v_ldexp_f64 v[2:3], v[2:3], 1
	v_add_f64 v[10:11], v[10:11], -v[86:87]
	v_add_f64 v[2:3], v[2:3], v[10:11]
	v_frexp_exp_i32_f64_e32 v1, v[82:83]
	v_add_f64 v[10:11], v[84:85], v[2:3]
	v_subbrev_co_u32_e32 v1, vcc, 0, v1, vcc
	v_add_f64 v[84:85], v[10:11], -v[84:85]
	v_add_f64 v[2:3], v[2:3], -v[84:85]
	v_cvt_f64_i32_e32 v[84:85], v1
	v_mul_f64 v[86:87], v[84:85], s[30:31]
	v_fma_f64 v[88:89], v[84:85], s[30:31], -v[86:87]
	v_fmac_f64_e32 v[88:89], s[34:35], v[84:85]
	v_add_f64 v[84:85], v[86:87], v[88:89]
	v_add_f64 v[86:87], v[84:85], -v[86:87]
	v_add_f64 v[86:87], v[88:89], -v[86:87]
	v_add_f64 v[88:89], v[84:85], v[10:11]
	v_add_f64 v[90:91], v[88:89], -v[84:85]
	v_add_f64 v[92:93], v[88:89], -v[90:91]
	;; [unrolled: 1-line block ×4, first 2 shown]
	v_add_f64 v[10:11], v[10:11], v[84:85]
	v_add_f64 v[84:85], v[86:87], v[2:3]
	v_add_f64 v[90:91], v[84:85], -v[86:87]
	v_add_f64 v[92:93], v[84:85], -v[90:91]
	v_add_f64 v[10:11], v[84:85], v[10:11]
	v_add_f64 v[86:87], v[86:87], -v[92:93]
	v_add_f64 v[2:3], v[2:3], -v[90:91]
	v_add_f64 v[84:85], v[88:89], v[10:11]
	v_add_f64 v[2:3], v[2:3], v[86:87]
	v_add_f64 v[86:87], v[84:85], -v[88:89]
	v_add_f64 v[10:11], v[10:11], -v[86:87]
	v_add_f64 v[2:3], v[2:3], v[10:11]
	v_add_f64 v[2:3], v[84:85], v[2:3]
	v_cmp_class_f64_e64 vcc, v[82:83], s77
	v_cndmask_b32_e32 v1, v2, v82, vcc
	v_cndmask_b32_e32 v2, v3, v83, vcc
	v_cmp_ngt_f64_e32 vcc, 0, v[82:83]
	v_cndmask_b32_e32 v2, v112, v2, vcc
	v_cmp_nge_f64_e32 vcc, 0, v[82:83]
	v_cndmask_b32_e32 v10, 0, v1, vcc
	v_cmp_neq_f64_e32 vcc, 0, v[82:83]
	v_mov_b32_e32 v82, 0
	v_cndmask_b32_e32 v11, v113, v2, vcc
	v_mov_b32_e32 v83, 0x7ff80000
.LBB192_221:                            ;   in Loop: Header=BB192_145 Depth=1
	s_or_b64 exec, exec, s[8:9]
	v_cmp_o_f64_e32 vcc, v[14:15], v[16:17]
                                        ; implicit-def: $vgpr2_vgpr3
                                        ; implicit-def: $vgpr84_vgpr85
	s_and_saveexec_b64 s[8:9], vcc
	s_xor_b64 s[54:55], exec, s[8:9]
	s_cbranch_execz .LBB192_249
; %bb.222:                              ;   in Loop: Header=BB192_145 Depth=1
	v_and_b32_e32 v12, 0x7fffffff, v15
	v_and_b32_e32 v1, 0x7fffffff, v17
	v_mov_b32_e32 v4, v16
	v_cmp_lt_f64_e64 s[8:9], |v[14:15]|, |v[16:17]|
	v_cndmask_b32_e64 v87, v1, v12, s[8:9]
	v_cndmask_b32_e64 v86, v4, v14, s[8:9]
	v_cmp_nlt_f64_e32 vcc, s[20:21], v[86:87]
                                        ; implicit-def: $vgpr2_vgpr3
                                        ; implicit-def: $vgpr84_vgpr85
	s_and_saveexec_b64 s[10:11], vcc
	s_xor_b64 s[12:13], exec, s[10:11]
	s_cbranch_execz .LBB192_246
; %bb.223:                              ;   in Loop: Header=BB192_145 Depth=1
	v_cndmask_b32_e64 v91, v12, v1, s[8:9]
	v_cndmask_b32_e64 v90, v14, v4, s[8:9]
	v_cmp_neq_f64_e32 vcc, 1.0, v[90:91]
                                        ; implicit-def: $vgpr2_vgpr3
                                        ; implicit-def: $vgpr84_vgpr85
	s_and_saveexec_b64 s[10:11], vcc
	s_xor_b64 s[56:57], exec, s[10:11]
	s_cbranch_execz .LBB192_239
; %bb.224:                              ;   in Loop: Header=BB192_145 Depth=1
	v_max_f64 v[2:3], v[86:87], v[86:87]
	v_max_f64 v[84:85], v[90:91], v[90:91]
	v_min_f64 v[88:89], v[84:85], v[2:3]
	v_max_f64 v[2:3], v[84:85], v[2:3]
	v_cmp_ngt_f64_e32 vcc, s[22:23], v[88:89]
	v_cmp_nlt_f64_e64 s[10:11], s[24:25], v[2:3]
	s_and_b64 s[10:11], s[10:11], vcc
                                        ; implicit-def: $vgpr2_vgpr3
                                        ; implicit-def: $vgpr84_vgpr85
	s_and_saveexec_b64 s[58:59], s[10:11]
	s_xor_b64 s[58:59], exec, s[58:59]
	s_cbranch_execz .LBB192_236
; %bb.225:                              ;   in Loop: Header=BB192_145 Depth=1
	v_cmp_le_f64_e32 vcc, 1.0, v[90:91]
                                        ; implicit-def: $vgpr2_vgpr3
                                        ; implicit-def: $vgpr84_vgpr85
	s_and_saveexec_b64 s[10:11], vcc
	s_xor_b64 s[10:11], exec, s[10:11]
	s_cbranch_execz .LBB192_227
; %bb.226:                              ;   in Loop: Header=BB192_145 Depth=1
	v_add_f64 v[2:3], v[90:91], -1.0
	v_add_f64 v[84:85], v[90:91], 1.0
	v_mul_f64 v[84:85], v[2:3], v[84:85]
	v_fmac_f64_e32 v[84:85], v[86:87], v[86:87]
	v_add_f64 v[2:3], v[84:85], 1.0
	v_add_f64 v[86:87], v[2:3], -1.0
	v_add_f64 v[88:89], v[86:87], -v[2:3]
	v_add_f64 v[88:89], v[88:89], 1.0
	v_add_f64 v[86:87], v[84:85], -v[86:87]
	v_add_f64 v[86:87], v[86:87], v[88:89]
	v_frexp_mant_f64_e32 v[88:89], v[2:3]
	v_frexp_exp_i32_f64_e32 v1, v[2:3]
	v_cmp_gt_f64_e32 vcc, s[26:27], v[88:89]
	v_subbrev_co_u32_e32 v1, vcc, 0, v1, vcc
	v_sub_u32_e32 v4, 0, v1
	v_ldexp_f64 v[2:3], v[2:3], v4
	v_add_f64 v[88:89], v[2:3], -1.0
	v_add_f64 v[94:95], v[2:3], 1.0
	v_add_f64 v[90:91], v[88:89], 1.0
	v_add_f64 v[96:97], v[94:95], -1.0
	v_ldexp_f64 v[86:87], v[86:87], v4
	v_add_f64 v[90:91], v[2:3], -v[90:91]
	v_add_f64 v[2:3], v[2:3], -v[96:97]
	v_add_f64 v[2:3], v[86:87], v[2:3]
	v_add_f64 v[90:91], v[86:87], v[90:91]
	;; [unrolled: 1-line block ×3, first 2 shown]
	v_rcp_f64_e32 v[96:97], v[86:87]
	v_add_f64 v[92:93], v[88:89], v[90:91]
	v_add_f64 v[88:89], v[92:93], -v[88:89]
	v_add_f64 v[88:89], v[90:91], -v[88:89]
	;; [unrolled: 1-line block ×4, first 2 shown]
	v_fma_f64 v[90:91], -v[86:87], v[96:97], 1.0
	v_fmac_f64_e32 v[96:97], v[90:91], v[96:97]
	v_fma_f64 v[90:91], -v[86:87], v[96:97], 1.0
	v_fmac_f64_e32 v[96:97], v[90:91], v[96:97]
	v_mul_f64 v[90:91], v[92:93], v[96:97]
	v_mul_f64 v[94:95], v[86:87], v[90:91]
	v_fma_f64 v[98:99], v[90:91], v[86:87], -v[94:95]
	v_fmac_f64_e32 v[98:99], v[90:91], v[2:3]
	v_add_f64 v[100:101], v[94:95], v[98:99]
	v_add_f64 v[102:103], v[92:93], -v[100:101]
	v_add_f64 v[92:93], v[92:93], -v[102:103]
	;; [unrolled: 1-line block ×4, first 2 shown]
	v_add_f64 v[88:89], v[88:89], v[92:93]
	v_add_f64 v[92:93], v[94:95], -v[98:99]
	v_add_f64 v[88:89], v[92:93], v[88:89]
	v_add_f64 v[92:93], v[102:103], v[88:89]
	v_add_f64 v[94:95], v[102:103], -v[92:93]
	v_add_f64 v[88:89], v[88:89], v[94:95]
	v_mul_f64 v[94:95], v[96:97], v[92:93]
	v_mul_f64 v[98:99], v[86:87], v[94:95]
	v_fma_f64 v[86:87], v[94:95], v[86:87], -v[98:99]
	v_fmac_f64_e32 v[86:87], v[94:95], v[2:3]
	v_add_f64 v[2:3], v[98:99], v[86:87]
	v_add_f64 v[100:101], v[92:93], -v[2:3]
	v_add_f64 v[92:93], v[92:93], -v[100:101]
	;; [unrolled: 1-line block ×4, first 2 shown]
	v_add_f64 v[2:3], v[88:89], v[2:3]
	v_add_f64 v[86:87], v[98:99], -v[86:87]
	v_add_f64 v[2:3], v[86:87], v[2:3]
	v_add_f64 v[86:87], v[90:91], v[94:95]
	;; [unrolled: 1-line block ×3, first 2 shown]
	v_add_f64 v[88:89], v[86:87], -v[90:91]
	v_mul_f64 v[2:3], v[96:97], v[2:3]
	v_add_f64 v[88:89], v[94:95], -v[88:89]
	v_add_f64 v[2:3], v[88:89], v[2:3]
	v_add_f64 v[88:89], v[86:87], v[2:3]
	v_add_f64 v[86:87], v[88:89], -v[86:87]
	v_add_f64 v[2:3], v[2:3], -v[86:87]
	v_mul_f64 v[86:87], v[88:89], v[88:89]
	v_pk_mov_b32 v[90:91], v[18:19], v[18:19] op_sel:[0,1]
	v_fmac_f64_e32 v[90:91], s[28:29], v[86:87]
	v_pk_mov_b32 v[92:93], v[20:21], v[20:21] op_sel:[0,1]
	v_fmac_f64_e32 v[92:93], v[86:87], v[90:91]
	;; [unrolled: 2-line block ×6, first 2 shown]
	v_cvt_f64_i32_e32 v[90:91], v1
	v_mul_f64 v[94:95], v[90:91], s[30:31]
	v_fma_f64 v[96:97], v[90:91], s[30:31], -v[94:95]
	v_fmac_f64_e32 v[96:97], s[34:35], v[90:91]
	v_add_f64 v[90:91], v[94:95], v[96:97]
	v_add_f64 v[94:95], v[90:91], -v[94:95]
	v_mul_f64 v[86:87], v[88:89], v[86:87]
	v_add_f64 v[94:95], v[96:97], -v[94:95]
	v_ldexp_f64 v[96:97], v[88:89], 1
	v_mul_f64 v[86:87], v[86:87], v[92:93]
	v_add_f64 v[88:89], v[96:97], v[86:87]
	v_add_f64 v[92:93], v[88:89], -v[96:97]
	v_ldexp_f64 v[2:3], v[2:3], 1
	v_add_f64 v[86:87], v[86:87], -v[92:93]
	v_add_f64 v[2:3], v[2:3], v[86:87]
	v_add_f64 v[86:87], v[88:89], v[2:3]
	v_add_f64 v[88:89], v[86:87], -v[88:89]
	v_add_f64 v[2:3], v[2:3], -v[88:89]
	v_add_f64 v[88:89], v[90:91], v[86:87]
	v_add_f64 v[92:93], v[88:89], -v[90:91]
	v_add_f64 v[96:97], v[88:89], -v[92:93]
	;; [unrolled: 1-line block ×4, first 2 shown]
	v_add_f64 v[86:87], v[86:87], v[90:91]
	v_add_f64 v[90:91], v[94:95], v[2:3]
	v_add_f64 v[92:93], v[90:91], -v[94:95]
	v_add_f64 v[86:87], v[90:91], v[86:87]
	v_add_f64 v[96:97], v[90:91], -v[92:93]
	;; [unrolled: 2-line block ×3, first 2 shown]
	v_add_f64 v[2:3], v[2:3], -v[92:93]
	v_add_f64 v[88:89], v[90:91], -v[88:89]
	v_add_f64 v[2:3], v[2:3], v[94:95]
	v_add_f64 v[86:87], v[86:87], -v[88:89]
	v_add_f64 v[2:3], v[2:3], v[86:87]
	v_max_f64 v[86:87], |v[16:17]|, |v[16:17]|
	v_max_f64 v[88:89], |v[14:15]|, |v[14:15]|
	v_add_f64 v[2:3], v[90:91], v[2:3]
	v_max_f64 v[90:91], v[88:89], v[86:87]
	v_min_f64 v[86:87], v[88:89], v[86:87]
	v_div_scale_f64 v[88:89], s[60:61], v[90:91], v[90:91], v[86:87]
	v_cmp_eq_f64_e32 vcc, s[36:37], v[84:85]
	v_rcp_f64_e32 v[92:93], v[88:89]
	v_cndmask_b32_e32 v3, v3, v85, vcc
	v_cndmask_b32_e32 v2, v2, v84, vcc
	v_mul_f64 v[2:3], v[2:3], 0.5
	v_cmp_ngt_f64_e32 vcc, -1.0, v[84:85]
	v_cndmask_b32_e32 v1, v112, v3, vcc
	v_cmp_nge_f64_e32 vcc, -1.0, v[84:85]
	v_cndmask_b32_e32 v2, 0, v2, vcc
	v_cmp_neq_f64_e32 vcc, -1.0, v[84:85]
	v_fma_f64 v[84:85], -v[88:89], v[92:93], 1.0
	v_fmac_f64_e32 v[92:93], v[92:93], v[84:85]
	v_fma_f64 v[84:85], -v[88:89], v[92:93], 1.0
	v_cndmask_b32_e32 v3, v113, v1, vcc
	v_fmac_f64_e32 v[92:93], v[92:93], v[84:85]
	v_div_scale_f64 v[84:85], vcc, v[86:87], v[90:91], v[86:87]
	v_mul_f64 v[94:95], v[84:85], v[92:93]
	v_fma_f64 v[84:85], -v[88:89], v[94:95], v[84:85]
	v_pk_mov_b32 v[88:89], v[30:31], v[30:31] op_sel:[0,1]
	s_nop 0
	v_div_fmas_f64 v[84:85], v[84:85], v[92:93], v[94:95]
	v_div_fixup_f64 v[84:85], v[84:85], v[90:91], v[86:87]
	v_mul_f64 v[86:87], v[84:85], v[84:85]
	v_fmac_f64_e32 v[88:89], s[38:39], v[86:87]
	v_pk_mov_b32 v[90:91], v[32:33], v[32:33] op_sel:[0,1]
	v_fmac_f64_e32 v[90:91], v[86:87], v[88:89]
	v_pk_mov_b32 v[88:89], v[34:35], v[34:35] op_sel:[0,1]
	;; [unrolled: 2-line block ×18, first 2 shown]
	v_fmac_f64_e32 v[88:89], v[86:87], v[90:91]
	v_mul_f64 v[86:87], v[86:87], v[88:89]
	v_fmac_f64_e32 v[84:85], v[84:85], v[86:87]
	v_cmp_class_f64_e64 s[62:63], v[14:15], s77
	v_cmp_gt_i32_e32 vcc, 0, v15
	v_ashrrev_i32_e32 v12, 31, v15
	v_add_f64 v[14:15], -v[84:85], s[40:41]
	v_cndmask_b32_e64 v15, v85, v15, s[8:9]
	v_cndmask_b32_e64 v14, v84, v14, s[8:9]
	s_mov_b32 s42, s40
	v_add_f64 v[84:85], -v[14:15], s[42:43]
	v_cmp_class_f64_e64 s[60:61], v[16:17], s77
	v_cndmask_b32_e32 v1, v114, v115, vcc
	v_cndmask_b32_e32 v4, v116, v117, vcc
	v_and_b32_e32 v69, 0x400921fb, v12
	v_and_b32_e32 v12, 0x54442d18, v12
	v_cndmask_b32_e32 v15, v15, v85, vcc
	v_cndmask_b32_e32 v14, v14, v84, vcc
	v_cmp_eq_f64_e32 vcc, 0, v[16:17]
	v_bfi_b32 v4, s76, v4, v17
	v_cndmask_b32_e32 v12, v14, v12, vcc
	v_cndmask_b32_e32 v14, v15, v69, vcc
	s_and_b64 vcc, s[60:61], s[62:63]
	v_cndmask_b32_e32 v85, v14, v4, vcc
	v_cndmask_b32_e32 v84, v12, v1, vcc
                                        ; implicit-def: $vgpr86_vgpr87
                                        ; implicit-def: $vgpr90_vgpr91
.LBB192_227:                            ;   in Loop: Header=BB192_145 Depth=1
	s_andn2_saveexec_b64 s[60:61], s[10:11]
	s_cbranch_execz .LBB192_235
; %bb.228:                              ;   in Loop: Header=BB192_145 Depth=1
	v_mul_f64 v[88:89], v[86:87], v[86:87]
	v_fmac_f64_e32 v[88:89], v[90:91], v[90:91]
	v_cmp_ge_f64_e32 vcc, s[44:45], v[88:89]
                                        ; implicit-def: $vgpr2_vgpr3
                                        ; implicit-def: $vgpr84_vgpr85
	s_and_saveexec_b64 s[10:11], vcc
	s_xor_b64 s[10:11], exec, s[10:11]
	s_cbranch_execz .LBB192_230
; %bb.229:                              ;   in Loop: Header=BB192_145 Depth=1
	v_frexp_mant_f64_e32 v[2:3], v[88:89]
	v_cmp_gt_f64_e32 vcc, s[26:27], v[2:3]
	v_cndmask_b32_e64 v69, v118, 2.0, vcc
	v_mul_f64 v[2:3], v[2:3], v[68:69]
	v_add_f64 v[84:85], v[2:3], 1.0
	v_rcp_f64_e32 v[86:87], v[84:85]
	v_add_f64 v[92:93], v[84:85], -1.0
	v_add_f64 v[90:91], v[2:3], -1.0
	v_add_f64 v[2:3], v[2:3], -v[92:93]
	v_fma_f64 v[92:93], -v[84:85], v[86:87], 1.0
	v_fmac_f64_e32 v[86:87], v[92:93], v[86:87]
	v_fma_f64 v[92:93], -v[84:85], v[86:87], 1.0
	v_fmac_f64_e32 v[86:87], v[92:93], v[86:87]
	v_mul_f64 v[92:93], v[90:91], v[86:87]
	v_mul_f64 v[94:95], v[84:85], v[92:93]
	v_fma_f64 v[84:85], v[92:93], v[84:85], -v[94:95]
	v_fmac_f64_e32 v[84:85], v[92:93], v[2:3]
	v_add_f64 v[2:3], v[94:95], v[84:85]
	v_add_f64 v[96:97], v[90:91], -v[2:3]
	v_add_f64 v[94:95], v[2:3], -v[94:95]
	;; [unrolled: 1-line block ×5, first 2 shown]
	v_add_f64 v[2:3], v[84:85], v[2:3]
	v_add_f64 v[2:3], v[96:97], v[2:3]
	v_mul_f64 v[2:3], v[86:87], v[2:3]
	v_add_f64 v[84:85], v[92:93], v[2:3]
	v_add_f64 v[86:87], v[84:85], -v[92:93]
	v_add_f64 v[2:3], v[2:3], -v[86:87]
	v_mul_f64 v[86:87], v[84:85], v[84:85]
	v_pk_mov_b32 v[90:91], v[18:19], v[18:19] op_sel:[0,1]
	v_fmac_f64_e32 v[90:91], s[28:29], v[86:87]
	v_pk_mov_b32 v[92:93], v[20:21], v[20:21] op_sel:[0,1]
	v_fmac_f64_e32 v[92:93], v[86:87], v[90:91]
	;; [unrolled: 2-line block ×6, first 2 shown]
	v_ldexp_f64 v[90:91], v[84:85], 1
	v_mul_f64 v[84:85], v[84:85], v[86:87]
	v_mul_f64 v[84:85], v[84:85], v[92:93]
	v_add_f64 v[86:87], v[90:91], v[84:85]
	v_add_f64 v[90:91], v[86:87], -v[90:91]
	v_ldexp_f64 v[2:3], v[2:3], 1
	v_add_f64 v[84:85], v[84:85], -v[90:91]
	v_add_f64 v[2:3], v[2:3], v[84:85]
	v_frexp_exp_i32_f64_e32 v1, v[88:89]
	v_add_f64 v[84:85], v[86:87], v[2:3]
	v_subbrev_co_u32_e32 v1, vcc, 0, v1, vcc
	v_add_f64 v[86:87], v[84:85], -v[86:87]
	v_add_f64 v[2:3], v[2:3], -v[86:87]
	v_cvt_f64_i32_e32 v[86:87], v1
	v_mul_f64 v[90:91], v[86:87], s[30:31]
	v_fma_f64 v[92:93], v[86:87], s[30:31], -v[90:91]
	v_fmac_f64_e32 v[92:93], s[34:35], v[86:87]
	v_add_f64 v[86:87], v[90:91], v[92:93]
	v_add_f64 v[90:91], v[86:87], -v[90:91]
	v_add_f64 v[90:91], v[92:93], -v[90:91]
	v_add_f64 v[92:93], v[86:87], v[84:85]
	v_add_f64 v[94:95], v[92:93], -v[86:87]
	v_add_f64 v[96:97], v[92:93], -v[94:95]
	;; [unrolled: 1-line block ×4, first 2 shown]
	v_add_f64 v[84:85], v[84:85], v[86:87]
	v_add_f64 v[86:87], v[90:91], v[2:3]
	v_add_f64 v[94:95], v[86:87], -v[90:91]
	v_add_f64 v[96:97], v[86:87], -v[94:95]
	v_add_f64 v[84:85], v[86:87], v[84:85]
	v_add_f64 v[90:91], v[90:91], -v[96:97]
	v_add_f64 v[2:3], v[2:3], -v[94:95]
	v_add_f64 v[86:87], v[92:93], v[84:85]
	v_add_f64 v[2:3], v[2:3], v[90:91]
	v_add_f64 v[90:91], v[86:87], -v[92:93]
	v_add_f64 v[84:85], v[84:85], -v[90:91]
	v_add_f64 v[2:3], v[2:3], v[84:85]
	v_add_f64 v[2:3], v[86:87], v[2:3]
	v_max_f64 v[84:85], |v[16:17]|, |v[16:17]|
	v_max_f64 v[86:87], |v[14:15]|, |v[14:15]|
	v_max_f64 v[90:91], v[86:87], v[84:85]
	v_min_f64 v[84:85], v[86:87], v[84:85]
	v_div_scale_f64 v[86:87], s[62:63], v[90:91], v[90:91], v[84:85]
	v_rcp_f64_e32 v[92:93], v[86:87]
	v_cmp_neq_f64_e32 vcc, 0, v[88:89]
	v_mul_f64 v[2:3], v[2:3], 0.5
	v_cndmask_b32_e32 v3, v113, v3, vcc
	v_fma_f64 v[88:89], -v[86:87], v[92:93], 1.0
	v_fmac_f64_e32 v[92:93], v[92:93], v[88:89]
	v_fma_f64 v[88:89], -v[86:87], v[92:93], 1.0
	v_cndmask_b32_e32 v2, 0, v2, vcc
	v_fmac_f64_e32 v[92:93], v[92:93], v[88:89]
	v_div_scale_f64 v[88:89], vcc, v[84:85], v[90:91], v[84:85]
	v_mul_f64 v[94:95], v[88:89], v[92:93]
	v_fma_f64 v[86:87], -v[86:87], v[94:95], v[88:89]
	v_pk_mov_b32 v[88:89], v[30:31], v[30:31] op_sel:[0,1]
	s_nop 0
	v_div_fmas_f64 v[86:87], v[86:87], v[92:93], v[94:95]
	v_div_fixup_f64 v[84:85], v[86:87], v[90:91], v[84:85]
	v_mul_f64 v[86:87], v[84:85], v[84:85]
	v_fmac_f64_e32 v[88:89], s[38:39], v[86:87]
	v_pk_mov_b32 v[90:91], v[32:33], v[32:33] op_sel:[0,1]
	v_fmac_f64_e32 v[90:91], v[86:87], v[88:89]
	v_pk_mov_b32 v[88:89], v[34:35], v[34:35] op_sel:[0,1]
	;; [unrolled: 2-line block ×18, first 2 shown]
	v_fmac_f64_e32 v[88:89], v[86:87], v[90:91]
	v_mul_f64 v[86:87], v[86:87], v[88:89]
	v_fmac_f64_e32 v[84:85], v[84:85], v[86:87]
	v_cmp_class_f64_e64 s[64:65], v[14:15], s77
	v_cmp_gt_i32_e32 vcc, 0, v15
	v_ashrrev_i32_e32 v12, 31, v15
	v_add_f64 v[14:15], -v[84:85], s[40:41]
	v_cndmask_b32_e64 v15, v85, v15, s[8:9]
	v_cndmask_b32_e64 v14, v84, v14, s[8:9]
	s_mov_b32 s42, s40
	v_add_f64 v[84:85], -v[14:15], s[42:43]
	v_cmp_class_f64_e64 s[62:63], v[16:17], s77
	v_cndmask_b32_e32 v1, v114, v115, vcc
	v_cndmask_b32_e32 v4, v116, v117, vcc
	v_and_b32_e32 v69, 0x400921fb, v12
	v_and_b32_e32 v12, 0x54442d18, v12
	v_cndmask_b32_e32 v15, v15, v85, vcc
	v_cndmask_b32_e32 v14, v14, v84, vcc
	v_cmp_eq_f64_e32 vcc, 0, v[16:17]
	v_bfi_b32 v4, s76, v4, v17
	v_cndmask_b32_e32 v12, v14, v12, vcc
	v_cndmask_b32_e32 v14, v15, v69, vcc
	s_and_b64 vcc, s[62:63], s[64:65]
	v_cndmask_b32_e32 v85, v14, v4, vcc
	v_cndmask_b32_e32 v84, v12, v1, vcc
                                        ; implicit-def: $vgpr90_vgpr91
                                        ; implicit-def: $vgpr86_vgpr87
.LBB192_230:                            ;   in Loop: Header=BB192_145 Depth=1
	s_andn2_saveexec_b64 s[62:63], s[10:11]
	s_cbranch_execz .LBB192_234
; %bb.231:                              ;   in Loop: Header=BB192_145 Depth=1
	v_and_b32_e32 v69, 0x7ffffff8, v91
	v_add_f64 v[2:3], v[90:91], -v[68:69]
	v_and_b32_e32 v99, -8, v3
	v_mov_b32_e32 v98, v68
	v_and_b32_e32 v89, 0x7ffffff8, v87
	v_mov_b32_e32 v88, v68
	v_add_f64 v[102:103], v[2:3], -v[98:99]
	v_add_f64 v[2:3], v[86:87], -v[88:89]
	v_and_b32_e32 v101, -8, v3
	v_mov_b32_e32 v100, v68
	v_add_f64 v[92:93], v[68:69], v[68:69]
	v_add_f64 v[106:107], v[88:89], v[88:89]
	v_add_f64 v[104:105], v[2:3], -v[100:101]
	v_mul_f64 v[84:85], v[88:89], v[88:89]
	v_mul_f64 v[90:91], v[92:93], v[98:99]
	;; [unrolled: 1-line block ×5, first 2 shown]
	v_add_f64 v[98:99], v[98:99], v[98:99]
	v_add_f64 v[100:101], v[100:101], v[100:101]
	v_mul_f64 v[2:3], v[68:69], v[68:69]
	v_mul_f64 v[94:95], v[92:93], v[102:103]
	;; [unrolled: 1-line block ×7, first 2 shown]
	s_mov_b64 s[64:65], 0
.LBB192_232:                            ;   Parent Loop BB192_145 Depth=1
                                        ; =>  This Inner Loop Header: Depth=2
	v_cmp_nlt_f64_e32 vcc, v[2:3], v[84:85]
	v_cndmask_b32_e32 v107, v3, v85, vcc
	v_cndmask_b32_e32 v106, v2, v84, vcc
	v_cmp_nlt_f64_e64 s[10:11], v[106:107], v[90:91]
	v_cndmask_b32_e64 v109, v107, v91, s[10:11]
	v_cndmask_b32_e64 v108, v106, v90, s[10:11]
	v_cndmask_b32_e32 v3, v85, v3, vcc
	v_cndmask_b32_e32 v2, v84, v2, vcc
	s_and_b64 s[66:67], vcc, s[10:11]
	v_cmp_nlt_f64_e32 vcc, v[108:109], v[88:89]
	v_cndmask_b32_e64 v85, v91, v107, s[10:11]
	v_cndmask_b32_e64 v84, v90, v106, s[10:11]
	v_cndmask_b32_e32 v107, v109, v89, vcc
	v_cndmask_b32_e32 v106, v108, v88, vcc
	v_cmp_nlt_f64_e64 s[10:11], v[106:107], v[96:97]
	v_cndmask_b32_e32 v91, v89, v109, vcc
	v_cndmask_b32_e32 v90, v88, v108, vcc
	v_cndmask_b32_e64 v109, v107, v97, s[10:11]
	v_cndmask_b32_e64 v108, v106, v96, s[10:11]
	s_and_b64 s[78:79], vcc, s[10:11]
	v_cmp_nlt_f64_e32 vcc, v[108:109], v[86:87]
	v_cndmask_b32_e64 v89, v97, v107, s[10:11]
	v_cndmask_b32_e64 v88, v96, v106, s[10:11]
	v_cndmask_b32_e32 v107, v109, v87, vcc
	v_cndmask_b32_e32 v106, v108, v86, vcc
	v_cmp_nlt_f64_e64 s[10:11], v[106:107], v[94:95]
	v_cndmask_b32_e32 v97, v87, v109, vcc
	v_cndmask_b32_e32 v96, v86, v108, vcc
	v_cndmask_b32_e64 v109, v107, v95, s[10:11]
	v_cndmask_b32_e64 v108, v106, v94, s[10:11]
	;; [unrolled: 1-line block ×4, first 2 shown]
	s_and_b64 s[10:11], vcc, s[10:11]
	v_cmp_nlt_f64_e32 vcc, v[108:109], v[92:93]
	v_cndmask_b32_e32 v107, v109, v93, vcc
	v_cndmask_b32_e32 v106, v108, v92, vcc
	v_cndmask_b32_e32 v95, v93, v109, vcc
	v_cndmask_b32_e32 v94, v92, v108, vcc
	s_and_b64 s[10:11], s[10:11], vcc
	v_cmp_nlt_f64_e32 vcc, v[106:107], v[98:99]
	v_cndmask_b32_e32 v109, v107, v99, vcc
	v_cndmask_b32_e32 v108, v106, v98, vcc
	v_cndmask_b32_e32 v93, v99, v107, vcc
	v_cndmask_b32_e32 v92, v98, v106, vcc
	s_and_b64 s[10:11], s[10:11], vcc
	;; [unrolled: 6-line block ×4, first 2 shown]
	v_cmp_nlt_f64_e32 vcc, v[108:109], v[104:105]
	s_and_b64 s[10:11], s[10:11], vcc
	s_and_b64 s[10:11], s[10:11], s[78:79]
	s_and_b64 s[10:11], s[10:11], s[66:67]
	v_cndmask_b32_e32 v107, v109, v105, vcc
	v_cndmask_b32_e32 v106, v108, v104, vcc
	s_and_b64 s[10:11], exec, s[10:11]
	v_cndmask_b32_e32 v103, v105, v109, vcc
	v_cndmask_b32_e32 v102, v104, v108, vcc
	s_or_b64 s[64:65], s[10:11], s[64:65]
	v_pk_mov_b32 v[104:105], v[106:107], v[106:107] op_sel:[0,1]
	s_andn2_b64 exec, exec, s[64:65]
	s_cbranch_execnz .LBB192_232
; %bb.233:                              ;   in Loop: Header=BB192_145 Depth=1
	s_or_b64 exec, exec, s[64:65]
	v_add_f64 v[2:3], v[2:3], -1.0
	v_add_f64 v[2:3], v[2:3], v[84:85]
	v_add_f64 v[2:3], v[2:3], v[90:91]
	v_add_f64 v[2:3], v[2:3], v[88:89]
	v_add_f64 v[2:3], v[2:3], v[96:97]
	v_add_f64 v[2:3], v[2:3], v[86:87]
	v_add_f64 v[2:3], v[2:3], v[94:95]
	v_add_f64 v[2:3], v[2:3], v[92:93]
	v_add_f64 v[2:3], v[2:3], v[98:99]
	v_add_f64 v[2:3], v[2:3], v[100:101]
	v_add_f64 v[2:3], v[2:3], v[102:103]
	v_add_f64 v[84:85], v[106:107], v[2:3]
	v_add_f64 v[2:3], v[84:85], 1.0
	v_add_f64 v[86:87], v[2:3], -1.0
	v_add_f64 v[88:89], v[86:87], -v[2:3]
	v_add_f64 v[88:89], v[88:89], 1.0
	v_add_f64 v[86:87], v[84:85], -v[86:87]
	v_add_f64 v[86:87], v[86:87], v[88:89]
	v_frexp_mant_f64_e32 v[88:89], v[2:3]
	v_frexp_exp_i32_f64_e32 v1, v[2:3]
	v_cmp_gt_f64_e32 vcc, s[26:27], v[88:89]
	v_subbrev_co_u32_e32 v1, vcc, 0, v1, vcc
	v_sub_u32_e32 v4, 0, v1
	v_ldexp_f64 v[2:3], v[2:3], v4
	v_add_f64 v[88:89], v[2:3], -1.0
	v_add_f64 v[94:95], v[2:3], 1.0
	v_add_f64 v[90:91], v[88:89], 1.0
	v_add_f64 v[96:97], v[94:95], -1.0
	v_ldexp_f64 v[86:87], v[86:87], v4
	v_add_f64 v[90:91], v[2:3], -v[90:91]
	v_add_f64 v[2:3], v[2:3], -v[96:97]
	v_add_f64 v[2:3], v[86:87], v[2:3]
	v_add_f64 v[90:91], v[86:87], v[90:91]
	;; [unrolled: 1-line block ×3, first 2 shown]
	v_rcp_f64_e32 v[96:97], v[86:87]
	v_add_f64 v[92:93], v[88:89], v[90:91]
	v_add_f64 v[88:89], v[92:93], -v[88:89]
	v_add_f64 v[88:89], v[90:91], -v[88:89]
	;; [unrolled: 1-line block ×4, first 2 shown]
	v_fma_f64 v[90:91], -v[86:87], v[96:97], 1.0
	v_fmac_f64_e32 v[96:97], v[90:91], v[96:97]
	v_fma_f64 v[90:91], -v[86:87], v[96:97], 1.0
	v_fmac_f64_e32 v[96:97], v[90:91], v[96:97]
	v_mul_f64 v[90:91], v[92:93], v[96:97]
	v_mul_f64 v[94:95], v[86:87], v[90:91]
	v_fma_f64 v[98:99], v[90:91], v[86:87], -v[94:95]
	v_fmac_f64_e32 v[98:99], v[90:91], v[2:3]
	v_add_f64 v[100:101], v[94:95], v[98:99]
	v_add_f64 v[102:103], v[92:93], -v[100:101]
	v_add_f64 v[92:93], v[92:93], -v[102:103]
	;; [unrolled: 1-line block ×4, first 2 shown]
	v_add_f64 v[88:89], v[88:89], v[92:93]
	v_add_f64 v[92:93], v[94:95], -v[98:99]
	v_add_f64 v[88:89], v[92:93], v[88:89]
	v_add_f64 v[92:93], v[102:103], v[88:89]
	v_add_f64 v[94:95], v[102:103], -v[92:93]
	v_add_f64 v[88:89], v[88:89], v[94:95]
	v_mul_f64 v[94:95], v[96:97], v[92:93]
	v_mul_f64 v[98:99], v[86:87], v[94:95]
	v_fma_f64 v[86:87], v[94:95], v[86:87], -v[98:99]
	v_fmac_f64_e32 v[86:87], v[94:95], v[2:3]
	v_add_f64 v[2:3], v[98:99], v[86:87]
	v_add_f64 v[100:101], v[92:93], -v[2:3]
	v_add_f64 v[92:93], v[92:93], -v[100:101]
	;; [unrolled: 1-line block ×4, first 2 shown]
	v_add_f64 v[2:3], v[88:89], v[2:3]
	v_add_f64 v[86:87], v[98:99], -v[86:87]
	v_add_f64 v[2:3], v[86:87], v[2:3]
	v_add_f64 v[86:87], v[90:91], v[94:95]
	;; [unrolled: 1-line block ×3, first 2 shown]
	v_add_f64 v[88:89], v[86:87], -v[90:91]
	v_mul_f64 v[2:3], v[96:97], v[2:3]
	v_add_f64 v[88:89], v[94:95], -v[88:89]
	v_add_f64 v[2:3], v[88:89], v[2:3]
	v_add_f64 v[88:89], v[86:87], v[2:3]
	v_add_f64 v[86:87], v[88:89], -v[86:87]
	v_add_f64 v[2:3], v[2:3], -v[86:87]
	v_mul_f64 v[86:87], v[88:89], v[88:89]
	v_pk_mov_b32 v[90:91], v[18:19], v[18:19] op_sel:[0,1]
	v_fmac_f64_e32 v[90:91], s[28:29], v[86:87]
	v_pk_mov_b32 v[92:93], v[20:21], v[20:21] op_sel:[0,1]
	v_fmac_f64_e32 v[92:93], v[86:87], v[90:91]
	;; [unrolled: 2-line block ×6, first 2 shown]
	v_cvt_f64_i32_e32 v[90:91], v1
	v_mul_f64 v[94:95], v[90:91], s[30:31]
	v_fma_f64 v[96:97], v[90:91], s[30:31], -v[94:95]
	v_fmac_f64_e32 v[96:97], s[34:35], v[90:91]
	v_add_f64 v[90:91], v[94:95], v[96:97]
	v_add_f64 v[94:95], v[90:91], -v[94:95]
	v_mul_f64 v[86:87], v[88:89], v[86:87]
	v_add_f64 v[94:95], v[96:97], -v[94:95]
	v_ldexp_f64 v[96:97], v[88:89], 1
	v_mul_f64 v[86:87], v[86:87], v[92:93]
	v_add_f64 v[88:89], v[96:97], v[86:87]
	v_add_f64 v[92:93], v[88:89], -v[96:97]
	v_ldexp_f64 v[2:3], v[2:3], 1
	v_add_f64 v[86:87], v[86:87], -v[92:93]
	v_add_f64 v[2:3], v[2:3], v[86:87]
	v_add_f64 v[86:87], v[88:89], v[2:3]
	v_add_f64 v[88:89], v[86:87], -v[88:89]
	v_add_f64 v[2:3], v[2:3], -v[88:89]
	v_add_f64 v[88:89], v[90:91], v[86:87]
	v_add_f64 v[92:93], v[88:89], -v[90:91]
	v_add_f64 v[96:97], v[88:89], -v[92:93]
	;; [unrolled: 1-line block ×4, first 2 shown]
	v_add_f64 v[86:87], v[86:87], v[90:91]
	v_add_f64 v[90:91], v[94:95], v[2:3]
	v_add_f64 v[92:93], v[90:91], -v[94:95]
	v_add_f64 v[86:87], v[90:91], v[86:87]
	v_add_f64 v[96:97], v[90:91], -v[92:93]
	;; [unrolled: 2-line block ×3, first 2 shown]
	v_add_f64 v[2:3], v[2:3], -v[92:93]
	v_add_f64 v[88:89], v[90:91], -v[88:89]
	v_add_f64 v[2:3], v[2:3], v[94:95]
	v_add_f64 v[86:87], v[86:87], -v[88:89]
	v_add_f64 v[2:3], v[2:3], v[86:87]
	v_max_f64 v[86:87], |v[16:17]|, |v[16:17]|
	v_max_f64 v[88:89], |v[14:15]|, |v[14:15]|
	v_add_f64 v[2:3], v[90:91], v[2:3]
	v_max_f64 v[90:91], v[88:89], v[86:87]
	v_min_f64 v[86:87], v[88:89], v[86:87]
	v_div_scale_f64 v[88:89], s[10:11], v[90:91], v[90:91], v[86:87]
	v_cmp_eq_f64_e32 vcc, s[36:37], v[84:85]
	v_rcp_f64_e32 v[92:93], v[88:89]
	v_cndmask_b32_e32 v3, v3, v85, vcc
	v_cndmask_b32_e32 v2, v2, v84, vcc
	v_mul_f64 v[2:3], v[2:3], 0.5
	v_cmp_ngt_f64_e32 vcc, -1.0, v[84:85]
	v_cndmask_b32_e32 v1, v112, v3, vcc
	v_cmp_nge_f64_e32 vcc, -1.0, v[84:85]
	v_cndmask_b32_e32 v2, 0, v2, vcc
	v_cmp_neq_f64_e32 vcc, -1.0, v[84:85]
	v_fma_f64 v[84:85], -v[88:89], v[92:93], 1.0
	v_fmac_f64_e32 v[92:93], v[92:93], v[84:85]
	v_fma_f64 v[84:85], -v[88:89], v[92:93], 1.0
	v_cndmask_b32_e32 v3, v113, v1, vcc
	v_fmac_f64_e32 v[92:93], v[92:93], v[84:85]
	v_div_scale_f64 v[84:85], vcc, v[86:87], v[90:91], v[86:87]
	v_mul_f64 v[94:95], v[84:85], v[92:93]
	v_fma_f64 v[84:85], -v[88:89], v[94:95], v[84:85]
	v_pk_mov_b32 v[88:89], v[30:31], v[30:31] op_sel:[0,1]
	s_nop 0
	v_div_fmas_f64 v[84:85], v[84:85], v[92:93], v[94:95]
	v_div_fixup_f64 v[84:85], v[84:85], v[90:91], v[86:87]
	v_mul_f64 v[86:87], v[84:85], v[84:85]
	v_fmac_f64_e32 v[88:89], s[38:39], v[86:87]
	v_pk_mov_b32 v[90:91], v[32:33], v[32:33] op_sel:[0,1]
	v_fmac_f64_e32 v[90:91], v[86:87], v[88:89]
	v_pk_mov_b32 v[88:89], v[34:35], v[34:35] op_sel:[0,1]
	;; [unrolled: 2-line block ×18, first 2 shown]
	v_fmac_f64_e32 v[88:89], v[86:87], v[90:91]
	v_mul_f64 v[86:87], v[86:87], v[88:89]
	v_fmac_f64_e32 v[84:85], v[84:85], v[86:87]
	v_cmp_class_f64_e64 s[64:65], v[14:15], s77
	v_cmp_gt_i32_e32 vcc, 0, v15
	v_ashrrev_i32_e32 v12, 31, v15
	v_add_f64 v[14:15], -v[84:85], s[40:41]
	v_cndmask_b32_e64 v15, v85, v15, s[8:9]
	v_cndmask_b32_e64 v14, v84, v14, s[8:9]
	s_mov_b32 s42, s40
	v_add_f64 v[84:85], -v[14:15], s[42:43]
	v_cmp_class_f64_e64 s[10:11], v[16:17], s77
	v_cndmask_b32_e32 v1, v114, v115, vcc
	v_cndmask_b32_e32 v4, v116, v117, vcc
	v_and_b32_e32 v69, 0x400921fb, v12
	v_and_b32_e32 v12, 0x54442d18, v12
	v_cndmask_b32_e32 v15, v15, v85, vcc
	v_cndmask_b32_e32 v14, v14, v84, vcc
	v_cmp_eq_f64_e32 vcc, 0, v[16:17]
	v_bfi_b32 v4, s76, v4, v17
	v_cndmask_b32_e32 v12, v14, v12, vcc
	v_cndmask_b32_e32 v14, v15, v69, vcc
	s_and_b64 vcc, s[10:11], s[64:65]
	v_cndmask_b32_e32 v85, v14, v4, vcc
	v_cndmask_b32_e32 v84, v12, v1, vcc
.LBB192_234:                            ;   in Loop: Header=BB192_145 Depth=1
	s_or_b64 exec, exec, s[62:63]
.LBB192_235:                            ;   in Loop: Header=BB192_145 Depth=1
	s_or_b64 exec, exec, s[60:61]
.LBB192_236:                            ;   in Loop: Header=BB192_145 Depth=1
	s_andn2_saveexec_b64 s[58:59], s[58:59]
	s_cbranch_execz .LBB192_238
; %bb.237:                              ;   in Loop: Header=BB192_145 Depth=1
	v_max_f64 v[2:3], |v[16:17]|, |v[16:17]|
	v_max_f64 v[84:85], |v[14:15]|, |v[14:15]|
	v_max_f64 v[86:87], v[84:85], v[2:3]
	v_frexp_exp_i32_f64_e32 v1, v[86:87]
	v_sub_u32_e32 v4, 0, v1
	v_ldexp_f64 v[90:91], |v[16:17]|, v4
	v_ldexp_f64 v[88:89], |v[14:15]|, v4
	v_mul_f64 v[90:91], v[90:91], v[90:91]
	v_fmac_f64_e32 v[90:91], v[88:89], v[88:89]
	v_rsq_f64_e32 v[88:89], v[90:91]
	v_cmp_eq_f64_e32 vcc, 0, v[90:91]
	v_cmp_class_f64_e64 s[60:61], v[14:15], s77
	v_cmp_class_f64_e64 s[62:63], v[16:17], s77
	v_mul_f64 v[92:93], v[90:91], v[88:89]
	v_mul_f64 v[88:89], v[88:89], 0.5
	v_fma_f64 v[94:95], -v[88:89], v[92:93], 0.5
	v_fmac_f64_e32 v[92:93], v[92:93], v[94:95]
	v_fmac_f64_e32 v[88:89], v[88:89], v[94:95]
	v_fma_f64 v[94:95], -v[92:93], v[92:93], v[90:91]
	v_fmac_f64_e32 v[92:93], v[94:95], v[88:89]
	v_cndmask_b32_e32 v89, v93, v91, vcc
	v_cndmask_b32_e32 v88, v92, v90, vcc
	v_ldexp_f64 v[88:89], v[88:89], v1
	s_or_b64 vcc, s[62:63], s[60:61]
	v_cndmask_b32_e32 v91, v89, v119, vcc
	v_cndmask_b32_e64 v90, v88, 0, vcc
	v_frexp_mant_f64_e32 v[92:93], v[90:91]
	v_cmp_gt_f64_e64 s[10:11], s[26:27], v[92:93]
	v_cndmask_b32_e64 v69, v118, 2.0, s[10:11]
	v_mul_f64 v[92:93], v[92:93], v[68:69]
	v_add_f64 v[94:95], v[92:93], 1.0
	v_rcp_f64_e32 v[96:97], v[94:95]
	v_add_f64 v[100:101], v[94:95], -1.0
	v_add_f64 v[98:99], v[92:93], -1.0
	v_add_f64 v[92:93], v[92:93], -v[100:101]
	v_fma_f64 v[100:101], -v[94:95], v[96:97], 1.0
	v_fmac_f64_e32 v[96:97], v[100:101], v[96:97]
	v_fma_f64 v[100:101], -v[94:95], v[96:97], 1.0
	v_fmac_f64_e32 v[96:97], v[100:101], v[96:97]
	v_mul_f64 v[100:101], v[98:99], v[96:97]
	v_mul_f64 v[102:103], v[94:95], v[100:101]
	v_fma_f64 v[94:95], v[100:101], v[94:95], -v[102:103]
	v_fmac_f64_e32 v[94:95], v[100:101], v[92:93]
	v_add_f64 v[92:93], v[102:103], v[94:95]
	v_add_f64 v[104:105], v[98:99], -v[92:93]
	v_add_f64 v[102:103], v[92:93], -v[102:103]
	;; [unrolled: 1-line block ×5, first 2 shown]
	v_add_f64 v[92:93], v[94:95], v[92:93]
	v_add_f64 v[92:93], v[104:105], v[92:93]
	v_mul_f64 v[92:93], v[96:97], v[92:93]
	v_add_f64 v[94:95], v[100:101], v[92:93]
	v_add_f64 v[96:97], v[94:95], -v[100:101]
	v_add_f64 v[92:93], v[92:93], -v[96:97]
	v_mul_f64 v[96:97], v[94:95], v[94:95]
	v_pk_mov_b32 v[98:99], v[18:19], v[18:19] op_sel:[0,1]
	v_fmac_f64_e32 v[98:99], s[28:29], v[96:97]
	v_pk_mov_b32 v[100:101], v[20:21], v[20:21] op_sel:[0,1]
	v_fmac_f64_e32 v[100:101], v[96:97], v[98:99]
	;; [unrolled: 2-line block ×6, first 2 shown]
	v_ldexp_f64 v[98:99], v[94:95], 1
	v_mul_f64 v[94:95], v[94:95], v[96:97]
	v_mul_f64 v[94:95], v[94:95], v[100:101]
	v_add_f64 v[96:97], v[98:99], v[94:95]
	v_add_f64 v[98:99], v[96:97], -v[98:99]
	v_ldexp_f64 v[92:93], v[92:93], 1
	v_add_f64 v[94:95], v[94:95], -v[98:99]
	v_add_f64 v[92:93], v[92:93], v[94:95]
	v_frexp_exp_i32_f64_e32 v1, v[90:91]
	v_add_f64 v[94:95], v[96:97], v[92:93]
	v_subbrev_co_u32_e64 v1, s[10:11], 0, v1, s[10:11]
	v_add_f64 v[96:97], v[94:95], -v[96:97]
	v_add_f64 v[92:93], v[92:93], -v[96:97]
	v_cvt_f64_i32_e32 v[96:97], v1
	v_mul_f64 v[98:99], v[96:97], s[30:31]
	v_fma_f64 v[100:101], v[96:97], s[30:31], -v[98:99]
	v_fmac_f64_e32 v[100:101], s[34:35], v[96:97]
	v_add_f64 v[96:97], v[98:99], v[100:101]
	v_add_f64 v[98:99], v[96:97], -v[98:99]
	v_add_f64 v[98:99], v[100:101], -v[98:99]
	v_add_f64 v[100:101], v[96:97], v[94:95]
	v_add_f64 v[102:103], v[100:101], -v[96:97]
	v_add_f64 v[104:105], v[100:101], -v[102:103]
	;; [unrolled: 1-line block ×4, first 2 shown]
	v_add_f64 v[94:95], v[94:95], v[96:97]
	v_add_f64 v[96:97], v[98:99], v[92:93]
	v_add_f64 v[102:103], v[96:97], -v[98:99]
	v_add_f64 v[104:105], v[96:97], -v[102:103]
	v_add_f64 v[94:95], v[96:97], v[94:95]
	v_add_f64 v[98:99], v[98:99], -v[104:105]
	v_add_f64 v[92:93], v[92:93], -v[102:103]
	v_add_f64 v[96:97], v[100:101], v[94:95]
	v_add_f64 v[92:93], v[92:93], v[98:99]
	v_add_f64 v[98:99], v[96:97], -v[100:101]
	v_add_f64 v[94:95], v[94:95], -v[98:99]
	v_add_f64 v[92:93], v[92:93], v[94:95]
	v_add_f64 v[92:93], v[96:97], v[92:93]
	v_cmp_class_f64_e64 s[10:11], v[88:89], s77
	v_min_f64 v[84:85], v[84:85], v[2:3]
	v_cndmask_b32_e64 v1, v93, v89, s[10:11]
	v_cndmask_b32_e64 v4, v92, v88, s[10:11]
	v_div_scale_f64 v[88:89], s[10:11], v[86:87], v[86:87], v[84:85]
	v_rcp_f64_e32 v[92:93], v[88:89]
	v_cndmask_b32_e64 v4, v4, 0, vcc
	v_cndmask_b32_e32 v1, v1, v119, vcc
	v_cmp_ngt_f64_e32 vcc, 0, v[90:91]
	v_cndmask_b32_e32 v1, v112, v1, vcc
	v_cmp_nge_f64_e32 vcc, 0, v[90:91]
	v_cndmask_b32_e32 v2, 0, v4, vcc
	v_cmp_neq_f64_e32 vcc, 0, v[90:91]
	v_fma_f64 v[90:91], -v[88:89], v[92:93], 1.0
	v_fmac_f64_e32 v[92:93], v[92:93], v[90:91]
	v_fma_f64 v[90:91], -v[88:89], v[92:93], 1.0
	v_cndmask_b32_e32 v3, v113, v1, vcc
	v_fmac_f64_e32 v[92:93], v[92:93], v[90:91]
	v_div_scale_f64 v[90:91], vcc, v[84:85], v[86:87], v[84:85]
	v_mul_f64 v[94:95], v[90:91], v[92:93]
	v_fma_f64 v[88:89], -v[88:89], v[94:95], v[90:91]
	v_pk_mov_b32 v[90:91], v[32:33], v[32:33] op_sel:[0,1]
	s_nop 0
	v_div_fmas_f64 v[88:89], v[88:89], v[92:93], v[94:95]
	v_div_fixup_f64 v[84:85], v[88:89], v[86:87], v[84:85]
	v_mul_f64 v[86:87], v[84:85], v[84:85]
	v_pk_mov_b32 v[88:89], v[30:31], v[30:31] op_sel:[0,1]
	v_fmac_f64_e32 v[88:89], s[38:39], v[86:87]
	v_fmac_f64_e32 v[90:91], v[86:87], v[88:89]
	v_pk_mov_b32 v[88:89], v[34:35], v[34:35] op_sel:[0,1]
	v_fmac_f64_e32 v[88:89], v[86:87], v[90:91]
	v_pk_mov_b32 v[90:91], v[36:37], v[36:37] op_sel:[0,1]
	;; [unrolled: 2-line block ×17, first 2 shown]
	v_fmac_f64_e32 v[88:89], v[86:87], v[90:91]
	v_mul_f64 v[86:87], v[86:87], v[88:89]
	v_fmac_f64_e32 v[84:85], v[84:85], v[86:87]
	v_cmp_gt_i32_e32 vcc, 0, v15
	v_ashrrev_i32_e32 v12, 31, v15
	v_add_f64 v[14:15], -v[84:85], s[40:41]
	v_cndmask_b32_e64 v15, v85, v15, s[8:9]
	v_cndmask_b32_e64 v14, v84, v14, s[8:9]
	s_mov_b32 s42, s40
	v_add_f64 v[84:85], -v[14:15], s[42:43]
	v_cndmask_b32_e32 v1, v114, v115, vcc
	v_cndmask_b32_e32 v4, v116, v117, vcc
	v_and_b32_e32 v69, 0x400921fb, v12
	v_and_b32_e32 v12, 0x54442d18, v12
	v_cndmask_b32_e32 v15, v15, v85, vcc
	v_cndmask_b32_e32 v14, v14, v84, vcc
	v_cmp_eq_f64_e32 vcc, 0, v[16:17]
	v_bfi_b32 v4, s76, v4, v17
	v_cndmask_b32_e32 v12, v14, v12, vcc
	v_cndmask_b32_e32 v14, v15, v69, vcc
	s_and_b64 vcc, s[62:63], s[60:61]
	v_cndmask_b32_e32 v85, v14, v4, vcc
	v_cndmask_b32_e32 v84, v12, v1, vcc
.LBB192_238:                            ;   in Loop: Header=BB192_145 Depth=1
	s_or_b64 exec, exec, s[58:59]
                                        ; implicit-def: $vgpr86_vgpr87
.LBB192_239:                            ;   in Loop: Header=BB192_145 Depth=1
	s_andn2_saveexec_b64 s[10:11], s[56:57]
	s_cbranch_execz .LBB192_245
; %bb.240:                              ;   in Loop: Header=BB192_145 Depth=1
	v_cmp_ngt_f64_e32 vcc, s[46:47], v[86:87]
                                        ; implicit-def: $vgpr2_vgpr3
                                        ; implicit-def: $vgpr84_vgpr85
	s_and_saveexec_b64 s[56:57], vcc
	s_xor_b64 s[56:57], exec, s[56:57]
	s_cbranch_execz .LBB192_242
; %bb.241:                              ;   in Loop: Header=BB192_145 Depth=1
	v_mul_f64 v[2:3], v[86:87], v[86:87]
	v_add_f64 v[84:85], v[2:3], 1.0
	v_add_f64 v[86:87], v[84:85], -1.0
	v_add_f64 v[88:89], v[86:87], -v[84:85]
	v_add_f64 v[88:89], v[88:89], 1.0
	v_add_f64 v[86:87], v[2:3], -v[86:87]
	v_add_f64 v[86:87], v[86:87], v[88:89]
	v_frexp_mant_f64_e32 v[88:89], v[84:85]
	v_frexp_exp_i32_f64_e32 v1, v[84:85]
	v_cmp_gt_f64_e32 vcc, s[26:27], v[88:89]
	v_subbrev_co_u32_e32 v1, vcc, 0, v1, vcc
	v_sub_u32_e32 v4, 0, v1
	v_ldexp_f64 v[84:85], v[84:85], v4
	v_add_f64 v[88:89], v[84:85], -1.0
	v_add_f64 v[94:95], v[84:85], 1.0
	v_add_f64 v[90:91], v[88:89], 1.0
	v_add_f64 v[96:97], v[94:95], -1.0
	v_ldexp_f64 v[86:87], v[86:87], v4
	v_add_f64 v[90:91], v[84:85], -v[90:91]
	v_add_f64 v[84:85], v[84:85], -v[96:97]
	v_add_f64 v[84:85], v[86:87], v[84:85]
	v_add_f64 v[90:91], v[86:87], v[90:91]
	;; [unrolled: 1-line block ×3, first 2 shown]
	v_rcp_f64_e32 v[96:97], v[86:87]
	v_add_f64 v[92:93], v[88:89], v[90:91]
	v_add_f64 v[88:89], v[88:89], -v[92:93]
	v_add_f64 v[88:89], v[90:91], v[88:89]
	v_add_f64 v[90:91], v[94:95], -v[86:87]
	v_add_f64 v[84:85], v[84:85], v[90:91]
	v_fma_f64 v[90:91], -v[86:87], v[96:97], 1.0
	v_fmac_f64_e32 v[96:97], v[90:91], v[96:97]
	v_fma_f64 v[90:91], -v[86:87], v[96:97], 1.0
	v_fmac_f64_e32 v[96:97], v[90:91], v[96:97]
	v_mul_f64 v[90:91], v[92:93], v[96:97]
	v_mul_f64 v[94:95], v[86:87], v[90:91]
	v_fma_f64 v[98:99], v[90:91], v[86:87], -v[94:95]
	v_fmac_f64_e32 v[98:99], v[90:91], v[84:85]
	v_add_f64 v[100:101], v[94:95], v[98:99]
	v_add_f64 v[102:103], v[92:93], -v[100:101]
	v_add_f64 v[92:93], v[92:93], -v[102:103]
	;; [unrolled: 1-line block ×4, first 2 shown]
	v_add_f64 v[88:89], v[88:89], v[92:93]
	v_add_f64 v[92:93], v[94:95], -v[98:99]
	v_add_f64 v[88:89], v[92:93], v[88:89]
	v_add_f64 v[92:93], v[102:103], v[88:89]
	v_add_f64 v[94:95], v[102:103], -v[92:93]
	v_add_f64 v[88:89], v[88:89], v[94:95]
	v_mul_f64 v[94:95], v[96:97], v[92:93]
	v_mul_f64 v[98:99], v[86:87], v[94:95]
	v_fma_f64 v[86:87], v[94:95], v[86:87], -v[98:99]
	v_fmac_f64_e32 v[86:87], v[94:95], v[84:85]
	v_add_f64 v[84:85], v[98:99], v[86:87]
	v_add_f64 v[100:101], v[92:93], -v[84:85]
	v_add_f64 v[92:93], v[92:93], -v[100:101]
	;; [unrolled: 1-line block ×4, first 2 shown]
	v_add_f64 v[84:85], v[88:89], v[84:85]
	v_add_f64 v[86:87], v[98:99], -v[86:87]
	v_add_f64 v[84:85], v[86:87], v[84:85]
	v_add_f64 v[86:87], v[90:91], v[94:95]
	;; [unrolled: 1-line block ×3, first 2 shown]
	v_add_f64 v[88:89], v[86:87], -v[90:91]
	v_mul_f64 v[84:85], v[96:97], v[84:85]
	v_add_f64 v[88:89], v[94:95], -v[88:89]
	v_add_f64 v[84:85], v[88:89], v[84:85]
	v_add_f64 v[88:89], v[86:87], v[84:85]
	v_add_f64 v[86:87], v[88:89], -v[86:87]
	v_add_f64 v[84:85], v[84:85], -v[86:87]
	v_mul_f64 v[86:87], v[88:89], v[88:89]
	v_pk_mov_b32 v[90:91], v[18:19], v[18:19] op_sel:[0,1]
	v_fmac_f64_e32 v[90:91], s[28:29], v[86:87]
	v_pk_mov_b32 v[92:93], v[20:21], v[20:21] op_sel:[0,1]
	v_fmac_f64_e32 v[92:93], v[86:87], v[90:91]
	;; [unrolled: 2-line block ×6, first 2 shown]
	v_cvt_f64_i32_e32 v[90:91], v1
	v_mul_f64 v[94:95], v[90:91], s[30:31]
	v_fma_f64 v[96:97], v[90:91], s[30:31], -v[94:95]
	v_fmac_f64_e32 v[96:97], s[34:35], v[90:91]
	v_add_f64 v[90:91], v[94:95], v[96:97]
	v_add_f64 v[94:95], v[90:91], -v[94:95]
	v_mul_f64 v[86:87], v[88:89], v[86:87]
	v_add_f64 v[94:95], v[96:97], -v[94:95]
	v_ldexp_f64 v[96:97], v[88:89], 1
	v_mul_f64 v[86:87], v[86:87], v[92:93]
	v_add_f64 v[88:89], v[96:97], v[86:87]
	v_add_f64 v[92:93], v[88:89], -v[96:97]
	v_ldexp_f64 v[84:85], v[84:85], 1
	v_add_f64 v[86:87], v[86:87], -v[92:93]
	v_add_f64 v[84:85], v[84:85], v[86:87]
	v_add_f64 v[86:87], v[88:89], v[84:85]
	v_add_f64 v[88:89], v[86:87], -v[88:89]
	v_add_f64 v[84:85], v[84:85], -v[88:89]
	v_add_f64 v[88:89], v[90:91], v[86:87]
	v_add_f64 v[92:93], v[88:89], -v[90:91]
	v_add_f64 v[96:97], v[88:89], -v[92:93]
	;; [unrolled: 1-line block ×4, first 2 shown]
	v_add_f64 v[86:87], v[86:87], v[90:91]
	v_add_f64 v[90:91], v[94:95], v[84:85]
	v_add_f64 v[92:93], v[90:91], -v[94:95]
	v_add_f64 v[86:87], v[90:91], v[86:87]
	v_add_f64 v[96:97], v[90:91], -v[92:93]
	;; [unrolled: 2-line block ×3, first 2 shown]
	v_add_f64 v[84:85], v[84:85], -v[92:93]
	v_add_f64 v[88:89], v[90:91], -v[88:89]
	v_add_f64 v[84:85], v[84:85], v[94:95]
	v_add_f64 v[86:87], v[86:87], -v[88:89]
	v_add_f64 v[84:85], v[84:85], v[86:87]
	v_max_f64 v[86:87], |v[16:17]|, |v[16:17]|
	v_max_f64 v[88:89], |v[14:15]|, |v[14:15]|
	v_add_f64 v[84:85], v[90:91], v[84:85]
	v_max_f64 v[90:91], v[88:89], v[86:87]
	v_min_f64 v[86:87], v[88:89], v[86:87]
	v_div_scale_f64 v[88:89], s[58:59], v[90:91], v[90:91], v[86:87]
	v_rcp_f64_e32 v[92:93], v[88:89]
	v_cmp_eq_f64_e32 vcc, s[36:37], v[2:3]
	v_cndmask_b32_e32 v3, v85, v3, vcc
	v_cndmask_b32_e32 v2, v84, v2, vcc
	v_fma_f64 v[84:85], -v[88:89], v[92:93], 1.0
	v_fmac_f64_e32 v[92:93], v[92:93], v[84:85]
	v_fma_f64 v[84:85], -v[88:89], v[92:93], 1.0
	v_fmac_f64_e32 v[92:93], v[92:93], v[84:85]
	v_div_scale_f64 v[84:85], vcc, v[86:87], v[90:91], v[86:87]
	v_mul_f64 v[94:95], v[84:85], v[92:93]
	v_fma_f64 v[84:85], -v[88:89], v[94:95], v[84:85]
	v_pk_mov_b32 v[88:89], v[30:31], v[30:31] op_sel:[0,1]
	s_nop 0
	v_div_fmas_f64 v[84:85], v[84:85], v[92:93], v[94:95]
	v_div_fixup_f64 v[84:85], v[84:85], v[90:91], v[86:87]
	v_mul_f64 v[86:87], v[84:85], v[84:85]
	v_fmac_f64_e32 v[88:89], s[38:39], v[86:87]
	v_pk_mov_b32 v[90:91], v[32:33], v[32:33] op_sel:[0,1]
	v_fmac_f64_e32 v[90:91], v[86:87], v[88:89]
	v_pk_mov_b32 v[88:89], v[34:35], v[34:35] op_sel:[0,1]
	v_fmac_f64_e32 v[88:89], v[86:87], v[90:91]
	v_pk_mov_b32 v[90:91], v[36:37], v[36:37] op_sel:[0,1]
	v_fmac_f64_e32 v[90:91], v[86:87], v[88:89]
	v_pk_mov_b32 v[88:89], v[38:39], v[38:39] op_sel:[0,1]
	v_fmac_f64_e32 v[88:89], v[86:87], v[90:91]
	v_pk_mov_b32 v[90:91], v[40:41], v[40:41] op_sel:[0,1]
	v_fmac_f64_e32 v[90:91], v[86:87], v[88:89]
	v_pk_mov_b32 v[88:89], v[42:43], v[42:43] op_sel:[0,1]
	v_fmac_f64_e32 v[88:89], v[86:87], v[90:91]
	v_pk_mov_b32 v[90:91], v[44:45], v[44:45] op_sel:[0,1]
	v_fmac_f64_e32 v[90:91], v[86:87], v[88:89]
	v_pk_mov_b32 v[88:89], v[46:47], v[46:47] op_sel:[0,1]
	v_fmac_f64_e32 v[88:89], v[86:87], v[90:91]
	v_pk_mov_b32 v[90:91], v[48:49], v[48:49] op_sel:[0,1]
	v_fmac_f64_e32 v[90:91], v[86:87], v[88:89]
	v_pk_mov_b32 v[88:89], v[50:51], v[50:51] op_sel:[0,1]
	v_fmac_f64_e32 v[88:89], v[86:87], v[90:91]
	v_pk_mov_b32 v[90:91], v[52:53], v[52:53] op_sel:[0,1]
	v_fmac_f64_e32 v[90:91], v[86:87], v[88:89]
	v_pk_mov_b32 v[88:89], v[54:55], v[54:55] op_sel:[0,1]
	v_fmac_f64_e32 v[88:89], v[86:87], v[90:91]
	v_pk_mov_b32 v[90:91], v[56:57], v[56:57] op_sel:[0,1]
	v_fmac_f64_e32 v[90:91], v[86:87], v[88:89]
	v_pk_mov_b32 v[88:89], v[58:59], v[58:59] op_sel:[0,1]
	v_fmac_f64_e32 v[88:89], v[86:87], v[90:91]
	v_pk_mov_b32 v[90:91], v[60:61], v[60:61] op_sel:[0,1]
	v_fmac_f64_e32 v[90:91], v[86:87], v[88:89]
	v_pk_mov_b32 v[88:89], v[62:63], v[62:63] op_sel:[0,1]
	v_fmac_f64_e32 v[88:89], v[86:87], v[90:91]
	v_pk_mov_b32 v[90:91], v[64:65], v[64:65] op_sel:[0,1]
	v_fmac_f64_e32 v[90:91], v[86:87], v[88:89]
	v_pk_mov_b32 v[88:89], v[66:67], v[66:67] op_sel:[0,1]
	v_fmac_f64_e32 v[88:89], v[86:87], v[90:91]
	v_mul_f64 v[86:87], v[86:87], v[88:89]
	v_fmac_f64_e32 v[84:85], v[84:85], v[86:87]
	v_cmp_class_f64_e64 s[60:61], v[14:15], s77
	v_cmp_gt_i32_e32 vcc, 0, v15
	v_ashrrev_i32_e32 v12, 31, v15
	v_add_f64 v[14:15], -v[84:85], s[40:41]
	v_cndmask_b32_e64 v15, v85, v15, s[8:9]
	v_cndmask_b32_e64 v14, v84, v14, s[8:9]
	s_mov_b32 s42, s40
	v_add_f64 v[84:85], -v[14:15], s[42:43]
	v_cmp_class_f64_e64 s[58:59], v[16:17], s77
	v_cndmask_b32_e32 v1, v114, v115, vcc
	v_cndmask_b32_e32 v4, v116, v117, vcc
	v_and_b32_e32 v69, 0x400921fb, v12
	v_and_b32_e32 v12, 0x54442d18, v12
	v_cndmask_b32_e32 v15, v15, v85, vcc
	v_cndmask_b32_e32 v14, v14, v84, vcc
	v_cmp_eq_f64_e32 vcc, 0, v[16:17]
	v_bfi_b32 v4, s76, v4, v17
	v_cndmask_b32_e32 v12, v14, v12, vcc
	v_cndmask_b32_e32 v14, v15, v69, vcc
	s_and_b64 vcc, s[58:59], s[60:61]
	v_mul_f64 v[2:3], v[2:3], 0.5
	v_cndmask_b32_e32 v85, v14, v4, vcc
	v_cndmask_b32_e32 v84, v12, v1, vcc
                                        ; implicit-def: $vgpr86_vgpr87
.LBB192_242:                            ;   in Loop: Header=BB192_145 Depth=1
	s_andn2_saveexec_b64 s[56:57], s[56:57]
	s_cbranch_execz .LBB192_244
; %bb.243:                              ;   in Loop: Header=BB192_145 Depth=1
	v_max_f64 v[2:3], |v[16:17]|, |v[16:17]|
	v_max_f64 v[84:85], |v[14:15]|, |v[14:15]|
	v_max_f64 v[88:89], v[84:85], v[2:3]
	v_min_f64 v[84:85], v[84:85], v[2:3]
	v_div_scale_f64 v[90:91], s[58:59], v[88:89], v[88:89], v[84:85]
	v_rcp_f64_e32 v[92:93], v[90:91]
	v_mul_f64 v[2:3], v[86:87], 0.5
	v_mul_f64 v[2:3], v[86:87], v[2:3]
	v_cmp_class_f64_e64 s[60:61], v[14:15], s77
	v_fma_f64 v[86:87], -v[90:91], v[92:93], 1.0
	v_fmac_f64_e32 v[92:93], v[92:93], v[86:87]
	v_fma_f64 v[86:87], -v[90:91], v[92:93], 1.0
	v_fmac_f64_e32 v[92:93], v[92:93], v[86:87]
	v_div_scale_f64 v[86:87], vcc, v[84:85], v[88:89], v[84:85]
	v_mul_f64 v[94:95], v[86:87], v[92:93]
	v_fma_f64 v[86:87], -v[90:91], v[94:95], v[86:87]
	v_pk_mov_b32 v[90:91], v[32:33], v[32:33] op_sel:[0,1]
	s_nop 0
	v_div_fmas_f64 v[86:87], v[86:87], v[92:93], v[94:95]
	v_div_fixup_f64 v[84:85], v[86:87], v[88:89], v[84:85]
	v_mul_f64 v[86:87], v[84:85], v[84:85]
	v_pk_mov_b32 v[88:89], v[30:31], v[30:31] op_sel:[0,1]
	v_fmac_f64_e32 v[88:89], s[38:39], v[86:87]
	v_fmac_f64_e32 v[90:91], v[86:87], v[88:89]
	v_pk_mov_b32 v[88:89], v[34:35], v[34:35] op_sel:[0,1]
	v_fmac_f64_e32 v[88:89], v[86:87], v[90:91]
	v_pk_mov_b32 v[90:91], v[36:37], v[36:37] op_sel:[0,1]
	;; [unrolled: 2-line block ×17, first 2 shown]
	v_fmac_f64_e32 v[88:89], v[86:87], v[90:91]
	v_mul_f64 v[86:87], v[86:87], v[88:89]
	v_fmac_f64_e32 v[84:85], v[84:85], v[86:87]
	v_cmp_gt_i32_e32 vcc, 0, v15
	v_ashrrev_i32_e32 v12, 31, v15
	v_add_f64 v[14:15], -v[84:85], s[40:41]
	v_cndmask_b32_e64 v15, v85, v15, s[8:9]
	v_cndmask_b32_e64 v14, v84, v14, s[8:9]
	s_mov_b32 s42, s40
	v_add_f64 v[84:85], -v[14:15], s[42:43]
	v_cmp_class_f64_e64 s[58:59], v[16:17], s77
	v_cndmask_b32_e32 v1, v114, v115, vcc
	v_cndmask_b32_e32 v4, v116, v117, vcc
	v_and_b32_e32 v69, 0x400921fb, v12
	v_and_b32_e32 v12, 0x54442d18, v12
	v_cndmask_b32_e32 v15, v15, v85, vcc
	v_cndmask_b32_e32 v14, v14, v84, vcc
	v_cmp_eq_f64_e32 vcc, 0, v[16:17]
	v_bfi_b32 v4, s76, v4, v17
	v_cndmask_b32_e32 v12, v14, v12, vcc
	v_cndmask_b32_e32 v14, v15, v69, vcc
	s_and_b64 vcc, s[58:59], s[60:61]
	v_cndmask_b32_e32 v85, v14, v4, vcc
	v_cndmask_b32_e32 v84, v12, v1, vcc
.LBB192_244:                            ;   in Loop: Header=BB192_145 Depth=1
	s_or_b64 exec, exec, s[56:57]
.LBB192_245:                            ;   in Loop: Header=BB192_145 Depth=1
	s_or_b64 exec, exec, s[10:11]
.LBB192_246:                            ;   in Loop: Header=BB192_145 Depth=1
	s_andn2_saveexec_b64 s[56:57], s[12:13]
	s_cbranch_execz .LBB192_248
; %bb.247:                              ;   in Loop: Header=BB192_145 Depth=1
	v_div_scale_f64 v[2:3], s[10:11], s[48:49], s[48:49], v[14:15]
	v_rcp_f64_e32 v[84:85], v[2:3]
	v_div_scale_f64 v[86:87], vcc, v[14:15], s[48:49], v[14:15]
	s_mov_b32 s42, s40
	v_fma_f64 v[88:89], -v[2:3], v[84:85], 1.0
	v_fmac_f64_e32 v[84:85], v[84:85], v[88:89]
	v_fma_f64 v[88:89], -v[2:3], v[84:85], 1.0
	v_fmac_f64_e32 v[84:85], v[84:85], v[88:89]
	v_mul_f64 v[88:89], v[86:87], v[84:85]
	v_fma_f64 v[2:3], -v[2:3], v[88:89], v[86:87]
	v_div_scale_f64 v[86:87], s[10:11], s[48:49], s[48:49], v[16:17]
	v_rcp_f64_e32 v[90:91], v[86:87]
	v_div_fmas_f64 v[2:3], v[2:3], v[84:85], v[88:89]
	v_div_fixup_f64 v[2:3], v[2:3], s[48:49], v[14:15]
	v_cmp_class_f64_e64 s[12:13], v[2:3], s77
	v_fma_f64 v[84:85], -v[86:87], v[90:91], 1.0
	v_fmac_f64_e32 v[90:91], v[90:91], v[84:85]
	v_fma_f64 v[84:85], -v[86:87], v[90:91], 1.0
	v_fmac_f64_e32 v[90:91], v[90:91], v[84:85]
	v_div_scale_f64 v[84:85], vcc, v[16:17], s[48:49], v[16:17]
	v_mul_f64 v[88:89], v[84:85], v[90:91]
	v_fma_f64 v[84:85], -v[86:87], v[88:89], v[84:85]
	s_nop 1
	v_div_fmas_f64 v[84:85], v[84:85], v[90:91], v[88:89]
	v_div_fixup_f64 v[84:85], v[84:85], s[48:49], v[16:17]
	v_max_f64 v[86:87], |v[2:3]|, |v[84:85]|
	v_frexp_exp_i32_f64_e32 v1, v[86:87]
	v_sub_u32_e32 v4, 0, v1
	v_ldexp_f64 v[88:89], |v[84:85]|, v4
	v_ldexp_f64 v[86:87], |v[2:3]|, v4
	v_mul_f64 v[88:89], v[88:89], v[88:89]
	v_fmac_f64_e32 v[88:89], v[86:87], v[86:87]
	v_rsq_f64_e32 v[86:87], v[88:89]
	v_cmp_eq_f64_e32 vcc, 0, v[88:89]
	v_cmp_o_f64_e64 s[10:11], v[2:3], v[84:85]
	v_cmp_class_f64_e64 s[58:59], v[84:85], s77
	v_mul_f64 v[90:91], v[88:89], v[86:87]
	v_mul_f64 v[86:87], v[86:87], 0.5
	v_fma_f64 v[92:93], -v[86:87], v[90:91], 0.5
	v_fmac_f64_e32 v[90:91], v[90:91], v[92:93]
	v_fmac_f64_e32 v[86:87], v[86:87], v[92:93]
	v_fma_f64 v[92:93], -v[90:91], v[90:91], v[88:89]
	v_fmac_f64_e32 v[90:91], v[92:93], v[86:87]
	v_cndmask_b32_e32 v87, v91, v89, vcc
	v_cndmask_b32_e32 v86, v90, v88, vcc
	v_ldexp_f64 v[86:87], v[86:87], v1
	v_cndmask_b32_e64 v1, 0, v86, s[10:11]
	v_cndmask_b32_e64 v4, v112, v87, s[10:11]
	s_or_b64 vcc, s[58:59], s[12:13]
	v_cndmask_b32_e32 v85, v4, v119, vcc
	v_cndmask_b32_e64 v84, v1, 0, vcc
	v_frexp_mant_f64_e32 v[2:3], v[84:85]
	v_cmp_gt_f64_e64 s[12:13], s[26:27], v[2:3]
	v_cndmask_b32_e64 v69, v118, 2.0, s[12:13]
	v_mul_f64 v[2:3], v[2:3], v[68:69]
	v_add_f64 v[88:89], v[2:3], 1.0
	v_rcp_f64_e32 v[90:91], v[88:89]
	v_add_f64 v[94:95], v[88:89], -1.0
	v_add_f64 v[92:93], v[2:3], -1.0
	v_add_f64 v[2:3], v[2:3], -v[94:95]
	v_fma_f64 v[94:95], -v[88:89], v[90:91], 1.0
	v_fmac_f64_e32 v[90:91], v[94:95], v[90:91]
	v_fma_f64 v[94:95], -v[88:89], v[90:91], 1.0
	v_fmac_f64_e32 v[90:91], v[94:95], v[90:91]
	v_mul_f64 v[94:95], v[92:93], v[90:91]
	v_mul_f64 v[96:97], v[88:89], v[94:95]
	v_fma_f64 v[88:89], v[94:95], v[88:89], -v[96:97]
	v_fmac_f64_e32 v[88:89], v[94:95], v[2:3]
	v_add_f64 v[2:3], v[96:97], v[88:89]
	v_add_f64 v[98:99], v[92:93], -v[2:3]
	v_add_f64 v[96:97], v[2:3], -v[96:97]
	;; [unrolled: 1-line block ×5, first 2 shown]
	v_add_f64 v[2:3], v[88:89], v[2:3]
	v_add_f64 v[2:3], v[98:99], v[2:3]
	v_mul_f64 v[2:3], v[90:91], v[2:3]
	v_add_f64 v[88:89], v[94:95], v[2:3]
	v_add_f64 v[90:91], v[88:89], -v[94:95]
	v_add_f64 v[2:3], v[2:3], -v[90:91]
	v_mul_f64 v[90:91], v[88:89], v[88:89]
	v_pk_mov_b32 v[92:93], v[18:19], v[18:19] op_sel:[0,1]
	v_fmac_f64_e32 v[92:93], s[28:29], v[90:91]
	v_pk_mov_b32 v[94:95], v[20:21], v[20:21] op_sel:[0,1]
	v_fmac_f64_e32 v[94:95], v[90:91], v[92:93]
	;; [unrolled: 2-line block ×6, first 2 shown]
	v_ldexp_f64 v[92:93], v[88:89], 1
	v_mul_f64 v[88:89], v[88:89], v[90:91]
	v_mul_f64 v[88:89], v[88:89], v[94:95]
	v_add_f64 v[90:91], v[92:93], v[88:89]
	v_add_f64 v[92:93], v[90:91], -v[92:93]
	v_ldexp_f64 v[2:3], v[2:3], 1
	v_add_f64 v[88:89], v[88:89], -v[92:93]
	v_add_f64 v[2:3], v[2:3], v[88:89]
	v_frexp_exp_i32_f64_e32 v12, v[84:85]
	v_add_f64 v[88:89], v[90:91], v[2:3]
	v_subbrev_co_u32_e64 v12, s[12:13], 0, v12, s[12:13]
	v_add_f64 v[90:91], v[88:89], -v[90:91]
	v_add_f64 v[2:3], v[2:3], -v[90:91]
	v_cvt_f64_i32_e32 v[90:91], v12
	v_mul_f64 v[92:93], v[90:91], s[30:31]
	v_fma_f64 v[94:95], v[90:91], s[30:31], -v[92:93]
	v_fmac_f64_e32 v[94:95], s[34:35], v[90:91]
	v_add_f64 v[90:91], v[92:93], v[94:95]
	v_add_f64 v[92:93], v[90:91], -v[92:93]
	v_add_f64 v[92:93], v[94:95], -v[92:93]
	v_add_f64 v[94:95], v[90:91], v[88:89]
	v_add_f64 v[96:97], v[94:95], -v[90:91]
	v_add_f64 v[98:99], v[94:95], -v[96:97]
	;; [unrolled: 1-line block ×4, first 2 shown]
	v_add_f64 v[88:89], v[88:89], v[90:91]
	v_add_f64 v[90:91], v[92:93], v[2:3]
	v_add_f64 v[96:97], v[90:91], -v[92:93]
	v_add_f64 v[98:99], v[90:91], -v[96:97]
	v_add_f64 v[88:89], v[90:91], v[88:89]
	v_add_f64 v[92:93], v[92:93], -v[98:99]
	v_add_f64 v[2:3], v[2:3], -v[96:97]
	v_add_f64 v[90:91], v[94:95], v[88:89]
	v_add_f64 v[2:3], v[2:3], v[92:93]
	v_add_f64 v[92:93], v[90:91], -v[94:95]
	v_add_f64 v[88:89], v[88:89], -v[92:93]
	v_and_b32_e32 v87, 0x7fffffff, v87
	v_add_f64 v[2:3], v[2:3], v[88:89]
	v_cmp_eq_f64_e64 s[12:13], s[36:37], v[86:87]
	v_add_f64 v[2:3], v[90:91], v[2:3]
	s_and_b64 s[10:11], s[10:11], s[12:13]
	v_cndmask_b32_e64 v3, v3, v4, s[10:11]
	v_cndmask_b32_e64 v2, v2, v1, s[10:11]
	v_add_f64 v[2:3], v[2:3], 1.0
	v_cndmask_b32_e64 v1, v2, 0, vcc
	v_cndmask_b32_e32 v2, v3, v119, vcc
	v_cmp_ngt_f64_e32 vcc, 0, v[84:85]
	v_cndmask_b32_e32 v4, v112, v2, vcc
	v_max_f64 v[2:3], |v[16:17]|, |v[16:17]|
	v_max_f64 v[86:87], |v[14:15]|, |v[14:15]|
	v_max_f64 v[88:89], v[86:87], v[2:3]
	v_min_f64 v[86:87], v[86:87], v[2:3]
	v_div_scale_f64 v[90:91], s[10:11], v[88:89], v[88:89], v[86:87]
	v_rcp_f64_e32 v[92:93], v[90:91]
	v_cmp_nge_f64_e32 vcc, 0, v[84:85]
	v_cndmask_b32_e32 v2, 0, v1, vcc
	v_cmp_neq_f64_e32 vcc, 0, v[84:85]
	v_fma_f64 v[84:85], -v[90:91], v[92:93], 1.0
	v_fmac_f64_e32 v[92:93], v[92:93], v[84:85]
	v_fma_f64 v[84:85], -v[90:91], v[92:93], 1.0
	v_cndmask_b32_e32 v3, v113, v4, vcc
	v_fmac_f64_e32 v[92:93], v[92:93], v[84:85]
	v_div_scale_f64 v[84:85], vcc, v[86:87], v[88:89], v[86:87]
	v_mul_f64 v[94:95], v[84:85], v[92:93]
	v_fma_f64 v[84:85], -v[90:91], v[94:95], v[84:85]
	v_pk_mov_b32 v[90:91], v[32:33], v[32:33] op_sel:[0,1]
	s_nop 0
	v_div_fmas_f64 v[84:85], v[84:85], v[92:93], v[94:95]
	v_div_fixup_f64 v[84:85], v[84:85], v[88:89], v[86:87]
	v_mul_f64 v[86:87], v[84:85], v[84:85]
	v_pk_mov_b32 v[88:89], v[30:31], v[30:31] op_sel:[0,1]
	v_fmac_f64_e32 v[88:89], s[38:39], v[86:87]
	v_fmac_f64_e32 v[90:91], v[86:87], v[88:89]
	v_pk_mov_b32 v[88:89], v[34:35], v[34:35] op_sel:[0,1]
	v_fmac_f64_e32 v[88:89], v[86:87], v[90:91]
	v_pk_mov_b32 v[90:91], v[36:37], v[36:37] op_sel:[0,1]
	;; [unrolled: 2-line block ×17, first 2 shown]
	v_fmac_f64_e32 v[88:89], v[86:87], v[90:91]
	v_mul_f64 v[86:87], v[86:87], v[88:89]
	v_fmac_f64_e32 v[84:85], v[84:85], v[86:87]
	v_cmp_class_f64_e64 s[12:13], v[14:15], s77
	v_cmp_gt_i32_e32 vcc, 0, v15
	v_ashrrev_i32_e32 v12, 31, v15
	v_add_f64 v[14:15], -v[84:85], s[40:41]
	v_cndmask_b32_e64 v15, v85, v15, s[8:9]
	v_cndmask_b32_e64 v14, v84, v14, s[8:9]
	v_add_f64 v[84:85], -v[14:15], s[42:43]
	v_cmp_class_f64_e64 s[10:11], v[16:17], s77
	v_cndmask_b32_e32 v1, v114, v115, vcc
	v_cndmask_b32_e32 v4, v116, v117, vcc
	v_and_b32_e32 v69, 0x400921fb, v12
	v_and_b32_e32 v12, 0x54442d18, v12
	v_cndmask_b32_e32 v15, v15, v85, vcc
	v_cndmask_b32_e32 v14, v14, v84, vcc
	v_cmp_eq_f64_e32 vcc, 0, v[16:17]
	v_bfi_b32 v4, s76, v4, v17
	v_cndmask_b32_e32 v12, v14, v12, vcc
	v_cndmask_b32_e32 v14, v15, v69, vcc
	s_and_b64 vcc, s[10:11], s[12:13]
	v_cndmask_b32_e32 v85, v14, v4, vcc
	v_cndmask_b32_e32 v84, v12, v1, vcc
.LBB192_248:                            ;   in Loop: Header=BB192_145 Depth=1
	s_or_b64 exec, exec, s[56:57]
.LBB192_249:                            ;   in Loop: Header=BB192_145 Depth=1
	s_andn2_saveexec_b64 s[8:9], s[54:55]
	s_cbranch_execz .LBB192_255
; %bb.250:                              ;   in Loop: Header=BB192_145 Depth=1
	v_cmp_nlt_f64_e64 s[10:11], |v[14:15]|, s[50:51]
	v_cmp_nlt_f64_e64 s[12:13], |v[16:17]|, s[50:51]
	s_or_b64 s[10:11], s[12:13], s[10:11]
                                        ; implicit-def: $vgpr84_vgpr85
	s_and_saveexec_b64 s[12:13], s[10:11]
	s_xor_b64 s[10:11], exec, s[12:13]
; %bb.251:                              ;   in Loop: Header=BB192_145 Depth=1
	v_mul_f64 v[84:85], v[14:15], v[14:15]
	v_fmac_f64_e32 v[84:85], v[16:17], v[16:17]
; %bb.252:                              ;   in Loop: Header=BB192_145 Depth=1
	s_andn2_saveexec_b64 s[10:11], s[10:11]
; %bb.253:                              ;   in Loop: Header=BB192_145 Depth=1
	v_mul_f64 v[2:3], v[14:15], 4.0
	v_mul_f64 v[14:15], v[16:17], 4.0
	v_mul_f64 v[2:3], v[2:3], v[2:3]
	v_fmac_f64_e32 v[2:3], v[14:15], v[14:15]
	v_ldexp_f64 v[84:85], v[2:3], -4
; %bb.254:                              ;   in Loop: Header=BB192_145 Depth=1
	s_or_b64 exec, exec, s[10:11]
	v_frexp_mant_f64_e32 v[2:3], v[84:85]
	v_cmp_gt_f64_e32 vcc, s[26:27], v[2:3]
	v_cndmask_b32_e64 v69, v118, 2.0, vcc
	v_mul_f64 v[2:3], v[2:3], v[68:69]
	v_add_f64 v[14:15], v[2:3], 1.0
	v_rcp_f64_e32 v[86:87], v[14:15]
	v_add_f64 v[90:91], v[14:15], -1.0
	v_add_f64 v[88:89], v[2:3], -1.0
	v_add_f64 v[2:3], v[2:3], -v[90:91]
	v_fma_f64 v[90:91], -v[14:15], v[86:87], 1.0
	v_fmac_f64_e32 v[86:87], v[90:91], v[86:87]
	v_fma_f64 v[90:91], -v[14:15], v[86:87], 1.0
	v_fmac_f64_e32 v[86:87], v[90:91], v[86:87]
	v_mul_f64 v[90:91], v[88:89], v[86:87]
	v_mul_f64 v[92:93], v[14:15], v[90:91]
	v_fma_f64 v[14:15], v[90:91], v[14:15], -v[92:93]
	v_fmac_f64_e32 v[14:15], v[90:91], v[2:3]
	v_add_f64 v[2:3], v[92:93], v[14:15]
	v_add_f64 v[94:95], v[88:89], -v[2:3]
	v_add_f64 v[92:93], v[2:3], -v[92:93]
	;; [unrolled: 1-line block ×5, first 2 shown]
	v_add_f64 v[2:3], v[14:15], v[2:3]
	v_add_f64 v[2:3], v[94:95], v[2:3]
	v_mul_f64 v[2:3], v[86:87], v[2:3]
	v_add_f64 v[14:15], v[90:91], v[2:3]
	v_add_f64 v[86:87], v[14:15], -v[90:91]
	v_add_f64 v[2:3], v[2:3], -v[86:87]
	v_mul_f64 v[86:87], v[14:15], v[14:15]
	v_pk_mov_b32 v[88:89], v[18:19], v[18:19] op_sel:[0,1]
	v_fmac_f64_e32 v[88:89], s[28:29], v[86:87]
	v_pk_mov_b32 v[90:91], v[20:21], v[20:21] op_sel:[0,1]
	v_fmac_f64_e32 v[90:91], v[86:87], v[88:89]
	;; [unrolled: 2-line block ×6, first 2 shown]
	v_ldexp_f64 v[88:89], v[14:15], 1
	v_mul_f64 v[14:15], v[14:15], v[86:87]
	v_mul_f64 v[14:15], v[14:15], v[90:91]
	v_add_f64 v[86:87], v[88:89], v[14:15]
	v_add_f64 v[88:89], v[86:87], -v[88:89]
	v_ldexp_f64 v[2:3], v[2:3], 1
	v_add_f64 v[14:15], v[14:15], -v[88:89]
	v_add_f64 v[2:3], v[2:3], v[14:15]
	v_frexp_exp_i32_f64_e32 v1, v[84:85]
	v_add_f64 v[14:15], v[86:87], v[2:3]
	v_subbrev_co_u32_e32 v1, vcc, 0, v1, vcc
	v_add_f64 v[86:87], v[14:15], -v[86:87]
	v_add_f64 v[2:3], v[2:3], -v[86:87]
	v_cvt_f64_i32_e32 v[86:87], v1
	v_mul_f64 v[88:89], v[86:87], s[30:31]
	v_fma_f64 v[90:91], v[86:87], s[30:31], -v[88:89]
	v_fmac_f64_e32 v[90:91], s[34:35], v[86:87]
	v_add_f64 v[86:87], v[88:89], v[90:91]
	v_add_f64 v[88:89], v[86:87], -v[88:89]
	v_add_f64 v[88:89], v[90:91], -v[88:89]
	v_add_f64 v[90:91], v[86:87], v[14:15]
	v_add_f64 v[92:93], v[90:91], -v[86:87]
	v_add_f64 v[94:95], v[90:91], -v[92:93]
	;; [unrolled: 1-line block ×4, first 2 shown]
	v_add_f64 v[14:15], v[14:15], v[86:87]
	v_add_f64 v[86:87], v[88:89], v[2:3]
	v_add_f64 v[92:93], v[86:87], -v[88:89]
	v_add_f64 v[94:95], v[86:87], -v[92:93]
	v_add_f64 v[14:15], v[86:87], v[14:15]
	v_add_f64 v[88:89], v[88:89], -v[94:95]
	v_add_f64 v[2:3], v[2:3], -v[92:93]
	v_add_f64 v[86:87], v[90:91], v[14:15]
	v_add_f64 v[2:3], v[2:3], v[88:89]
	v_add_f64 v[88:89], v[86:87], -v[90:91]
	v_add_f64 v[14:15], v[14:15], -v[88:89]
	v_add_f64 v[2:3], v[2:3], v[14:15]
	v_add_f64 v[2:3], v[86:87], v[2:3]
	v_cmp_class_f64_e64 vcc, v[84:85], s77
	v_cndmask_b32_e32 v1, v2, v84, vcc
	v_cndmask_b32_e32 v2, v3, v85, vcc
	v_cmp_ngt_f64_e32 vcc, 0, v[84:85]
	v_cndmask_b32_e32 v3, v112, v2, vcc
	v_cmp_nge_f64_e32 vcc, 0, v[84:85]
	v_cndmask_b32_e32 v2, 0, v1, vcc
	v_cmp_neq_f64_e32 vcc, 0, v[84:85]
	v_mov_b32_e32 v84, 0
	v_cndmask_b32_e32 v3, v113, v3, vcc
	v_mov_b32_e32 v85, 0x7ff80000
.LBB192_255:                            ;   in Loop: Header=BB192_145 Depth=1
	s_or_b64 exec, exec, s[8:9]
	v_cmp_o_f64_e32 vcc, v[6:7], v[8:9]
                                        ; implicit-def: $vgpr14_vgpr15
                                        ; implicit-def: $vgpr86_vgpr87
	s_and_saveexec_b64 s[8:9], vcc
	s_xor_b64 s[54:55], exec, s[8:9]
	s_cbranch_execnz .LBB192_261
; %bb.256:                              ;   in Loop: Header=BB192_145 Depth=1
	s_andn2_saveexec_b64 s[8:9], s[54:55]
	s_cbranch_execnz .LBB192_288
.LBB192_257:                            ;   in Loop: Header=BB192_145 Depth=1
	s_or_b64 exec, exec, s[8:9]
	s_and_saveexec_b64 s[8:9], s[0:1]
	s_xor_b64 s[0:1], exec, s[8:9]
	s_cbranch_execnz .LBB192_293
.LBB192_258:                            ;   in Loop: Header=BB192_145 Depth=1
	s_or_b64 exec, exec, s[0:1]
	s_and_saveexec_b64 s[0:1], s[2:3]
	s_cbranch_execnz .LBB192_294
.LBB192_259:                            ;   in Loop: Header=BB192_145 Depth=1
	s_or_b64 exec, exec, s[0:1]
	s_and_saveexec_b64 s[0:1], s[4:5]
	s_cbranch_execnz .LBB192_295
.LBB192_260:                            ;   in Loop: Header=BB192_145 Depth=1
	s_or_b64 exec, exec, s[0:1]
	s_and_saveexec_b64 s[0:1], s[6:7]
	s_cbranch_execz .LBB192_144
	s_branch .LBB192_296
.LBB192_261:                            ;   in Loop: Header=BB192_145 Depth=1
	v_and_b32_e32 v12, 0x7fffffff, v7
	v_and_b32_e32 v1, 0x7fffffff, v9
	v_mov_b32_e32 v4, v8
	v_cmp_lt_f64_e64 s[8:9], |v[6:7]|, |v[8:9]|
	v_cndmask_b32_e64 v89, v1, v12, s[8:9]
	v_cndmask_b32_e64 v88, v4, v6, s[8:9]
	v_cmp_nlt_f64_e32 vcc, s[20:21], v[88:89]
                                        ; implicit-def: $vgpr14_vgpr15
                                        ; implicit-def: $vgpr86_vgpr87
	s_and_saveexec_b64 s[10:11], vcc
	s_xor_b64 s[12:13], exec, s[10:11]
	s_cbranch_execz .LBB192_285
; %bb.262:                              ;   in Loop: Header=BB192_145 Depth=1
	v_cndmask_b32_e64 v93, v12, v1, s[8:9]
	v_cndmask_b32_e64 v92, v6, v4, s[8:9]
	v_cmp_neq_f64_e32 vcc, 1.0, v[92:93]
                                        ; implicit-def: $vgpr14_vgpr15
                                        ; implicit-def: $vgpr86_vgpr87
	s_and_saveexec_b64 s[10:11], vcc
	s_xor_b64 s[56:57], exec, s[10:11]
	s_cbranch_execz .LBB192_278
; %bb.263:                              ;   in Loop: Header=BB192_145 Depth=1
	v_max_f64 v[14:15], v[88:89], v[88:89]
	v_max_f64 v[86:87], v[92:93], v[92:93]
	v_min_f64 v[90:91], v[86:87], v[14:15]
	v_max_f64 v[14:15], v[86:87], v[14:15]
	v_cmp_ngt_f64_e32 vcc, s[22:23], v[90:91]
	v_cmp_nlt_f64_e64 s[10:11], s[24:25], v[14:15]
	s_and_b64 s[10:11], s[10:11], vcc
                                        ; implicit-def: $vgpr14_vgpr15
                                        ; implicit-def: $vgpr86_vgpr87
	s_and_saveexec_b64 s[58:59], s[10:11]
	s_xor_b64 s[58:59], exec, s[58:59]
	s_cbranch_execz .LBB192_275
; %bb.264:                              ;   in Loop: Header=BB192_145 Depth=1
	v_cmp_le_f64_e32 vcc, 1.0, v[92:93]
                                        ; implicit-def: $vgpr14_vgpr15
                                        ; implicit-def: $vgpr86_vgpr87
	s_and_saveexec_b64 s[10:11], vcc
	s_xor_b64 s[10:11], exec, s[10:11]
	s_cbranch_execz .LBB192_266
; %bb.265:                              ;   in Loop: Header=BB192_145 Depth=1
	v_add_f64 v[14:15], v[92:93], -1.0
	v_add_f64 v[86:87], v[92:93], 1.0
	v_mul_f64 v[86:87], v[14:15], v[86:87]
	v_fmac_f64_e32 v[86:87], v[88:89], v[88:89]
	v_add_f64 v[14:15], v[86:87], 1.0
	v_add_f64 v[88:89], v[14:15], -1.0
	v_add_f64 v[90:91], v[88:89], -v[14:15]
	v_add_f64 v[90:91], v[90:91], 1.0
	v_add_f64 v[88:89], v[86:87], -v[88:89]
	v_add_f64 v[88:89], v[88:89], v[90:91]
	v_frexp_mant_f64_e32 v[90:91], v[14:15]
	v_frexp_exp_i32_f64_e32 v1, v[14:15]
	v_cmp_gt_f64_e32 vcc, s[26:27], v[90:91]
	v_subbrev_co_u32_e32 v1, vcc, 0, v1, vcc
	v_sub_u32_e32 v4, 0, v1
	v_ldexp_f64 v[14:15], v[14:15], v4
	v_add_f64 v[90:91], v[14:15], -1.0
	v_add_f64 v[96:97], v[14:15], 1.0
	v_add_f64 v[92:93], v[90:91], 1.0
	v_add_f64 v[98:99], v[96:97], -1.0
	v_ldexp_f64 v[88:89], v[88:89], v4
	v_add_f64 v[92:93], v[14:15], -v[92:93]
	v_add_f64 v[14:15], v[14:15], -v[98:99]
	v_add_f64 v[14:15], v[88:89], v[14:15]
	v_add_f64 v[92:93], v[88:89], v[92:93]
	v_add_f64 v[88:89], v[96:97], v[14:15]
	v_rcp_f64_e32 v[98:99], v[88:89]
	v_add_f64 v[94:95], v[90:91], v[92:93]
	v_add_f64 v[90:91], v[94:95], -v[90:91]
	v_add_f64 v[90:91], v[92:93], -v[90:91]
	;; [unrolled: 1-line block ×4, first 2 shown]
	v_fma_f64 v[92:93], -v[88:89], v[98:99], 1.0
	v_fmac_f64_e32 v[98:99], v[92:93], v[98:99]
	v_fma_f64 v[92:93], -v[88:89], v[98:99], 1.0
	v_fmac_f64_e32 v[98:99], v[92:93], v[98:99]
	v_mul_f64 v[92:93], v[94:95], v[98:99]
	v_mul_f64 v[96:97], v[88:89], v[92:93]
	v_fma_f64 v[100:101], v[92:93], v[88:89], -v[96:97]
	v_fmac_f64_e32 v[100:101], v[92:93], v[14:15]
	v_add_f64 v[102:103], v[96:97], v[100:101]
	v_add_f64 v[104:105], v[94:95], -v[102:103]
	v_add_f64 v[94:95], v[94:95], -v[104:105]
	;; [unrolled: 1-line block ×4, first 2 shown]
	v_add_f64 v[90:91], v[90:91], v[94:95]
	v_add_f64 v[94:95], v[96:97], -v[100:101]
	v_add_f64 v[90:91], v[94:95], v[90:91]
	v_add_f64 v[94:95], v[104:105], v[90:91]
	v_add_f64 v[96:97], v[104:105], -v[94:95]
	v_add_f64 v[90:91], v[90:91], v[96:97]
	v_mul_f64 v[96:97], v[98:99], v[94:95]
	v_mul_f64 v[100:101], v[88:89], v[96:97]
	v_fma_f64 v[88:89], v[96:97], v[88:89], -v[100:101]
	v_fmac_f64_e32 v[88:89], v[96:97], v[14:15]
	v_add_f64 v[14:15], v[100:101], v[88:89]
	v_add_f64 v[102:103], v[94:95], -v[14:15]
	v_add_f64 v[94:95], v[94:95], -v[102:103]
	;; [unrolled: 1-line block ×4, first 2 shown]
	v_add_f64 v[14:15], v[90:91], v[14:15]
	v_add_f64 v[88:89], v[100:101], -v[88:89]
	v_add_f64 v[14:15], v[88:89], v[14:15]
	v_add_f64 v[88:89], v[92:93], v[96:97]
	;; [unrolled: 1-line block ×3, first 2 shown]
	v_add_f64 v[90:91], v[88:89], -v[92:93]
	v_mul_f64 v[14:15], v[98:99], v[14:15]
	v_add_f64 v[90:91], v[96:97], -v[90:91]
	v_add_f64 v[14:15], v[90:91], v[14:15]
	v_add_f64 v[90:91], v[88:89], v[14:15]
	v_add_f64 v[88:89], v[90:91], -v[88:89]
	v_add_f64 v[14:15], v[14:15], -v[88:89]
	v_mul_f64 v[88:89], v[90:91], v[90:91]
	v_pk_mov_b32 v[92:93], v[18:19], v[18:19] op_sel:[0,1]
	v_fmac_f64_e32 v[92:93], s[28:29], v[88:89]
	v_pk_mov_b32 v[94:95], v[20:21], v[20:21] op_sel:[0,1]
	v_fmac_f64_e32 v[94:95], v[88:89], v[92:93]
	;; [unrolled: 2-line block ×6, first 2 shown]
	v_cvt_f64_i32_e32 v[92:93], v1
	v_mul_f64 v[96:97], v[92:93], s[30:31]
	v_fma_f64 v[98:99], v[92:93], s[30:31], -v[96:97]
	v_fmac_f64_e32 v[98:99], s[34:35], v[92:93]
	v_add_f64 v[92:93], v[96:97], v[98:99]
	v_add_f64 v[96:97], v[92:93], -v[96:97]
	v_mul_f64 v[88:89], v[90:91], v[88:89]
	v_add_f64 v[96:97], v[98:99], -v[96:97]
	v_ldexp_f64 v[98:99], v[90:91], 1
	v_mul_f64 v[88:89], v[88:89], v[94:95]
	v_add_f64 v[90:91], v[98:99], v[88:89]
	v_add_f64 v[94:95], v[90:91], -v[98:99]
	v_ldexp_f64 v[14:15], v[14:15], 1
	v_add_f64 v[88:89], v[88:89], -v[94:95]
	v_add_f64 v[14:15], v[14:15], v[88:89]
	v_add_f64 v[88:89], v[90:91], v[14:15]
	v_add_f64 v[90:91], v[88:89], -v[90:91]
	v_add_f64 v[14:15], v[14:15], -v[90:91]
	v_add_f64 v[90:91], v[92:93], v[88:89]
	v_add_f64 v[94:95], v[90:91], -v[92:93]
	v_add_f64 v[98:99], v[90:91], -v[94:95]
	;; [unrolled: 1-line block ×4, first 2 shown]
	v_add_f64 v[88:89], v[88:89], v[92:93]
	v_add_f64 v[92:93], v[96:97], v[14:15]
	v_add_f64 v[94:95], v[92:93], -v[96:97]
	v_add_f64 v[88:89], v[92:93], v[88:89]
	v_add_f64 v[98:99], v[92:93], -v[94:95]
	;; [unrolled: 2-line block ×3, first 2 shown]
	v_add_f64 v[14:15], v[14:15], -v[94:95]
	v_add_f64 v[90:91], v[92:93], -v[90:91]
	v_add_f64 v[14:15], v[14:15], v[96:97]
	v_add_f64 v[88:89], v[88:89], -v[90:91]
	v_add_f64 v[14:15], v[14:15], v[88:89]
	v_max_f64 v[88:89], |v[8:9]|, |v[8:9]|
	v_max_f64 v[90:91], |v[6:7]|, |v[6:7]|
	v_add_f64 v[14:15], v[92:93], v[14:15]
	v_max_f64 v[92:93], v[90:91], v[88:89]
	v_min_f64 v[88:89], v[90:91], v[88:89]
	v_div_scale_f64 v[90:91], s[60:61], v[92:93], v[92:93], v[88:89]
	v_cmp_eq_f64_e32 vcc, s[36:37], v[86:87]
	v_rcp_f64_e32 v[94:95], v[90:91]
	v_cndmask_b32_e32 v15, v15, v87, vcc
	v_cndmask_b32_e32 v14, v14, v86, vcc
	v_mul_f64 v[14:15], v[14:15], 0.5
	v_cmp_ngt_f64_e32 vcc, -1.0, v[86:87]
	v_cndmask_b32_e32 v1, v112, v15, vcc
	v_cmp_nge_f64_e32 vcc, -1.0, v[86:87]
	v_cndmask_b32_e32 v14, 0, v14, vcc
	v_cmp_neq_f64_e32 vcc, -1.0, v[86:87]
	v_fma_f64 v[86:87], -v[90:91], v[94:95], 1.0
	v_fmac_f64_e32 v[94:95], v[94:95], v[86:87]
	v_fma_f64 v[86:87], -v[90:91], v[94:95], 1.0
	v_cndmask_b32_e32 v15, v113, v1, vcc
	v_fmac_f64_e32 v[94:95], v[94:95], v[86:87]
	v_div_scale_f64 v[86:87], vcc, v[88:89], v[92:93], v[88:89]
	v_mul_f64 v[96:97], v[86:87], v[94:95]
	v_fma_f64 v[86:87], -v[90:91], v[96:97], v[86:87]
	v_pk_mov_b32 v[90:91], v[30:31], v[30:31] op_sel:[0,1]
	s_nop 0
	v_div_fmas_f64 v[86:87], v[86:87], v[94:95], v[96:97]
	v_div_fixup_f64 v[86:87], v[86:87], v[92:93], v[88:89]
	v_mul_f64 v[88:89], v[86:87], v[86:87]
	v_fmac_f64_e32 v[90:91], s[38:39], v[88:89]
	v_pk_mov_b32 v[92:93], v[32:33], v[32:33] op_sel:[0,1]
	v_fmac_f64_e32 v[92:93], v[88:89], v[90:91]
	v_pk_mov_b32 v[90:91], v[34:35], v[34:35] op_sel:[0,1]
	;; [unrolled: 2-line block ×18, first 2 shown]
	v_fmac_f64_e32 v[90:91], v[88:89], v[92:93]
	v_mul_f64 v[88:89], v[88:89], v[90:91]
	v_fmac_f64_e32 v[86:87], v[86:87], v[88:89]
	v_cmp_class_f64_e64 s[62:63], v[6:7], s77
	v_ashrrev_i32_e32 v6, 31, v7
	v_cmp_gt_i32_e32 vcc, 0, v7
	v_and_b32_e32 v12, 0x400921fb, v6
	v_and_b32_e32 v16, 0x54442d18, v6
	v_add_f64 v[6:7], -v[86:87], s[40:41]
	v_cndmask_b32_e64 v7, v87, v7, s[8:9]
	v_cndmask_b32_e64 v6, v86, v6, s[8:9]
	s_mov_b32 s42, s40
	v_add_f64 v[86:87], -v[6:7], s[42:43]
	v_cmp_class_f64_e64 s[60:61], v[8:9], s77
	v_cndmask_b32_e32 v1, v114, v115, vcc
	v_cndmask_b32_e32 v4, v116, v117, vcc
	;; [unrolled: 1-line block ×4, first 2 shown]
	v_cmp_eq_f64_e32 vcc, 0, v[8:9]
	v_bfi_b32 v4, s76, v4, v9
	v_cndmask_b32_e32 v6, v6, v16, vcc
	v_cndmask_b32_e32 v7, v7, v12, vcc
	s_and_b64 vcc, s[60:61], s[62:63]
	v_cndmask_b32_e32 v87, v7, v4, vcc
	v_cndmask_b32_e32 v86, v6, v1, vcc
                                        ; implicit-def: $vgpr88_vgpr89
                                        ; implicit-def: $vgpr92_vgpr93
.LBB192_266:                            ;   in Loop: Header=BB192_145 Depth=1
	s_andn2_saveexec_b64 s[60:61], s[10:11]
	s_cbranch_execz .LBB192_274
; %bb.267:                              ;   in Loop: Header=BB192_145 Depth=1
	v_mul_f64 v[90:91], v[88:89], v[88:89]
	v_fmac_f64_e32 v[90:91], v[92:93], v[92:93]
	v_cmp_ge_f64_e32 vcc, s[44:45], v[90:91]
                                        ; implicit-def: $vgpr14_vgpr15
                                        ; implicit-def: $vgpr86_vgpr87
	s_and_saveexec_b64 s[10:11], vcc
	s_xor_b64 s[10:11], exec, s[10:11]
	s_cbranch_execz .LBB192_269
; %bb.268:                              ;   in Loop: Header=BB192_145 Depth=1
	v_frexp_mant_f64_e32 v[14:15], v[90:91]
	v_cmp_gt_f64_e32 vcc, s[26:27], v[14:15]
	v_cndmask_b32_e64 v69, v118, 2.0, vcc
	v_mul_f64 v[14:15], v[14:15], v[68:69]
	v_add_f64 v[86:87], v[14:15], 1.0
	v_rcp_f64_e32 v[88:89], v[86:87]
	v_add_f64 v[94:95], v[86:87], -1.0
	v_add_f64 v[92:93], v[14:15], -1.0
	v_add_f64 v[14:15], v[14:15], -v[94:95]
	v_fma_f64 v[94:95], -v[86:87], v[88:89], 1.0
	v_fmac_f64_e32 v[88:89], v[94:95], v[88:89]
	v_fma_f64 v[94:95], -v[86:87], v[88:89], 1.0
	v_fmac_f64_e32 v[88:89], v[94:95], v[88:89]
	v_mul_f64 v[94:95], v[92:93], v[88:89]
	v_mul_f64 v[96:97], v[86:87], v[94:95]
	v_fma_f64 v[86:87], v[94:95], v[86:87], -v[96:97]
	v_fmac_f64_e32 v[86:87], v[94:95], v[14:15]
	v_add_f64 v[14:15], v[96:97], v[86:87]
	v_add_f64 v[98:99], v[92:93], -v[14:15]
	v_add_f64 v[96:97], v[14:15], -v[96:97]
	;; [unrolled: 1-line block ×5, first 2 shown]
	v_add_f64 v[14:15], v[86:87], v[14:15]
	v_add_f64 v[14:15], v[98:99], v[14:15]
	v_mul_f64 v[14:15], v[88:89], v[14:15]
	v_add_f64 v[86:87], v[94:95], v[14:15]
	v_add_f64 v[88:89], v[86:87], -v[94:95]
	v_add_f64 v[14:15], v[14:15], -v[88:89]
	v_mul_f64 v[88:89], v[86:87], v[86:87]
	v_pk_mov_b32 v[92:93], v[18:19], v[18:19] op_sel:[0,1]
	v_fmac_f64_e32 v[92:93], s[28:29], v[88:89]
	v_pk_mov_b32 v[94:95], v[20:21], v[20:21] op_sel:[0,1]
	v_fmac_f64_e32 v[94:95], v[88:89], v[92:93]
	;; [unrolled: 2-line block ×6, first 2 shown]
	v_ldexp_f64 v[92:93], v[86:87], 1
	v_mul_f64 v[86:87], v[86:87], v[88:89]
	v_mul_f64 v[86:87], v[86:87], v[94:95]
	v_add_f64 v[88:89], v[92:93], v[86:87]
	v_add_f64 v[92:93], v[88:89], -v[92:93]
	v_ldexp_f64 v[14:15], v[14:15], 1
	v_add_f64 v[86:87], v[86:87], -v[92:93]
	v_add_f64 v[14:15], v[14:15], v[86:87]
	v_frexp_exp_i32_f64_e32 v1, v[90:91]
	v_add_f64 v[86:87], v[88:89], v[14:15]
	v_subbrev_co_u32_e32 v1, vcc, 0, v1, vcc
	v_add_f64 v[88:89], v[86:87], -v[88:89]
	v_add_f64 v[14:15], v[14:15], -v[88:89]
	v_cvt_f64_i32_e32 v[88:89], v1
	v_mul_f64 v[92:93], v[88:89], s[30:31]
	v_fma_f64 v[94:95], v[88:89], s[30:31], -v[92:93]
	v_fmac_f64_e32 v[94:95], s[34:35], v[88:89]
	v_add_f64 v[88:89], v[92:93], v[94:95]
	v_add_f64 v[92:93], v[88:89], -v[92:93]
	v_add_f64 v[92:93], v[94:95], -v[92:93]
	v_add_f64 v[94:95], v[88:89], v[86:87]
	v_add_f64 v[96:97], v[94:95], -v[88:89]
	v_add_f64 v[98:99], v[94:95], -v[96:97]
	;; [unrolled: 1-line block ×4, first 2 shown]
	v_add_f64 v[86:87], v[86:87], v[88:89]
	v_add_f64 v[88:89], v[92:93], v[14:15]
	v_add_f64 v[96:97], v[88:89], -v[92:93]
	v_add_f64 v[98:99], v[88:89], -v[96:97]
	v_add_f64 v[86:87], v[88:89], v[86:87]
	v_add_f64 v[92:93], v[92:93], -v[98:99]
	v_add_f64 v[14:15], v[14:15], -v[96:97]
	v_add_f64 v[88:89], v[94:95], v[86:87]
	v_add_f64 v[14:15], v[14:15], v[92:93]
	v_add_f64 v[92:93], v[88:89], -v[94:95]
	v_add_f64 v[86:87], v[86:87], -v[92:93]
	v_add_f64 v[14:15], v[14:15], v[86:87]
	v_add_f64 v[14:15], v[88:89], v[14:15]
	v_max_f64 v[86:87], |v[8:9]|, |v[8:9]|
	v_max_f64 v[88:89], |v[6:7]|, |v[6:7]|
	v_max_f64 v[92:93], v[88:89], v[86:87]
	v_min_f64 v[86:87], v[88:89], v[86:87]
	v_div_scale_f64 v[88:89], s[62:63], v[92:93], v[92:93], v[86:87]
	v_rcp_f64_e32 v[94:95], v[88:89]
	v_cmp_neq_f64_e32 vcc, 0, v[90:91]
	v_mul_f64 v[14:15], v[14:15], 0.5
	v_cndmask_b32_e32 v15, v113, v15, vcc
	v_fma_f64 v[90:91], -v[88:89], v[94:95], 1.0
	v_fmac_f64_e32 v[94:95], v[94:95], v[90:91]
	v_fma_f64 v[90:91], -v[88:89], v[94:95], 1.0
	v_cndmask_b32_e32 v14, 0, v14, vcc
	v_fmac_f64_e32 v[94:95], v[94:95], v[90:91]
	v_div_scale_f64 v[90:91], vcc, v[86:87], v[92:93], v[86:87]
	v_mul_f64 v[96:97], v[90:91], v[94:95]
	v_fma_f64 v[88:89], -v[88:89], v[96:97], v[90:91]
	v_pk_mov_b32 v[90:91], v[30:31], v[30:31] op_sel:[0,1]
	s_nop 0
	v_div_fmas_f64 v[88:89], v[88:89], v[94:95], v[96:97]
	v_div_fixup_f64 v[86:87], v[88:89], v[92:93], v[86:87]
	v_mul_f64 v[88:89], v[86:87], v[86:87]
	v_fmac_f64_e32 v[90:91], s[38:39], v[88:89]
	v_pk_mov_b32 v[92:93], v[32:33], v[32:33] op_sel:[0,1]
	v_fmac_f64_e32 v[92:93], v[88:89], v[90:91]
	v_pk_mov_b32 v[90:91], v[34:35], v[34:35] op_sel:[0,1]
	;; [unrolled: 2-line block ×18, first 2 shown]
	v_fmac_f64_e32 v[90:91], v[88:89], v[92:93]
	v_mul_f64 v[88:89], v[88:89], v[90:91]
	v_fmac_f64_e32 v[86:87], v[86:87], v[88:89]
	v_cmp_class_f64_e64 s[64:65], v[6:7], s77
	v_ashrrev_i32_e32 v6, 31, v7
	v_cmp_gt_i32_e32 vcc, 0, v7
	v_and_b32_e32 v12, 0x400921fb, v6
	v_and_b32_e32 v16, 0x54442d18, v6
	v_add_f64 v[6:7], -v[86:87], s[40:41]
	v_cndmask_b32_e64 v7, v87, v7, s[8:9]
	v_cndmask_b32_e64 v6, v86, v6, s[8:9]
	s_mov_b32 s42, s40
	v_add_f64 v[86:87], -v[6:7], s[42:43]
	v_cmp_class_f64_e64 s[62:63], v[8:9], s77
	v_cndmask_b32_e32 v1, v114, v115, vcc
	v_cndmask_b32_e32 v4, v116, v117, vcc
	;; [unrolled: 1-line block ×4, first 2 shown]
	v_cmp_eq_f64_e32 vcc, 0, v[8:9]
	v_bfi_b32 v4, s76, v4, v9
	v_cndmask_b32_e32 v6, v6, v16, vcc
	v_cndmask_b32_e32 v7, v7, v12, vcc
	s_and_b64 vcc, s[62:63], s[64:65]
	v_cndmask_b32_e32 v87, v7, v4, vcc
	v_cndmask_b32_e32 v86, v6, v1, vcc
                                        ; implicit-def: $vgpr92_vgpr93
                                        ; implicit-def: $vgpr88_vgpr89
.LBB192_269:                            ;   in Loop: Header=BB192_145 Depth=1
	s_andn2_saveexec_b64 s[62:63], s[10:11]
	s_cbranch_execz .LBB192_273
; %bb.270:                              ;   in Loop: Header=BB192_145 Depth=1
	v_and_b32_e32 v69, 0x7ffffff8, v93
	v_add_f64 v[14:15], v[92:93], -v[68:69]
	v_and_b32_e32 v101, -8, v15
	v_mov_b32_e32 v100, v68
	v_and_b32_e32 v91, 0x7ffffff8, v89
	v_mov_b32_e32 v90, v68
	v_add_f64 v[104:105], v[14:15], -v[100:101]
	v_add_f64 v[14:15], v[88:89], -v[90:91]
	v_and_b32_e32 v103, -8, v15
	v_mov_b32_e32 v102, v68
	v_add_f64 v[94:95], v[68:69], v[68:69]
	v_add_f64 v[108:109], v[90:91], v[90:91]
	v_add_f64 v[106:107], v[14:15], -v[102:103]
	v_mul_f64 v[86:87], v[90:91], v[90:91]
	v_mul_f64 v[92:93], v[94:95], v[100:101]
	v_mul_f64 v[90:91], v[108:109], v[102:103]
	v_mul_f64 v[98:99], v[100:101], v[100:101]
	v_mul_f64 v[88:89], v[102:103], v[102:103]
	v_add_f64 v[100:101], v[100:101], v[100:101]
	v_add_f64 v[102:103], v[102:103], v[102:103]
	v_mul_f64 v[14:15], v[68:69], v[68:69]
	v_mul_f64 v[96:97], v[94:95], v[104:105]
	;; [unrolled: 1-line block ×7, first 2 shown]
	s_mov_b64 s[64:65], 0
.LBB192_271:                            ;   Parent Loop BB192_145 Depth=1
                                        ; =>  This Inner Loop Header: Depth=2
	v_cmp_nlt_f64_e32 vcc, v[14:15], v[86:87]
	v_cndmask_b32_e32 v109, v15, v87, vcc
	v_cndmask_b32_e32 v108, v14, v86, vcc
	v_cmp_nlt_f64_e64 s[10:11], v[108:109], v[92:93]
	v_cndmask_b32_e64 v121, v109, v93, s[10:11]
	v_cndmask_b32_e64 v120, v108, v92, s[10:11]
	v_cndmask_b32_e32 v15, v87, v15, vcc
	v_cndmask_b32_e32 v14, v86, v14, vcc
	s_and_b64 s[66:67], vcc, s[10:11]
	v_cmp_nlt_f64_e32 vcc, v[120:121], v[90:91]
	v_cndmask_b32_e64 v87, v93, v109, s[10:11]
	v_cndmask_b32_e64 v86, v92, v108, s[10:11]
	v_cndmask_b32_e32 v109, v121, v91, vcc
	v_cndmask_b32_e32 v108, v120, v90, vcc
	v_cmp_nlt_f64_e64 s[10:11], v[108:109], v[98:99]
	v_cndmask_b32_e32 v93, v91, v121, vcc
	v_cndmask_b32_e32 v92, v90, v120, vcc
	v_cndmask_b32_e64 v121, v109, v99, s[10:11]
	v_cndmask_b32_e64 v120, v108, v98, s[10:11]
	s_and_b64 s[78:79], vcc, s[10:11]
	v_cmp_nlt_f64_e32 vcc, v[120:121], v[88:89]
	v_cndmask_b32_e64 v91, v99, v109, s[10:11]
	v_cndmask_b32_e64 v90, v98, v108, s[10:11]
	v_cndmask_b32_e32 v109, v121, v89, vcc
	v_cndmask_b32_e32 v108, v120, v88, vcc
	v_cmp_nlt_f64_e64 s[10:11], v[108:109], v[96:97]
	v_cndmask_b32_e32 v99, v89, v121, vcc
	v_cndmask_b32_e32 v98, v88, v120, vcc
	v_cndmask_b32_e64 v121, v109, v97, s[10:11]
	v_cndmask_b32_e64 v120, v108, v96, s[10:11]
	;; [unrolled: 1-line block ×4, first 2 shown]
	s_and_b64 s[10:11], vcc, s[10:11]
	v_cmp_nlt_f64_e32 vcc, v[120:121], v[94:95]
	v_cndmask_b32_e32 v109, v121, v95, vcc
	v_cndmask_b32_e32 v108, v120, v94, vcc
	v_cndmask_b32_e32 v97, v95, v121, vcc
	v_cndmask_b32_e32 v96, v94, v120, vcc
	s_and_b64 s[10:11], s[10:11], vcc
	v_cmp_nlt_f64_e32 vcc, v[108:109], v[100:101]
	v_cndmask_b32_e32 v121, v109, v101, vcc
	v_cndmask_b32_e32 v120, v108, v100, vcc
	v_cndmask_b32_e32 v95, v101, v109, vcc
	v_cndmask_b32_e32 v94, v100, v108, vcc
	s_and_b64 s[10:11], s[10:11], vcc
	;; [unrolled: 6-line block ×4, first 2 shown]
	v_cmp_nlt_f64_e32 vcc, v[120:121], v[106:107]
	s_and_b64 s[10:11], s[10:11], vcc
	s_and_b64 s[10:11], s[10:11], s[78:79]
	s_and_b64 s[10:11], s[10:11], s[66:67]
	v_cndmask_b32_e32 v109, v121, v107, vcc
	v_cndmask_b32_e32 v108, v120, v106, vcc
	s_and_b64 s[10:11], exec, s[10:11]
	v_cndmask_b32_e32 v105, v107, v121, vcc
	v_cndmask_b32_e32 v104, v106, v120, vcc
	s_or_b64 s[64:65], s[10:11], s[64:65]
	v_pk_mov_b32 v[106:107], v[108:109], v[108:109] op_sel:[0,1]
	s_andn2_b64 exec, exec, s[64:65]
	s_cbranch_execnz .LBB192_271
; %bb.272:                              ;   in Loop: Header=BB192_145 Depth=1
	s_or_b64 exec, exec, s[64:65]
	v_add_f64 v[14:15], v[14:15], -1.0
	v_add_f64 v[14:15], v[14:15], v[86:87]
	v_add_f64 v[14:15], v[14:15], v[92:93]
	;; [unrolled: 1-line block ×11, first 2 shown]
	v_add_f64 v[14:15], v[86:87], 1.0
	v_add_f64 v[88:89], v[14:15], -1.0
	v_add_f64 v[90:91], v[88:89], -v[14:15]
	v_add_f64 v[90:91], v[90:91], 1.0
	v_add_f64 v[88:89], v[86:87], -v[88:89]
	v_add_f64 v[88:89], v[88:89], v[90:91]
	v_frexp_mant_f64_e32 v[90:91], v[14:15]
	v_frexp_exp_i32_f64_e32 v1, v[14:15]
	v_cmp_gt_f64_e32 vcc, s[26:27], v[90:91]
	v_subbrev_co_u32_e32 v1, vcc, 0, v1, vcc
	v_sub_u32_e32 v4, 0, v1
	v_ldexp_f64 v[14:15], v[14:15], v4
	v_add_f64 v[90:91], v[14:15], -1.0
	v_add_f64 v[96:97], v[14:15], 1.0
	v_add_f64 v[92:93], v[90:91], 1.0
	v_add_f64 v[98:99], v[96:97], -1.0
	v_ldexp_f64 v[88:89], v[88:89], v4
	v_add_f64 v[92:93], v[14:15], -v[92:93]
	v_add_f64 v[14:15], v[14:15], -v[98:99]
	v_add_f64 v[14:15], v[88:89], v[14:15]
	v_add_f64 v[92:93], v[88:89], v[92:93]
	;; [unrolled: 1-line block ×3, first 2 shown]
	v_rcp_f64_e32 v[98:99], v[88:89]
	v_add_f64 v[94:95], v[90:91], v[92:93]
	v_add_f64 v[90:91], v[94:95], -v[90:91]
	v_add_f64 v[90:91], v[92:93], -v[90:91]
	;; [unrolled: 1-line block ×4, first 2 shown]
	v_fma_f64 v[92:93], -v[88:89], v[98:99], 1.0
	v_fmac_f64_e32 v[98:99], v[92:93], v[98:99]
	v_fma_f64 v[92:93], -v[88:89], v[98:99], 1.0
	v_fmac_f64_e32 v[98:99], v[92:93], v[98:99]
	v_mul_f64 v[92:93], v[94:95], v[98:99]
	v_mul_f64 v[96:97], v[88:89], v[92:93]
	v_fma_f64 v[100:101], v[92:93], v[88:89], -v[96:97]
	v_fmac_f64_e32 v[100:101], v[92:93], v[14:15]
	v_add_f64 v[102:103], v[96:97], v[100:101]
	v_add_f64 v[104:105], v[94:95], -v[102:103]
	v_add_f64 v[94:95], v[94:95], -v[104:105]
	;; [unrolled: 1-line block ×4, first 2 shown]
	v_add_f64 v[90:91], v[90:91], v[94:95]
	v_add_f64 v[94:95], v[96:97], -v[100:101]
	v_add_f64 v[90:91], v[94:95], v[90:91]
	v_add_f64 v[94:95], v[104:105], v[90:91]
	v_add_f64 v[96:97], v[104:105], -v[94:95]
	v_add_f64 v[90:91], v[90:91], v[96:97]
	v_mul_f64 v[96:97], v[98:99], v[94:95]
	v_mul_f64 v[100:101], v[88:89], v[96:97]
	v_fma_f64 v[88:89], v[96:97], v[88:89], -v[100:101]
	v_fmac_f64_e32 v[88:89], v[96:97], v[14:15]
	v_add_f64 v[14:15], v[100:101], v[88:89]
	v_add_f64 v[102:103], v[94:95], -v[14:15]
	v_add_f64 v[94:95], v[94:95], -v[102:103]
	;; [unrolled: 1-line block ×4, first 2 shown]
	v_add_f64 v[14:15], v[90:91], v[14:15]
	v_add_f64 v[88:89], v[100:101], -v[88:89]
	v_add_f64 v[14:15], v[88:89], v[14:15]
	v_add_f64 v[88:89], v[92:93], v[96:97]
	;; [unrolled: 1-line block ×3, first 2 shown]
	v_add_f64 v[90:91], v[88:89], -v[92:93]
	v_mul_f64 v[14:15], v[98:99], v[14:15]
	v_add_f64 v[90:91], v[96:97], -v[90:91]
	v_add_f64 v[14:15], v[90:91], v[14:15]
	v_add_f64 v[90:91], v[88:89], v[14:15]
	v_add_f64 v[88:89], v[90:91], -v[88:89]
	v_add_f64 v[14:15], v[14:15], -v[88:89]
	v_mul_f64 v[88:89], v[90:91], v[90:91]
	v_pk_mov_b32 v[92:93], v[18:19], v[18:19] op_sel:[0,1]
	v_fmac_f64_e32 v[92:93], s[28:29], v[88:89]
	v_pk_mov_b32 v[94:95], v[20:21], v[20:21] op_sel:[0,1]
	v_fmac_f64_e32 v[94:95], v[88:89], v[92:93]
	;; [unrolled: 2-line block ×6, first 2 shown]
	v_cvt_f64_i32_e32 v[92:93], v1
	v_mul_f64 v[96:97], v[92:93], s[30:31]
	v_fma_f64 v[98:99], v[92:93], s[30:31], -v[96:97]
	v_fmac_f64_e32 v[98:99], s[34:35], v[92:93]
	v_add_f64 v[92:93], v[96:97], v[98:99]
	v_add_f64 v[96:97], v[92:93], -v[96:97]
	v_mul_f64 v[88:89], v[90:91], v[88:89]
	v_add_f64 v[96:97], v[98:99], -v[96:97]
	v_ldexp_f64 v[98:99], v[90:91], 1
	v_mul_f64 v[88:89], v[88:89], v[94:95]
	v_add_f64 v[90:91], v[98:99], v[88:89]
	v_add_f64 v[94:95], v[90:91], -v[98:99]
	v_ldexp_f64 v[14:15], v[14:15], 1
	v_add_f64 v[88:89], v[88:89], -v[94:95]
	v_add_f64 v[14:15], v[14:15], v[88:89]
	v_add_f64 v[88:89], v[90:91], v[14:15]
	v_add_f64 v[90:91], v[88:89], -v[90:91]
	v_add_f64 v[14:15], v[14:15], -v[90:91]
	v_add_f64 v[90:91], v[92:93], v[88:89]
	v_add_f64 v[94:95], v[90:91], -v[92:93]
	v_add_f64 v[98:99], v[90:91], -v[94:95]
	;; [unrolled: 1-line block ×4, first 2 shown]
	v_add_f64 v[88:89], v[88:89], v[92:93]
	v_add_f64 v[92:93], v[96:97], v[14:15]
	v_add_f64 v[94:95], v[92:93], -v[96:97]
	v_add_f64 v[88:89], v[92:93], v[88:89]
	v_add_f64 v[98:99], v[92:93], -v[94:95]
	;; [unrolled: 2-line block ×3, first 2 shown]
	v_add_f64 v[14:15], v[14:15], -v[94:95]
	v_add_f64 v[90:91], v[92:93], -v[90:91]
	v_add_f64 v[14:15], v[14:15], v[96:97]
	v_add_f64 v[88:89], v[88:89], -v[90:91]
	v_add_f64 v[14:15], v[14:15], v[88:89]
	v_max_f64 v[88:89], |v[8:9]|, |v[8:9]|
	v_max_f64 v[90:91], |v[6:7]|, |v[6:7]|
	v_add_f64 v[14:15], v[92:93], v[14:15]
	v_max_f64 v[92:93], v[90:91], v[88:89]
	v_min_f64 v[88:89], v[90:91], v[88:89]
	v_div_scale_f64 v[90:91], s[10:11], v[92:93], v[92:93], v[88:89]
	v_cmp_eq_f64_e32 vcc, s[36:37], v[86:87]
	v_rcp_f64_e32 v[94:95], v[90:91]
	v_cndmask_b32_e32 v15, v15, v87, vcc
	v_cndmask_b32_e32 v14, v14, v86, vcc
	v_mul_f64 v[14:15], v[14:15], 0.5
	v_cmp_ngt_f64_e32 vcc, -1.0, v[86:87]
	v_cndmask_b32_e32 v1, v112, v15, vcc
	v_cmp_nge_f64_e32 vcc, -1.0, v[86:87]
	v_cndmask_b32_e32 v14, 0, v14, vcc
	v_cmp_neq_f64_e32 vcc, -1.0, v[86:87]
	v_fma_f64 v[86:87], -v[90:91], v[94:95], 1.0
	v_fmac_f64_e32 v[94:95], v[94:95], v[86:87]
	v_fma_f64 v[86:87], -v[90:91], v[94:95], 1.0
	v_cndmask_b32_e32 v15, v113, v1, vcc
	v_fmac_f64_e32 v[94:95], v[94:95], v[86:87]
	v_div_scale_f64 v[86:87], vcc, v[88:89], v[92:93], v[88:89]
	v_mul_f64 v[96:97], v[86:87], v[94:95]
	v_fma_f64 v[86:87], -v[90:91], v[96:97], v[86:87]
	v_pk_mov_b32 v[90:91], v[30:31], v[30:31] op_sel:[0,1]
	s_nop 0
	v_div_fmas_f64 v[86:87], v[86:87], v[94:95], v[96:97]
	v_div_fixup_f64 v[86:87], v[86:87], v[92:93], v[88:89]
	v_mul_f64 v[88:89], v[86:87], v[86:87]
	v_fmac_f64_e32 v[90:91], s[38:39], v[88:89]
	v_pk_mov_b32 v[92:93], v[32:33], v[32:33] op_sel:[0,1]
	v_fmac_f64_e32 v[92:93], v[88:89], v[90:91]
	v_pk_mov_b32 v[90:91], v[34:35], v[34:35] op_sel:[0,1]
	;; [unrolled: 2-line block ×18, first 2 shown]
	v_fmac_f64_e32 v[90:91], v[88:89], v[92:93]
	v_mul_f64 v[88:89], v[88:89], v[90:91]
	v_fmac_f64_e32 v[86:87], v[86:87], v[88:89]
	v_cmp_class_f64_e64 s[64:65], v[6:7], s77
	v_ashrrev_i32_e32 v6, 31, v7
	v_cmp_gt_i32_e32 vcc, 0, v7
	v_and_b32_e32 v12, 0x400921fb, v6
	v_and_b32_e32 v16, 0x54442d18, v6
	v_add_f64 v[6:7], -v[86:87], s[40:41]
	v_cndmask_b32_e64 v7, v87, v7, s[8:9]
	v_cndmask_b32_e64 v6, v86, v6, s[8:9]
	s_mov_b32 s42, s40
	v_add_f64 v[86:87], -v[6:7], s[42:43]
	v_cmp_class_f64_e64 s[10:11], v[8:9], s77
	v_cndmask_b32_e32 v1, v114, v115, vcc
	v_cndmask_b32_e32 v4, v116, v117, vcc
	;; [unrolled: 1-line block ×4, first 2 shown]
	v_cmp_eq_f64_e32 vcc, 0, v[8:9]
	v_bfi_b32 v4, s76, v4, v9
	v_cndmask_b32_e32 v6, v6, v16, vcc
	v_cndmask_b32_e32 v7, v7, v12, vcc
	s_and_b64 vcc, s[10:11], s[64:65]
	v_cndmask_b32_e32 v87, v7, v4, vcc
	v_cndmask_b32_e32 v86, v6, v1, vcc
.LBB192_273:                            ;   in Loop: Header=BB192_145 Depth=1
	s_or_b64 exec, exec, s[62:63]
.LBB192_274:                            ;   in Loop: Header=BB192_145 Depth=1
	s_or_b64 exec, exec, s[60:61]
.LBB192_275:                            ;   in Loop: Header=BB192_145 Depth=1
	s_andn2_saveexec_b64 s[58:59], s[58:59]
	s_cbranch_execz .LBB192_277
; %bb.276:                              ;   in Loop: Header=BB192_145 Depth=1
	v_max_f64 v[14:15], |v[8:9]|, |v[8:9]|
	v_max_f64 v[86:87], |v[6:7]|, |v[6:7]|
	v_max_f64 v[88:89], v[86:87], v[14:15]
	v_frexp_exp_i32_f64_e32 v1, v[88:89]
	v_sub_u32_e32 v4, 0, v1
	v_ldexp_f64 v[92:93], |v[8:9]|, v4
	v_ldexp_f64 v[90:91], |v[6:7]|, v4
	v_mul_f64 v[92:93], v[92:93], v[92:93]
	v_fmac_f64_e32 v[92:93], v[90:91], v[90:91]
	v_rsq_f64_e32 v[90:91], v[92:93]
	v_cmp_eq_f64_e32 vcc, 0, v[92:93]
	v_cmp_class_f64_e64 s[60:61], v[6:7], s77
	v_cmp_class_f64_e64 s[62:63], v[8:9], s77
	v_mul_f64 v[94:95], v[92:93], v[90:91]
	v_mul_f64 v[90:91], v[90:91], 0.5
	v_fma_f64 v[96:97], -v[90:91], v[94:95], 0.5
	v_fmac_f64_e32 v[94:95], v[94:95], v[96:97]
	v_fmac_f64_e32 v[90:91], v[90:91], v[96:97]
	v_fma_f64 v[96:97], -v[94:95], v[94:95], v[92:93]
	v_fmac_f64_e32 v[94:95], v[96:97], v[90:91]
	v_cndmask_b32_e32 v91, v95, v93, vcc
	v_cndmask_b32_e32 v90, v94, v92, vcc
	v_ldexp_f64 v[90:91], v[90:91], v1
	s_or_b64 vcc, s[62:63], s[60:61]
	v_cndmask_b32_e32 v93, v91, v119, vcc
	v_cndmask_b32_e64 v92, v90, 0, vcc
	v_frexp_mant_f64_e32 v[94:95], v[92:93]
	v_cmp_gt_f64_e64 s[10:11], s[26:27], v[94:95]
	v_cndmask_b32_e64 v69, v118, 2.0, s[10:11]
	v_mul_f64 v[94:95], v[94:95], v[68:69]
	v_add_f64 v[96:97], v[94:95], 1.0
	v_rcp_f64_e32 v[98:99], v[96:97]
	v_add_f64 v[102:103], v[96:97], -1.0
	v_add_f64 v[100:101], v[94:95], -1.0
	v_add_f64 v[94:95], v[94:95], -v[102:103]
	v_fma_f64 v[102:103], -v[96:97], v[98:99], 1.0
	v_fmac_f64_e32 v[98:99], v[102:103], v[98:99]
	v_fma_f64 v[102:103], -v[96:97], v[98:99], 1.0
	v_fmac_f64_e32 v[98:99], v[102:103], v[98:99]
	v_mul_f64 v[102:103], v[100:101], v[98:99]
	v_mul_f64 v[104:105], v[96:97], v[102:103]
	v_fma_f64 v[96:97], v[102:103], v[96:97], -v[104:105]
	v_fmac_f64_e32 v[96:97], v[102:103], v[94:95]
	v_add_f64 v[94:95], v[104:105], v[96:97]
	v_add_f64 v[106:107], v[100:101], -v[94:95]
	v_add_f64 v[104:105], v[94:95], -v[104:105]
	;; [unrolled: 1-line block ×5, first 2 shown]
	v_add_f64 v[94:95], v[96:97], v[94:95]
	v_add_f64 v[94:95], v[106:107], v[94:95]
	v_mul_f64 v[94:95], v[98:99], v[94:95]
	v_add_f64 v[96:97], v[102:103], v[94:95]
	v_add_f64 v[98:99], v[96:97], -v[102:103]
	v_add_f64 v[94:95], v[94:95], -v[98:99]
	v_mul_f64 v[98:99], v[96:97], v[96:97]
	v_pk_mov_b32 v[100:101], v[18:19], v[18:19] op_sel:[0,1]
	v_fmac_f64_e32 v[100:101], s[28:29], v[98:99]
	v_pk_mov_b32 v[102:103], v[20:21], v[20:21] op_sel:[0,1]
	v_fmac_f64_e32 v[102:103], v[98:99], v[100:101]
	;; [unrolled: 2-line block ×6, first 2 shown]
	v_ldexp_f64 v[100:101], v[96:97], 1
	v_mul_f64 v[96:97], v[96:97], v[98:99]
	v_mul_f64 v[96:97], v[96:97], v[102:103]
	v_add_f64 v[98:99], v[100:101], v[96:97]
	v_add_f64 v[100:101], v[98:99], -v[100:101]
	v_ldexp_f64 v[94:95], v[94:95], 1
	v_add_f64 v[96:97], v[96:97], -v[100:101]
	v_add_f64 v[94:95], v[94:95], v[96:97]
	v_frexp_exp_i32_f64_e32 v1, v[92:93]
	v_add_f64 v[96:97], v[98:99], v[94:95]
	v_subbrev_co_u32_e64 v1, s[10:11], 0, v1, s[10:11]
	v_add_f64 v[98:99], v[96:97], -v[98:99]
	v_add_f64 v[94:95], v[94:95], -v[98:99]
	v_cvt_f64_i32_e32 v[98:99], v1
	v_mul_f64 v[100:101], v[98:99], s[30:31]
	v_fma_f64 v[102:103], v[98:99], s[30:31], -v[100:101]
	v_fmac_f64_e32 v[102:103], s[34:35], v[98:99]
	v_add_f64 v[98:99], v[100:101], v[102:103]
	v_add_f64 v[100:101], v[98:99], -v[100:101]
	v_add_f64 v[100:101], v[102:103], -v[100:101]
	v_add_f64 v[102:103], v[98:99], v[96:97]
	v_add_f64 v[104:105], v[102:103], -v[98:99]
	v_add_f64 v[106:107], v[102:103], -v[104:105]
	;; [unrolled: 1-line block ×4, first 2 shown]
	v_add_f64 v[96:97], v[96:97], v[98:99]
	v_add_f64 v[98:99], v[100:101], v[94:95]
	v_add_f64 v[104:105], v[98:99], -v[100:101]
	v_add_f64 v[106:107], v[98:99], -v[104:105]
	v_add_f64 v[96:97], v[98:99], v[96:97]
	v_add_f64 v[100:101], v[100:101], -v[106:107]
	v_add_f64 v[94:95], v[94:95], -v[104:105]
	v_add_f64 v[98:99], v[102:103], v[96:97]
	v_add_f64 v[94:95], v[94:95], v[100:101]
	v_add_f64 v[100:101], v[98:99], -v[102:103]
	v_add_f64 v[96:97], v[96:97], -v[100:101]
	v_add_f64 v[94:95], v[94:95], v[96:97]
	v_add_f64 v[94:95], v[98:99], v[94:95]
	v_cmp_class_f64_e64 s[10:11], v[90:91], s77
	v_min_f64 v[86:87], v[86:87], v[14:15]
	v_cndmask_b32_e64 v1, v95, v91, s[10:11]
	v_cndmask_b32_e64 v4, v94, v90, s[10:11]
	v_div_scale_f64 v[90:91], s[10:11], v[88:89], v[88:89], v[86:87]
	v_rcp_f64_e32 v[94:95], v[90:91]
	v_cndmask_b32_e64 v4, v4, 0, vcc
	v_cndmask_b32_e32 v1, v1, v119, vcc
	v_cmp_ngt_f64_e32 vcc, 0, v[92:93]
	v_cndmask_b32_e32 v1, v112, v1, vcc
	v_cmp_nge_f64_e32 vcc, 0, v[92:93]
	v_cndmask_b32_e32 v14, 0, v4, vcc
	v_cmp_neq_f64_e32 vcc, 0, v[92:93]
	v_fma_f64 v[92:93], -v[90:91], v[94:95], 1.0
	v_fmac_f64_e32 v[94:95], v[94:95], v[92:93]
	v_fma_f64 v[92:93], -v[90:91], v[94:95], 1.0
	v_cndmask_b32_e32 v15, v113, v1, vcc
	v_fmac_f64_e32 v[94:95], v[94:95], v[92:93]
	v_div_scale_f64 v[92:93], vcc, v[86:87], v[88:89], v[86:87]
	v_mul_f64 v[96:97], v[92:93], v[94:95]
	v_fma_f64 v[90:91], -v[90:91], v[96:97], v[92:93]
	v_pk_mov_b32 v[92:93], v[32:33], v[32:33] op_sel:[0,1]
	s_nop 0
	v_div_fmas_f64 v[90:91], v[90:91], v[94:95], v[96:97]
	v_div_fixup_f64 v[86:87], v[90:91], v[88:89], v[86:87]
	v_mul_f64 v[88:89], v[86:87], v[86:87]
	v_pk_mov_b32 v[90:91], v[30:31], v[30:31] op_sel:[0,1]
	v_fmac_f64_e32 v[90:91], s[38:39], v[88:89]
	v_fmac_f64_e32 v[92:93], v[88:89], v[90:91]
	v_pk_mov_b32 v[90:91], v[34:35], v[34:35] op_sel:[0,1]
	v_fmac_f64_e32 v[90:91], v[88:89], v[92:93]
	v_pk_mov_b32 v[92:93], v[36:37], v[36:37] op_sel:[0,1]
	;; [unrolled: 2-line block ×17, first 2 shown]
	v_fmac_f64_e32 v[90:91], v[88:89], v[92:93]
	v_mul_f64 v[88:89], v[88:89], v[90:91]
	v_fmac_f64_e32 v[86:87], v[86:87], v[88:89]
	v_ashrrev_i32_e32 v6, 31, v7
	v_cmp_gt_i32_e32 vcc, 0, v7
	v_and_b32_e32 v12, 0x400921fb, v6
	v_and_b32_e32 v16, 0x54442d18, v6
	v_add_f64 v[6:7], -v[86:87], s[40:41]
	v_cndmask_b32_e64 v7, v87, v7, s[8:9]
	v_cndmask_b32_e64 v6, v86, v6, s[8:9]
	s_mov_b32 s42, s40
	v_add_f64 v[86:87], -v[6:7], s[42:43]
	v_cndmask_b32_e32 v1, v114, v115, vcc
	v_cndmask_b32_e32 v4, v116, v117, vcc
	;; [unrolled: 1-line block ×4, first 2 shown]
	v_cmp_eq_f64_e32 vcc, 0, v[8:9]
	v_bfi_b32 v4, s76, v4, v9
	v_cndmask_b32_e32 v6, v6, v16, vcc
	v_cndmask_b32_e32 v7, v7, v12, vcc
	s_and_b64 vcc, s[62:63], s[60:61]
	v_cndmask_b32_e32 v87, v7, v4, vcc
	v_cndmask_b32_e32 v86, v6, v1, vcc
.LBB192_277:                            ;   in Loop: Header=BB192_145 Depth=1
	s_or_b64 exec, exec, s[58:59]
                                        ; implicit-def: $vgpr88_vgpr89
.LBB192_278:                            ;   in Loop: Header=BB192_145 Depth=1
	s_andn2_saveexec_b64 s[10:11], s[56:57]
	s_cbranch_execz .LBB192_284
; %bb.279:                              ;   in Loop: Header=BB192_145 Depth=1
	v_cmp_ngt_f64_e32 vcc, s[46:47], v[88:89]
                                        ; implicit-def: $vgpr14_vgpr15
                                        ; implicit-def: $vgpr86_vgpr87
	s_and_saveexec_b64 s[56:57], vcc
	s_xor_b64 s[56:57], exec, s[56:57]
	s_cbranch_execz .LBB192_281
; %bb.280:                              ;   in Loop: Header=BB192_145 Depth=1
	v_mul_f64 v[14:15], v[88:89], v[88:89]
	v_add_f64 v[86:87], v[14:15], 1.0
	v_add_f64 v[88:89], v[86:87], -1.0
	v_add_f64 v[90:91], v[88:89], -v[86:87]
	v_add_f64 v[90:91], v[90:91], 1.0
	v_add_f64 v[88:89], v[14:15], -v[88:89]
	v_add_f64 v[88:89], v[88:89], v[90:91]
	v_frexp_mant_f64_e32 v[90:91], v[86:87]
	v_frexp_exp_i32_f64_e32 v1, v[86:87]
	v_cmp_gt_f64_e32 vcc, s[26:27], v[90:91]
	v_subbrev_co_u32_e32 v1, vcc, 0, v1, vcc
	v_sub_u32_e32 v4, 0, v1
	v_ldexp_f64 v[86:87], v[86:87], v4
	v_add_f64 v[90:91], v[86:87], -1.0
	v_add_f64 v[96:97], v[86:87], 1.0
	v_add_f64 v[92:93], v[90:91], 1.0
	v_add_f64 v[98:99], v[96:97], -1.0
	v_ldexp_f64 v[88:89], v[88:89], v4
	v_add_f64 v[92:93], v[86:87], -v[92:93]
	v_add_f64 v[86:87], v[86:87], -v[98:99]
	v_add_f64 v[86:87], v[88:89], v[86:87]
	v_add_f64 v[92:93], v[88:89], v[92:93]
	;; [unrolled: 1-line block ×3, first 2 shown]
	v_rcp_f64_e32 v[98:99], v[88:89]
	v_add_f64 v[94:95], v[90:91], v[92:93]
	v_add_f64 v[90:91], v[90:91], -v[94:95]
	v_add_f64 v[90:91], v[92:93], v[90:91]
	v_add_f64 v[92:93], v[96:97], -v[88:89]
	v_add_f64 v[86:87], v[86:87], v[92:93]
	v_fma_f64 v[92:93], -v[88:89], v[98:99], 1.0
	v_fmac_f64_e32 v[98:99], v[92:93], v[98:99]
	v_fma_f64 v[92:93], -v[88:89], v[98:99], 1.0
	v_fmac_f64_e32 v[98:99], v[92:93], v[98:99]
	v_mul_f64 v[92:93], v[94:95], v[98:99]
	v_mul_f64 v[96:97], v[88:89], v[92:93]
	v_fma_f64 v[100:101], v[92:93], v[88:89], -v[96:97]
	v_fmac_f64_e32 v[100:101], v[92:93], v[86:87]
	v_add_f64 v[102:103], v[96:97], v[100:101]
	v_add_f64 v[104:105], v[94:95], -v[102:103]
	v_add_f64 v[94:95], v[94:95], -v[104:105]
	;; [unrolled: 1-line block ×4, first 2 shown]
	v_add_f64 v[90:91], v[90:91], v[94:95]
	v_add_f64 v[94:95], v[96:97], -v[100:101]
	v_add_f64 v[90:91], v[94:95], v[90:91]
	v_add_f64 v[94:95], v[104:105], v[90:91]
	v_add_f64 v[96:97], v[104:105], -v[94:95]
	v_add_f64 v[90:91], v[90:91], v[96:97]
	v_mul_f64 v[96:97], v[98:99], v[94:95]
	v_mul_f64 v[100:101], v[88:89], v[96:97]
	v_fma_f64 v[88:89], v[96:97], v[88:89], -v[100:101]
	v_fmac_f64_e32 v[88:89], v[96:97], v[86:87]
	v_add_f64 v[86:87], v[100:101], v[88:89]
	v_add_f64 v[102:103], v[94:95], -v[86:87]
	v_add_f64 v[94:95], v[94:95], -v[102:103]
	;; [unrolled: 1-line block ×4, first 2 shown]
	v_add_f64 v[86:87], v[90:91], v[86:87]
	v_add_f64 v[88:89], v[100:101], -v[88:89]
	v_add_f64 v[86:87], v[88:89], v[86:87]
	v_add_f64 v[88:89], v[92:93], v[96:97]
	;; [unrolled: 1-line block ×3, first 2 shown]
	v_add_f64 v[90:91], v[88:89], -v[92:93]
	v_mul_f64 v[86:87], v[98:99], v[86:87]
	v_add_f64 v[90:91], v[96:97], -v[90:91]
	v_add_f64 v[86:87], v[90:91], v[86:87]
	v_add_f64 v[90:91], v[88:89], v[86:87]
	v_add_f64 v[88:89], v[90:91], -v[88:89]
	v_add_f64 v[86:87], v[86:87], -v[88:89]
	v_mul_f64 v[88:89], v[90:91], v[90:91]
	v_pk_mov_b32 v[92:93], v[18:19], v[18:19] op_sel:[0,1]
	v_fmac_f64_e32 v[92:93], s[28:29], v[88:89]
	v_pk_mov_b32 v[94:95], v[20:21], v[20:21] op_sel:[0,1]
	v_fmac_f64_e32 v[94:95], v[88:89], v[92:93]
	;; [unrolled: 2-line block ×6, first 2 shown]
	v_cvt_f64_i32_e32 v[92:93], v1
	v_mul_f64 v[96:97], v[92:93], s[30:31]
	v_fma_f64 v[98:99], v[92:93], s[30:31], -v[96:97]
	v_fmac_f64_e32 v[98:99], s[34:35], v[92:93]
	v_add_f64 v[92:93], v[96:97], v[98:99]
	v_add_f64 v[96:97], v[92:93], -v[96:97]
	v_mul_f64 v[88:89], v[90:91], v[88:89]
	v_add_f64 v[96:97], v[98:99], -v[96:97]
	v_ldexp_f64 v[98:99], v[90:91], 1
	v_mul_f64 v[88:89], v[88:89], v[94:95]
	v_add_f64 v[90:91], v[98:99], v[88:89]
	v_add_f64 v[94:95], v[90:91], -v[98:99]
	v_ldexp_f64 v[86:87], v[86:87], 1
	v_add_f64 v[88:89], v[88:89], -v[94:95]
	v_add_f64 v[86:87], v[86:87], v[88:89]
	v_add_f64 v[88:89], v[90:91], v[86:87]
	v_add_f64 v[90:91], v[88:89], -v[90:91]
	v_add_f64 v[86:87], v[86:87], -v[90:91]
	v_add_f64 v[90:91], v[92:93], v[88:89]
	v_add_f64 v[94:95], v[90:91], -v[92:93]
	v_add_f64 v[98:99], v[90:91], -v[94:95]
	;; [unrolled: 1-line block ×4, first 2 shown]
	v_add_f64 v[88:89], v[88:89], v[92:93]
	v_add_f64 v[92:93], v[96:97], v[86:87]
	v_add_f64 v[94:95], v[92:93], -v[96:97]
	v_add_f64 v[88:89], v[92:93], v[88:89]
	v_add_f64 v[98:99], v[92:93], -v[94:95]
	;; [unrolled: 2-line block ×3, first 2 shown]
	v_add_f64 v[86:87], v[86:87], -v[94:95]
	v_add_f64 v[90:91], v[92:93], -v[90:91]
	v_add_f64 v[86:87], v[86:87], v[96:97]
	v_add_f64 v[88:89], v[88:89], -v[90:91]
	v_add_f64 v[86:87], v[86:87], v[88:89]
	v_max_f64 v[88:89], |v[8:9]|, |v[8:9]|
	v_max_f64 v[90:91], |v[6:7]|, |v[6:7]|
	v_add_f64 v[86:87], v[92:93], v[86:87]
	v_max_f64 v[92:93], v[90:91], v[88:89]
	v_min_f64 v[88:89], v[90:91], v[88:89]
	v_div_scale_f64 v[90:91], s[58:59], v[92:93], v[92:93], v[88:89]
	v_rcp_f64_e32 v[94:95], v[90:91]
	v_cmp_eq_f64_e32 vcc, s[36:37], v[14:15]
	v_cndmask_b32_e32 v15, v87, v15, vcc
	v_cndmask_b32_e32 v14, v86, v14, vcc
	v_fma_f64 v[86:87], -v[90:91], v[94:95], 1.0
	v_fmac_f64_e32 v[94:95], v[94:95], v[86:87]
	v_fma_f64 v[86:87], -v[90:91], v[94:95], 1.0
	v_fmac_f64_e32 v[94:95], v[94:95], v[86:87]
	v_div_scale_f64 v[86:87], vcc, v[88:89], v[92:93], v[88:89]
	v_mul_f64 v[96:97], v[86:87], v[94:95]
	v_fma_f64 v[86:87], -v[90:91], v[96:97], v[86:87]
	v_pk_mov_b32 v[90:91], v[30:31], v[30:31] op_sel:[0,1]
	s_nop 0
	v_div_fmas_f64 v[86:87], v[86:87], v[94:95], v[96:97]
	v_div_fixup_f64 v[86:87], v[86:87], v[92:93], v[88:89]
	v_mul_f64 v[88:89], v[86:87], v[86:87]
	v_fmac_f64_e32 v[90:91], s[38:39], v[88:89]
	v_pk_mov_b32 v[92:93], v[32:33], v[32:33] op_sel:[0,1]
	v_fmac_f64_e32 v[92:93], v[88:89], v[90:91]
	v_pk_mov_b32 v[90:91], v[34:35], v[34:35] op_sel:[0,1]
	;; [unrolled: 2-line block ×18, first 2 shown]
	v_fmac_f64_e32 v[90:91], v[88:89], v[92:93]
	v_mul_f64 v[88:89], v[88:89], v[90:91]
	v_fmac_f64_e32 v[86:87], v[86:87], v[88:89]
	v_cmp_class_f64_e64 s[60:61], v[6:7], s77
	v_ashrrev_i32_e32 v6, 31, v7
	v_cmp_gt_i32_e32 vcc, 0, v7
	v_and_b32_e32 v12, 0x400921fb, v6
	v_and_b32_e32 v16, 0x54442d18, v6
	v_add_f64 v[6:7], -v[86:87], s[40:41]
	v_cndmask_b32_e64 v7, v87, v7, s[8:9]
	v_cndmask_b32_e64 v6, v86, v6, s[8:9]
	s_mov_b32 s42, s40
	v_add_f64 v[86:87], -v[6:7], s[42:43]
	v_cmp_class_f64_e64 s[58:59], v[8:9], s77
	v_cndmask_b32_e32 v1, v114, v115, vcc
	v_cndmask_b32_e32 v4, v116, v117, vcc
	;; [unrolled: 1-line block ×4, first 2 shown]
	v_cmp_eq_f64_e32 vcc, 0, v[8:9]
	v_bfi_b32 v4, s76, v4, v9
	v_cndmask_b32_e32 v6, v6, v16, vcc
	v_cndmask_b32_e32 v7, v7, v12, vcc
	s_and_b64 vcc, s[58:59], s[60:61]
	v_mul_f64 v[14:15], v[14:15], 0.5
	v_cndmask_b32_e32 v87, v7, v4, vcc
	v_cndmask_b32_e32 v86, v6, v1, vcc
                                        ; implicit-def: $vgpr88_vgpr89
.LBB192_281:                            ;   in Loop: Header=BB192_145 Depth=1
	s_andn2_saveexec_b64 s[56:57], s[56:57]
	s_cbranch_execz .LBB192_283
; %bb.282:                              ;   in Loop: Header=BB192_145 Depth=1
	v_max_f64 v[14:15], |v[8:9]|, |v[8:9]|
	v_max_f64 v[86:87], |v[6:7]|, |v[6:7]|
	v_max_f64 v[90:91], v[86:87], v[14:15]
	v_min_f64 v[86:87], v[86:87], v[14:15]
	v_div_scale_f64 v[92:93], s[58:59], v[90:91], v[90:91], v[86:87]
	v_rcp_f64_e32 v[94:95], v[92:93]
	v_mul_f64 v[14:15], v[88:89], 0.5
	v_mul_f64 v[14:15], v[88:89], v[14:15]
	v_cmp_class_f64_e64 s[60:61], v[6:7], s77
	v_fma_f64 v[88:89], -v[92:93], v[94:95], 1.0
	v_fmac_f64_e32 v[94:95], v[94:95], v[88:89]
	v_fma_f64 v[88:89], -v[92:93], v[94:95], 1.0
	v_fmac_f64_e32 v[94:95], v[94:95], v[88:89]
	v_div_scale_f64 v[88:89], vcc, v[86:87], v[90:91], v[86:87]
	v_mul_f64 v[96:97], v[88:89], v[94:95]
	v_fma_f64 v[88:89], -v[92:93], v[96:97], v[88:89]
	v_pk_mov_b32 v[92:93], v[32:33], v[32:33] op_sel:[0,1]
	s_nop 0
	v_div_fmas_f64 v[88:89], v[88:89], v[94:95], v[96:97]
	v_div_fixup_f64 v[86:87], v[88:89], v[90:91], v[86:87]
	v_mul_f64 v[88:89], v[86:87], v[86:87]
	v_pk_mov_b32 v[90:91], v[30:31], v[30:31] op_sel:[0,1]
	v_fmac_f64_e32 v[90:91], s[38:39], v[88:89]
	v_fmac_f64_e32 v[92:93], v[88:89], v[90:91]
	v_pk_mov_b32 v[90:91], v[34:35], v[34:35] op_sel:[0,1]
	v_fmac_f64_e32 v[90:91], v[88:89], v[92:93]
	v_pk_mov_b32 v[92:93], v[36:37], v[36:37] op_sel:[0,1]
	;; [unrolled: 2-line block ×17, first 2 shown]
	v_fmac_f64_e32 v[90:91], v[88:89], v[92:93]
	v_mul_f64 v[88:89], v[88:89], v[90:91]
	v_fmac_f64_e32 v[86:87], v[86:87], v[88:89]
	v_ashrrev_i32_e32 v6, 31, v7
	v_cmp_gt_i32_e32 vcc, 0, v7
	v_and_b32_e32 v12, 0x400921fb, v6
	v_and_b32_e32 v16, 0x54442d18, v6
	v_add_f64 v[6:7], -v[86:87], s[40:41]
	v_cndmask_b32_e64 v7, v87, v7, s[8:9]
	v_cndmask_b32_e64 v6, v86, v6, s[8:9]
	s_mov_b32 s42, s40
	v_add_f64 v[86:87], -v[6:7], s[42:43]
	v_cmp_class_f64_e64 s[58:59], v[8:9], s77
	v_cndmask_b32_e32 v1, v114, v115, vcc
	v_cndmask_b32_e32 v4, v116, v117, vcc
	;; [unrolled: 1-line block ×4, first 2 shown]
	v_cmp_eq_f64_e32 vcc, 0, v[8:9]
	v_bfi_b32 v4, s76, v4, v9
	v_cndmask_b32_e32 v6, v6, v16, vcc
	v_cndmask_b32_e32 v7, v7, v12, vcc
	s_and_b64 vcc, s[58:59], s[60:61]
	v_cndmask_b32_e32 v87, v7, v4, vcc
	v_cndmask_b32_e32 v86, v6, v1, vcc
.LBB192_283:                            ;   in Loop: Header=BB192_145 Depth=1
	s_or_b64 exec, exec, s[56:57]
.LBB192_284:                            ;   in Loop: Header=BB192_145 Depth=1
	s_or_b64 exec, exec, s[10:11]
.LBB192_285:                            ;   in Loop: Header=BB192_145 Depth=1
	s_andn2_saveexec_b64 s[56:57], s[12:13]
	s_cbranch_execz .LBB192_287
; %bb.286:                              ;   in Loop: Header=BB192_145 Depth=1
	v_div_scale_f64 v[14:15], s[10:11], s[48:49], s[48:49], v[6:7]
	v_rcp_f64_e32 v[86:87], v[14:15]
	v_div_scale_f64 v[88:89], vcc, v[6:7], s[48:49], v[6:7]
	s_mov_b32 s42, s40
	v_fma_f64 v[90:91], -v[14:15], v[86:87], 1.0
	v_fmac_f64_e32 v[86:87], v[86:87], v[90:91]
	v_fma_f64 v[90:91], -v[14:15], v[86:87], 1.0
	v_fmac_f64_e32 v[86:87], v[86:87], v[90:91]
	v_mul_f64 v[90:91], v[88:89], v[86:87]
	v_fma_f64 v[14:15], -v[14:15], v[90:91], v[88:89]
	v_div_scale_f64 v[88:89], s[10:11], s[48:49], s[48:49], v[8:9]
	v_rcp_f64_e32 v[92:93], v[88:89]
	v_div_fmas_f64 v[14:15], v[14:15], v[86:87], v[90:91]
	v_div_fixup_f64 v[14:15], v[14:15], s[48:49], v[6:7]
	v_cmp_class_f64_e64 s[12:13], v[14:15], s77
	v_fma_f64 v[86:87], -v[88:89], v[92:93], 1.0
	v_fmac_f64_e32 v[92:93], v[92:93], v[86:87]
	v_fma_f64 v[86:87], -v[88:89], v[92:93], 1.0
	v_fmac_f64_e32 v[92:93], v[92:93], v[86:87]
	v_div_scale_f64 v[86:87], vcc, v[8:9], s[48:49], v[8:9]
	v_mul_f64 v[90:91], v[86:87], v[92:93]
	v_fma_f64 v[86:87], -v[88:89], v[90:91], v[86:87]
	s_nop 1
	v_div_fmas_f64 v[86:87], v[86:87], v[92:93], v[90:91]
	v_div_fixup_f64 v[86:87], v[86:87], s[48:49], v[8:9]
	v_max_f64 v[88:89], |v[14:15]|, |v[86:87]|
	v_frexp_exp_i32_f64_e32 v1, v[88:89]
	v_sub_u32_e32 v4, 0, v1
	v_ldexp_f64 v[90:91], |v[86:87]|, v4
	v_ldexp_f64 v[88:89], |v[14:15]|, v4
	v_mul_f64 v[90:91], v[90:91], v[90:91]
	v_fmac_f64_e32 v[90:91], v[88:89], v[88:89]
	v_rsq_f64_e32 v[88:89], v[90:91]
	v_cmp_eq_f64_e32 vcc, 0, v[90:91]
	v_cmp_o_f64_e64 s[10:11], v[14:15], v[86:87]
	v_cmp_class_f64_e64 s[58:59], v[86:87], s77
	v_mul_f64 v[92:93], v[90:91], v[88:89]
	v_mul_f64 v[88:89], v[88:89], 0.5
	v_fma_f64 v[94:95], -v[88:89], v[92:93], 0.5
	v_fmac_f64_e32 v[92:93], v[92:93], v[94:95]
	v_fmac_f64_e32 v[88:89], v[88:89], v[94:95]
	v_fma_f64 v[94:95], -v[92:93], v[92:93], v[90:91]
	v_fmac_f64_e32 v[92:93], v[94:95], v[88:89]
	v_cndmask_b32_e32 v89, v93, v91, vcc
	v_cndmask_b32_e32 v88, v92, v90, vcc
	v_ldexp_f64 v[88:89], v[88:89], v1
	v_cndmask_b32_e64 v1, 0, v88, s[10:11]
	v_cndmask_b32_e64 v4, v112, v89, s[10:11]
	s_or_b64 vcc, s[58:59], s[12:13]
	v_cndmask_b32_e32 v87, v4, v119, vcc
	v_cndmask_b32_e64 v86, v1, 0, vcc
	v_frexp_mant_f64_e32 v[14:15], v[86:87]
	v_cmp_gt_f64_e64 s[12:13], s[26:27], v[14:15]
	v_cndmask_b32_e64 v69, v118, 2.0, s[12:13]
	v_mul_f64 v[14:15], v[14:15], v[68:69]
	v_add_f64 v[90:91], v[14:15], 1.0
	v_rcp_f64_e32 v[92:93], v[90:91]
	v_add_f64 v[96:97], v[90:91], -1.0
	v_add_f64 v[94:95], v[14:15], -1.0
	v_add_f64 v[14:15], v[14:15], -v[96:97]
	v_fma_f64 v[96:97], -v[90:91], v[92:93], 1.0
	v_fmac_f64_e32 v[92:93], v[96:97], v[92:93]
	v_fma_f64 v[96:97], -v[90:91], v[92:93], 1.0
	v_fmac_f64_e32 v[92:93], v[96:97], v[92:93]
	v_mul_f64 v[96:97], v[94:95], v[92:93]
	v_mul_f64 v[98:99], v[90:91], v[96:97]
	v_fma_f64 v[90:91], v[96:97], v[90:91], -v[98:99]
	v_fmac_f64_e32 v[90:91], v[96:97], v[14:15]
	v_add_f64 v[14:15], v[98:99], v[90:91]
	v_add_f64 v[100:101], v[94:95], -v[14:15]
	v_add_f64 v[98:99], v[14:15], -v[98:99]
	;; [unrolled: 1-line block ×5, first 2 shown]
	v_add_f64 v[14:15], v[90:91], v[14:15]
	v_add_f64 v[14:15], v[100:101], v[14:15]
	v_mul_f64 v[14:15], v[92:93], v[14:15]
	v_add_f64 v[90:91], v[96:97], v[14:15]
	v_add_f64 v[92:93], v[90:91], -v[96:97]
	v_add_f64 v[14:15], v[14:15], -v[92:93]
	v_mul_f64 v[92:93], v[90:91], v[90:91]
	v_pk_mov_b32 v[94:95], v[18:19], v[18:19] op_sel:[0,1]
	v_fmac_f64_e32 v[94:95], s[28:29], v[92:93]
	v_pk_mov_b32 v[96:97], v[20:21], v[20:21] op_sel:[0,1]
	v_fmac_f64_e32 v[96:97], v[92:93], v[94:95]
	;; [unrolled: 2-line block ×6, first 2 shown]
	v_ldexp_f64 v[94:95], v[90:91], 1
	v_mul_f64 v[90:91], v[90:91], v[92:93]
	v_mul_f64 v[90:91], v[90:91], v[96:97]
	v_add_f64 v[92:93], v[94:95], v[90:91]
	v_add_f64 v[94:95], v[92:93], -v[94:95]
	v_ldexp_f64 v[14:15], v[14:15], 1
	v_add_f64 v[90:91], v[90:91], -v[94:95]
	v_add_f64 v[14:15], v[14:15], v[90:91]
	v_frexp_exp_i32_f64_e32 v12, v[86:87]
	v_add_f64 v[90:91], v[92:93], v[14:15]
	v_subbrev_co_u32_e64 v12, s[12:13], 0, v12, s[12:13]
	v_add_f64 v[92:93], v[90:91], -v[92:93]
	v_add_f64 v[14:15], v[14:15], -v[92:93]
	v_cvt_f64_i32_e32 v[92:93], v12
	v_mul_f64 v[94:95], v[92:93], s[30:31]
	v_fma_f64 v[96:97], v[92:93], s[30:31], -v[94:95]
	v_fmac_f64_e32 v[96:97], s[34:35], v[92:93]
	v_add_f64 v[92:93], v[94:95], v[96:97]
	v_add_f64 v[94:95], v[92:93], -v[94:95]
	v_add_f64 v[94:95], v[96:97], -v[94:95]
	v_add_f64 v[96:97], v[92:93], v[90:91]
	v_add_f64 v[98:99], v[96:97], -v[92:93]
	v_add_f64 v[100:101], v[96:97], -v[98:99]
	;; [unrolled: 1-line block ×4, first 2 shown]
	v_add_f64 v[90:91], v[90:91], v[92:93]
	v_add_f64 v[92:93], v[94:95], v[14:15]
	v_add_f64 v[98:99], v[92:93], -v[94:95]
	v_add_f64 v[100:101], v[92:93], -v[98:99]
	v_add_f64 v[90:91], v[92:93], v[90:91]
	v_add_f64 v[94:95], v[94:95], -v[100:101]
	v_add_f64 v[14:15], v[14:15], -v[98:99]
	v_add_f64 v[92:93], v[96:97], v[90:91]
	v_add_f64 v[14:15], v[14:15], v[94:95]
	v_add_f64 v[94:95], v[92:93], -v[96:97]
	v_add_f64 v[90:91], v[90:91], -v[94:95]
	v_and_b32_e32 v89, 0x7fffffff, v89
	v_add_f64 v[14:15], v[14:15], v[90:91]
	v_cmp_eq_f64_e64 s[12:13], s[36:37], v[88:89]
	v_add_f64 v[14:15], v[92:93], v[14:15]
	s_and_b64 s[10:11], s[10:11], s[12:13]
	v_cndmask_b32_e64 v15, v15, v4, s[10:11]
	v_cndmask_b32_e64 v14, v14, v1, s[10:11]
	v_add_f64 v[14:15], v[14:15], 1.0
	v_cndmask_b32_e64 v1, v14, 0, vcc
	v_cndmask_b32_e32 v4, v15, v119, vcc
	v_max_f64 v[14:15], |v[8:9]|, |v[8:9]|
	v_max_f64 v[88:89], |v[6:7]|, |v[6:7]|
	v_max_f64 v[90:91], v[88:89], v[14:15]
	v_min_f64 v[88:89], v[88:89], v[14:15]
	v_div_scale_f64 v[92:93], s[10:11], v[90:91], v[90:91], v[88:89]
	v_rcp_f64_e32 v[94:95], v[92:93]
	v_cmp_ngt_f64_e32 vcc, 0, v[86:87]
	v_cndmask_b32_e32 v4, v112, v4, vcc
	v_cmp_nge_f64_e32 vcc, 0, v[86:87]
	v_cndmask_b32_e32 v14, 0, v1, vcc
	v_cmp_neq_f64_e32 vcc, 0, v[86:87]
	v_fma_f64 v[86:87], -v[92:93], v[94:95], 1.0
	v_fmac_f64_e32 v[94:95], v[94:95], v[86:87]
	v_fma_f64 v[86:87], -v[92:93], v[94:95], 1.0
	v_cndmask_b32_e32 v15, v113, v4, vcc
	v_fmac_f64_e32 v[94:95], v[94:95], v[86:87]
	v_div_scale_f64 v[86:87], vcc, v[88:89], v[90:91], v[88:89]
	v_mul_f64 v[96:97], v[86:87], v[94:95]
	v_fma_f64 v[86:87], -v[92:93], v[96:97], v[86:87]
	v_pk_mov_b32 v[92:93], v[32:33], v[32:33] op_sel:[0,1]
	s_nop 0
	v_div_fmas_f64 v[86:87], v[86:87], v[94:95], v[96:97]
	v_div_fixup_f64 v[86:87], v[86:87], v[90:91], v[88:89]
	v_mul_f64 v[88:89], v[86:87], v[86:87]
	v_pk_mov_b32 v[90:91], v[30:31], v[30:31] op_sel:[0,1]
	v_fmac_f64_e32 v[90:91], s[38:39], v[88:89]
	v_fmac_f64_e32 v[92:93], v[88:89], v[90:91]
	v_pk_mov_b32 v[90:91], v[34:35], v[34:35] op_sel:[0,1]
	v_fmac_f64_e32 v[90:91], v[88:89], v[92:93]
	v_pk_mov_b32 v[92:93], v[36:37], v[36:37] op_sel:[0,1]
	;; [unrolled: 2-line block ×17, first 2 shown]
	v_fmac_f64_e32 v[90:91], v[88:89], v[92:93]
	v_mul_f64 v[88:89], v[88:89], v[90:91]
	v_fmac_f64_e32 v[86:87], v[86:87], v[88:89]
	v_cmp_class_f64_e64 s[12:13], v[6:7], s77
	v_ashrrev_i32_e32 v6, 31, v7
	v_cmp_gt_i32_e32 vcc, 0, v7
	v_and_b32_e32 v12, 0x400921fb, v6
	v_and_b32_e32 v16, 0x54442d18, v6
	v_add_f64 v[6:7], -v[86:87], s[40:41]
	v_cndmask_b32_e64 v7, v87, v7, s[8:9]
	v_cndmask_b32_e64 v6, v86, v6, s[8:9]
	v_add_f64 v[86:87], -v[6:7], s[42:43]
	v_cmp_class_f64_e64 s[10:11], v[8:9], s77
	v_cndmask_b32_e32 v1, v114, v115, vcc
	v_cndmask_b32_e32 v4, v116, v117, vcc
	;; [unrolled: 1-line block ×4, first 2 shown]
	v_cmp_eq_f64_e32 vcc, 0, v[8:9]
	v_bfi_b32 v4, s76, v4, v9
	v_cndmask_b32_e32 v6, v6, v16, vcc
	v_cndmask_b32_e32 v7, v7, v12, vcc
	s_and_b64 vcc, s[10:11], s[12:13]
	v_cndmask_b32_e32 v87, v7, v4, vcc
	v_cndmask_b32_e32 v86, v6, v1, vcc
.LBB192_287:                            ;   in Loop: Header=BB192_145 Depth=1
	s_or_b64 exec, exec, s[56:57]
	s_andn2_saveexec_b64 s[8:9], s[54:55]
	s_cbranch_execz .LBB192_257
.LBB192_288:                            ;   in Loop: Header=BB192_145 Depth=1
	v_cmp_nlt_f64_e64 s[10:11], |v[6:7]|, s[50:51]
	v_cmp_nlt_f64_e64 s[12:13], |v[8:9]|, s[50:51]
	s_or_b64 s[10:11], s[12:13], s[10:11]
                                        ; implicit-def: $vgpr86_vgpr87
	s_and_saveexec_b64 s[12:13], s[10:11]
	s_xor_b64 s[10:11], exec, s[12:13]
; %bb.289:                              ;   in Loop: Header=BB192_145 Depth=1
	v_mul_f64 v[86:87], v[6:7], v[6:7]
	v_fmac_f64_e32 v[86:87], v[8:9], v[8:9]
; %bb.290:                              ;   in Loop: Header=BB192_145 Depth=1
	s_andn2_saveexec_b64 s[10:11], s[10:11]
; %bb.291:                              ;   in Loop: Header=BB192_145 Depth=1
	v_mul_f64 v[6:7], v[6:7], 4.0
	v_mul_f64 v[14:15], v[8:9], 4.0
	v_mul_f64 v[6:7], v[6:7], v[6:7]
	v_fmac_f64_e32 v[6:7], v[14:15], v[14:15]
	v_ldexp_f64 v[86:87], v[6:7], -4
; %bb.292:                              ;   in Loop: Header=BB192_145 Depth=1
	s_or_b64 exec, exec, s[10:11]
	v_frexp_mant_f64_e32 v[6:7], v[86:87]
	v_cmp_gt_f64_e32 vcc, s[26:27], v[6:7]
	v_cndmask_b32_e64 v69, v118, 2.0, vcc
	v_mul_f64 v[6:7], v[6:7], v[68:69]
	v_add_f64 v[14:15], v[6:7], 1.0
	v_rcp_f64_e32 v[88:89], v[14:15]
	v_add_f64 v[92:93], v[14:15], -1.0
	v_add_f64 v[90:91], v[6:7], -1.0
	v_add_f64 v[6:7], v[6:7], -v[92:93]
	v_fma_f64 v[92:93], -v[14:15], v[88:89], 1.0
	v_fmac_f64_e32 v[88:89], v[92:93], v[88:89]
	v_fma_f64 v[92:93], -v[14:15], v[88:89], 1.0
	v_fmac_f64_e32 v[88:89], v[92:93], v[88:89]
	v_mul_f64 v[92:93], v[90:91], v[88:89]
	v_mul_f64 v[94:95], v[14:15], v[92:93]
	v_fma_f64 v[14:15], v[92:93], v[14:15], -v[94:95]
	v_fmac_f64_e32 v[14:15], v[92:93], v[6:7]
	v_add_f64 v[6:7], v[94:95], v[14:15]
	v_add_f64 v[96:97], v[90:91], -v[6:7]
	v_add_f64 v[94:95], v[6:7], -v[94:95]
	;; [unrolled: 1-line block ×5, first 2 shown]
	v_add_f64 v[6:7], v[14:15], v[6:7]
	v_add_f64 v[6:7], v[96:97], v[6:7]
	v_mul_f64 v[6:7], v[88:89], v[6:7]
	v_add_f64 v[14:15], v[92:93], v[6:7]
	v_add_f64 v[88:89], v[14:15], -v[92:93]
	v_add_f64 v[6:7], v[6:7], -v[88:89]
	v_mul_f64 v[88:89], v[14:15], v[14:15]
	v_pk_mov_b32 v[90:91], v[18:19], v[18:19] op_sel:[0,1]
	v_fmac_f64_e32 v[90:91], s[28:29], v[88:89]
	v_pk_mov_b32 v[92:93], v[20:21], v[20:21] op_sel:[0,1]
	v_fmac_f64_e32 v[92:93], v[88:89], v[90:91]
	;; [unrolled: 2-line block ×6, first 2 shown]
	v_ldexp_f64 v[90:91], v[14:15], 1
	v_mul_f64 v[14:15], v[14:15], v[88:89]
	v_mul_f64 v[14:15], v[14:15], v[92:93]
	v_add_f64 v[88:89], v[90:91], v[14:15]
	v_add_f64 v[90:91], v[88:89], -v[90:91]
	v_ldexp_f64 v[6:7], v[6:7], 1
	v_add_f64 v[14:15], v[14:15], -v[90:91]
	v_add_f64 v[6:7], v[6:7], v[14:15]
	v_frexp_exp_i32_f64_e32 v1, v[86:87]
	v_add_f64 v[14:15], v[88:89], v[6:7]
	v_subbrev_co_u32_e32 v1, vcc, 0, v1, vcc
	v_add_f64 v[88:89], v[14:15], -v[88:89]
	v_add_f64 v[6:7], v[6:7], -v[88:89]
	v_cvt_f64_i32_e32 v[88:89], v1
	v_mul_f64 v[90:91], v[88:89], s[30:31]
	v_fma_f64 v[92:93], v[88:89], s[30:31], -v[90:91]
	v_fmac_f64_e32 v[92:93], s[34:35], v[88:89]
	v_add_f64 v[88:89], v[90:91], v[92:93]
	v_add_f64 v[90:91], v[88:89], -v[90:91]
	v_add_f64 v[90:91], v[92:93], -v[90:91]
	v_add_f64 v[92:93], v[88:89], v[14:15]
	v_add_f64 v[94:95], v[92:93], -v[88:89]
	v_add_f64 v[96:97], v[92:93], -v[94:95]
	;; [unrolled: 1-line block ×4, first 2 shown]
	v_add_f64 v[14:15], v[14:15], v[88:89]
	v_add_f64 v[88:89], v[90:91], v[6:7]
	v_add_f64 v[94:95], v[88:89], -v[90:91]
	v_add_f64 v[96:97], v[88:89], -v[94:95]
	v_add_f64 v[14:15], v[88:89], v[14:15]
	v_add_f64 v[90:91], v[90:91], -v[96:97]
	v_add_f64 v[6:7], v[6:7], -v[94:95]
	v_add_f64 v[88:89], v[92:93], v[14:15]
	v_add_f64 v[6:7], v[6:7], v[90:91]
	v_add_f64 v[90:91], v[88:89], -v[92:93]
	v_add_f64 v[14:15], v[14:15], -v[90:91]
	v_add_f64 v[6:7], v[6:7], v[14:15]
	v_add_f64 v[6:7], v[88:89], v[6:7]
	v_cmp_class_f64_e64 vcc, v[86:87], s77
	v_cndmask_b32_e32 v1, v6, v86, vcc
	v_cndmask_b32_e32 v4, v7, v87, vcc
	v_cmp_ngt_f64_e32 vcc, 0, v[86:87]
	v_cndmask_b32_e32 v4, v112, v4, vcc
	v_cmp_nge_f64_e32 vcc, 0, v[86:87]
	v_cndmask_b32_e32 v14, 0, v1, vcc
	v_cmp_neq_f64_e32 vcc, 0, v[86:87]
	v_mov_b32_e32 v86, 0
	v_cndmask_b32_e32 v15, v113, v4, vcc
	v_mov_b32_e32 v87, 0x7ff80000
	s_or_b64 exec, exec, s[8:9]
	s_and_saveexec_b64 s[8:9], s[0:1]
	s_xor_b64 s[0:1], exec, s[8:9]
	s_cbranch_execz .LBB192_258
.LBB192_293:                            ;   in Loop: Header=BB192_145 Depth=1
	v_bfi_b32 v81, s76, v81, v13
	v_fma_f64 v[6:7], 0, v[80:81], v[78:79]
	v_mul_f64 v[88:89], v[6:7], s[52:53]
	v_lshlrev_b64 v[6:7], 4, v[70:71]
	v_fmac_f64_e32 v[80:81], 0x80000000, v[78:79]
	v_mov_b32_e32 v1, s70
	v_add_co_u32_e32 v6, vcc, s69, v6
	v_mul_f64 v[90:91], v[80:81], s[52:53]
	v_addc_co_u32_e32 v7, vcc, v1, v7, vcc
	global_store_dwordx4 v[6:7], v[88:91], off
	s_or_b64 exec, exec, s[0:1]
	s_and_saveexec_b64 s[0:1], s[2:3]
	s_cbranch_execz .LBB192_259
.LBB192_294:                            ;   in Loop: Header=BB192_145 Depth=1
	v_bfi_b32 v83, s76, v83, v5
	v_fma_f64 v[4:5], 0, v[82:83], v[10:11]
	v_fmac_f64_e32 v[82:83], 0x80000000, v[10:11]
	v_lshlrev_b64 v[10:11], 4, v[72:73]
	v_mov_b32_e32 v1, s70
	v_add_co_u32_e32 v10, vcc, s69, v10
	v_mul_f64 v[4:5], v[4:5], s[52:53]
	v_mul_f64 v[6:7], v[82:83], s[52:53]
	v_addc_co_u32_e32 v11, vcc, v1, v11, vcc
	global_store_dwordx4 v[10:11], v[4:7], off
	s_or_b64 exec, exec, s[0:1]
	s_and_saveexec_b64 s[0:1], s[4:5]
	s_cbranch_execz .LBB192_260
.LBB192_295:                            ;   in Loop: Header=BB192_145 Depth=1
	v_bfi_b32 v85, s76, v85, v17
	v_fma_f64 v[4:5], 0, v[84:85], v[2:3]
	v_fmac_f64_e32 v[84:85], 0x80000000, v[2:3]
	v_lshlrev_b64 v[2:3], 4, v[74:75]
	v_mov_b32_e32 v1, s70
	v_add_co_u32_e32 v2, vcc, s69, v2
	v_mul_f64 v[4:5], v[4:5], s[52:53]
	v_mul_f64 v[6:7], v[84:85], s[52:53]
	v_addc_co_u32_e32 v3, vcc, v1, v3, vcc
	global_store_dwordx4 v[2:3], v[4:7], off
	s_or_b64 exec, exec, s[0:1]
	s_and_saveexec_b64 s[0:1], s[6:7]
	s_cbranch_execz .LBB192_144
.LBB192_296:                            ;   in Loop: Header=BB192_145 Depth=1
	v_bfi_b32 v87, s76, v87, v9
	v_lshlrev_b64 v[6:7], 4, v[76:77]
	v_fma_f64 v[2:3], 0, v[86:87], v[14:15]
	v_fmac_f64_e32 v[86:87], 0x80000000, v[14:15]
	v_mov_b32_e32 v1, s70
	v_add_co_u32_e32 v6, vcc, s69, v6
	v_mul_f64 v[2:3], v[2:3], s[52:53]
	v_mul_f64 v[4:5], v[86:87], s[52:53]
	v_addc_co_u32_e32 v7, vcc, v1, v7, vcc
	global_store_dwordx4 v[6:7], v[2:5], off
	s_branch .LBB192_144
.LBB192_297:
	s_endpgm
	.section	.rodata,"a",@progbits
	.p2align	6, 0x0
	.amdhsa_kernel _ZN2at6native12_GLOBAL__N_125multi_tensor_apply_kernelINS1_18TensorListMetadataILi2EEENS1_14UnaryOpFunctorIN3c107complexIdEELi2ELi1ELi1EEEJNS0_4Log2IS8_EEEEEvT_T0_DpT1_
		.amdhsa_group_segment_fixed_size 0
		.amdhsa_private_segment_fixed_size 0
		.amdhsa_kernarg_size 3408
		.amdhsa_user_sgpr_count 6
		.amdhsa_user_sgpr_private_segment_buffer 1
		.amdhsa_user_sgpr_dispatch_ptr 0
		.amdhsa_user_sgpr_queue_ptr 0
		.amdhsa_user_sgpr_kernarg_segment_ptr 1
		.amdhsa_user_sgpr_dispatch_id 0
		.amdhsa_user_sgpr_flat_scratch_init 0
		.amdhsa_user_sgpr_kernarg_preload_length 0
		.amdhsa_user_sgpr_kernarg_preload_offset 0
		.amdhsa_user_sgpr_private_segment_size 0
		.amdhsa_uses_dynamic_stack 0
		.amdhsa_system_sgpr_private_segment_wavefront_offset 0
		.amdhsa_system_sgpr_workgroup_id_x 1
		.amdhsa_system_sgpr_workgroup_id_y 0
		.amdhsa_system_sgpr_workgroup_id_z 0
		.amdhsa_system_sgpr_workgroup_info 0
		.amdhsa_system_vgpr_workitem_id 0
		.amdhsa_next_free_vgpr 122
		.amdhsa_next_free_sgpr 80
		.amdhsa_accum_offset 124
		.amdhsa_reserve_vcc 1
		.amdhsa_reserve_flat_scratch 0
		.amdhsa_float_round_mode_32 0
		.amdhsa_float_round_mode_16_64 0
		.amdhsa_float_denorm_mode_32 3
		.amdhsa_float_denorm_mode_16_64 3
		.amdhsa_dx10_clamp 1
		.amdhsa_ieee_mode 1
		.amdhsa_fp16_overflow 0
		.amdhsa_tg_split 0
		.amdhsa_exception_fp_ieee_invalid_op 0
		.amdhsa_exception_fp_denorm_src 0
		.amdhsa_exception_fp_ieee_div_zero 0
		.amdhsa_exception_fp_ieee_overflow 0
		.amdhsa_exception_fp_ieee_underflow 0
		.amdhsa_exception_fp_ieee_inexact 0
		.amdhsa_exception_int_div_zero 0
	.end_amdhsa_kernel
	.section	.text._ZN2at6native12_GLOBAL__N_125multi_tensor_apply_kernelINS1_18TensorListMetadataILi2EEENS1_14UnaryOpFunctorIN3c107complexIdEELi2ELi1ELi1EEEJNS0_4Log2IS8_EEEEEvT_T0_DpT1_,"axG",@progbits,_ZN2at6native12_GLOBAL__N_125multi_tensor_apply_kernelINS1_18TensorListMetadataILi2EEENS1_14UnaryOpFunctorIN3c107complexIdEELi2ELi1ELi1EEEJNS0_4Log2IS8_EEEEEvT_T0_DpT1_,comdat
.Lfunc_end192:
	.size	_ZN2at6native12_GLOBAL__N_125multi_tensor_apply_kernelINS1_18TensorListMetadataILi2EEENS1_14UnaryOpFunctorIN3c107complexIdEELi2ELi1ELi1EEEJNS0_4Log2IS8_EEEEEvT_T0_DpT1_, .Lfunc_end192-_ZN2at6native12_GLOBAL__N_125multi_tensor_apply_kernelINS1_18TensorListMetadataILi2EEENS1_14UnaryOpFunctorIN3c107complexIdEELi2ELi1ELi1EEEJNS0_4Log2IS8_EEEEEvT_T0_DpT1_
                                        ; -- End function
	.section	.AMDGPU.csdata,"",@progbits
; Kernel info:
; codeLenInByte = 84104
; NumSgprs: 84
; NumVgprs: 122
; NumAgprs: 0
; TotalNumVgprs: 122
; ScratchSize: 0
; MemoryBound: 1
; FloatMode: 240
; IeeeMode: 1
; LDSByteSize: 0 bytes/workgroup (compile time only)
; SGPRBlocks: 10
; VGPRBlocks: 15
; NumSGPRsForWavesPerEU: 84
; NumVGPRsForWavesPerEU: 122
; AccumOffset: 124
; Occupancy: 4
; WaveLimiterHint : 0
; COMPUTE_PGM_RSRC2:SCRATCH_EN: 0
; COMPUTE_PGM_RSRC2:USER_SGPR: 6
; COMPUTE_PGM_RSRC2:TRAP_HANDLER: 0
; COMPUTE_PGM_RSRC2:TGID_X_EN: 1
; COMPUTE_PGM_RSRC2:TGID_Y_EN: 0
; COMPUTE_PGM_RSRC2:TGID_Z_EN: 0
; COMPUTE_PGM_RSRC2:TIDIG_COMP_CNT: 0
; COMPUTE_PGM_RSRC3_GFX90A:ACCUM_OFFSET: 30
; COMPUTE_PGM_RSRC3_GFX90A:TG_SPLIT: 0
	.section	.text._ZN2at6native12_GLOBAL__N_125multi_tensor_apply_kernelINS1_18TensorListMetadataILi2EEENS1_14UnaryOpFunctorIN3c107complexIfEELi2ELi1ELi1EEEJNS0_4Log2IS8_EEEEEvT_T0_DpT1_,"axG",@progbits,_ZN2at6native12_GLOBAL__N_125multi_tensor_apply_kernelINS1_18TensorListMetadataILi2EEENS1_14UnaryOpFunctorIN3c107complexIfEELi2ELi1ELi1EEEJNS0_4Log2IS8_EEEEEvT_T0_DpT1_,comdat
	.globl	_ZN2at6native12_GLOBAL__N_125multi_tensor_apply_kernelINS1_18TensorListMetadataILi2EEENS1_14UnaryOpFunctorIN3c107complexIfEELi2ELi1ELi1EEEJNS0_4Log2IS8_EEEEEvT_T0_DpT1_ ; -- Begin function _ZN2at6native12_GLOBAL__N_125multi_tensor_apply_kernelINS1_18TensorListMetadataILi2EEENS1_14UnaryOpFunctorIN3c107complexIfEELi2ELi1ELi1EEEJNS0_4Log2IS8_EEEEEvT_T0_DpT1_
	.p2align	8
	.type	_ZN2at6native12_GLOBAL__N_125multi_tensor_apply_kernelINS1_18TensorListMetadataILi2EEENS1_14UnaryOpFunctorIN3c107complexIfEELi2ELi1ELi1EEEJNS0_4Log2IS8_EEEEEvT_T0_DpT1_,@function
_ZN2at6native12_GLOBAL__N_125multi_tensor_apply_kernelINS1_18TensorListMetadataILi2EEENS1_14UnaryOpFunctorIN3c107complexIfEELi2ELi1ELi1EEEJNS0_4Log2IS8_EEEEEvT_T0_DpT1_: ; @_ZN2at6native12_GLOBAL__N_125multi_tensor_apply_kernelINS1_18TensorListMetadataILi2EEENS1_14UnaryOpFunctorIN3c107complexIfEELi2ELi1ELi1EEEJNS0_4Log2IS8_EEEEEvT_T0_DpT1_
; %bb.0:
	v_mov_b32_e32 v1, s6
	global_load_ubyte v1, v1, s[4:5] offset:1536
	s_add_u32 s0, s4, s6
	s_mul_hi_u32 s3, s6, 3
	s_mul_i32 s6, s6, 3
	s_addc_u32 s8, s5, 0
	s_add_u32 s2, s0, s6
	s_addc_u32 s3, s8, s3
	s_load_dword s2, s[2:3], 0x740
	s_mov_b32 s7, 0
	s_mov_b32 s1, s7
	s_waitcnt lgkmcnt(0)
	s_ashr_i32 s3, s2, 31
	s_lshl_b64 s[14:15], s[2:3], 19
	s_waitcnt vmcnt(0)
	v_readfirstlane_b32 s0, v1
	s_lshl_b32 s0, s0, 3
	s_load_dwordx2 s[8:9], s[4:5], s0 offset:0x0
	s_load_dwordx2 s[10:11], s[4:5], s0 offset:0x400
	;; [unrolled: 1-line block ×3, first 2 shown]
	s_waitcnt lgkmcnt(0)
	s_add_u32 s33, s8, s14
	s_addc_u32 s38, s9, s15
	s_add_u32 s39, s12, s14
	s_addc_u32 s40, s13, s15
	s_and_b32 s0, s33, 31
	s_and_b32 s8, s10, 3
	s_mov_b32 s9, s7
	s_and_b32 s6, s39, 31
	s_or_b64 s[0:1], s[0:1], s[8:9]
	s_lshl_b64 s[2:3], s[2:3], 16
	s_or_b64 s[0:1], s[6:7], s[0:1]
	s_sub_u32 s12, s10, s2
	s_subb_u32 s13, s11, s3
	s_cmp_eq_u64 s[0:1], 0
	s_mov_b64 s[0:1], -1
	s_cbranch_scc0 .LBB193_141
; %bb.1:
	v_mov_b32_e32 v3, 0
	v_lshlrev_b32_e32 v2, 2, v0
	v_cmp_gt_i64_e32 vcc, s[12:13], v[2:3]
	s_and_saveexec_b64 s[8:9], vcc
	s_cbranch_execz .LBB193_140
; %bb.2:
	s_load_dword s0, s[4:5], 0xc5c
	v_mov_b32_e32 v1, v3
	s_mov_b32 s14, -1.0
	s_mov_b64 s[10:11], 0
	v_mov_b32_e32 v28, s38
	s_brev_b32 s34, -2
	s_waitcnt lgkmcnt(0)
	s_and_b32 s35, s0, 0xffff
	s_mov_b32 s36, 0x77f684df
	s_mov_b32 s15, 1.0
	s_mov_b32 s37, 0x358637bd
	s_mov_b32 s41, 0x49742400
	;; [unrolled: 1-line block ×3, first 2 shown]
	v_mov_b32_e32 v29, 0x3f2aaada
	s_mov_b32 s43, 0x3f317218
	s_mov_b32 s44, 0x7f800000
	;; [unrolled: 1-line block ×3, first 2 shown]
	v_mov_b32_e32 v30, 0x3d29fb3f
	v_mov_b32_e32 v31, 0xbd97d4d7
	;; [unrolled: 1-line block ×6, first 2 shown]
	s_movk_i32 s46, 0x204
	s_mov_b32 s47, 0x3f333333
	s_mov_b32 s48, 0x800000
	;; [unrolled: 1-line block ×5, first 2 shown]
	s_brev_b32 s52, 4
	s_mov_b32 s6, 0x3fb8aa3b
	s_mov_b64 s[16:17], 0xffff
	v_mov_b32_e32 v10, 0x3f317218
	v_mov_b32_e32 v36, 0x7fc00000
	;; [unrolled: 1-line block ×9, first 2 shown]
	v_pk_mov_b32 v[12:13], v[0:1], v[0:1] op_sel:[0,1]
	s_branch .LBB193_5
.LBB193_3:                              ;   in Loop: Header=BB193_5 Depth=1
	s_or_b64 exec, exec, s[2:3]
	v_cmp_gt_f32_e32 vcc, s48, v2
	v_cndmask_b32_e32 v4, 1.0, v41, vcc
	v_mul_f32_e32 v2, v2, v4
	v_log_f32_e32 v2, v2
	v_cndmask_b32_e32 v4, 0, v42, vcc
	v_mul_f32_e32 v11, 0x3f317217, v2
	v_fma_f32 v16, v2, s49, -v11
	v_fmac_f32_e32 v16, 0x3377d1cf, v2
	v_add_f32_e32 v11, v11, v16
	v_cmp_lt_f32_e64 vcc, |v2|, s44
	v_cndmask_b32_e32 v2, v2, v11, vcc
	v_sub_f32_e32 v23, v2, v4
	v_mov_b32_e32 v2, 0x7fc00000
.LBB193_4:                              ;   in Loop: Header=BB193_5 Depth=1
	s_or_b64 exec, exec, s[0:1]
	v_bfi_b32 v20, s34, v8, v3
	v_bfi_b32 v18, s34, v6, v9
	;; [unrolled: 1-line block ×3, first 2 shown]
	v_mov_b32_e32 v24, v21
	v_mov_b32_e32 v25, v20
	;; [unrolled: 1-line block ×6, first 2 shown]
	v_pk_fma_f32 v[26:27], v[20:21], 0, v[24:25] op_sel_hi:[1,0,1]
	v_pk_fma_f32 v[20:21], v[20:21], 0, v[24:25] op_sel_hi:[1,0,1] neg_lo:[1,0,0] neg_hi:[1,0,0]
	v_pk_fma_f32 v[24:25], v[18:19], 0, v[8:9] op_sel_hi:[1,0,1]
	v_pk_fma_f32 v[8:9], v[18:19], 0, v[8:9] op_sel_hi:[1,0,1] neg_lo:[1,0,0] neg_hi:[1,0,0]
	v_pk_fma_f32 v[18:19], v[16:17], 0, v[6:7] op_sel_hi:[1,0,1]
	v_pk_fma_f32 v[6:7], v[16:17], 0, v[6:7] op_sel_hi:[1,0,1] neg_lo:[1,0,0] neg_hi:[1,0,0]
	v_bfi_b32 v22, s34, v2, v5
	v_mov_b32_e32 v1, s40
	v_add_co_u32_e32 v2, vcc, s39, v14
	v_mov_b32_e32 v25, v9
	v_mov_b32_e32 v19, v7
	v_addc_co_u32_e32 v3, vcc, v1, v15, vcc
	v_pk_mul_f32 v[8:9], v[24:25], s[6:7] op_sel_hi:[1,0]
	v_pk_mul_f32 v[6:7], v[18:19], s[6:7] op_sel_hi:[1,0]
	v_mov_b32_e32 v4, v23
	v_mov_b32_e32 v5, v22
	;; [unrolled: 1-line block ×3, first 2 shown]
	v_add_co_u32_e32 v12, vcc, s35, v12
	global_store_dwordx4 v[2:3], v[6:9], off
	v_addc_co_u32_e32 v13, vcc, v13, v1, vcc
	v_pk_fma_f32 v[6:7], v[22:23], 0, v[4:5] op_sel_hi:[1,0,1]
	v_pk_fma_f32 v[4:5], v[22:23], 0, v[4:5] op_sel_hi:[1,0,1] neg_lo:[1,0,0] neg_hi:[1,0,0]
	v_mov_b32_e32 v7, v5
	v_lshlrev_b64 v[4:5], 2, v[12:13]
	v_cmp_le_i64_e32 vcc, s[12:13], v[4:5]
	v_cmp_lt_u64_e64 s[0:1], s[16:17], v[4:5]
	s_or_b64 s[0:1], vcc, s[0:1]
	v_mov_b32_e32 v27, v21
	s_and_b64 s[0:1], exec, s[0:1]
	v_pk_mul_f32 v[20:21], v[26:27], s[6:7] op_sel_hi:[1,0]
	v_pk_mul_f32 v[22:23], v[6:7], s[6:7] op_sel_hi:[1,0]
	s_or_b64 s[10:11], s[0:1], s[10:11]
	global_store_dwordx4 v[2:3], v[20:23], off offset:16
	s_andn2_b64 exec, exec, s[10:11]
	s_cbranch_execz .LBB193_140
.LBB193_5:                              ; =>This Loop Header: Depth=1
                                        ;     Child Loop BB193_16 Depth 2
                                        ;     Child Loop BB193_50 Depth 2
	;; [unrolled: 1-line block ×4, first 2 shown]
	v_lshlrev_b64 v[14:15], 5, v[12:13]
	v_add_co_u32_e32 v16, vcc, s33, v14
	v_addc_co_u32_e32 v17, vcc, v28, v15, vcc
	global_load_dwordx4 v[6:9], v[16:17], off
	global_load_dwordx4 v[2:5], v[16:17], off offset:16
                                        ; implicit-def: $vgpr17
                                        ; implicit-def: $vgpr1
	s_waitcnt vmcnt(1)
	v_cmp_o_f32_e32 vcc, v7, v6
	s_and_saveexec_b64 s[0:1], vcc
	s_xor_b64 s[18:19], exec, s[0:1]
	s_cbranch_execz .LBB193_33
; %bb.6:                                ;   in Loop: Header=BB193_5 Depth=1
	v_cmp_lt_f32_e64 s[0:1], |v6|, |v7|
	v_cndmask_b32_e64 v11, v7, v6, s[0:1]
	v_cmp_ngt_f32_e64 s[2:3], |v11|, s36
                                        ; implicit-def: $vgpr17
                                        ; implicit-def: $vgpr1
	s_and_saveexec_b64 s[20:21], s[2:3]
	s_xor_b64 s[20:21], exec, s[20:21]
	s_cbranch_execz .LBB193_30
; %bb.7:                                ;   in Loop: Header=BB193_5 Depth=1
	v_cndmask_b32_e64 v1, v6, v7, s[0:1]
	v_and_b32_e32 v19, 0x7fffffff, v1
	v_and_b32_e32 v18, 0x7fffffff, v11
	v_cmp_neq_f32_e32 vcc, 1.0, v19
                                        ; implicit-def: $vgpr17
                                        ; implicit-def: $vgpr1
	s_and_saveexec_b64 s[2:3], vcc
	s_xor_b64 s[22:23], exec, s[2:3]
	s_cbranch_execz .LBB193_23
; %bb.8:                                ;   in Loop: Header=BB193_5 Depth=1
	v_max_f32_e32 v1, v18, v18
	v_max_f32_e32 v11, v19, v19
	v_min_f32_e32 v16, v11, v1
	v_max_f32_e32 v1, v11, v1
	v_cmp_ngt_f32_e32 vcc, s37, v16
	v_cmp_nlt_f32_e64 s[2:3], s41, v1
	s_and_b64 s[2:3], s[2:3], vcc
                                        ; implicit-def: $vgpr17
                                        ; implicit-def: $vgpr1
	s_and_saveexec_b64 s[24:25], s[2:3]
	s_xor_b64 s[24:25], exec, s[24:25]
	s_cbranch_execz .LBB193_20
; %bb.9:                                ;   in Loop: Header=BB193_5 Depth=1
	v_cmp_le_f32_e32 vcc, 1.0, v19
                                        ; implicit-def: $vgpr17
                                        ; implicit-def: $vgpr1
	s_and_saveexec_b64 s[2:3], vcc
	s_xor_b64 s[26:27], exec, s[2:3]
	s_cbranch_execz .LBB193_11
; %bb.10:                               ;   in Loop: Header=BB193_5 Depth=1
	v_pk_add_f32 v[16:17], v[18:19], s[14:15] op_sel:[1,0]
	v_mov_b32_e32 v20, v17
	v_pk_mul_f32 v[16:17], v[16:17], v[20:21]
	v_pk_fma_f32 v[16:17], v[18:19], v[18:19], v[16:17]
	v_add_f32_e32 v19, 1.0, v16
	v_add_f32_e32 v17, -1.0, v19
	v_mov_b32_e32 v18, v17
	v_pk_add_f32 v[20:21], v[16:17], v[18:19] neg_lo:[0,1] neg_hi:[0,1]
	v_add_f32_e32 v1, 1.0, v21
	v_add_f32_e32 v1, v20, v1
	v_frexp_mant_f32_e32 v11, v19
	v_cvt_f64_f32_e32 v[20:21], v19
	v_frexp_exp_i32_f64_e32 v17, v[20:21]
	v_cmp_gt_f32_e32 vcc, s42, v11
	v_subbrev_co_u32_e32 v17, vcc, 0, v17, vcc
	v_sub_u32_e32 v11, 0, v17
	v_ldexp_f32 v18, v19, v11
	v_ldexp_f32 v1, v1, v11
	v_add_f32_e32 v11, -1.0, v18
	v_add_f32_e32 v19, 1.0, v11
	v_sub_f32_e32 v19, v18, v19
	v_add_f32_e32 v20, v1, v19
	v_add_f32_e32 v19, 1.0, v18
	v_add_f32_e32 v21, -1.0, v19
	v_sub_f32_e32 v18, v18, v21
	v_add_f32_e32 v1, v1, v18
	v_add_f32_e32 v26, v19, v1
	v_rcp_f32_e32 v27, v26
	v_sub_f32_e32 v18, v26, v19
	v_add_f32_e32 v19, v11, v20
	v_sub_f32_e32 v11, v19, v11
	v_mul_f32_e32 v44, v19, v27
	v_sub_f32_e32 v11, v20, v11
	v_mul_f32_e32 v20, v26, v44
	v_sub_f32_e32 v1, v1, v18
	v_fma_f32 v22, v44, v26, -v20
	v_fmac_f32_e32 v22, v44, v1
	v_add_f32_e32 v18, v20, v22
	v_sub_f32_e32 v21, v19, v18
	v_pk_add_f32 v[24:25], v[18:19], v[20:21] neg_lo:[0,1] neg_hi:[0,1]
	v_mov_b32_e32 v23, v18
	v_pk_add_f32 v[18:19], v[24:25], v[22:23] neg_lo:[0,1] neg_hi:[0,1]
	v_add_f32_e32 v11, v11, v19
	v_add_f32_e32 v11, v18, v11
	v_add_f32_e32 v19, v21, v11
	v_mul_f32_e32 v45, v27, v19
	v_mul_f32_e32 v20, v26, v45
	v_fma_f32 v22, v45, v26, -v20
	v_fmac_f32_e32 v22, v45, v1
	v_add_f32_e32 v18, v20, v22
	v_sub_f32_e32 v1, v21, v19
	v_sub_f32_e32 v21, v19, v18
	v_pk_add_f32 v[24:25], v[18:19], v[20:21] neg_lo:[0,1] neg_hi:[0,1]
	v_mov_b32_e32 v23, v18
	v_add_f32_e32 v1, v11, v1
	v_pk_add_f32 v[18:19], v[24:25], v[22:23] neg_lo:[0,1] neg_hi:[0,1]
	v_add_f32_e32 v1, v1, v19
	v_add_f32_e32 v1, v18, v1
	;; [unrolled: 1-line block ×4, first 2 shown]
	v_sub_f32_e32 v11, v19, v44
	v_mul_f32_e32 v1, v27, v1
	v_sub_f32_e32 v11, v45, v11
	v_add_f32_e32 v1, v11, v1
	v_add_f32_e32 v20, v19, v1
	v_cvt_f32_i32_e32 v18, v17
	v_mul_f32_e32 v22, v20, v20
	v_mov_b32_e32 v11, 0x3ecc95a3
	v_fmac_f32_e32 v11, 0x3e9b6dac, v22
	v_fma_f32 v11, v22, v11, v29
	v_sub_f32_e32 v17, v20, v19
	v_mul_f32_e32 v19, v20, v22
	v_pk_mul_f32 v[22:23], v[18:19], v[10:11]
	v_ldexp_f32 v21, v20, 1
	v_fma_f32 v20, v18, s43, -v22
	v_fmac_f32_e32 v20, 0xb102e308, v18
	v_pk_add_f32 v[18:19], v[22:23], v[20:21]
	v_sub_f32_e32 v1, v1, v17
	v_sub_f32_e32 v11, v19, v21
	v_ldexp_f32 v1, v1, 1
	v_sub_f32_e32 v11, v23, v11
	v_add_f32_e32 v25, v1, v11
	v_mov_b32_e32 v24, v22
	v_pk_add_f32 v[22:23], v[18:19], v[22:23] neg_lo:[0,1] neg_hi:[0,1]
	v_pk_add_f32 v[26:27], v[18:19], v[24:25]
	v_mov_b32_e32 v23, v27
	v_mov_b32_e32 v21, v18
	v_pk_add_f32 v[44:45], v[20:21], v[22:23] neg_lo:[0,1] neg_hi:[0,1]
	v_pk_add_f32 v[20:21], v[20:21], v[22:23]
	v_mov_b32_e32 v22, v21
	v_pk_add_f32 v[46:47], v[22:23], v[18:19] neg_lo:[0,1] neg_hi:[0,1]
	v_mov_b32_e32 v1, v46
	v_pk_add_f32 v[48:49], v[26:27], v[0:1] neg_lo:[0,1] neg_hi:[0,1]
	v_mov_b32_e32 v20, v27
	v_mov_b32_e32 v26, v19
	;; [unrolled: 1-line block ×4, first 2 shown]
	v_pk_add_f32 v[20:21], v[20:21], v[26:27] neg_lo:[0,1] neg_hi:[0,1]
	v_mov_b32_e32 v24, v25
	v_mov_b32_e32 v25, v18
	v_pk_add_f32 v[18:19], v[24:25], v[20:21] neg_lo:[0,1] neg_hi:[0,1]
	v_mov_b32_e32 v48, v44
	v_pk_add_f32 v[20:21], v[48:49], v[18:19]
	v_mov_b32_e32 v24, v21
	v_pk_add_f32 v[24:25], v[20:21], v[24:25]
	v_pk_add_f32 v[22:23], v[22:23], v[24:25]
	v_mov_b32_e32 v21, v22
	v_pk_add_f32 v[26:27], v[20:21], v[44:45] neg_lo:[0,1] neg_hi:[0,1]
	v_mov_b32_e32 v19, v24
	v_sub_f32_e32 v1, v20, v26
	v_pk_add_f32 v[18:19], v[18:19], v[26:27] neg_lo:[0,1] neg_hi:[0,1]
	v_sub_f32_e32 v1, v44, v1
	v_add_f32_e32 v1, v18, v1
	v_add_f32_e32 v1, v1, v19
	;; [unrolled: 1-line block ×3, first 2 shown]
	v_cmp_eq_f32_e32 vcc, s44, v16
	v_cndmask_b32_e32 v1, v1, v16, vcc
	v_cmp_ngt_f32_e32 vcc, -1.0, v16
	v_cndmask_b32_e32 v1, v36, v1, vcc
	v_cmp_neq_f32_e32 vcc, -1.0, v16
	v_cndmask_b32_e32 v1, v37, v1, vcc
	v_cmp_lt_f32_e64 vcc, |v16|, s45
	v_cndmask_b32_e32 v1, v1, v16, vcc
	v_mul_f32_e32 v17, 0.5, v1
	v_max_f32_e64 v1, |v7|, |v7|
	v_max_f32_e64 v11, |v6|, |v6|
	v_min_f32_e32 v16, v11, v1
	v_max_f32_e32 v1, v11, v1
	v_frexp_mant_f32_e32 v11, v1
	v_rcp_f32_e32 v11, v11
	v_frexp_exp_i32_f32_e32 v1, v1
	v_frexp_exp_i32_f32_e32 v18, v16
	v_frexp_mant_f32_e32 v16, v16
	v_mul_f32_e32 v11, v16, v11
	v_sub_u32_e32 v1, v18, v1
	v_ldexp_f32 v1, v11, v1
	v_mul_f32_e32 v11, v1, v1
	v_mov_b32_e32 v16, 0xbc7a590c
	v_fmac_f32_e32 v16, 0x3b2d2a58, v11
	v_fma_f32 v16, v11, v16, v30
	v_fma_f32 v16, v11, v16, v31
	;; [unrolled: 1-line block ×6, first 2 shown]
	v_mul_f32_e32 v11, v11, v16
	v_fmac_f32_e32 v1, v1, v11
	v_sub_f32_e32 v11, 0x3fc90fdb, v1
	v_cndmask_b32_e64 v1, v1, v11, s[0:1]
	v_sub_f32_e32 v11, 0x40490fdb, v1
	v_cmp_gt_f32_e32 vcc, 0, v6
	v_cmp_gt_i32_e64 s[2:3], 0, v6
	v_cndmask_b32_e32 v1, v1, v11, vcc
	v_cndmask_b32_e64 v11, 0, v38, s[2:3]
	v_cmp_eq_f32_e64 s[2:3], 0, v7
	v_cndmask_b32_e64 v1, v1, v11, s[2:3]
	v_cmp_class_f32_e64 s[2:3], v6, s46
	v_cmp_class_f32_e64 s[28:29], v7, s46
	v_cndmask_b32_e32 v11, v39, v40, vcc
	s_and_b64 vcc, s[2:3], s[28:29]
	v_cndmask_b32_e32 v1, v1, v11, vcc
                                        ; implicit-def: $vgpr18_vgpr19
.LBB193_11:                             ;   in Loop: Header=BB193_5 Depth=1
	s_andn2_saveexec_b64 s[26:27], s[26:27]
	s_cbranch_execz .LBB193_19
; %bb.12:                               ;   in Loop: Header=BB193_5 Depth=1
	v_pk_mul_f32 v[16:17], v[18:19], v[18:19]
	v_add_f32_e32 v11, v17, v16
	v_cmp_ge_f32_e32 vcc, s47, v11
                                        ; implicit-def: $vgpr17
                                        ; implicit-def: $vgpr1
	s_and_saveexec_b64 s[2:3], vcc
	s_xor_b64 s[28:29], exec, s[2:3]
	s_cbranch_execz .LBB193_14
; %bb.13:                               ;   in Loop: Header=BB193_5 Depth=1
	v_cmp_gt_f32_e32 vcc, s48, v11
	v_cndmask_b32_e32 v1, 1.0, v41, vcc
	v_mul_f32_e32 v1, v11, v1
	v_log_f32_e32 v1, v1
	v_cndmask_b32_e32 v11, 0, v42, vcc
	v_cmp_gt_i32_e64 s[2:3], 0, v6
	v_cmp_class_f32_e64 s[30:31], v7, s46
	v_mul_f32_e32 v16, 0x3f317217, v1
	v_fma_f32 v17, v1, s49, -v16
	v_fmac_f32_e32 v17, 0x3377d1cf, v1
	v_add_f32_e32 v16, v16, v17
	v_cmp_lt_f32_e64 vcc, |v1|, s44
	v_cndmask_b32_e32 v1, v1, v16, vcc
	v_sub_f32_e32 v1, v1, v11
	v_mul_f32_e32 v17, 0.5, v1
	v_max_f32_e64 v1, |v7|, |v7|
	v_max_f32_e64 v11, |v6|, |v6|
	v_min_f32_e32 v16, v11, v1
	v_max_f32_e32 v1, v11, v1
	v_frexp_mant_f32_e32 v11, v1
	v_rcp_f32_e32 v11, v11
	v_frexp_exp_i32_f32_e32 v1, v1
	v_frexp_exp_i32_f32_e32 v18, v16
	v_frexp_mant_f32_e32 v16, v16
	v_mul_f32_e32 v11, v16, v11
	v_sub_u32_e32 v1, v18, v1
	v_ldexp_f32 v1, v11, v1
	v_mul_f32_e32 v11, v1, v1
	v_mov_b32_e32 v16, 0xbc7a590c
	v_fmac_f32_e32 v16, 0x3b2d2a58, v11
	v_fma_f32 v16, v11, v16, v30
	v_fma_f32 v16, v11, v16, v31
	;; [unrolled: 1-line block ×6, first 2 shown]
	v_mul_f32_e32 v11, v11, v16
	v_fmac_f32_e32 v1, v1, v11
	v_sub_f32_e32 v11, 0x3fc90fdb, v1
	v_cndmask_b32_e64 v1, v1, v11, s[0:1]
	v_sub_f32_e32 v11, 0x40490fdb, v1
	v_cmp_gt_f32_e32 vcc, 0, v6
	v_cndmask_b32_e32 v1, v1, v11, vcc
	v_cndmask_b32_e64 v11, 0, v38, s[2:3]
	v_cmp_eq_f32_e64 s[2:3], 0, v7
	v_cndmask_b32_e64 v1, v1, v11, s[2:3]
	v_cmp_class_f32_e64 s[2:3], v6, s46
	v_cndmask_b32_e32 v11, v39, v40, vcc
	s_and_b64 vcc, s[2:3], s[30:31]
	v_cndmask_b32_e32 v1, v1, v11, vcc
                                        ; implicit-def: $vgpr18_vgpr19
.LBB193_14:                             ;   in Loop: Header=BB193_5 Depth=1
	s_andn2_saveexec_b64 s[28:29], s[28:29]
	s_cbranch_execz .LBB193_18
; %bb.15:                               ;   in Loop: Header=BB193_5 Depth=1
	v_and_b32_e32 v21, 0x7fff0000, v18
	v_and_b32_e32 v20, 0x7fff0000, v19
	v_pk_add_f32 v[16:17], v[18:19], v[20:21] op_sel:[1,0] op_sel_hi:[0,1] neg_lo:[0,1] neg_hi:[0,1]
	v_and_b32_e32 v25, 0xffff0000, v17
	v_and_b32_e32 v24, 0xffff0000, v16
	v_pk_add_f32 v[26:27], v[16:17], v[24:25] neg_lo:[0,1] neg_hi:[0,1]
	v_pk_mul_f32 v[16:17], v[20:21], v[20:21]
	v_add_f32_e32 v20, v20, v20
	v_mul_f32_e32 v11, v20, v24
	v_mul_f32_e32 v23, v20, v26
	v_add_f32_e32 v20, v24, v24
	v_add_f32_e32 v21, v21, v21
	v_pk_mul_f32 v[18:19], v[24:25], v[24:25]
	v_mul_f32_e32 v24, v20, v26
	v_add_f32_e32 v20, v25, v25
	v_mul_f32_e32 v1, v21, v25
	v_mul_f32_e32 v22, v21, v27
	;; [unrolled: 1-line block ×3, first 2 shown]
	v_pk_mul_f32 v[20:21], v[26:27], v[26:27]
	s_mov_b64 s[30:31], 0
.LBB193_16:                             ;   Parent Loop BB193_5 Depth=1
                                        ; =>  This Inner Loop Header: Depth=2
	v_cmp_nlt_f32_e32 vcc, v16, v17
	v_cndmask_b32_e32 v26, v16, v17, vcc
	v_cmp_nlt_f32_e64 s[2:3], v26, v11
	v_cndmask_b32_e64 v27, v26, v11, s[2:3]
	v_cndmask_b32_e32 v16, v17, v16, vcc
	s_and_b64 s[54:55], vcc, s[2:3]
	v_cmp_nlt_f32_e32 vcc, v27, v1
	v_cndmask_b32_e64 v17, v11, v26, s[2:3]
	v_cndmask_b32_e32 v26, v27, v1, vcc
	v_cmp_nlt_f32_e64 s[2:3], v26, v18
	v_cndmask_b32_e32 v11, v1, v27, vcc
	v_cndmask_b32_e64 v27, v26, v18, s[2:3]
	s_and_b64 s[56:57], vcc, s[2:3]
	v_cmp_nlt_f32_e32 vcc, v27, v19
	v_cndmask_b32_e64 v1, v18, v26, s[2:3]
	v_cndmask_b32_e32 v26, v27, v19, vcc
	v_cmp_nlt_f32_e64 s[2:3], v26, v23
	v_cndmask_b32_e32 v18, v19, v27, vcc
	v_cndmask_b32_e64 v27, v26, v23, s[2:3]
	v_cndmask_b32_e64 v19, v23, v26, s[2:3]
	s_and_b64 s[2:3], vcc, s[2:3]
	v_cmp_nlt_f32_e32 vcc, v27, v22
	v_cndmask_b32_e32 v26, v27, v22, vcc
	v_cndmask_b32_e32 v23, v22, v27, vcc
	s_and_b64 s[2:3], s[2:3], vcc
	v_cmp_nlt_f32_e32 vcc, v26, v24
	v_cndmask_b32_e32 v27, v26, v24, vcc
	v_cndmask_b32_e32 v22, v24, v26, vcc
	s_and_b64 s[2:3], s[2:3], vcc
	;; [unrolled: 4-line block ×4, first 2 shown]
	v_cmp_nlt_f32_e32 vcc, v27, v21
	s_and_b64 s[2:3], s[2:3], vcc
	s_and_b64 s[2:3], s[2:3], s[56:57]
	s_and_b64 s[2:3], s[2:3], s[54:55]
	s_and_b64 s[2:3], exec, s[2:3]
	v_cndmask_b32_e32 v20, v21, v27, vcc
	s_or_b64 s[30:31], s[2:3], s[30:31]
	v_cndmask_b32_e32 v21, v27, v21, vcc
	s_andn2_b64 exec, exec, s[30:31]
	s_cbranch_execnz .LBB193_16
; %bb.17:                               ;   in Loop: Header=BB193_5 Depth=1
	s_or_b64 exec, exec, s[30:31]
	v_add_f32_e32 v16, -1.0, v16
	v_add_f32_e32 v16, v16, v17
	v_add_f32_e32 v11, v16, v11
	;; [unrolled: 1-line block ×11, first 2 shown]
	v_add_f32_e32 v19, 1.0, v16
	v_add_f32_e32 v17, -1.0, v19
	v_mov_b32_e32 v18, v17
	v_pk_add_f32 v[20:21], v[16:17], v[18:19] neg_lo:[0,1] neg_hi:[0,1]
	v_add_f32_e32 v1, 1.0, v21
	v_add_f32_e32 v1, v20, v1
	v_frexp_mant_f32_e32 v11, v19
	v_cvt_f64_f32_e32 v[20:21], v19
	v_frexp_exp_i32_f64_e32 v17, v[20:21]
	v_cmp_gt_f32_e32 vcc, s42, v11
	v_subbrev_co_u32_e32 v17, vcc, 0, v17, vcc
	v_sub_u32_e32 v11, 0, v17
	v_ldexp_f32 v18, v19, v11
	v_ldexp_f32 v1, v1, v11
	v_add_f32_e32 v11, -1.0, v18
	v_add_f32_e32 v19, 1.0, v11
	v_sub_f32_e32 v19, v18, v19
	v_add_f32_e32 v20, v1, v19
	v_add_f32_e32 v19, 1.0, v18
	v_add_f32_e32 v21, -1.0, v19
	v_sub_f32_e32 v18, v18, v21
	v_add_f32_e32 v1, v1, v18
	v_add_f32_e32 v26, v19, v1
	v_rcp_f32_e32 v27, v26
	v_sub_f32_e32 v18, v26, v19
	v_add_f32_e32 v19, v11, v20
	v_sub_f32_e32 v11, v19, v11
	v_mul_f32_e32 v44, v19, v27
	v_sub_f32_e32 v11, v20, v11
	v_mul_f32_e32 v20, v26, v44
	v_sub_f32_e32 v1, v1, v18
	v_fma_f32 v22, v44, v26, -v20
	v_fmac_f32_e32 v22, v44, v1
	v_add_f32_e32 v18, v20, v22
	v_sub_f32_e32 v21, v19, v18
	v_pk_add_f32 v[24:25], v[18:19], v[20:21] neg_lo:[0,1] neg_hi:[0,1]
	v_mov_b32_e32 v23, v18
	v_pk_add_f32 v[18:19], v[24:25], v[22:23] neg_lo:[0,1] neg_hi:[0,1]
	v_add_f32_e32 v11, v11, v19
	v_add_f32_e32 v11, v18, v11
	;; [unrolled: 1-line block ×3, first 2 shown]
	v_mul_f32_e32 v45, v27, v19
	v_mul_f32_e32 v20, v26, v45
	v_fma_f32 v22, v45, v26, -v20
	v_fmac_f32_e32 v22, v45, v1
	v_add_f32_e32 v18, v20, v22
	v_sub_f32_e32 v1, v21, v19
	v_sub_f32_e32 v21, v19, v18
	v_pk_add_f32 v[24:25], v[18:19], v[20:21] neg_lo:[0,1] neg_hi:[0,1]
	v_mov_b32_e32 v23, v18
	v_add_f32_e32 v1, v11, v1
	v_pk_add_f32 v[18:19], v[24:25], v[22:23] neg_lo:[0,1] neg_hi:[0,1]
	v_add_f32_e32 v1, v1, v19
	v_add_f32_e32 v1, v18, v1
	;; [unrolled: 1-line block ×4, first 2 shown]
	v_sub_f32_e32 v11, v19, v44
	v_mul_f32_e32 v1, v27, v1
	v_sub_f32_e32 v11, v45, v11
	v_add_f32_e32 v1, v11, v1
	v_add_f32_e32 v20, v19, v1
	v_cvt_f32_i32_e32 v18, v17
	v_mul_f32_e32 v22, v20, v20
	v_mov_b32_e32 v11, 0x3ecc95a3
	v_fmac_f32_e32 v11, 0x3e9b6dac, v22
	v_fma_f32 v11, v22, v11, v29
	v_sub_f32_e32 v17, v20, v19
	v_mul_f32_e32 v19, v20, v22
	v_pk_mul_f32 v[22:23], v[18:19], v[10:11]
	v_ldexp_f32 v21, v20, 1
	v_fma_f32 v20, v18, s43, -v22
	v_fmac_f32_e32 v20, 0xb102e308, v18
	v_pk_add_f32 v[18:19], v[22:23], v[20:21]
	v_sub_f32_e32 v1, v1, v17
	v_sub_f32_e32 v11, v19, v21
	v_ldexp_f32 v1, v1, 1
	v_sub_f32_e32 v11, v23, v11
	v_add_f32_e32 v25, v1, v11
	v_mov_b32_e32 v24, v22
	v_pk_add_f32 v[22:23], v[18:19], v[22:23] neg_lo:[0,1] neg_hi:[0,1]
	v_pk_add_f32 v[26:27], v[18:19], v[24:25]
	v_mov_b32_e32 v23, v27
	v_mov_b32_e32 v21, v18
	v_pk_add_f32 v[44:45], v[20:21], v[22:23] neg_lo:[0,1] neg_hi:[0,1]
	v_pk_add_f32 v[20:21], v[20:21], v[22:23]
	v_mov_b32_e32 v22, v21
	v_pk_add_f32 v[46:47], v[22:23], v[18:19] neg_lo:[0,1] neg_hi:[0,1]
	v_mov_b32_e32 v1, v46
	v_pk_add_f32 v[48:49], v[26:27], v[0:1] neg_lo:[0,1] neg_hi:[0,1]
	v_mov_b32_e32 v20, v27
	v_mov_b32_e32 v26, v19
	;; [unrolled: 1-line block ×4, first 2 shown]
	v_pk_add_f32 v[20:21], v[20:21], v[26:27] neg_lo:[0,1] neg_hi:[0,1]
	v_mov_b32_e32 v24, v25
	v_mov_b32_e32 v25, v18
	v_pk_add_f32 v[18:19], v[24:25], v[20:21] neg_lo:[0,1] neg_hi:[0,1]
	v_mov_b32_e32 v48, v44
	v_pk_add_f32 v[20:21], v[48:49], v[18:19]
	v_mov_b32_e32 v24, v21
	v_pk_add_f32 v[24:25], v[20:21], v[24:25]
	v_pk_add_f32 v[22:23], v[22:23], v[24:25]
	v_mov_b32_e32 v21, v22
	v_pk_add_f32 v[26:27], v[20:21], v[44:45] neg_lo:[0,1] neg_hi:[0,1]
	v_mov_b32_e32 v19, v24
	v_sub_f32_e32 v1, v20, v26
	v_pk_add_f32 v[18:19], v[18:19], v[26:27] neg_lo:[0,1] neg_hi:[0,1]
	v_sub_f32_e32 v1, v44, v1
	v_add_f32_e32 v1, v18, v1
	v_add_f32_e32 v1, v1, v19
	;; [unrolled: 1-line block ×3, first 2 shown]
	v_cmp_eq_f32_e32 vcc, s44, v16
	v_cndmask_b32_e32 v1, v1, v16, vcc
	v_cmp_ngt_f32_e32 vcc, -1.0, v16
	v_cndmask_b32_e32 v1, v36, v1, vcc
	v_cmp_neq_f32_e32 vcc, -1.0, v16
	v_cndmask_b32_e32 v1, v37, v1, vcc
	v_cmp_lt_f32_e64 vcc, |v16|, s45
	v_cndmask_b32_e32 v1, v1, v16, vcc
	v_mul_f32_e32 v17, 0.5, v1
	v_max_f32_e64 v1, |v7|, |v7|
	v_max_f32_e64 v11, |v6|, |v6|
	v_min_f32_e32 v16, v11, v1
	v_max_f32_e32 v1, v11, v1
	v_frexp_mant_f32_e32 v11, v1
	v_rcp_f32_e32 v11, v11
	v_frexp_exp_i32_f32_e32 v1, v1
	v_frexp_exp_i32_f32_e32 v18, v16
	v_frexp_mant_f32_e32 v16, v16
	v_mul_f32_e32 v11, v16, v11
	v_sub_u32_e32 v1, v18, v1
	v_ldexp_f32 v1, v11, v1
	v_mul_f32_e32 v11, v1, v1
	v_mov_b32_e32 v16, 0xbc7a590c
	v_fmac_f32_e32 v16, 0x3b2d2a58, v11
	v_fma_f32 v16, v11, v16, v30
	v_fma_f32 v16, v11, v16, v31
	;; [unrolled: 1-line block ×6, first 2 shown]
	v_mul_f32_e32 v11, v11, v16
	v_fmac_f32_e32 v1, v1, v11
	v_sub_f32_e32 v11, 0x3fc90fdb, v1
	v_cndmask_b32_e64 v1, v1, v11, s[0:1]
	v_sub_f32_e32 v11, 0x40490fdb, v1
	v_cmp_gt_f32_e32 vcc, 0, v6
	v_cmp_gt_i32_e64 s[2:3], 0, v6
	v_cndmask_b32_e32 v1, v1, v11, vcc
	v_cndmask_b32_e64 v11, 0, v38, s[2:3]
	v_cmp_eq_f32_e64 s[2:3], 0, v7
	v_cndmask_b32_e64 v1, v1, v11, s[2:3]
	v_cmp_class_f32_e64 s[2:3], v6, s46
	v_cmp_class_f32_e64 s[30:31], v7, s46
	v_cndmask_b32_e32 v11, v39, v40, vcc
	s_and_b64 vcc, s[2:3], s[30:31]
	v_cndmask_b32_e32 v1, v1, v11, vcc
.LBB193_18:                             ;   in Loop: Header=BB193_5 Depth=1
	s_or_b64 exec, exec, s[28:29]
.LBB193_19:                             ;   in Loop: Header=BB193_5 Depth=1
	s_or_b64 exec, exec, s[26:27]
.LBB193_20:                             ;   in Loop: Header=BB193_5 Depth=1
	s_andn2_saveexec_b64 s[24:25], s[24:25]
	s_cbranch_execz .LBB193_22
; %bb.21:                               ;   in Loop: Header=BB193_5 Depth=1
	v_max_f32_e64 v1, |v7|, |v7|
	v_max_f32_e64 v11, |v6|, |v6|
	v_max_f32_e32 v18, v11, v1
	v_cvt_f64_f32_e32 v[16:17], v18
	v_frexp_exp_i32_f64_e32 v16, v[16:17]
	v_sub_u32_e32 v17, 0, v16
	v_ldexp_f32 v19, |v6|, v17
	v_ldexp_f32 v17, |v7|, v17
	v_mul_f32_e32 v17, v17, v17
	v_fmac_f32_e32 v17, v19, v19
	v_sqrt_f32_e32 v17, v17
	v_cmp_neq_f32_e32 vcc, s44, v18
	v_min_f32_e32 v1, v11, v1
	v_frexp_mant_f32_e32 v11, v18
	v_ldexp_f32 v16, v17, v16
	v_cndmask_b32_e32 v16, v43, v16, vcc
	v_cmp_gt_f32_e32 vcc, s48, v16
	v_cndmask_b32_e32 v17, 1.0, v41, vcc
	v_mul_f32_e32 v16, v16, v17
	v_log_f32_e32 v16, v16
	v_rcp_f32_e32 v11, v11
	v_cndmask_b32_e32 v17, 0, v42, vcc
	v_cmp_gt_i32_e64 s[2:3], 0, v6
	v_mul_f32_e32 v19, 0x3f317217, v16
	v_fma_f32 v20, v16, s49, -v19
	v_fmac_f32_e32 v20, 0x3377d1cf, v16
	v_add_f32_e32 v19, v19, v20
	v_cmp_lt_f32_e64 vcc, |v16|, s44
	v_cndmask_b32_e32 v16, v16, v19, vcc
	v_sub_f32_e32 v17, v16, v17
	v_frexp_exp_i32_f32_e32 v16, v18
	v_frexp_exp_i32_f32_e32 v18, v1
	v_frexp_mant_f32_e32 v1, v1
	v_mul_f32_e32 v1, v1, v11
	v_sub_u32_e32 v11, v18, v16
	v_ldexp_f32 v1, v1, v11
	v_mul_f32_e32 v11, v1, v1
	v_mov_b32_e32 v16, 0xbc7a590c
	v_fmac_f32_e32 v16, 0x3b2d2a58, v11
	v_fma_f32 v16, v11, v16, v30
	v_fma_f32 v16, v11, v16, v31
	;; [unrolled: 1-line block ×6, first 2 shown]
	v_mul_f32_e32 v11, v11, v16
	v_fmac_f32_e32 v1, v1, v11
	v_sub_f32_e32 v11, 0x3fc90fdb, v1
	v_cndmask_b32_e64 v1, v1, v11, s[0:1]
	v_sub_f32_e32 v11, 0x40490fdb, v1
	v_cmp_gt_f32_e32 vcc, 0, v6
	v_cndmask_b32_e32 v1, v1, v11, vcc
	v_cndmask_b32_e64 v11, 0, v38, s[2:3]
	v_cmp_eq_f32_e64 s[2:3], 0, v7
	v_cndmask_b32_e64 v1, v1, v11, s[2:3]
	v_cmp_class_f32_e64 s[2:3], v6, s46
	v_cmp_class_f32_e64 s[26:27], v7, s46
	v_cndmask_b32_e32 v11, v39, v40, vcc
	s_and_b64 vcc, s[2:3], s[26:27]
	v_cndmask_b32_e32 v1, v1, v11, vcc
.LBB193_22:                             ;   in Loop: Header=BB193_5 Depth=1
	s_or_b64 exec, exec, s[24:25]
                                        ; implicit-def: $vgpr18
.LBB193_23:                             ;   in Loop: Header=BB193_5 Depth=1
	s_andn2_saveexec_b64 s[22:23], s[22:23]
	s_cbranch_execz .LBB193_29
; %bb.24:                               ;   in Loop: Header=BB193_5 Depth=1
	v_cmp_ngt_f32_e32 vcc, s50, v18
                                        ; implicit-def: $vgpr17
                                        ; implicit-def: $vgpr1
	s_and_saveexec_b64 s[2:3], vcc
	s_xor_b64 s[24:25], exec, s[2:3]
	s_cbranch_execz .LBB193_26
; %bb.25:                               ;   in Loop: Header=BB193_5 Depth=1
	v_pk_mul_f32 v[16:17], v[18:19], v[18:19]
	v_add_f32_e32 v19, 1.0, v16
	v_add_f32_e32 v17, -1.0, v19
	v_mov_b32_e32 v18, v17
	v_pk_add_f32 v[20:21], v[16:17], v[18:19] neg_lo:[0,1] neg_hi:[0,1]
	v_add_f32_e32 v1, 1.0, v21
	v_add_f32_e32 v1, v20, v1
	v_frexp_mant_f32_e32 v11, v19
	v_cvt_f64_f32_e32 v[20:21], v19
	v_frexp_exp_i32_f64_e32 v17, v[20:21]
	v_cmp_gt_f32_e32 vcc, s42, v11
	v_subbrev_co_u32_e32 v17, vcc, 0, v17, vcc
	v_sub_u32_e32 v11, 0, v17
	v_ldexp_f32 v18, v19, v11
	v_ldexp_f32 v1, v1, v11
	v_add_f32_e32 v11, -1.0, v18
	v_add_f32_e32 v19, 1.0, v11
	v_sub_f32_e32 v19, v18, v19
	v_add_f32_e32 v20, v1, v19
	v_add_f32_e32 v19, 1.0, v18
	v_add_f32_e32 v21, -1.0, v19
	v_sub_f32_e32 v18, v18, v21
	v_add_f32_e32 v1, v1, v18
	v_add_f32_e32 v26, v19, v1
	v_rcp_f32_e32 v27, v26
	v_sub_f32_e32 v18, v19, v26
	v_add_f32_e32 v19, v11, v20
	v_sub_f32_e32 v11, v11, v19
	v_mul_f32_e32 v44, v19, v27
	v_add_f32_e32 v11, v20, v11
	v_mul_f32_e32 v20, v26, v44
	v_add_f32_e32 v1, v1, v18
	v_fma_f32 v22, v44, v26, -v20
	v_fmac_f32_e32 v22, v44, v1
	v_add_f32_e32 v18, v20, v22
	v_sub_f32_e32 v21, v19, v18
	v_pk_add_f32 v[24:25], v[18:19], v[20:21] neg_lo:[0,1] neg_hi:[0,1]
	v_mov_b32_e32 v23, v18
	v_pk_add_f32 v[18:19], v[24:25], v[22:23] neg_lo:[0,1] neg_hi:[0,1]
	v_add_f32_e32 v11, v11, v19
	v_add_f32_e32 v11, v18, v11
	;; [unrolled: 1-line block ×3, first 2 shown]
	v_mul_f32_e32 v45, v27, v19
	v_mul_f32_e32 v20, v26, v45
	v_fma_f32 v22, v45, v26, -v20
	v_fmac_f32_e32 v22, v45, v1
	v_add_f32_e32 v18, v20, v22
	v_sub_f32_e32 v1, v21, v19
	v_sub_f32_e32 v21, v19, v18
	v_pk_add_f32 v[24:25], v[18:19], v[20:21] neg_lo:[0,1] neg_hi:[0,1]
	v_mov_b32_e32 v23, v18
	v_add_f32_e32 v1, v11, v1
	v_pk_add_f32 v[18:19], v[24:25], v[22:23] neg_lo:[0,1] neg_hi:[0,1]
	v_add_f32_e32 v1, v1, v19
	v_add_f32_e32 v1, v18, v1
	;; [unrolled: 1-line block ×4, first 2 shown]
	v_sub_f32_e32 v11, v19, v44
	v_mul_f32_e32 v1, v27, v1
	v_sub_f32_e32 v11, v45, v11
	v_add_f32_e32 v1, v11, v1
	v_add_f32_e32 v20, v19, v1
	v_cvt_f32_i32_e32 v18, v17
	v_mul_f32_e32 v22, v20, v20
	v_mov_b32_e32 v11, 0x3ecc95a3
	v_fmac_f32_e32 v11, 0x3e9b6dac, v22
	v_fma_f32 v11, v22, v11, v29
	v_sub_f32_e32 v17, v20, v19
	v_mul_f32_e32 v19, v20, v22
	v_pk_mul_f32 v[22:23], v[18:19], v[10:11]
	v_ldexp_f32 v21, v20, 1
	v_fma_f32 v20, v18, s43, -v22
	v_fmac_f32_e32 v20, 0xb102e308, v18
	v_pk_add_f32 v[18:19], v[22:23], v[20:21]
	v_sub_f32_e32 v1, v1, v17
	v_sub_f32_e32 v11, v19, v21
	v_ldexp_f32 v1, v1, 1
	v_sub_f32_e32 v11, v23, v11
	v_add_f32_e32 v25, v1, v11
	v_mov_b32_e32 v24, v22
	v_pk_add_f32 v[22:23], v[18:19], v[22:23] neg_lo:[0,1] neg_hi:[0,1]
	v_pk_add_f32 v[26:27], v[18:19], v[24:25]
	v_mov_b32_e32 v23, v27
	v_mov_b32_e32 v21, v18
	v_pk_add_f32 v[44:45], v[20:21], v[22:23] neg_lo:[0,1] neg_hi:[0,1]
	v_pk_add_f32 v[20:21], v[20:21], v[22:23]
	v_mov_b32_e32 v22, v21
	v_pk_add_f32 v[46:47], v[22:23], v[18:19] neg_lo:[0,1] neg_hi:[0,1]
	v_mov_b32_e32 v1, v46
	v_pk_add_f32 v[48:49], v[26:27], v[0:1] neg_lo:[0,1] neg_hi:[0,1]
	v_mov_b32_e32 v20, v27
	v_mov_b32_e32 v26, v19
	v_mov_b32_e32 v27, v46
	v_mov_b32_e32 v45, v21
	v_pk_add_f32 v[20:21], v[20:21], v[26:27] neg_lo:[0,1] neg_hi:[0,1]
	v_mov_b32_e32 v24, v25
	v_mov_b32_e32 v25, v18
	v_pk_add_f32 v[18:19], v[24:25], v[20:21] neg_lo:[0,1] neg_hi:[0,1]
	v_mov_b32_e32 v48, v44
	v_pk_add_f32 v[20:21], v[48:49], v[18:19]
	v_mov_b32_e32 v24, v21
	v_pk_add_f32 v[24:25], v[20:21], v[24:25]
	v_pk_add_f32 v[22:23], v[22:23], v[24:25]
	v_mov_b32_e32 v21, v22
	v_pk_add_f32 v[26:27], v[20:21], v[44:45] neg_lo:[0,1] neg_hi:[0,1]
	v_mov_b32_e32 v19, v24
	v_sub_f32_e32 v1, v20, v26
	v_pk_add_f32 v[18:19], v[18:19], v[26:27] neg_lo:[0,1] neg_hi:[0,1]
	v_sub_f32_e32 v1, v44, v1
	v_add_f32_e32 v1, v18, v1
	v_add_f32_e32 v1, v1, v19
	v_cmp_eq_f32_e32 vcc, s44, v16
	v_cmp_lt_f32_e64 s[2:3], |v16|, s45
	v_add_f32_e32 v1, v22, v1
	s_or_b64 vcc, vcc, s[2:3]
	v_cndmask_b32_e32 v1, v1, v16, vcc
	v_mul_f32_e32 v17, 0.5, v1
	v_max_f32_e64 v1, |v7|, |v7|
	v_max_f32_e64 v11, |v6|, |v6|
	v_min_f32_e32 v16, v11, v1
	v_max_f32_e32 v1, v11, v1
	v_frexp_mant_f32_e32 v11, v1
	v_rcp_f32_e32 v11, v11
	v_frexp_exp_i32_f32_e32 v1, v1
	v_frexp_exp_i32_f32_e32 v18, v16
	v_frexp_mant_f32_e32 v16, v16
	v_mul_f32_e32 v11, v16, v11
	v_sub_u32_e32 v1, v18, v1
	v_ldexp_f32 v1, v11, v1
	v_mul_f32_e32 v11, v1, v1
	v_mov_b32_e32 v16, 0xbc7a590c
	v_fmac_f32_e32 v16, 0x3b2d2a58, v11
	v_fma_f32 v16, v11, v16, v30
	v_fma_f32 v16, v11, v16, v31
	;; [unrolled: 1-line block ×6, first 2 shown]
	v_mul_f32_e32 v11, v11, v16
	v_fmac_f32_e32 v1, v1, v11
	v_sub_f32_e32 v11, 0x3fc90fdb, v1
	v_cndmask_b32_e64 v1, v1, v11, s[0:1]
	v_sub_f32_e32 v11, 0x40490fdb, v1
	v_cmp_gt_f32_e32 vcc, 0, v6
	v_cmp_gt_i32_e64 s[2:3], 0, v6
	v_cndmask_b32_e32 v1, v1, v11, vcc
	v_cndmask_b32_e64 v11, 0, v38, s[2:3]
	v_cmp_eq_f32_e64 s[2:3], 0, v7
	v_cndmask_b32_e64 v1, v1, v11, s[2:3]
	v_cmp_class_f32_e64 s[2:3], v6, s46
	v_cmp_class_f32_e64 s[26:27], v7, s46
	v_cndmask_b32_e32 v11, v39, v40, vcc
	s_and_b64 vcc, s[2:3], s[26:27]
	v_cndmask_b32_e32 v1, v1, v11, vcc
                                        ; implicit-def: $vgpr18
.LBB193_26:                             ;   in Loop: Header=BB193_5 Depth=1
	s_andn2_saveexec_b64 s[24:25], s[24:25]
	s_cbranch_execz .LBB193_28
; %bb.27:                               ;   in Loop: Header=BB193_5 Depth=1
	v_mul_f32_e32 v1, 0.5, v18
	v_mul_f32_e32 v17, v18, v1
	v_max_f32_e64 v1, |v7|, |v7|
	v_max_f32_e64 v11, |v6|, |v6|
	v_min_f32_e32 v16, v11, v1
	v_max_f32_e32 v1, v11, v1
	v_frexp_mant_f32_e32 v11, v1
	v_rcp_f32_e32 v11, v11
	v_frexp_exp_i32_f32_e32 v1, v1
	v_frexp_exp_i32_f32_e32 v18, v16
	v_frexp_mant_f32_e32 v16, v16
	v_mul_f32_e32 v11, v16, v11
	v_sub_u32_e32 v1, v18, v1
	v_ldexp_f32 v1, v11, v1
	v_mul_f32_e32 v11, v1, v1
	v_mov_b32_e32 v16, 0xbc7a590c
	v_fmac_f32_e32 v16, 0x3b2d2a58, v11
	v_fma_f32 v16, v11, v16, v30
	v_fma_f32 v16, v11, v16, v31
	;; [unrolled: 1-line block ×6, first 2 shown]
	v_mul_f32_e32 v11, v11, v16
	v_fmac_f32_e32 v1, v1, v11
	v_sub_f32_e32 v11, 0x3fc90fdb, v1
	v_cndmask_b32_e64 v1, v1, v11, s[0:1]
	v_sub_f32_e32 v11, 0x40490fdb, v1
	v_cmp_gt_f32_e32 vcc, 0, v6
	v_cmp_gt_i32_e64 s[2:3], 0, v6
	v_cndmask_b32_e32 v1, v1, v11, vcc
	v_cndmask_b32_e64 v11, 0, v38, s[2:3]
	v_cmp_eq_f32_e64 s[2:3], 0, v7
	v_cndmask_b32_e64 v1, v1, v11, s[2:3]
	v_cmp_class_f32_e64 s[2:3], v6, s46
	v_cmp_class_f32_e64 s[26:27], v7, s46
	v_cndmask_b32_e32 v11, v39, v40, vcc
	s_and_b64 vcc, s[2:3], s[26:27]
	v_cndmask_b32_e32 v1, v1, v11, vcc
.LBB193_28:                             ;   in Loop: Header=BB193_5 Depth=1
	s_or_b64 exec, exec, s[24:25]
.LBB193_29:                             ;   in Loop: Header=BB193_5 Depth=1
	s_or_b64 exec, exec, s[22:23]
.LBB193_30:                             ;   in Loop: Header=BB193_5 Depth=1
	s_andn2_saveexec_b64 s[20:21], s[20:21]
	s_cbranch_execz .LBB193_32
; %bb.31:                               ;   in Loop: Header=BB193_5 Depth=1
	v_div_scale_f32 v1, s[2:3], s51, s51, v6
	v_rcp_f32_e32 v11, v1
	v_div_scale_f32 v16, vcc, v6, s51, v6
	v_fma_f32 v17, -v1, v11, 1.0
	v_fmac_f32_e32 v11, v17, v11
	v_mul_f32_e32 v17, v16, v11
	v_fma_f32 v18, -v1, v17, v16
	v_fmac_f32_e32 v17, v18, v11
	v_fma_f32 v1, -v1, v17, v16
	v_div_scale_f32 v16, s[2:3], s51, s51, v7
	v_rcp_f32_e32 v18, v16
	v_div_fmas_f32 v1, v1, v11, v17
	v_div_fixup_f32 v1, v1, s51, v6
	v_fma_f32 v11, -v16, v18, 1.0
	v_fmac_f32_e32 v18, v11, v18
	v_div_scale_f32 v11, vcc, v7, s51, v7
	v_mul_f32_e32 v17, v11, v18
	v_fma_f32 v19, -v16, v17, v11
	v_fmac_f32_e32 v17, v19, v18
	v_fma_f32 v11, -v16, v17, v11
	v_div_fmas_f32 v11, v11, v18, v17
	v_div_fixup_f32 v11, v11, s51, v7
	v_max_f32_e64 v18, |v1|, |v11|
	v_cvt_f64_f32_e32 v[16:17], v18
	v_frexp_exp_i32_f64_e32 v16, v[16:17]
	v_sub_u32_e32 v17, 0, v16
	v_ldexp_f32 v11, |v11|, v17
	v_ldexp_f32 v1, |v1|, v17
	v_mul_f32_e32 v11, v11, v11
	v_fmac_f32_e32 v11, v1, v1
	v_sqrt_f32_e32 v1, v11
	v_cmp_neq_f32_e32 vcc, s44, v18
	v_ldexp_f32 v1, v1, v16
	v_cndmask_b32_e32 v1, v43, v1, vcc
	v_cmp_gt_f32_e32 vcc, s48, v1
	v_cndmask_b32_e32 v11, 1.0, v41, vcc
	v_mul_f32_e32 v1, v1, v11
	v_log_f32_e32 v1, v1
	v_mul_f32_e32 v11, 0x3f317217, v1
	v_fma_f32 v16, v1, s49, -v11
	v_fmac_f32_e32 v16, 0x3377d1cf, v1
	v_add_f32_e32 v11, v11, v16
	v_cmp_lt_f32_e64 s[2:3], |v1|, s44
	v_cndmask_b32_e64 v1, v1, v11, s[2:3]
	v_cndmask_b32_e32 v11, 0, v42, vcc
	v_sub_f32_e32 v1, v1, v11
	v_add_f32_e32 v17, 1.0, v1
	v_max_f32_e64 v1, |v7|, |v7|
	v_max_f32_e64 v11, |v6|, |v6|
	v_min_f32_e32 v16, v11, v1
	v_max_f32_e32 v1, v11, v1
	v_frexp_mant_f32_e32 v11, v1
	v_rcp_f32_e32 v11, v11
	v_frexp_exp_i32_f32_e32 v1, v1
	v_frexp_exp_i32_f32_e32 v18, v16
	v_frexp_mant_f32_e32 v16, v16
	v_mul_f32_e32 v11, v16, v11
	v_sub_u32_e32 v1, v18, v1
	v_ldexp_f32 v1, v11, v1
	v_mul_f32_e32 v11, v1, v1
	v_mov_b32_e32 v16, 0xbc7a590c
	v_fmac_f32_e32 v16, 0x3b2d2a58, v11
	v_fma_f32 v16, v11, v16, v30
	v_fma_f32 v16, v11, v16, v31
	;; [unrolled: 1-line block ×6, first 2 shown]
	v_mul_f32_e32 v11, v11, v16
	v_fmac_f32_e32 v1, v1, v11
	v_sub_f32_e32 v11, 0x3fc90fdb, v1
	v_cndmask_b32_e64 v1, v1, v11, s[0:1]
	v_sub_f32_e32 v11, 0x40490fdb, v1
	v_cmp_gt_f32_e32 vcc, 0, v6
	v_cmp_gt_i32_e64 s[0:1], 0, v6
	v_cndmask_b32_e32 v1, v1, v11, vcc
	v_cndmask_b32_e64 v11, 0, v38, s[0:1]
	v_cmp_eq_f32_e64 s[0:1], 0, v7
	v_cndmask_b32_e64 v1, v1, v11, s[0:1]
	v_cmp_class_f32_e64 s[0:1], v6, s46
	v_cmp_class_f32_e64 s[2:3], v7, s46
	v_cndmask_b32_e32 v11, v39, v40, vcc
	s_and_b64 vcc, s[0:1], s[2:3]
	v_cndmask_b32_e32 v1, v1, v11, vcc
.LBB193_32:                             ;   in Loop: Header=BB193_5 Depth=1
	s_or_b64 exec, exec, s[20:21]
.LBB193_33:                             ;   in Loop: Header=BB193_5 Depth=1
	s_andn2_saveexec_b64 s[0:1], s[18:19]
	s_cbranch_execz .LBB193_39
; %bb.34:                               ;   in Loop: Header=BB193_5 Depth=1
	v_cmp_nlt_f32_e64 s[2:3], |v6|, s52
	v_cmp_nlt_f32_e64 s[18:19], |v7|, s52
	s_or_b64 s[2:3], s[2:3], s[18:19]
                                        ; implicit-def: $vgpr1
	s_and_saveexec_b64 s[18:19], s[2:3]
	s_xor_b64 s[2:3], exec, s[18:19]
; %bb.35:                               ;   in Loop: Header=BB193_5 Depth=1
	v_pk_mul_f32 v[16:17], v[6:7], v[6:7]
	v_add_f32_e32 v1, v16, v17
; %bb.36:                               ;   in Loop: Header=BB193_5 Depth=1
	s_andn2_saveexec_b64 s[2:3], s[2:3]
; %bb.37:                               ;   in Loop: Header=BB193_5 Depth=1
	v_pk_mul_f32 v[16:17], v[6:7], 4.0 op_sel_hi:[1,0]
	v_pk_mul_f32 v[16:17], v[16:17], v[16:17]
	v_add_f32_e32 v1, v16, v17
	v_mul_f32_e32 v1, 0x3d800000, v1
; %bb.38:                               ;   in Loop: Header=BB193_5 Depth=1
	s_or_b64 exec, exec, s[2:3]
	v_cmp_gt_f32_e32 vcc, s48, v1
	v_cndmask_b32_e32 v6, 1.0, v41, vcc
	v_mul_f32_e32 v1, v1, v6
	v_log_f32_e32 v1, v1
	v_cndmask_b32_e32 v6, 0, v42, vcc
	v_mul_f32_e32 v11, 0x3f317217, v1
	v_fma_f32 v16, v1, s49, -v11
	v_fmac_f32_e32 v16, 0x3377d1cf, v1
	v_add_f32_e32 v11, v11, v16
	v_cmp_lt_f32_e64 vcc, |v1|, s44
	v_cndmask_b32_e32 v1, v1, v11, vcc
	v_sub_f32_e32 v17, v1, v6
	v_mov_b32_e32 v1, 0x7fc00000
.LBB193_39:                             ;   in Loop: Header=BB193_5 Depth=1
	s_or_b64 exec, exec, s[0:1]
	v_cmp_o_f32_e32 vcc, v9, v8
                                        ; implicit-def: $vgpr19
                                        ; implicit-def: $vgpr6
	s_and_saveexec_b64 s[0:1], vcc
	s_xor_b64 s[18:19], exec, s[0:1]
	s_cbranch_execz .LBB193_67
; %bb.40:                               ;   in Loop: Header=BB193_5 Depth=1
	v_cmp_lt_f32_e64 s[0:1], |v8|, |v9|
	v_cndmask_b32_e64 v11, v9, v8, s[0:1]
	v_cmp_ngt_f32_e64 s[2:3], |v11|, s36
                                        ; implicit-def: $vgpr19
                                        ; implicit-def: $vgpr6
	s_and_saveexec_b64 s[20:21], s[2:3]
	s_xor_b64 s[20:21], exec, s[20:21]
	s_cbranch_execz .LBB193_64
; %bb.41:                               ;   in Loop: Header=BB193_5 Depth=1
	v_cndmask_b32_e64 v6, v8, v9, s[0:1]
	v_and_b32_e32 v21, 0x7fffffff, v6
	v_and_b32_e32 v20, 0x7fffffff, v11
	v_cmp_neq_f32_e32 vcc, 1.0, v21
                                        ; implicit-def: $vgpr19
                                        ; implicit-def: $vgpr6
	s_and_saveexec_b64 s[2:3], vcc
	s_xor_b64 s[22:23], exec, s[2:3]
	s_cbranch_execz .LBB193_57
; %bb.42:                               ;   in Loop: Header=BB193_5 Depth=1
	v_max_f32_e32 v6, v20, v20
	v_max_f32_e32 v11, v21, v21
	v_min_f32_e32 v16, v11, v6
	v_max_f32_e32 v6, v11, v6
	v_cmp_ngt_f32_e32 vcc, s37, v16
	v_cmp_nlt_f32_e64 s[2:3], s41, v6
	s_and_b64 s[2:3], s[2:3], vcc
                                        ; implicit-def: $vgpr19
                                        ; implicit-def: $vgpr6
	s_and_saveexec_b64 s[24:25], s[2:3]
	s_xor_b64 s[24:25], exec, s[24:25]
	s_cbranch_execz .LBB193_54
; %bb.43:                               ;   in Loop: Header=BB193_5 Depth=1
	v_cmp_le_f32_e32 vcc, 1.0, v21
                                        ; implicit-def: $vgpr19
                                        ; implicit-def: $vgpr6
	s_and_saveexec_b64 s[2:3], vcc
	s_xor_b64 s[26:27], exec, s[2:3]
	s_cbranch_execz .LBB193_45
; %bb.44:                               ;   in Loop: Header=BB193_5 Depth=1
	v_pk_add_f32 v[18:19], v[20:21], s[14:15] op_sel:[1,0]
	v_mov_b32_e32 v6, v19
	v_pk_mul_f32 v[18:19], v[18:19], v[6:7]
	v_pk_fma_f32 v[18:19], v[20:21], v[20:21], v[18:19]
	v_add_f32_e32 v21, 1.0, v18
	v_add_f32_e32 v19, -1.0, v21
	v_mov_b32_e32 v20, v19
	v_pk_add_f32 v[22:23], v[18:19], v[20:21] neg_lo:[0,1] neg_hi:[0,1]
	v_add_f32_e32 v6, 1.0, v23
	v_add_f32_e32 v6, v22, v6
	v_frexp_mant_f32_e32 v11, v21
	v_cvt_f64_f32_e32 v[22:23], v21
	v_frexp_exp_i32_f64_e32 v16, v[22:23]
	v_cmp_gt_f32_e32 vcc, s42, v11
	v_subbrev_co_u32_e32 v16, vcc, 0, v16, vcc
	v_sub_u32_e32 v11, 0, v16
	v_ldexp_f32 v19, v21, v11
	v_ldexp_f32 v6, v6, v11
	v_add_f32_e32 v11, -1.0, v19
	v_add_f32_e32 v21, 1.0, v19
	v_add_f32_e32 v20, 1.0, v11
	v_add_f32_e32 v22, -1.0, v21
	v_sub_f32_e32 v20, v19, v20
	v_sub_f32_e32 v19, v19, v22
	v_add_f32_e32 v20, v6, v20
	v_add_f32_e32 v6, v6, v19
	;; [unrolled: 1-line block ×3, first 2 shown]
	v_rcp_f32_e32 v44, v19
	v_sub_f32_e32 v21, v19, v21
	v_sub_f32_e32 v6, v6, v21
	v_add_f32_e32 v21, v11, v20
	v_mul_f32_e32 v45, v21, v44
	v_mul_f32_e32 v22, v19, v45
	v_fma_f32 v24, v45, v19, -v22
	v_sub_f32_e32 v11, v21, v11
	v_fmac_f32_e32 v24, v45, v6
	v_sub_f32_e32 v11, v20, v11
	v_add_f32_e32 v20, v22, v24
	v_sub_f32_e32 v23, v21, v20
	v_pk_add_f32 v[26:27], v[20:21], v[22:23] neg_lo:[0,1] neg_hi:[0,1]
	v_mov_b32_e32 v25, v20
	v_pk_add_f32 v[20:21], v[26:27], v[24:25] neg_lo:[0,1] neg_hi:[0,1]
	v_add_f32_e32 v11, v11, v21
	v_add_f32_e32 v11, v20, v11
	;; [unrolled: 1-line block ×3, first 2 shown]
	v_mul_f32_e32 v46, v44, v21
	v_mul_f32_e32 v22, v19, v46
	v_fma_f32 v24, v46, v19, -v22
	v_fmac_f32_e32 v24, v46, v6
	v_add_f32_e32 v20, v22, v24
	v_sub_f32_e32 v6, v23, v21
	v_sub_f32_e32 v23, v21, v20
	v_pk_add_f32 v[26:27], v[20:21], v[22:23] neg_lo:[0,1] neg_hi:[0,1]
	v_mov_b32_e32 v25, v20
	v_add_f32_e32 v6, v11, v6
	v_pk_add_f32 v[20:21], v[26:27], v[24:25] neg_lo:[0,1] neg_hi:[0,1]
	v_add_f32_e32 v6, v6, v21
	v_add_f32_e32 v6, v20, v6
	;; [unrolled: 1-line block ×4, first 2 shown]
	v_sub_f32_e32 v11, v19, v45
	v_mul_f32_e32 v6, v44, v6
	v_sub_f32_e32 v11, v46, v11
	v_add_f32_e32 v6, v11, v6
	v_add_f32_e32 v21, v19, v6
	v_cvt_f32_i32_e32 v20, v16
	v_mul_f32_e32 v22, v21, v21
	v_mov_b32_e32 v11, 0x3ecc95a3
	v_fmac_f32_e32 v11, 0x3e9b6dac, v22
	v_fma_f32 v11, v22, v11, v29
	v_sub_f32_e32 v16, v21, v19
	v_ldexp_f32 v23, v21, 1
	v_mul_f32_e32 v21, v21, v22
	v_pk_mul_f32 v[24:25], v[20:21], v[10:11]
	v_fma_f32 v22, v20, s43, -v24
	v_fmac_f32_e32 v22, 0xb102e308, v20
	v_pk_add_f32 v[20:21], v[24:25], v[22:23]
	v_sub_f32_e32 v6, v6, v16
	v_sub_f32_e32 v11, v21, v23
	v_ldexp_f32 v6, v6, 1
	v_sub_f32_e32 v11, v25, v11
	v_add_f32_e32 v27, v6, v11
	v_mov_b32_e32 v26, v24
	v_pk_add_f32 v[24:25], v[20:21], v[24:25] neg_lo:[0,1] neg_hi:[0,1]
	v_pk_add_f32 v[44:45], v[20:21], v[26:27]
	v_mov_b32_e32 v25, v45
	v_mov_b32_e32 v23, v20
	v_pk_add_f32 v[46:47], v[22:23], v[24:25] neg_lo:[0,1] neg_hi:[0,1]
	v_pk_add_f32 v[22:23], v[22:23], v[24:25]
	v_mov_b32_e32 v6, v23
	v_pk_add_f32 v[24:25], v[6:7], v[20:21] neg_lo:[0,1] neg_hi:[0,1]
	v_mov_b32_e32 v11, v24
	v_pk_add_f32 v[48:49], v[44:45], v[10:11] neg_lo:[0,1] neg_hi:[0,1]
	v_mov_b32_e32 v22, v45
	v_mov_b32_e32 v44, v21
	;; [unrolled: 1-line block ×4, first 2 shown]
	v_pk_add_f32 v[22:23], v[22:23], v[44:45] neg_lo:[0,1] neg_hi:[0,1]
	v_mov_b32_e32 v24, v27
	v_mov_b32_e32 v25, v20
	v_pk_add_f32 v[20:21], v[24:25], v[22:23] neg_lo:[0,1] neg_hi:[0,1]
	v_mov_b32_e32 v48, v46
	v_pk_add_f32 v[22:23], v[48:49], v[20:21]
	v_mov_b32_e32 v16, v23
	v_pk_add_f32 v[24:25], v[22:23], v[16:17]
	v_pk_add_f32 v[26:27], v[6:7], v[24:25]
	v_mov_b32_e32 v23, v26
	v_pk_add_f32 v[44:45], v[22:23], v[46:47] neg_lo:[0,1] neg_hi:[0,1]
	v_mov_b32_e32 v21, v24
	v_sub_f32_e32 v6, v22, v44
	v_pk_add_f32 v[20:21], v[20:21], v[44:45] neg_lo:[0,1] neg_hi:[0,1]
	v_sub_f32_e32 v6, v46, v6
	v_add_f32_e32 v6, v20, v6
	v_add_f32_e32 v6, v6, v21
	;; [unrolled: 1-line block ×3, first 2 shown]
	v_cmp_eq_f32_e32 vcc, s44, v18
	v_cndmask_b32_e32 v6, v6, v18, vcc
	v_cmp_ngt_f32_e32 vcc, -1.0, v18
	v_cndmask_b32_e32 v6, v36, v6, vcc
	v_cmp_neq_f32_e32 vcc, -1.0, v18
	v_cndmask_b32_e32 v6, v37, v6, vcc
	v_cmp_lt_f32_e64 vcc, |v18|, s45
	v_cndmask_b32_e32 v6, v6, v18, vcc
	v_mul_f32_e32 v19, 0.5, v6
	v_max_f32_e64 v6, |v9|, |v9|
	v_max_f32_e64 v11, |v8|, |v8|
	v_min_f32_e32 v16, v11, v6
	v_max_f32_e32 v6, v11, v6
	v_frexp_mant_f32_e32 v11, v6
	v_rcp_f32_e32 v11, v11
	v_frexp_exp_i32_f32_e32 v6, v6
	v_frexp_exp_i32_f32_e32 v18, v16
	v_frexp_mant_f32_e32 v16, v16
	v_mul_f32_e32 v11, v16, v11
	v_sub_u32_e32 v6, v18, v6
	v_ldexp_f32 v6, v11, v6
	v_mul_f32_e32 v11, v6, v6
	v_mov_b32_e32 v16, 0xbc7a590c
	v_fmac_f32_e32 v16, 0x3b2d2a58, v11
	v_fma_f32 v16, v11, v16, v30
	v_fma_f32 v16, v11, v16, v31
	;; [unrolled: 1-line block ×6, first 2 shown]
	v_mul_f32_e32 v11, v11, v16
	v_fmac_f32_e32 v6, v6, v11
	v_sub_f32_e32 v11, 0x3fc90fdb, v6
	v_cndmask_b32_e64 v6, v6, v11, s[0:1]
	v_sub_f32_e32 v11, 0x40490fdb, v6
	v_cmp_gt_f32_e32 vcc, 0, v8
	v_cmp_gt_i32_e64 s[2:3], 0, v8
	v_cndmask_b32_e32 v6, v6, v11, vcc
	v_cndmask_b32_e64 v11, 0, v38, s[2:3]
	v_cmp_eq_f32_e64 s[2:3], 0, v9
	v_cndmask_b32_e64 v6, v6, v11, s[2:3]
	v_cmp_class_f32_e64 s[2:3], v8, s46
	v_cmp_class_f32_e64 s[28:29], v9, s46
	v_cndmask_b32_e32 v11, v39, v40, vcc
	s_and_b64 vcc, s[2:3], s[28:29]
	v_cndmask_b32_e32 v6, v6, v11, vcc
                                        ; implicit-def: $vgpr20_vgpr21
.LBB193_45:                             ;   in Loop: Header=BB193_5 Depth=1
	s_andn2_saveexec_b64 s[26:27], s[26:27]
	s_cbranch_execz .LBB193_53
; %bb.46:                               ;   in Loop: Header=BB193_5 Depth=1
	v_pk_mul_f32 v[18:19], v[20:21], v[20:21]
	v_add_f32_e32 v11, v19, v18
	v_cmp_ge_f32_e32 vcc, s47, v11
                                        ; implicit-def: $vgpr19
                                        ; implicit-def: $vgpr6
	s_and_saveexec_b64 s[2:3], vcc
	s_xor_b64 s[28:29], exec, s[2:3]
	s_cbranch_execz .LBB193_48
; %bb.47:                               ;   in Loop: Header=BB193_5 Depth=1
	v_cmp_gt_f32_e32 vcc, s48, v11
	v_cndmask_b32_e32 v6, 1.0, v41, vcc
	v_mul_f32_e32 v6, v11, v6
	v_log_f32_e32 v6, v6
	v_cndmask_b32_e32 v11, 0, v42, vcc
	v_cmp_gt_i32_e64 s[2:3], 0, v8
	v_cmp_class_f32_e64 s[30:31], v9, s46
	v_mul_f32_e32 v16, 0x3f317217, v6
	v_fma_f32 v18, v6, s49, -v16
	v_fmac_f32_e32 v18, 0x3377d1cf, v6
	v_add_f32_e32 v16, v16, v18
	v_cmp_lt_f32_e64 vcc, |v6|, s44
	v_cndmask_b32_e32 v6, v6, v16, vcc
	v_sub_f32_e32 v6, v6, v11
	v_mul_f32_e32 v19, 0.5, v6
	v_max_f32_e64 v6, |v9|, |v9|
	v_max_f32_e64 v11, |v8|, |v8|
	v_min_f32_e32 v16, v11, v6
	v_max_f32_e32 v6, v11, v6
	v_frexp_mant_f32_e32 v11, v6
	v_rcp_f32_e32 v11, v11
	v_frexp_exp_i32_f32_e32 v6, v6
	v_frexp_exp_i32_f32_e32 v18, v16
	v_frexp_mant_f32_e32 v16, v16
	v_mul_f32_e32 v11, v16, v11
	v_sub_u32_e32 v6, v18, v6
	v_ldexp_f32 v6, v11, v6
	v_mul_f32_e32 v11, v6, v6
	v_mov_b32_e32 v16, 0xbc7a590c
	v_fmac_f32_e32 v16, 0x3b2d2a58, v11
	v_fma_f32 v16, v11, v16, v30
	v_fma_f32 v16, v11, v16, v31
	;; [unrolled: 1-line block ×6, first 2 shown]
	v_mul_f32_e32 v11, v11, v16
	v_fmac_f32_e32 v6, v6, v11
	v_sub_f32_e32 v11, 0x3fc90fdb, v6
	v_cndmask_b32_e64 v6, v6, v11, s[0:1]
	v_sub_f32_e32 v11, 0x40490fdb, v6
	v_cmp_gt_f32_e32 vcc, 0, v8
	v_cndmask_b32_e32 v6, v6, v11, vcc
	v_cndmask_b32_e64 v11, 0, v38, s[2:3]
	v_cmp_eq_f32_e64 s[2:3], 0, v9
	v_cndmask_b32_e64 v6, v6, v11, s[2:3]
	v_cmp_class_f32_e64 s[2:3], v8, s46
	v_cndmask_b32_e32 v11, v39, v40, vcc
	s_and_b64 vcc, s[2:3], s[30:31]
	v_cndmask_b32_e32 v6, v6, v11, vcc
                                        ; implicit-def: $vgpr20_vgpr21
.LBB193_48:                             ;   in Loop: Header=BB193_5 Depth=1
	s_andn2_saveexec_b64 s[28:29], s[28:29]
	s_cbranch_execz .LBB193_52
; %bb.49:                               ;   in Loop: Header=BB193_5 Depth=1
	v_and_b32_e32 v23, 0x7fff0000, v20
	v_and_b32_e32 v22, 0x7fff0000, v21
	v_pk_add_f32 v[18:19], v[20:21], v[22:23] op_sel:[1,0] op_sel_hi:[0,1] neg_lo:[0,1] neg_hi:[0,1]
	v_and_b32_e32 v27, 0xffff0000, v19
	v_and_b32_e32 v26, 0xffff0000, v18
	v_pk_add_f32 v[44:45], v[18:19], v[26:27] neg_lo:[0,1] neg_hi:[0,1]
	v_pk_mul_f32 v[18:19], v[22:23], v[22:23]
	v_add_f32_e32 v16, v22, v22
	v_add_f32_e32 v22, v23, v23
	v_mul_f32_e32 v11, v16, v26
	v_mul_f32_e32 v6, v22, v27
	;; [unrolled: 1-line block ×4, first 2 shown]
	v_add_f32_e32 v22, v26, v26
	v_mul_f32_e32 v25, v22, v44
	v_add_f32_e32 v22, v27, v27
	v_pk_mul_f32 v[20:21], v[26:27], v[26:27]
	v_mul_f32_e32 v26, v22, v45
	v_pk_mul_f32 v[22:23], v[44:45], v[44:45]
	s_mov_b64 s[30:31], 0
.LBB193_50:                             ;   Parent Loop BB193_5 Depth=1
                                        ; =>  This Inner Loop Header: Depth=2
	v_cmp_nlt_f32_e32 vcc, v18, v19
	v_cndmask_b32_e32 v27, v18, v19, vcc
	v_cmp_nlt_f32_e64 s[2:3], v27, v11
	v_cndmask_b32_e64 v44, v27, v11, s[2:3]
	v_cndmask_b32_e32 v18, v19, v18, vcc
	s_and_b64 s[54:55], vcc, s[2:3]
	v_cmp_nlt_f32_e32 vcc, v44, v6
	v_cndmask_b32_e64 v19, v11, v27, s[2:3]
	v_cndmask_b32_e32 v27, v44, v6, vcc
	v_cmp_nlt_f32_e64 s[2:3], v27, v20
	v_cndmask_b32_e32 v11, v6, v44, vcc
	v_cndmask_b32_e64 v44, v27, v20, s[2:3]
	s_and_b64 s[56:57], vcc, s[2:3]
	v_cmp_nlt_f32_e32 vcc, v44, v21
	v_cndmask_b32_e64 v6, v20, v27, s[2:3]
	v_cndmask_b32_e32 v27, v44, v21, vcc
	v_cmp_nlt_f32_e64 s[2:3], v27, v24
	v_cndmask_b32_e32 v20, v21, v44, vcc
	v_cndmask_b32_e64 v44, v27, v24, s[2:3]
	v_cndmask_b32_e64 v21, v24, v27, s[2:3]
	s_and_b64 s[2:3], vcc, s[2:3]
	v_cmp_nlt_f32_e32 vcc, v44, v16
	v_cndmask_b32_e32 v27, v44, v16, vcc
	v_cndmask_b32_e32 v24, v16, v44, vcc
	s_and_b64 s[2:3], s[2:3], vcc
	v_cmp_nlt_f32_e32 vcc, v27, v25
	v_cndmask_b32_e32 v44, v27, v25, vcc
	v_cndmask_b32_e32 v16, v25, v27, vcc
	s_and_b64 s[2:3], s[2:3], vcc
	;; [unrolled: 4-line block ×4, first 2 shown]
	v_cmp_nlt_f32_e32 vcc, v44, v23
	s_and_b64 s[2:3], s[2:3], vcc
	s_and_b64 s[2:3], s[2:3], s[56:57]
	s_and_b64 s[2:3], s[2:3], s[54:55]
	s_and_b64 s[2:3], exec, s[2:3]
	v_cndmask_b32_e32 v22, v23, v44, vcc
	s_or_b64 s[30:31], s[2:3], s[30:31]
	v_cndmask_b32_e32 v23, v44, v23, vcc
	s_andn2_b64 exec, exec, s[30:31]
	s_cbranch_execnz .LBB193_50
; %bb.51:                               ;   in Loop: Header=BB193_5 Depth=1
	s_or_b64 exec, exec, s[30:31]
	v_add_f32_e32 v18, -1.0, v18
	v_add_f32_e32 v18, v18, v19
	v_add_f32_e32 v11, v18, v11
	;; [unrolled: 1-line block ×11, first 2 shown]
	v_add_f32_e32 v21, 1.0, v18
	v_add_f32_e32 v19, -1.0, v21
	v_mov_b32_e32 v20, v19
	v_pk_add_f32 v[22:23], v[18:19], v[20:21] neg_lo:[0,1] neg_hi:[0,1]
	v_add_f32_e32 v6, 1.0, v23
	v_add_f32_e32 v6, v22, v6
	v_frexp_mant_f32_e32 v11, v21
	v_cvt_f64_f32_e32 v[22:23], v21
	v_frexp_exp_i32_f64_e32 v16, v[22:23]
	v_cmp_gt_f32_e32 vcc, s42, v11
	v_subbrev_co_u32_e32 v16, vcc, 0, v16, vcc
	v_sub_u32_e32 v11, 0, v16
	v_ldexp_f32 v19, v21, v11
	v_ldexp_f32 v6, v6, v11
	v_add_f32_e32 v11, -1.0, v19
	v_add_f32_e32 v21, 1.0, v19
	v_add_f32_e32 v20, 1.0, v11
	v_add_f32_e32 v22, -1.0, v21
	v_sub_f32_e32 v20, v19, v20
	v_sub_f32_e32 v19, v19, v22
	v_add_f32_e32 v20, v6, v20
	v_add_f32_e32 v6, v6, v19
	;; [unrolled: 1-line block ×3, first 2 shown]
	v_rcp_f32_e32 v44, v19
	v_sub_f32_e32 v21, v19, v21
	v_sub_f32_e32 v6, v6, v21
	v_add_f32_e32 v21, v11, v20
	v_mul_f32_e32 v45, v21, v44
	v_mul_f32_e32 v22, v19, v45
	v_fma_f32 v24, v45, v19, -v22
	v_sub_f32_e32 v11, v21, v11
	v_fmac_f32_e32 v24, v45, v6
	v_sub_f32_e32 v11, v20, v11
	v_add_f32_e32 v20, v22, v24
	v_sub_f32_e32 v23, v21, v20
	v_pk_add_f32 v[26:27], v[20:21], v[22:23] neg_lo:[0,1] neg_hi:[0,1]
	v_mov_b32_e32 v25, v20
	v_pk_add_f32 v[20:21], v[26:27], v[24:25] neg_lo:[0,1] neg_hi:[0,1]
	v_add_f32_e32 v11, v11, v21
	v_add_f32_e32 v11, v20, v11
	;; [unrolled: 1-line block ×3, first 2 shown]
	v_mul_f32_e32 v46, v44, v21
	v_mul_f32_e32 v22, v19, v46
	v_fma_f32 v24, v46, v19, -v22
	v_fmac_f32_e32 v24, v46, v6
	v_add_f32_e32 v20, v22, v24
	v_sub_f32_e32 v6, v23, v21
	v_sub_f32_e32 v23, v21, v20
	v_pk_add_f32 v[26:27], v[20:21], v[22:23] neg_lo:[0,1] neg_hi:[0,1]
	v_mov_b32_e32 v25, v20
	v_add_f32_e32 v6, v11, v6
	v_pk_add_f32 v[20:21], v[26:27], v[24:25] neg_lo:[0,1] neg_hi:[0,1]
	v_add_f32_e32 v6, v6, v21
	v_add_f32_e32 v6, v20, v6
	;; [unrolled: 1-line block ×4, first 2 shown]
	v_sub_f32_e32 v11, v19, v45
	v_mul_f32_e32 v6, v44, v6
	v_sub_f32_e32 v11, v46, v11
	v_add_f32_e32 v6, v11, v6
	v_add_f32_e32 v21, v19, v6
	v_cvt_f32_i32_e32 v20, v16
	v_mul_f32_e32 v22, v21, v21
	v_mov_b32_e32 v11, 0x3ecc95a3
	v_fmac_f32_e32 v11, 0x3e9b6dac, v22
	v_fma_f32 v11, v22, v11, v29
	v_sub_f32_e32 v16, v21, v19
	v_ldexp_f32 v23, v21, 1
	v_mul_f32_e32 v21, v21, v22
	v_pk_mul_f32 v[24:25], v[20:21], v[10:11]
	v_fma_f32 v22, v20, s43, -v24
	v_fmac_f32_e32 v22, 0xb102e308, v20
	v_pk_add_f32 v[20:21], v[24:25], v[22:23]
	v_sub_f32_e32 v6, v6, v16
	v_sub_f32_e32 v11, v21, v23
	v_ldexp_f32 v6, v6, 1
	v_sub_f32_e32 v11, v25, v11
	v_add_f32_e32 v27, v6, v11
	v_mov_b32_e32 v26, v24
	v_pk_add_f32 v[24:25], v[20:21], v[24:25] neg_lo:[0,1] neg_hi:[0,1]
	v_pk_add_f32 v[44:45], v[20:21], v[26:27]
	v_mov_b32_e32 v25, v45
	v_mov_b32_e32 v23, v20
	v_pk_add_f32 v[46:47], v[22:23], v[24:25] neg_lo:[0,1] neg_hi:[0,1]
	v_pk_add_f32 v[22:23], v[22:23], v[24:25]
	v_mov_b32_e32 v6, v23
	v_pk_add_f32 v[24:25], v[6:7], v[20:21] neg_lo:[0,1] neg_hi:[0,1]
	v_mov_b32_e32 v11, v24
	v_pk_add_f32 v[48:49], v[44:45], v[10:11] neg_lo:[0,1] neg_hi:[0,1]
	v_mov_b32_e32 v22, v45
	v_mov_b32_e32 v44, v21
	;; [unrolled: 1-line block ×4, first 2 shown]
	v_pk_add_f32 v[22:23], v[22:23], v[44:45] neg_lo:[0,1] neg_hi:[0,1]
	v_mov_b32_e32 v24, v27
	v_mov_b32_e32 v25, v20
	v_pk_add_f32 v[20:21], v[24:25], v[22:23] neg_lo:[0,1] neg_hi:[0,1]
	v_mov_b32_e32 v48, v46
	v_pk_add_f32 v[22:23], v[48:49], v[20:21]
	v_mov_b32_e32 v16, v23
	v_pk_add_f32 v[24:25], v[22:23], v[16:17]
	v_pk_add_f32 v[26:27], v[6:7], v[24:25]
	v_mov_b32_e32 v23, v26
	v_pk_add_f32 v[44:45], v[22:23], v[46:47] neg_lo:[0,1] neg_hi:[0,1]
	v_mov_b32_e32 v21, v24
	v_sub_f32_e32 v6, v22, v44
	v_pk_add_f32 v[20:21], v[20:21], v[44:45] neg_lo:[0,1] neg_hi:[0,1]
	v_sub_f32_e32 v6, v46, v6
	v_add_f32_e32 v6, v20, v6
	v_add_f32_e32 v6, v6, v21
	;; [unrolled: 1-line block ×3, first 2 shown]
	v_cmp_eq_f32_e32 vcc, s44, v18
	v_cndmask_b32_e32 v6, v6, v18, vcc
	v_cmp_ngt_f32_e32 vcc, -1.0, v18
	v_cndmask_b32_e32 v6, v36, v6, vcc
	v_cmp_neq_f32_e32 vcc, -1.0, v18
	v_cndmask_b32_e32 v6, v37, v6, vcc
	v_cmp_lt_f32_e64 vcc, |v18|, s45
	v_cndmask_b32_e32 v6, v6, v18, vcc
	v_mul_f32_e32 v19, 0.5, v6
	v_max_f32_e64 v6, |v9|, |v9|
	v_max_f32_e64 v11, |v8|, |v8|
	v_min_f32_e32 v16, v11, v6
	v_max_f32_e32 v6, v11, v6
	v_frexp_mant_f32_e32 v11, v6
	v_rcp_f32_e32 v11, v11
	v_frexp_exp_i32_f32_e32 v6, v6
	v_frexp_exp_i32_f32_e32 v18, v16
	v_frexp_mant_f32_e32 v16, v16
	v_mul_f32_e32 v11, v16, v11
	v_sub_u32_e32 v6, v18, v6
	v_ldexp_f32 v6, v11, v6
	v_mul_f32_e32 v11, v6, v6
	v_mov_b32_e32 v16, 0xbc7a590c
	v_fmac_f32_e32 v16, 0x3b2d2a58, v11
	v_fma_f32 v16, v11, v16, v30
	v_fma_f32 v16, v11, v16, v31
	;; [unrolled: 1-line block ×6, first 2 shown]
	v_mul_f32_e32 v11, v11, v16
	v_fmac_f32_e32 v6, v6, v11
	v_sub_f32_e32 v11, 0x3fc90fdb, v6
	v_cndmask_b32_e64 v6, v6, v11, s[0:1]
	v_sub_f32_e32 v11, 0x40490fdb, v6
	v_cmp_gt_f32_e32 vcc, 0, v8
	v_cmp_gt_i32_e64 s[2:3], 0, v8
	v_cndmask_b32_e32 v6, v6, v11, vcc
	v_cndmask_b32_e64 v11, 0, v38, s[2:3]
	v_cmp_eq_f32_e64 s[2:3], 0, v9
	v_cndmask_b32_e64 v6, v6, v11, s[2:3]
	v_cmp_class_f32_e64 s[2:3], v8, s46
	v_cmp_class_f32_e64 s[30:31], v9, s46
	v_cndmask_b32_e32 v11, v39, v40, vcc
	s_and_b64 vcc, s[2:3], s[30:31]
	v_cndmask_b32_e32 v6, v6, v11, vcc
.LBB193_52:                             ;   in Loop: Header=BB193_5 Depth=1
	s_or_b64 exec, exec, s[28:29]
.LBB193_53:                             ;   in Loop: Header=BB193_5 Depth=1
	s_or_b64 exec, exec, s[26:27]
.LBB193_54:                             ;   in Loop: Header=BB193_5 Depth=1
	s_andn2_saveexec_b64 s[24:25], s[24:25]
	s_cbranch_execz .LBB193_56
; %bb.55:                               ;   in Loop: Header=BB193_5 Depth=1
	v_max_f32_e64 v6, |v9|, |v9|
	v_max_f32_e64 v11, |v8|, |v8|
	v_max_f32_e32 v16, v11, v6
	v_cvt_f64_f32_e32 v[18:19], v16
	v_frexp_exp_i32_f64_e32 v18, v[18:19]
	v_sub_u32_e32 v19, 0, v18
	v_ldexp_f32 v20, |v8|, v19
	v_ldexp_f32 v19, |v9|, v19
	v_mul_f32_e32 v19, v19, v19
	v_fmac_f32_e32 v19, v20, v20
	v_sqrt_f32_e32 v19, v19
	v_cmp_neq_f32_e32 vcc, s44, v16
	v_min_f32_e32 v6, v11, v6
	v_frexp_mant_f32_e32 v11, v16
	v_ldexp_f32 v18, v19, v18
	v_cndmask_b32_e32 v18, v43, v18, vcc
	v_cmp_gt_f32_e32 vcc, s48, v18
	v_cndmask_b32_e32 v19, 1.0, v41, vcc
	v_mul_f32_e32 v18, v18, v19
	v_log_f32_e32 v18, v18
	v_rcp_f32_e32 v11, v11
	v_cndmask_b32_e32 v19, 0, v42, vcc
	v_frexp_exp_i32_f32_e32 v16, v16
	v_mul_f32_e32 v20, 0x3f317217, v18
	v_fma_f32 v21, v18, s49, -v20
	v_fmac_f32_e32 v21, 0x3377d1cf, v18
	v_add_f32_e32 v20, v20, v21
	v_cmp_lt_f32_e64 vcc, |v18|, s44
	v_cndmask_b32_e32 v18, v18, v20, vcc
	v_sub_f32_e32 v19, v18, v19
	v_frexp_exp_i32_f32_e32 v18, v6
	v_frexp_mant_f32_e32 v6, v6
	v_mul_f32_e32 v6, v6, v11
	v_sub_u32_e32 v11, v18, v16
	v_ldexp_f32 v6, v6, v11
	v_mul_f32_e32 v11, v6, v6
	v_mov_b32_e32 v16, 0xbc7a590c
	v_fmac_f32_e32 v16, 0x3b2d2a58, v11
	v_fma_f32 v16, v11, v16, v30
	v_fma_f32 v16, v11, v16, v31
	;; [unrolled: 1-line block ×6, first 2 shown]
	v_mul_f32_e32 v11, v11, v16
	v_fmac_f32_e32 v6, v6, v11
	v_sub_f32_e32 v11, 0x3fc90fdb, v6
	v_cndmask_b32_e64 v6, v6, v11, s[0:1]
	v_sub_f32_e32 v11, 0x40490fdb, v6
	v_cmp_gt_f32_e32 vcc, 0, v8
	v_cmp_gt_i32_e64 s[2:3], 0, v8
	v_cndmask_b32_e32 v6, v6, v11, vcc
	v_cndmask_b32_e64 v11, 0, v38, s[2:3]
	v_cmp_eq_f32_e64 s[2:3], 0, v9
	v_cndmask_b32_e64 v6, v6, v11, s[2:3]
	v_cmp_class_f32_e64 s[2:3], v8, s46
	v_cmp_class_f32_e64 s[26:27], v9, s46
	v_cndmask_b32_e32 v11, v39, v40, vcc
	s_and_b64 vcc, s[2:3], s[26:27]
	v_cndmask_b32_e32 v6, v6, v11, vcc
.LBB193_56:                             ;   in Loop: Header=BB193_5 Depth=1
	s_or_b64 exec, exec, s[24:25]
                                        ; implicit-def: $vgpr20
.LBB193_57:                             ;   in Loop: Header=BB193_5 Depth=1
	s_andn2_saveexec_b64 s[22:23], s[22:23]
	s_cbranch_execz .LBB193_63
; %bb.58:                               ;   in Loop: Header=BB193_5 Depth=1
	v_cmp_ngt_f32_e32 vcc, s50, v20
                                        ; implicit-def: $vgpr19
                                        ; implicit-def: $vgpr6
	s_and_saveexec_b64 s[2:3], vcc
	s_xor_b64 s[24:25], exec, s[2:3]
	s_cbranch_execz .LBB193_60
; %bb.59:                               ;   in Loop: Header=BB193_5 Depth=1
	v_pk_mul_f32 v[18:19], v[20:21], v[20:21]
	v_add_f32_e32 v21, 1.0, v18
	v_add_f32_e32 v19, -1.0, v21
	v_mov_b32_e32 v20, v19
	v_pk_add_f32 v[22:23], v[18:19], v[20:21] neg_lo:[0,1] neg_hi:[0,1]
	v_add_f32_e32 v6, 1.0, v23
	v_add_f32_e32 v6, v22, v6
	v_frexp_mant_f32_e32 v11, v21
	v_cvt_f64_f32_e32 v[22:23], v21
	v_frexp_exp_i32_f64_e32 v16, v[22:23]
	v_cmp_gt_f32_e32 vcc, s42, v11
	v_subbrev_co_u32_e32 v16, vcc, 0, v16, vcc
	v_sub_u32_e32 v11, 0, v16
	v_ldexp_f32 v19, v21, v11
	v_ldexp_f32 v6, v6, v11
	v_add_f32_e32 v11, -1.0, v19
	v_add_f32_e32 v21, 1.0, v19
	v_add_f32_e32 v20, 1.0, v11
	v_add_f32_e32 v22, -1.0, v21
	v_sub_f32_e32 v20, v19, v20
	v_sub_f32_e32 v19, v19, v22
	v_add_f32_e32 v20, v6, v20
	v_add_f32_e32 v6, v6, v19
	;; [unrolled: 1-line block ×3, first 2 shown]
	v_rcp_f32_e32 v44, v19
	v_sub_f32_e32 v21, v21, v19
	v_add_f32_e32 v6, v6, v21
	v_add_f32_e32 v21, v11, v20
	v_mul_f32_e32 v45, v21, v44
	v_mul_f32_e32 v22, v19, v45
	v_fma_f32 v24, v45, v19, -v22
	v_sub_f32_e32 v11, v11, v21
	v_fmac_f32_e32 v24, v45, v6
	v_add_f32_e32 v11, v20, v11
	v_add_f32_e32 v20, v22, v24
	v_sub_f32_e32 v23, v21, v20
	v_pk_add_f32 v[26:27], v[20:21], v[22:23] neg_lo:[0,1] neg_hi:[0,1]
	v_mov_b32_e32 v25, v20
	v_pk_add_f32 v[20:21], v[26:27], v[24:25] neg_lo:[0,1] neg_hi:[0,1]
	v_add_f32_e32 v11, v11, v21
	v_add_f32_e32 v11, v20, v11
	;; [unrolled: 1-line block ×3, first 2 shown]
	v_mul_f32_e32 v46, v44, v21
	v_mul_f32_e32 v22, v19, v46
	v_fma_f32 v24, v46, v19, -v22
	v_fmac_f32_e32 v24, v46, v6
	v_add_f32_e32 v20, v22, v24
	v_sub_f32_e32 v6, v23, v21
	v_sub_f32_e32 v23, v21, v20
	v_pk_add_f32 v[26:27], v[20:21], v[22:23] neg_lo:[0,1] neg_hi:[0,1]
	v_mov_b32_e32 v25, v20
	v_add_f32_e32 v6, v11, v6
	v_pk_add_f32 v[20:21], v[26:27], v[24:25] neg_lo:[0,1] neg_hi:[0,1]
	v_add_f32_e32 v6, v6, v21
	v_add_f32_e32 v6, v20, v6
	;; [unrolled: 1-line block ×4, first 2 shown]
	v_sub_f32_e32 v11, v19, v45
	v_mul_f32_e32 v6, v44, v6
	v_sub_f32_e32 v11, v46, v11
	v_add_f32_e32 v6, v11, v6
	v_add_f32_e32 v21, v19, v6
	v_cvt_f32_i32_e32 v20, v16
	v_mul_f32_e32 v22, v21, v21
	v_mov_b32_e32 v11, 0x3ecc95a3
	v_fmac_f32_e32 v11, 0x3e9b6dac, v22
	v_fma_f32 v11, v22, v11, v29
	v_sub_f32_e32 v16, v21, v19
	v_ldexp_f32 v23, v21, 1
	v_mul_f32_e32 v21, v21, v22
	v_pk_mul_f32 v[24:25], v[20:21], v[10:11]
	v_fma_f32 v22, v20, s43, -v24
	v_fmac_f32_e32 v22, 0xb102e308, v20
	v_pk_add_f32 v[20:21], v[24:25], v[22:23]
	v_sub_f32_e32 v6, v6, v16
	v_sub_f32_e32 v11, v21, v23
	v_ldexp_f32 v6, v6, 1
	v_sub_f32_e32 v11, v25, v11
	v_add_f32_e32 v27, v6, v11
	v_mov_b32_e32 v26, v24
	v_pk_add_f32 v[24:25], v[20:21], v[24:25] neg_lo:[0,1] neg_hi:[0,1]
	v_pk_add_f32 v[44:45], v[20:21], v[26:27]
	v_mov_b32_e32 v25, v45
	v_mov_b32_e32 v23, v20
	v_pk_add_f32 v[46:47], v[22:23], v[24:25] neg_lo:[0,1] neg_hi:[0,1]
	v_pk_add_f32 v[22:23], v[22:23], v[24:25]
	v_mov_b32_e32 v6, v23
	v_pk_add_f32 v[24:25], v[6:7], v[20:21] neg_lo:[0,1] neg_hi:[0,1]
	v_mov_b32_e32 v11, v24
	v_pk_add_f32 v[48:49], v[44:45], v[10:11] neg_lo:[0,1] neg_hi:[0,1]
	v_mov_b32_e32 v22, v45
	v_mov_b32_e32 v44, v21
	;; [unrolled: 1-line block ×4, first 2 shown]
	v_pk_add_f32 v[22:23], v[22:23], v[44:45] neg_lo:[0,1] neg_hi:[0,1]
	v_mov_b32_e32 v24, v27
	v_mov_b32_e32 v25, v20
	v_pk_add_f32 v[20:21], v[24:25], v[22:23] neg_lo:[0,1] neg_hi:[0,1]
	v_mov_b32_e32 v48, v46
	v_pk_add_f32 v[22:23], v[48:49], v[20:21]
	v_mov_b32_e32 v16, v23
	v_pk_add_f32 v[24:25], v[22:23], v[16:17]
	v_pk_add_f32 v[26:27], v[6:7], v[24:25]
	v_mov_b32_e32 v23, v26
	v_pk_add_f32 v[44:45], v[22:23], v[46:47] neg_lo:[0,1] neg_hi:[0,1]
	v_mov_b32_e32 v21, v24
	v_sub_f32_e32 v6, v22, v44
	v_pk_add_f32 v[20:21], v[20:21], v[44:45] neg_lo:[0,1] neg_hi:[0,1]
	v_sub_f32_e32 v6, v46, v6
	v_add_f32_e32 v6, v20, v6
	v_add_f32_e32 v6, v6, v21
	v_cmp_eq_f32_e32 vcc, s44, v18
	v_cmp_lt_f32_e64 s[2:3], |v18|, s45
	v_add_f32_e32 v6, v26, v6
	s_or_b64 vcc, vcc, s[2:3]
	v_cndmask_b32_e32 v6, v6, v18, vcc
	v_mul_f32_e32 v19, 0.5, v6
	v_max_f32_e64 v6, |v9|, |v9|
	v_max_f32_e64 v11, |v8|, |v8|
	v_min_f32_e32 v16, v11, v6
	v_max_f32_e32 v6, v11, v6
	v_frexp_mant_f32_e32 v11, v6
	v_rcp_f32_e32 v11, v11
	v_frexp_exp_i32_f32_e32 v6, v6
	v_frexp_exp_i32_f32_e32 v18, v16
	v_frexp_mant_f32_e32 v16, v16
	v_mul_f32_e32 v11, v16, v11
	v_sub_u32_e32 v6, v18, v6
	v_ldexp_f32 v6, v11, v6
	v_mul_f32_e32 v11, v6, v6
	v_mov_b32_e32 v16, 0xbc7a590c
	v_fmac_f32_e32 v16, 0x3b2d2a58, v11
	v_fma_f32 v16, v11, v16, v30
	v_fma_f32 v16, v11, v16, v31
	;; [unrolled: 1-line block ×6, first 2 shown]
	v_mul_f32_e32 v11, v11, v16
	v_fmac_f32_e32 v6, v6, v11
	v_sub_f32_e32 v11, 0x3fc90fdb, v6
	v_cndmask_b32_e64 v6, v6, v11, s[0:1]
	v_sub_f32_e32 v11, 0x40490fdb, v6
	v_cmp_gt_f32_e32 vcc, 0, v8
	v_cmp_gt_i32_e64 s[2:3], 0, v8
	v_cndmask_b32_e32 v6, v6, v11, vcc
	v_cndmask_b32_e64 v11, 0, v38, s[2:3]
	v_cmp_eq_f32_e64 s[2:3], 0, v9
	v_cndmask_b32_e64 v6, v6, v11, s[2:3]
	v_cmp_class_f32_e64 s[2:3], v8, s46
	v_cmp_class_f32_e64 s[26:27], v9, s46
	v_cndmask_b32_e32 v11, v39, v40, vcc
	s_and_b64 vcc, s[2:3], s[26:27]
	v_cndmask_b32_e32 v6, v6, v11, vcc
                                        ; implicit-def: $vgpr20
.LBB193_60:                             ;   in Loop: Header=BB193_5 Depth=1
	s_andn2_saveexec_b64 s[24:25], s[24:25]
	s_cbranch_execz .LBB193_62
; %bb.61:                               ;   in Loop: Header=BB193_5 Depth=1
	v_mul_f32_e32 v6, 0.5, v20
	v_mul_f32_e32 v19, v20, v6
	v_max_f32_e64 v6, |v9|, |v9|
	v_max_f32_e64 v11, |v8|, |v8|
	v_min_f32_e32 v16, v11, v6
	v_max_f32_e32 v6, v11, v6
	v_frexp_mant_f32_e32 v11, v6
	v_rcp_f32_e32 v11, v11
	v_frexp_exp_i32_f32_e32 v6, v6
	v_frexp_exp_i32_f32_e32 v18, v16
	v_frexp_mant_f32_e32 v16, v16
	v_mul_f32_e32 v11, v16, v11
	v_sub_u32_e32 v6, v18, v6
	v_ldexp_f32 v6, v11, v6
	v_mul_f32_e32 v11, v6, v6
	v_mov_b32_e32 v16, 0xbc7a590c
	v_fmac_f32_e32 v16, 0x3b2d2a58, v11
	v_fma_f32 v16, v11, v16, v30
	v_fma_f32 v16, v11, v16, v31
	;; [unrolled: 1-line block ×6, first 2 shown]
	v_mul_f32_e32 v11, v11, v16
	v_fmac_f32_e32 v6, v6, v11
	v_sub_f32_e32 v11, 0x3fc90fdb, v6
	v_cndmask_b32_e64 v6, v6, v11, s[0:1]
	v_sub_f32_e32 v11, 0x40490fdb, v6
	v_cmp_gt_f32_e32 vcc, 0, v8
	v_cmp_gt_i32_e64 s[2:3], 0, v8
	v_cndmask_b32_e32 v6, v6, v11, vcc
	v_cndmask_b32_e64 v11, 0, v38, s[2:3]
	v_cmp_eq_f32_e64 s[2:3], 0, v9
	v_cndmask_b32_e64 v6, v6, v11, s[2:3]
	v_cmp_class_f32_e64 s[2:3], v8, s46
	v_cmp_class_f32_e64 s[26:27], v9, s46
	v_cndmask_b32_e32 v11, v39, v40, vcc
	s_and_b64 vcc, s[2:3], s[26:27]
	v_cndmask_b32_e32 v6, v6, v11, vcc
.LBB193_62:                             ;   in Loop: Header=BB193_5 Depth=1
	s_or_b64 exec, exec, s[24:25]
.LBB193_63:                             ;   in Loop: Header=BB193_5 Depth=1
	s_or_b64 exec, exec, s[22:23]
.LBB193_64:                             ;   in Loop: Header=BB193_5 Depth=1
	s_andn2_saveexec_b64 s[20:21], s[20:21]
	s_cbranch_execz .LBB193_66
; %bb.65:                               ;   in Loop: Header=BB193_5 Depth=1
	v_div_scale_f32 v6, s[2:3], s51, s51, v8
	v_rcp_f32_e32 v11, v6
	v_div_scale_f32 v16, vcc, v8, s51, v8
	v_fma_f32 v18, -v6, v11, 1.0
	v_fmac_f32_e32 v11, v18, v11
	v_mul_f32_e32 v18, v16, v11
	v_fma_f32 v19, -v6, v18, v16
	v_fmac_f32_e32 v18, v19, v11
	v_fma_f32 v6, -v6, v18, v16
	v_div_scale_f32 v16, s[2:3], s51, s51, v9
	v_rcp_f32_e32 v19, v16
	v_div_fmas_f32 v6, v6, v11, v18
	v_div_fixup_f32 v6, v6, s51, v8
	v_fma_f32 v11, -v16, v19, 1.0
	v_fmac_f32_e32 v19, v11, v19
	v_div_scale_f32 v11, vcc, v9, s51, v9
	v_mul_f32_e32 v18, v11, v19
	v_fma_f32 v20, -v16, v18, v11
	v_fmac_f32_e32 v18, v20, v19
	v_fma_f32 v11, -v16, v18, v11
	v_div_fmas_f32 v11, v11, v19, v18
	v_div_fixup_f32 v11, v11, s51, v9
	v_max_f32_e64 v16, |v6|, |v11|
	v_cvt_f64_f32_e32 v[18:19], v16
	v_frexp_exp_i32_f64_e32 v18, v[18:19]
	v_sub_u32_e32 v19, 0, v18
	v_ldexp_f32 v11, |v11|, v19
	v_ldexp_f32 v6, |v6|, v19
	v_mul_f32_e32 v11, v11, v11
	v_fmac_f32_e32 v11, v6, v6
	v_sqrt_f32_e32 v6, v11
	v_cmp_neq_f32_e32 vcc, s44, v16
	v_ldexp_f32 v6, v6, v18
	v_cndmask_b32_e32 v6, v43, v6, vcc
	v_cmp_gt_f32_e32 vcc, s48, v6
	v_cndmask_b32_e32 v11, 1.0, v41, vcc
	v_mul_f32_e32 v6, v6, v11
	v_log_f32_e32 v6, v6
	v_mul_f32_e32 v11, 0x3f317217, v6
	v_fma_f32 v16, v6, s49, -v11
	v_fmac_f32_e32 v16, 0x3377d1cf, v6
	v_add_f32_e32 v11, v11, v16
	v_cmp_lt_f32_e64 s[2:3], |v6|, s44
	v_cndmask_b32_e64 v6, v6, v11, s[2:3]
	v_cndmask_b32_e32 v11, 0, v42, vcc
	v_sub_f32_e32 v6, v6, v11
	v_add_f32_e32 v19, 1.0, v6
	v_max_f32_e64 v6, |v9|, |v9|
	v_max_f32_e64 v11, |v8|, |v8|
	v_min_f32_e32 v16, v11, v6
	v_max_f32_e32 v6, v11, v6
	v_frexp_mant_f32_e32 v11, v6
	v_rcp_f32_e32 v11, v11
	v_frexp_exp_i32_f32_e32 v6, v6
	v_frexp_exp_i32_f32_e32 v18, v16
	v_frexp_mant_f32_e32 v16, v16
	v_mul_f32_e32 v11, v16, v11
	v_sub_u32_e32 v6, v18, v6
	v_ldexp_f32 v6, v11, v6
	v_mul_f32_e32 v11, v6, v6
	v_mov_b32_e32 v16, 0xbc7a590c
	v_fmac_f32_e32 v16, 0x3b2d2a58, v11
	v_fma_f32 v16, v11, v16, v30
	v_fma_f32 v16, v11, v16, v31
	;; [unrolled: 1-line block ×6, first 2 shown]
	v_mul_f32_e32 v11, v11, v16
	v_fmac_f32_e32 v6, v6, v11
	v_sub_f32_e32 v11, 0x3fc90fdb, v6
	v_cndmask_b32_e64 v6, v6, v11, s[0:1]
	v_sub_f32_e32 v11, 0x40490fdb, v6
	v_cmp_gt_f32_e32 vcc, 0, v8
	v_cmp_gt_i32_e64 s[0:1], 0, v8
	v_cndmask_b32_e32 v6, v6, v11, vcc
	v_cndmask_b32_e64 v11, 0, v38, s[0:1]
	v_cmp_eq_f32_e64 s[0:1], 0, v9
	v_cndmask_b32_e64 v6, v6, v11, s[0:1]
	v_cmp_class_f32_e64 s[0:1], v8, s46
	v_cmp_class_f32_e64 s[2:3], v9, s46
	v_cndmask_b32_e32 v11, v39, v40, vcc
	s_and_b64 vcc, s[0:1], s[2:3]
	v_cndmask_b32_e32 v6, v6, v11, vcc
.LBB193_66:                             ;   in Loop: Header=BB193_5 Depth=1
	s_or_b64 exec, exec, s[20:21]
.LBB193_67:                             ;   in Loop: Header=BB193_5 Depth=1
	s_andn2_saveexec_b64 s[0:1], s[18:19]
	s_cbranch_execz .LBB193_73
; %bb.68:                               ;   in Loop: Header=BB193_5 Depth=1
	v_cmp_nlt_f32_e64 s[2:3], |v8|, s52
	v_cmp_nlt_f32_e64 s[18:19], |v9|, s52
	s_or_b64 s[2:3], s[2:3], s[18:19]
                                        ; implicit-def: $vgpr6
	s_and_saveexec_b64 s[18:19], s[2:3]
	s_xor_b64 s[2:3], exec, s[18:19]
; %bb.69:                               ;   in Loop: Header=BB193_5 Depth=1
	v_pk_mul_f32 v[18:19], v[8:9], v[8:9]
	v_add_f32_e32 v6, v18, v19
; %bb.70:                               ;   in Loop: Header=BB193_5 Depth=1
	s_andn2_saveexec_b64 s[2:3], s[2:3]
; %bb.71:                               ;   in Loop: Header=BB193_5 Depth=1
	v_pk_mul_f32 v[18:19], v[8:9], 4.0 op_sel_hi:[1,0]
	v_pk_mul_f32 v[18:19], v[18:19], v[18:19]
	v_add_f32_e32 v6, v18, v19
	v_mul_f32_e32 v6, 0x3d800000, v6
; %bb.72:                               ;   in Loop: Header=BB193_5 Depth=1
	s_or_b64 exec, exec, s[2:3]
	v_cmp_gt_f32_e32 vcc, s48, v6
	v_cndmask_b32_e32 v8, 1.0, v41, vcc
	v_mul_f32_e32 v6, v6, v8
	v_log_f32_e32 v6, v6
	v_cndmask_b32_e32 v8, 0, v42, vcc
	v_mul_f32_e32 v11, 0x3f317217, v6
	v_fma_f32 v16, v6, s49, -v11
	v_fmac_f32_e32 v16, 0x3377d1cf, v6
	v_add_f32_e32 v11, v11, v16
	v_cmp_lt_f32_e64 vcc, |v6|, s44
	v_cndmask_b32_e32 v6, v6, v11, vcc
	v_sub_f32_e32 v19, v6, v8
	v_mov_b32_e32 v6, 0x7fc00000
.LBB193_73:                             ;   in Loop: Header=BB193_5 Depth=1
	s_or_b64 exec, exec, s[0:1]
	s_waitcnt vmcnt(0)
	v_cmp_o_f32_e32 vcc, v3, v2
                                        ; implicit-def: $vgpr21
                                        ; implicit-def: $vgpr8
	s_and_saveexec_b64 s[0:1], vcc
	s_xor_b64 s[18:19], exec, s[0:1]
	s_cbranch_execz .LBB193_101
; %bb.74:                               ;   in Loop: Header=BB193_5 Depth=1
	v_cmp_lt_f32_e64 s[0:1], |v2|, |v3|
	v_cndmask_b32_e64 v11, v3, v2, s[0:1]
	v_cmp_ngt_f32_e64 s[2:3], |v11|, s36
                                        ; implicit-def: $vgpr21
                                        ; implicit-def: $vgpr8
	s_and_saveexec_b64 s[20:21], s[2:3]
	s_xor_b64 s[20:21], exec, s[20:21]
	s_cbranch_execz .LBB193_98
; %bb.75:                               ;   in Loop: Header=BB193_5 Depth=1
	v_cndmask_b32_e64 v8, v2, v3, s[0:1]
	v_and_b32_e32 v23, 0x7fffffff, v8
	v_and_b32_e32 v22, 0x7fffffff, v11
	v_cmp_neq_f32_e32 vcc, 1.0, v23
                                        ; implicit-def: $vgpr21
                                        ; implicit-def: $vgpr8
	s_and_saveexec_b64 s[2:3], vcc
	s_xor_b64 s[22:23], exec, s[2:3]
	s_cbranch_execz .LBB193_91
; %bb.76:                               ;   in Loop: Header=BB193_5 Depth=1
	v_max_f32_e32 v8, v22, v22
	v_max_f32_e32 v11, v23, v23
	v_min_f32_e32 v16, v11, v8
	v_max_f32_e32 v8, v11, v8
	v_cmp_ngt_f32_e32 vcc, s37, v16
	v_cmp_nlt_f32_e64 s[2:3], s41, v8
	s_and_b64 s[2:3], s[2:3], vcc
                                        ; implicit-def: $vgpr21
                                        ; implicit-def: $vgpr8
	s_and_saveexec_b64 s[24:25], s[2:3]
	s_xor_b64 s[24:25], exec, s[24:25]
	s_cbranch_execz .LBB193_88
; %bb.77:                               ;   in Loop: Header=BB193_5 Depth=1
	v_cmp_le_f32_e32 vcc, 1.0, v23
                                        ; implicit-def: $vgpr21
                                        ; implicit-def: $vgpr8
	s_and_saveexec_b64 s[2:3], vcc
	s_xor_b64 s[26:27], exec, s[2:3]
	s_cbranch_execz .LBB193_79
; %bb.78:                               ;   in Loop: Header=BB193_5 Depth=1
	v_pk_add_f32 v[20:21], v[22:23], s[14:15] op_sel:[1,0]
	v_mov_b32_e32 v8, v21
	v_pk_mul_f32 v[20:21], v[20:21], v[8:9]
	v_pk_fma_f32 v[20:21], v[22:23], v[22:23], v[20:21]
	v_add_f32_e32 v23, 1.0, v20
	v_add_f32_e32 v21, -1.0, v23
	v_mov_b32_e32 v22, v21
	v_pk_add_f32 v[24:25], v[20:21], v[22:23] neg_lo:[0,1] neg_hi:[0,1]
	v_add_f32_e32 v8, 1.0, v25
	v_add_f32_e32 v8, v24, v8
	v_frexp_mant_f32_e32 v11, v23
	v_cvt_f64_f32_e32 v[24:25], v23
	v_frexp_exp_i32_f64_e32 v16, v[24:25]
	v_cmp_gt_f32_e32 vcc, s42, v11
	v_subbrev_co_u32_e32 v16, vcc, 0, v16, vcc
	v_sub_u32_e32 v11, 0, v16
	v_ldexp_f32 v18, v23, v11
	v_ldexp_f32 v8, v8, v11
	v_add_f32_e32 v11, -1.0, v18
	v_add_f32_e32 v22, 1.0, v18
	v_add_f32_e32 v21, 1.0, v11
	v_add_f32_e32 v23, -1.0, v22
	v_sub_f32_e32 v21, v18, v21
	v_sub_f32_e32 v18, v18, v23
	v_add_f32_e32 v21, v8, v21
	v_add_f32_e32 v8, v8, v18
	;; [unrolled: 1-line block ×3, first 2 shown]
	v_rcp_f32_e32 v46, v18
	v_add_f32_e32 v23, v11, v21
	v_sub_f32_e32 v11, v23, v11
	v_sub_f32_e32 v11, v21, v11
	v_mul_f32_e32 v21, v23, v46
	v_sub_f32_e32 v22, v18, v22
	v_mul_f32_e32 v24, v18, v21
	v_sub_f32_e32 v8, v8, v22
	v_fma_f32 v26, v21, v18, -v24
	v_fmac_f32_e32 v26, v21, v8
	v_add_f32_e32 v22, v24, v26
	v_sub_f32_e32 v25, v23, v22
	v_pk_add_f32 v[44:45], v[22:23], v[24:25] neg_lo:[0,1] neg_hi:[0,1]
	v_mov_b32_e32 v27, v22
	v_pk_add_f32 v[22:23], v[44:45], v[26:27] neg_lo:[0,1] neg_hi:[0,1]
	v_add_f32_e32 v11, v11, v23
	v_add_f32_e32 v11, v22, v11
	;; [unrolled: 1-line block ×3, first 2 shown]
	v_mul_f32_e32 v47, v46, v23
	v_mul_f32_e32 v24, v18, v47
	v_fma_f32 v26, v47, v18, -v24
	v_fmac_f32_e32 v26, v47, v8
	v_add_f32_e32 v22, v24, v26
	v_sub_f32_e32 v8, v25, v23
	v_sub_f32_e32 v25, v23, v22
	v_pk_add_f32 v[44:45], v[22:23], v[24:25] neg_lo:[0,1] neg_hi:[0,1]
	v_mov_b32_e32 v27, v22
	v_add_f32_e32 v8, v11, v8
	v_pk_add_f32 v[22:23], v[44:45], v[26:27] neg_lo:[0,1] neg_hi:[0,1]
	v_add_f32_e32 v8, v8, v23
	v_add_f32_e32 v8, v22, v8
	;; [unrolled: 1-line block ×4, first 2 shown]
	v_sub_f32_e32 v11, v18, v21
	v_mul_f32_e32 v8, v46, v8
	v_sub_f32_e32 v11, v47, v11
	v_add_f32_e32 v8, v11, v8
	v_add_f32_e32 v21, v18, v8
	v_cvt_f32_i32_e32 v22, v16
	v_mul_f32_e32 v23, v21, v21
	v_mov_b32_e32 v11, 0x3ecc95a3
	v_fmac_f32_e32 v11, 0x3e9b6dac, v23
	v_fma_f32 v11, v23, v11, v29
	v_mul_f32_e32 v23, v21, v23
	v_pk_mul_f32 v[26:27], v[22:23], v[10:11]
	v_fma_f32 v24, v22, s43, -v26
	v_ldexp_f32 v25, v21, 1
	v_fmac_f32_e32 v24, 0xb102e308, v22
	v_sub_f32_e32 v16, v21, v18
	v_pk_add_f32 v[22:23], v[26:27], v[24:25]
	v_sub_f32_e32 v8, v8, v16
	v_sub_f32_e32 v11, v23, v25
	v_ldexp_f32 v8, v8, 1
	v_sub_f32_e32 v11, v27, v11
	v_add_f32_e32 v45, v8, v11
	v_mov_b32_e32 v44, v26
	v_pk_add_f32 v[26:27], v[22:23], v[26:27] neg_lo:[0,1] neg_hi:[0,1]
	v_pk_add_f32 v[46:47], v[22:23], v[44:45]
	v_mov_b32_e32 v27, v47
	v_mov_b32_e32 v25, v22
	v_pk_add_f32 v[48:49], v[24:25], v[26:27] neg_lo:[0,1] neg_hi:[0,1]
	v_pk_add_f32 v[24:25], v[24:25], v[26:27]
	v_mov_b32_e32 v8, v25
	v_pk_add_f32 v[26:27], v[8:9], v[22:23] neg_lo:[0,1] neg_hi:[0,1]
	v_mov_b32_e32 v11, v26
	v_pk_add_f32 v[50:51], v[46:47], v[10:11] neg_lo:[0,1] neg_hi:[0,1]
	v_mov_b32_e32 v24, v47
	v_mov_b32_e32 v46, v23
	;; [unrolled: 1-line block ×4, first 2 shown]
	v_pk_add_f32 v[24:25], v[24:25], v[46:47] neg_lo:[0,1] neg_hi:[0,1]
	v_mov_b32_e32 v26, v45
	v_mov_b32_e32 v27, v22
	v_pk_add_f32 v[22:23], v[26:27], v[24:25] neg_lo:[0,1] neg_hi:[0,1]
	v_mov_b32_e32 v50, v48
	v_pk_add_f32 v[24:25], v[50:51], v[22:23]
	v_mov_b32_e32 v16, v25
	v_pk_add_f32 v[26:27], v[24:25], v[16:17]
	v_pk_add_f32 v[44:45], v[8:9], v[26:27]
	v_mov_b32_e32 v25, v44
	v_pk_add_f32 v[46:47], v[24:25], v[48:49] neg_lo:[0,1] neg_hi:[0,1]
	v_mov_b32_e32 v23, v26
	v_sub_f32_e32 v8, v24, v46
	v_pk_add_f32 v[22:23], v[22:23], v[46:47] neg_lo:[0,1] neg_hi:[0,1]
	v_sub_f32_e32 v8, v48, v8
	v_add_f32_e32 v8, v22, v8
	v_add_f32_e32 v8, v8, v23
	;; [unrolled: 1-line block ×3, first 2 shown]
	v_cmp_eq_f32_e32 vcc, s44, v20
	v_cndmask_b32_e32 v8, v8, v20, vcc
	v_cmp_ngt_f32_e32 vcc, -1.0, v20
	v_cndmask_b32_e32 v8, v36, v8, vcc
	v_cmp_neq_f32_e32 vcc, -1.0, v20
	v_cndmask_b32_e32 v8, v37, v8, vcc
	v_cmp_lt_f32_e64 vcc, |v20|, s45
	v_cndmask_b32_e32 v8, v8, v20, vcc
	v_mul_f32_e32 v21, 0.5, v8
	v_max_f32_e64 v8, |v3|, |v3|
	v_max_f32_e64 v11, |v2|, |v2|
	v_min_f32_e32 v16, v11, v8
	v_max_f32_e32 v8, v11, v8
	v_frexp_mant_f32_e32 v11, v8
	v_rcp_f32_e32 v11, v11
	v_frexp_exp_i32_f32_e32 v8, v8
	v_frexp_exp_i32_f32_e32 v18, v16
	v_frexp_mant_f32_e32 v16, v16
	v_mul_f32_e32 v11, v16, v11
	v_sub_u32_e32 v8, v18, v8
	v_ldexp_f32 v8, v11, v8
	v_mul_f32_e32 v11, v8, v8
	v_mov_b32_e32 v16, 0xbc7a590c
	v_fmac_f32_e32 v16, 0x3b2d2a58, v11
	v_fma_f32 v16, v11, v16, v30
	v_fma_f32 v16, v11, v16, v31
	;; [unrolled: 1-line block ×6, first 2 shown]
	v_mul_f32_e32 v11, v11, v16
	v_fmac_f32_e32 v8, v8, v11
	v_sub_f32_e32 v11, 0x3fc90fdb, v8
	v_cndmask_b32_e64 v8, v8, v11, s[0:1]
	v_sub_f32_e32 v11, 0x40490fdb, v8
	v_cmp_gt_f32_e32 vcc, 0, v2
	v_cmp_gt_i32_e64 s[2:3], 0, v2
	v_cndmask_b32_e32 v8, v8, v11, vcc
	v_cndmask_b32_e64 v11, 0, v38, s[2:3]
	v_cmp_eq_f32_e64 s[2:3], 0, v3
	v_cndmask_b32_e64 v8, v8, v11, s[2:3]
	v_cmp_class_f32_e64 s[2:3], v2, s46
	v_cmp_class_f32_e64 s[28:29], v3, s46
	v_cndmask_b32_e32 v11, v39, v40, vcc
	s_and_b64 vcc, s[2:3], s[28:29]
	v_cndmask_b32_e32 v8, v8, v11, vcc
                                        ; implicit-def: $vgpr22_vgpr23
.LBB193_79:                             ;   in Loop: Header=BB193_5 Depth=1
	s_andn2_saveexec_b64 s[26:27], s[26:27]
	s_cbranch_execz .LBB193_87
; %bb.80:                               ;   in Loop: Header=BB193_5 Depth=1
	v_pk_mul_f32 v[20:21], v[22:23], v[22:23]
	v_add_f32_e32 v11, v21, v20
	v_cmp_ge_f32_e32 vcc, s47, v11
                                        ; implicit-def: $vgpr21
                                        ; implicit-def: $vgpr8
	s_and_saveexec_b64 s[2:3], vcc
	s_xor_b64 s[28:29], exec, s[2:3]
	s_cbranch_execz .LBB193_82
; %bb.81:                               ;   in Loop: Header=BB193_5 Depth=1
	v_cmp_gt_f32_e32 vcc, s48, v11
	v_cndmask_b32_e32 v8, 1.0, v41, vcc
	v_mul_f32_e32 v8, v11, v8
	v_log_f32_e32 v8, v8
	v_cndmask_b32_e32 v11, 0, v42, vcc
	v_cmp_gt_i32_e64 s[2:3], 0, v2
	v_cmp_class_f32_e64 s[30:31], v3, s46
	v_mul_f32_e32 v16, 0x3f317217, v8
	v_fma_f32 v18, v8, s49, -v16
	v_fmac_f32_e32 v18, 0x3377d1cf, v8
	v_add_f32_e32 v16, v16, v18
	v_cmp_lt_f32_e64 vcc, |v8|, s44
	v_cndmask_b32_e32 v8, v8, v16, vcc
	v_sub_f32_e32 v8, v8, v11
	v_mul_f32_e32 v21, 0.5, v8
	v_max_f32_e64 v8, |v3|, |v3|
	v_max_f32_e64 v11, |v2|, |v2|
	v_min_f32_e32 v16, v11, v8
	v_max_f32_e32 v8, v11, v8
	v_frexp_mant_f32_e32 v11, v8
	v_rcp_f32_e32 v11, v11
	v_frexp_exp_i32_f32_e32 v8, v8
	v_frexp_exp_i32_f32_e32 v18, v16
	v_frexp_mant_f32_e32 v16, v16
	v_mul_f32_e32 v11, v16, v11
	v_sub_u32_e32 v8, v18, v8
	v_ldexp_f32 v8, v11, v8
	v_mul_f32_e32 v11, v8, v8
	v_mov_b32_e32 v16, 0xbc7a590c
	v_fmac_f32_e32 v16, 0x3b2d2a58, v11
	v_fma_f32 v16, v11, v16, v30
	v_fma_f32 v16, v11, v16, v31
	v_fma_f32 v16, v11, v16, v32
	v_fma_f32 v16, v11, v16, v33
	v_fma_f32 v16, v11, v16, v34
	v_fma_f32 v16, v11, v16, v35
	v_mul_f32_e32 v11, v11, v16
	v_fmac_f32_e32 v8, v8, v11
	v_sub_f32_e32 v11, 0x3fc90fdb, v8
	v_cndmask_b32_e64 v8, v8, v11, s[0:1]
	v_sub_f32_e32 v11, 0x40490fdb, v8
	v_cmp_gt_f32_e32 vcc, 0, v2
	v_cndmask_b32_e32 v8, v8, v11, vcc
	v_cndmask_b32_e64 v11, 0, v38, s[2:3]
	v_cmp_eq_f32_e64 s[2:3], 0, v3
	v_cndmask_b32_e64 v8, v8, v11, s[2:3]
	v_cmp_class_f32_e64 s[2:3], v2, s46
	v_cndmask_b32_e32 v11, v39, v40, vcc
	s_and_b64 vcc, s[2:3], s[30:31]
	v_cndmask_b32_e32 v8, v8, v11, vcc
                                        ; implicit-def: $vgpr22_vgpr23
.LBB193_82:                             ;   in Loop: Header=BB193_5 Depth=1
	s_andn2_saveexec_b64 s[28:29], s[28:29]
	s_cbranch_execz .LBB193_86
; %bb.83:                               ;   in Loop: Header=BB193_5 Depth=1
	v_and_b32_e32 v25, 0x7fff0000, v22
	v_and_b32_e32 v24, 0x7fff0000, v23
	v_pk_add_f32 v[20:21], v[22:23], v[24:25] op_sel:[1,0] op_sel_hi:[0,1] neg_lo:[0,1] neg_hi:[0,1]
	v_and_b32_e32 v27, 0xffff0000, v21
	v_and_b32_e32 v26, 0xffff0000, v20
	v_pk_add_f32 v[44:45], v[20:21], v[26:27] neg_lo:[0,1] neg_hi:[0,1]
	v_pk_mul_f32 v[20:21], v[24:25], v[24:25]
	v_add_f32_e32 v16, v24, v24
	v_add_f32_e32 v24, v25, v25
	v_mul_f32_e32 v11, v16, v26
	v_mul_f32_e32 v8, v24, v27
	;; [unrolled: 1-line block ×4, first 2 shown]
	v_add_f32_e32 v24, v26, v26
	v_pk_mul_f32 v[22:23], v[26:27], v[26:27]
	v_mul_f32_e32 v26, v24, v44
	v_add_f32_e32 v24, v27, v27
	v_mul_f32_e32 v27, v24, v45
	v_pk_mul_f32 v[24:25], v[44:45], v[44:45]
	s_mov_b64 s[30:31], 0
.LBB193_84:                             ;   Parent Loop BB193_5 Depth=1
                                        ; =>  This Inner Loop Header: Depth=2
	v_cmp_nlt_f32_e32 vcc, v20, v21
	v_cndmask_b32_e32 v44, v20, v21, vcc
	v_cmp_nlt_f32_e64 s[2:3], v44, v11
	v_cndmask_b32_e64 v45, v44, v11, s[2:3]
	v_cndmask_b32_e32 v20, v21, v20, vcc
	s_and_b64 s[54:55], vcc, s[2:3]
	v_cmp_nlt_f32_e32 vcc, v45, v8
	v_cndmask_b32_e64 v21, v11, v44, s[2:3]
	v_cndmask_b32_e32 v44, v45, v8, vcc
	v_cmp_nlt_f32_e64 s[2:3], v44, v22
	v_cndmask_b32_e32 v11, v8, v45, vcc
	v_cndmask_b32_e64 v45, v44, v22, s[2:3]
	s_and_b64 s[56:57], vcc, s[2:3]
	v_cmp_nlt_f32_e32 vcc, v45, v23
	v_cndmask_b32_e64 v8, v22, v44, s[2:3]
	v_cndmask_b32_e32 v44, v45, v23, vcc
	v_cmp_nlt_f32_e64 s[2:3], v44, v18
	v_cndmask_b32_e32 v22, v23, v45, vcc
	v_cndmask_b32_e64 v45, v44, v18, s[2:3]
	v_cndmask_b32_e64 v23, v18, v44, s[2:3]
	s_and_b64 s[2:3], vcc, s[2:3]
	v_cmp_nlt_f32_e32 vcc, v45, v16
	v_cndmask_b32_e32 v44, v45, v16, vcc
	v_cndmask_b32_e32 v18, v16, v45, vcc
	s_and_b64 s[2:3], s[2:3], vcc
	v_cmp_nlt_f32_e32 vcc, v44, v26
	v_cndmask_b32_e32 v45, v44, v26, vcc
	v_cndmask_b32_e32 v16, v26, v44, vcc
	s_and_b64 s[2:3], s[2:3], vcc
	;; [unrolled: 4-line block ×4, first 2 shown]
	v_cmp_nlt_f32_e32 vcc, v45, v25
	s_and_b64 s[2:3], s[2:3], vcc
	s_and_b64 s[2:3], s[2:3], s[56:57]
	s_and_b64 s[2:3], s[2:3], s[54:55]
	s_and_b64 s[2:3], exec, s[2:3]
	v_cndmask_b32_e32 v24, v25, v45, vcc
	s_or_b64 s[30:31], s[2:3], s[30:31]
	v_cndmask_b32_e32 v25, v45, v25, vcc
	s_andn2_b64 exec, exec, s[30:31]
	s_cbranch_execnz .LBB193_84
; %bb.85:                               ;   in Loop: Header=BB193_5 Depth=1
	s_or_b64 exec, exec, s[30:31]
	v_add_f32_e32 v20, -1.0, v20
	v_add_f32_e32 v20, v20, v21
	v_add_f32_e32 v11, v20, v11
	;; [unrolled: 1-line block ×11, first 2 shown]
	v_add_f32_e32 v23, 1.0, v20
	v_add_f32_e32 v21, -1.0, v23
	v_mov_b32_e32 v22, v21
	v_pk_add_f32 v[24:25], v[20:21], v[22:23] neg_lo:[0,1] neg_hi:[0,1]
	v_add_f32_e32 v8, 1.0, v25
	v_add_f32_e32 v8, v24, v8
	v_frexp_mant_f32_e32 v11, v23
	v_cvt_f64_f32_e32 v[24:25], v23
	v_frexp_exp_i32_f64_e32 v16, v[24:25]
	v_cmp_gt_f32_e32 vcc, s42, v11
	v_subbrev_co_u32_e32 v16, vcc, 0, v16, vcc
	v_sub_u32_e32 v11, 0, v16
	v_ldexp_f32 v18, v23, v11
	v_ldexp_f32 v8, v8, v11
	v_add_f32_e32 v11, -1.0, v18
	v_add_f32_e32 v22, 1.0, v18
	v_add_f32_e32 v21, 1.0, v11
	v_add_f32_e32 v23, -1.0, v22
	v_sub_f32_e32 v21, v18, v21
	v_sub_f32_e32 v18, v18, v23
	v_add_f32_e32 v21, v8, v21
	v_add_f32_e32 v8, v8, v18
	v_add_f32_e32 v18, v22, v8
	v_rcp_f32_e32 v46, v18
	v_add_f32_e32 v23, v11, v21
	v_sub_f32_e32 v11, v23, v11
	v_sub_f32_e32 v11, v21, v11
	v_mul_f32_e32 v21, v23, v46
	v_sub_f32_e32 v22, v18, v22
	v_mul_f32_e32 v24, v18, v21
	v_sub_f32_e32 v8, v8, v22
	v_fma_f32 v26, v21, v18, -v24
	v_fmac_f32_e32 v26, v21, v8
	v_add_f32_e32 v22, v24, v26
	v_sub_f32_e32 v25, v23, v22
	v_pk_add_f32 v[44:45], v[22:23], v[24:25] neg_lo:[0,1] neg_hi:[0,1]
	v_mov_b32_e32 v27, v22
	v_pk_add_f32 v[22:23], v[44:45], v[26:27] neg_lo:[0,1] neg_hi:[0,1]
	v_add_f32_e32 v11, v11, v23
	v_add_f32_e32 v11, v22, v11
	;; [unrolled: 1-line block ×3, first 2 shown]
	v_mul_f32_e32 v47, v46, v23
	v_mul_f32_e32 v24, v18, v47
	v_fma_f32 v26, v47, v18, -v24
	v_fmac_f32_e32 v26, v47, v8
	v_add_f32_e32 v22, v24, v26
	v_sub_f32_e32 v8, v25, v23
	v_sub_f32_e32 v25, v23, v22
	v_pk_add_f32 v[44:45], v[22:23], v[24:25] neg_lo:[0,1] neg_hi:[0,1]
	v_mov_b32_e32 v27, v22
	v_add_f32_e32 v8, v11, v8
	v_pk_add_f32 v[22:23], v[44:45], v[26:27] neg_lo:[0,1] neg_hi:[0,1]
	v_add_f32_e32 v8, v8, v23
	v_add_f32_e32 v8, v22, v8
	;; [unrolled: 1-line block ×4, first 2 shown]
	v_sub_f32_e32 v11, v18, v21
	v_mul_f32_e32 v8, v46, v8
	v_sub_f32_e32 v11, v47, v11
	v_add_f32_e32 v8, v11, v8
	v_add_f32_e32 v21, v18, v8
	v_cvt_f32_i32_e32 v22, v16
	v_mul_f32_e32 v23, v21, v21
	v_mov_b32_e32 v11, 0x3ecc95a3
	v_fmac_f32_e32 v11, 0x3e9b6dac, v23
	v_fma_f32 v11, v23, v11, v29
	v_mul_f32_e32 v23, v21, v23
	v_pk_mul_f32 v[26:27], v[22:23], v[10:11]
	v_fma_f32 v24, v22, s43, -v26
	v_ldexp_f32 v25, v21, 1
	v_fmac_f32_e32 v24, 0xb102e308, v22
	v_sub_f32_e32 v16, v21, v18
	v_pk_add_f32 v[22:23], v[26:27], v[24:25]
	v_sub_f32_e32 v8, v8, v16
	v_sub_f32_e32 v11, v23, v25
	v_ldexp_f32 v8, v8, 1
	v_sub_f32_e32 v11, v27, v11
	v_add_f32_e32 v45, v8, v11
	v_mov_b32_e32 v44, v26
	v_pk_add_f32 v[26:27], v[22:23], v[26:27] neg_lo:[0,1] neg_hi:[0,1]
	v_pk_add_f32 v[46:47], v[22:23], v[44:45]
	v_mov_b32_e32 v27, v47
	v_mov_b32_e32 v25, v22
	v_pk_add_f32 v[48:49], v[24:25], v[26:27] neg_lo:[0,1] neg_hi:[0,1]
	v_pk_add_f32 v[24:25], v[24:25], v[26:27]
	v_mov_b32_e32 v8, v25
	v_pk_add_f32 v[26:27], v[8:9], v[22:23] neg_lo:[0,1] neg_hi:[0,1]
	v_mov_b32_e32 v11, v26
	v_pk_add_f32 v[50:51], v[46:47], v[10:11] neg_lo:[0,1] neg_hi:[0,1]
	v_mov_b32_e32 v24, v47
	v_mov_b32_e32 v46, v23
	;; [unrolled: 1-line block ×4, first 2 shown]
	v_pk_add_f32 v[24:25], v[24:25], v[46:47] neg_lo:[0,1] neg_hi:[0,1]
	v_mov_b32_e32 v26, v45
	v_mov_b32_e32 v27, v22
	v_pk_add_f32 v[22:23], v[26:27], v[24:25] neg_lo:[0,1] neg_hi:[0,1]
	v_mov_b32_e32 v50, v48
	v_pk_add_f32 v[24:25], v[50:51], v[22:23]
	v_mov_b32_e32 v16, v25
	v_pk_add_f32 v[26:27], v[24:25], v[16:17]
	v_pk_add_f32 v[44:45], v[8:9], v[26:27]
	v_mov_b32_e32 v25, v44
	v_pk_add_f32 v[46:47], v[24:25], v[48:49] neg_lo:[0,1] neg_hi:[0,1]
	v_mov_b32_e32 v23, v26
	v_sub_f32_e32 v8, v24, v46
	v_pk_add_f32 v[22:23], v[22:23], v[46:47] neg_lo:[0,1] neg_hi:[0,1]
	v_sub_f32_e32 v8, v48, v8
	v_add_f32_e32 v8, v22, v8
	v_add_f32_e32 v8, v8, v23
	;; [unrolled: 1-line block ×3, first 2 shown]
	v_cmp_eq_f32_e32 vcc, s44, v20
	v_cndmask_b32_e32 v8, v8, v20, vcc
	v_cmp_ngt_f32_e32 vcc, -1.0, v20
	v_cndmask_b32_e32 v8, v36, v8, vcc
	v_cmp_neq_f32_e32 vcc, -1.0, v20
	v_cndmask_b32_e32 v8, v37, v8, vcc
	v_cmp_lt_f32_e64 vcc, |v20|, s45
	v_cndmask_b32_e32 v8, v8, v20, vcc
	v_mul_f32_e32 v21, 0.5, v8
	v_max_f32_e64 v8, |v3|, |v3|
	v_max_f32_e64 v11, |v2|, |v2|
	v_min_f32_e32 v16, v11, v8
	v_max_f32_e32 v8, v11, v8
	v_frexp_mant_f32_e32 v11, v8
	v_rcp_f32_e32 v11, v11
	v_frexp_exp_i32_f32_e32 v8, v8
	v_frexp_exp_i32_f32_e32 v18, v16
	v_frexp_mant_f32_e32 v16, v16
	v_mul_f32_e32 v11, v16, v11
	v_sub_u32_e32 v8, v18, v8
	v_ldexp_f32 v8, v11, v8
	v_mul_f32_e32 v11, v8, v8
	v_mov_b32_e32 v16, 0xbc7a590c
	v_fmac_f32_e32 v16, 0x3b2d2a58, v11
	v_fma_f32 v16, v11, v16, v30
	v_fma_f32 v16, v11, v16, v31
	;; [unrolled: 1-line block ×6, first 2 shown]
	v_mul_f32_e32 v11, v11, v16
	v_fmac_f32_e32 v8, v8, v11
	v_sub_f32_e32 v11, 0x3fc90fdb, v8
	v_cndmask_b32_e64 v8, v8, v11, s[0:1]
	v_sub_f32_e32 v11, 0x40490fdb, v8
	v_cmp_gt_f32_e32 vcc, 0, v2
	v_cmp_gt_i32_e64 s[2:3], 0, v2
	v_cndmask_b32_e32 v8, v8, v11, vcc
	v_cndmask_b32_e64 v11, 0, v38, s[2:3]
	v_cmp_eq_f32_e64 s[2:3], 0, v3
	v_cndmask_b32_e64 v8, v8, v11, s[2:3]
	v_cmp_class_f32_e64 s[2:3], v2, s46
	v_cmp_class_f32_e64 s[30:31], v3, s46
	v_cndmask_b32_e32 v11, v39, v40, vcc
	s_and_b64 vcc, s[2:3], s[30:31]
	v_cndmask_b32_e32 v8, v8, v11, vcc
.LBB193_86:                             ;   in Loop: Header=BB193_5 Depth=1
	s_or_b64 exec, exec, s[28:29]
.LBB193_87:                             ;   in Loop: Header=BB193_5 Depth=1
	s_or_b64 exec, exec, s[26:27]
.LBB193_88:                             ;   in Loop: Header=BB193_5 Depth=1
	s_andn2_saveexec_b64 s[24:25], s[24:25]
	s_cbranch_execz .LBB193_90
; %bb.89:                               ;   in Loop: Header=BB193_5 Depth=1
	v_max_f32_e64 v8, |v3|, |v3|
	v_max_f32_e64 v11, |v2|, |v2|
	v_max_f32_e32 v16, v11, v8
	v_cvt_f64_f32_e32 v[20:21], v16
	v_frexp_exp_i32_f64_e32 v18, v[20:21]
	v_sub_u32_e32 v20, 0, v18
	v_ldexp_f32 v21, |v2|, v20
	v_ldexp_f32 v20, |v3|, v20
	v_mul_f32_e32 v20, v20, v20
	v_fmac_f32_e32 v20, v21, v21
	v_sqrt_f32_e32 v20, v20
	v_cmp_neq_f32_e32 vcc, s44, v16
	v_min_f32_e32 v8, v11, v8
	v_frexp_mant_f32_e32 v11, v16
	v_ldexp_f32 v18, v20, v18
	v_cndmask_b32_e32 v18, v43, v18, vcc
	v_cmp_gt_f32_e32 vcc, s48, v18
	v_cndmask_b32_e32 v20, 1.0, v41, vcc
	v_mul_f32_e32 v18, v18, v20
	v_log_f32_e32 v18, v18
	v_rcp_f32_e32 v11, v11
	v_cndmask_b32_e32 v20, 0, v42, vcc
	v_frexp_exp_i32_f32_e32 v16, v16
	v_mul_f32_e32 v21, 0x3f317217, v18
	v_fma_f32 v22, v18, s49, -v21
	v_fmac_f32_e32 v22, 0x3377d1cf, v18
	v_add_f32_e32 v21, v21, v22
	v_cmp_lt_f32_e64 vcc, |v18|, s44
	v_cndmask_b32_e32 v18, v18, v21, vcc
	v_sub_f32_e32 v21, v18, v20
	v_frexp_exp_i32_f32_e32 v18, v8
	v_frexp_mant_f32_e32 v8, v8
	v_mul_f32_e32 v8, v8, v11
	v_sub_u32_e32 v11, v18, v16
	v_ldexp_f32 v8, v8, v11
	v_mul_f32_e32 v11, v8, v8
	v_mov_b32_e32 v16, 0xbc7a590c
	v_fmac_f32_e32 v16, 0x3b2d2a58, v11
	v_fma_f32 v16, v11, v16, v30
	v_fma_f32 v16, v11, v16, v31
	;; [unrolled: 1-line block ×6, first 2 shown]
	v_mul_f32_e32 v11, v11, v16
	v_fmac_f32_e32 v8, v8, v11
	v_sub_f32_e32 v11, 0x3fc90fdb, v8
	v_cndmask_b32_e64 v8, v8, v11, s[0:1]
	v_sub_f32_e32 v11, 0x40490fdb, v8
	v_cmp_gt_f32_e32 vcc, 0, v2
	v_cmp_gt_i32_e64 s[2:3], 0, v2
	v_cndmask_b32_e32 v8, v8, v11, vcc
	v_cndmask_b32_e64 v11, 0, v38, s[2:3]
	v_cmp_eq_f32_e64 s[2:3], 0, v3
	v_cndmask_b32_e64 v8, v8, v11, s[2:3]
	v_cmp_class_f32_e64 s[2:3], v2, s46
	v_cmp_class_f32_e64 s[26:27], v3, s46
	v_cndmask_b32_e32 v11, v39, v40, vcc
	s_and_b64 vcc, s[2:3], s[26:27]
	v_cndmask_b32_e32 v8, v8, v11, vcc
.LBB193_90:                             ;   in Loop: Header=BB193_5 Depth=1
	s_or_b64 exec, exec, s[24:25]
                                        ; implicit-def: $vgpr22
.LBB193_91:                             ;   in Loop: Header=BB193_5 Depth=1
	s_andn2_saveexec_b64 s[22:23], s[22:23]
	s_cbranch_execz .LBB193_97
; %bb.92:                               ;   in Loop: Header=BB193_5 Depth=1
	v_cmp_ngt_f32_e32 vcc, s50, v22
                                        ; implicit-def: $vgpr21
                                        ; implicit-def: $vgpr8
	s_and_saveexec_b64 s[2:3], vcc
	s_xor_b64 s[24:25], exec, s[2:3]
	s_cbranch_execz .LBB193_94
; %bb.93:                               ;   in Loop: Header=BB193_5 Depth=1
	v_pk_mul_f32 v[20:21], v[22:23], v[22:23]
	v_add_f32_e32 v23, 1.0, v20
	v_add_f32_e32 v21, -1.0, v23
	v_mov_b32_e32 v22, v21
	v_pk_add_f32 v[24:25], v[20:21], v[22:23] neg_lo:[0,1] neg_hi:[0,1]
	v_add_f32_e32 v8, 1.0, v25
	v_add_f32_e32 v8, v24, v8
	v_frexp_mant_f32_e32 v11, v23
	v_cvt_f64_f32_e32 v[24:25], v23
	v_frexp_exp_i32_f64_e32 v16, v[24:25]
	v_cmp_gt_f32_e32 vcc, s42, v11
	v_subbrev_co_u32_e32 v16, vcc, 0, v16, vcc
	v_sub_u32_e32 v11, 0, v16
	v_ldexp_f32 v18, v23, v11
	v_ldexp_f32 v8, v8, v11
	v_add_f32_e32 v11, -1.0, v18
	v_add_f32_e32 v22, 1.0, v18
	v_add_f32_e32 v21, 1.0, v11
	v_add_f32_e32 v23, -1.0, v22
	v_sub_f32_e32 v21, v18, v21
	v_sub_f32_e32 v18, v18, v23
	v_add_f32_e32 v21, v8, v21
	v_add_f32_e32 v8, v8, v18
	v_add_f32_e32 v18, v22, v8
	v_rcp_f32_e32 v46, v18
	v_add_f32_e32 v23, v11, v21
	v_sub_f32_e32 v11, v11, v23
	v_add_f32_e32 v11, v21, v11
	v_mul_f32_e32 v21, v23, v46
	v_sub_f32_e32 v22, v22, v18
	v_mul_f32_e32 v24, v18, v21
	v_add_f32_e32 v8, v8, v22
	v_fma_f32 v26, v21, v18, -v24
	v_fmac_f32_e32 v26, v21, v8
	v_add_f32_e32 v22, v24, v26
	v_sub_f32_e32 v25, v23, v22
	v_pk_add_f32 v[44:45], v[22:23], v[24:25] neg_lo:[0,1] neg_hi:[0,1]
	v_mov_b32_e32 v27, v22
	v_pk_add_f32 v[22:23], v[44:45], v[26:27] neg_lo:[0,1] neg_hi:[0,1]
	v_add_f32_e32 v11, v11, v23
	v_add_f32_e32 v11, v22, v11
	;; [unrolled: 1-line block ×3, first 2 shown]
	v_mul_f32_e32 v47, v46, v23
	v_mul_f32_e32 v24, v18, v47
	v_fma_f32 v26, v47, v18, -v24
	v_fmac_f32_e32 v26, v47, v8
	v_add_f32_e32 v22, v24, v26
	v_sub_f32_e32 v8, v25, v23
	v_sub_f32_e32 v25, v23, v22
	v_pk_add_f32 v[44:45], v[22:23], v[24:25] neg_lo:[0,1] neg_hi:[0,1]
	v_mov_b32_e32 v27, v22
	v_add_f32_e32 v8, v11, v8
	v_pk_add_f32 v[22:23], v[44:45], v[26:27] neg_lo:[0,1] neg_hi:[0,1]
	v_add_f32_e32 v8, v8, v23
	v_add_f32_e32 v8, v22, v8
	;; [unrolled: 1-line block ×4, first 2 shown]
	v_sub_f32_e32 v11, v18, v21
	v_mul_f32_e32 v8, v46, v8
	v_sub_f32_e32 v11, v47, v11
	v_add_f32_e32 v8, v11, v8
	v_add_f32_e32 v21, v18, v8
	v_cvt_f32_i32_e32 v22, v16
	v_mul_f32_e32 v23, v21, v21
	v_mov_b32_e32 v11, 0x3ecc95a3
	v_fmac_f32_e32 v11, 0x3e9b6dac, v23
	v_fma_f32 v11, v23, v11, v29
	v_mul_f32_e32 v23, v21, v23
	v_pk_mul_f32 v[26:27], v[22:23], v[10:11]
	v_fma_f32 v24, v22, s43, -v26
	v_ldexp_f32 v25, v21, 1
	v_fmac_f32_e32 v24, 0xb102e308, v22
	v_sub_f32_e32 v16, v21, v18
	v_pk_add_f32 v[22:23], v[26:27], v[24:25]
	v_sub_f32_e32 v8, v8, v16
	v_sub_f32_e32 v11, v23, v25
	v_ldexp_f32 v8, v8, 1
	v_sub_f32_e32 v11, v27, v11
	v_add_f32_e32 v45, v8, v11
	v_mov_b32_e32 v44, v26
	v_pk_add_f32 v[26:27], v[22:23], v[26:27] neg_lo:[0,1] neg_hi:[0,1]
	v_pk_add_f32 v[46:47], v[22:23], v[44:45]
	v_mov_b32_e32 v27, v47
	v_mov_b32_e32 v25, v22
	v_pk_add_f32 v[48:49], v[24:25], v[26:27] neg_lo:[0,1] neg_hi:[0,1]
	v_pk_add_f32 v[24:25], v[24:25], v[26:27]
	v_mov_b32_e32 v8, v25
	v_pk_add_f32 v[26:27], v[8:9], v[22:23] neg_lo:[0,1] neg_hi:[0,1]
	v_mov_b32_e32 v11, v26
	v_pk_add_f32 v[50:51], v[46:47], v[10:11] neg_lo:[0,1] neg_hi:[0,1]
	v_mov_b32_e32 v24, v47
	v_mov_b32_e32 v46, v23
	v_mov_b32_e32 v47, v26
	v_mov_b32_e32 v49, v25
	v_pk_add_f32 v[24:25], v[24:25], v[46:47] neg_lo:[0,1] neg_hi:[0,1]
	v_mov_b32_e32 v26, v45
	v_mov_b32_e32 v27, v22
	v_pk_add_f32 v[22:23], v[26:27], v[24:25] neg_lo:[0,1] neg_hi:[0,1]
	v_mov_b32_e32 v50, v48
	v_pk_add_f32 v[24:25], v[50:51], v[22:23]
	v_mov_b32_e32 v16, v25
	v_pk_add_f32 v[26:27], v[24:25], v[16:17]
	v_pk_add_f32 v[44:45], v[8:9], v[26:27]
	v_mov_b32_e32 v25, v44
	v_pk_add_f32 v[46:47], v[24:25], v[48:49] neg_lo:[0,1] neg_hi:[0,1]
	v_mov_b32_e32 v23, v26
	v_sub_f32_e32 v8, v24, v46
	v_pk_add_f32 v[22:23], v[22:23], v[46:47] neg_lo:[0,1] neg_hi:[0,1]
	v_sub_f32_e32 v8, v48, v8
	v_add_f32_e32 v8, v22, v8
	v_add_f32_e32 v8, v8, v23
	v_cmp_eq_f32_e32 vcc, s44, v20
	v_cmp_lt_f32_e64 s[2:3], |v20|, s45
	v_add_f32_e32 v8, v44, v8
	s_or_b64 vcc, vcc, s[2:3]
	v_cndmask_b32_e32 v8, v8, v20, vcc
	v_mul_f32_e32 v21, 0.5, v8
	v_max_f32_e64 v8, |v3|, |v3|
	v_max_f32_e64 v11, |v2|, |v2|
	v_min_f32_e32 v16, v11, v8
	v_max_f32_e32 v8, v11, v8
	v_frexp_mant_f32_e32 v11, v8
	v_rcp_f32_e32 v11, v11
	v_frexp_exp_i32_f32_e32 v8, v8
	v_frexp_exp_i32_f32_e32 v18, v16
	v_frexp_mant_f32_e32 v16, v16
	v_mul_f32_e32 v11, v16, v11
	v_sub_u32_e32 v8, v18, v8
	v_ldexp_f32 v8, v11, v8
	v_mul_f32_e32 v11, v8, v8
	v_mov_b32_e32 v16, 0xbc7a590c
	v_fmac_f32_e32 v16, 0x3b2d2a58, v11
	v_fma_f32 v16, v11, v16, v30
	v_fma_f32 v16, v11, v16, v31
	;; [unrolled: 1-line block ×6, first 2 shown]
	v_mul_f32_e32 v11, v11, v16
	v_fmac_f32_e32 v8, v8, v11
	v_sub_f32_e32 v11, 0x3fc90fdb, v8
	v_cndmask_b32_e64 v8, v8, v11, s[0:1]
	v_sub_f32_e32 v11, 0x40490fdb, v8
	v_cmp_gt_f32_e32 vcc, 0, v2
	v_cmp_gt_i32_e64 s[2:3], 0, v2
	v_cndmask_b32_e32 v8, v8, v11, vcc
	v_cndmask_b32_e64 v11, 0, v38, s[2:3]
	v_cmp_eq_f32_e64 s[2:3], 0, v3
	v_cndmask_b32_e64 v8, v8, v11, s[2:3]
	v_cmp_class_f32_e64 s[2:3], v2, s46
	v_cmp_class_f32_e64 s[26:27], v3, s46
	v_cndmask_b32_e32 v11, v39, v40, vcc
	s_and_b64 vcc, s[2:3], s[26:27]
	v_cndmask_b32_e32 v8, v8, v11, vcc
                                        ; implicit-def: $vgpr22
.LBB193_94:                             ;   in Loop: Header=BB193_5 Depth=1
	s_andn2_saveexec_b64 s[24:25], s[24:25]
	s_cbranch_execz .LBB193_96
; %bb.95:                               ;   in Loop: Header=BB193_5 Depth=1
	v_mul_f32_e32 v8, 0.5, v22
	v_mul_f32_e32 v21, v22, v8
	v_max_f32_e64 v8, |v3|, |v3|
	v_max_f32_e64 v11, |v2|, |v2|
	v_min_f32_e32 v16, v11, v8
	v_max_f32_e32 v8, v11, v8
	v_frexp_mant_f32_e32 v11, v8
	v_rcp_f32_e32 v11, v11
	v_frexp_exp_i32_f32_e32 v8, v8
	v_frexp_exp_i32_f32_e32 v18, v16
	v_frexp_mant_f32_e32 v16, v16
	v_mul_f32_e32 v11, v16, v11
	v_sub_u32_e32 v8, v18, v8
	v_ldexp_f32 v8, v11, v8
	v_mul_f32_e32 v11, v8, v8
	v_mov_b32_e32 v16, 0xbc7a590c
	v_fmac_f32_e32 v16, 0x3b2d2a58, v11
	v_fma_f32 v16, v11, v16, v30
	v_fma_f32 v16, v11, v16, v31
	;; [unrolled: 1-line block ×6, first 2 shown]
	v_mul_f32_e32 v11, v11, v16
	v_fmac_f32_e32 v8, v8, v11
	v_sub_f32_e32 v11, 0x3fc90fdb, v8
	v_cndmask_b32_e64 v8, v8, v11, s[0:1]
	v_sub_f32_e32 v11, 0x40490fdb, v8
	v_cmp_gt_f32_e32 vcc, 0, v2
	v_cmp_gt_i32_e64 s[2:3], 0, v2
	v_cndmask_b32_e32 v8, v8, v11, vcc
	v_cndmask_b32_e64 v11, 0, v38, s[2:3]
	v_cmp_eq_f32_e64 s[2:3], 0, v3
	v_cndmask_b32_e64 v8, v8, v11, s[2:3]
	v_cmp_class_f32_e64 s[2:3], v2, s46
	v_cmp_class_f32_e64 s[26:27], v3, s46
	v_cndmask_b32_e32 v11, v39, v40, vcc
	s_and_b64 vcc, s[2:3], s[26:27]
	v_cndmask_b32_e32 v8, v8, v11, vcc
.LBB193_96:                             ;   in Loop: Header=BB193_5 Depth=1
	s_or_b64 exec, exec, s[24:25]
.LBB193_97:                             ;   in Loop: Header=BB193_5 Depth=1
	s_or_b64 exec, exec, s[22:23]
.LBB193_98:                             ;   in Loop: Header=BB193_5 Depth=1
	s_andn2_saveexec_b64 s[20:21], s[20:21]
	s_cbranch_execz .LBB193_100
; %bb.99:                               ;   in Loop: Header=BB193_5 Depth=1
	v_div_scale_f32 v8, s[2:3], s51, s51, v2
	v_rcp_f32_e32 v11, v8
	v_div_scale_f32 v16, vcc, v2, s51, v2
	v_fma_f32 v18, -v8, v11, 1.0
	v_fmac_f32_e32 v11, v18, v11
	v_mul_f32_e32 v18, v16, v11
	v_fma_f32 v20, -v8, v18, v16
	v_fmac_f32_e32 v18, v20, v11
	v_fma_f32 v8, -v8, v18, v16
	v_div_scale_f32 v16, s[2:3], s51, s51, v3
	v_rcp_f32_e32 v20, v16
	v_div_fmas_f32 v8, v8, v11, v18
	v_div_fixup_f32 v8, v8, s51, v2
	v_fma_f32 v11, -v16, v20, 1.0
	v_fmac_f32_e32 v20, v11, v20
	v_div_scale_f32 v11, vcc, v3, s51, v3
	v_mul_f32_e32 v18, v11, v20
	v_fma_f32 v21, -v16, v18, v11
	v_fmac_f32_e32 v18, v21, v20
	v_fma_f32 v11, -v16, v18, v11
	v_div_fmas_f32 v11, v11, v20, v18
	v_div_fixup_f32 v11, v11, s51, v3
	v_max_f32_e64 v16, |v8|, |v11|
	v_cvt_f64_f32_e32 v[20:21], v16
	v_frexp_exp_i32_f64_e32 v18, v[20:21]
	v_sub_u32_e32 v20, 0, v18
	v_ldexp_f32 v11, |v11|, v20
	v_ldexp_f32 v8, |v8|, v20
	v_mul_f32_e32 v11, v11, v11
	v_fmac_f32_e32 v11, v8, v8
	v_sqrt_f32_e32 v8, v11
	v_cmp_neq_f32_e32 vcc, s44, v16
	v_ldexp_f32 v8, v8, v18
	v_cndmask_b32_e32 v8, v43, v8, vcc
	v_cmp_gt_f32_e32 vcc, s48, v8
	v_cndmask_b32_e32 v11, 1.0, v41, vcc
	v_mul_f32_e32 v8, v8, v11
	v_log_f32_e32 v8, v8
	v_mul_f32_e32 v11, 0x3f317217, v8
	v_fma_f32 v16, v8, s49, -v11
	v_fmac_f32_e32 v16, 0x3377d1cf, v8
	v_add_f32_e32 v11, v11, v16
	v_cmp_lt_f32_e64 s[2:3], |v8|, s44
	v_cndmask_b32_e64 v8, v8, v11, s[2:3]
	v_cndmask_b32_e32 v11, 0, v42, vcc
	v_sub_f32_e32 v8, v8, v11
	v_add_f32_e32 v21, 1.0, v8
	v_max_f32_e64 v8, |v3|, |v3|
	v_max_f32_e64 v11, |v2|, |v2|
	v_min_f32_e32 v16, v11, v8
	v_max_f32_e32 v8, v11, v8
	v_frexp_mant_f32_e32 v11, v8
	v_rcp_f32_e32 v11, v11
	v_frexp_exp_i32_f32_e32 v8, v8
	v_frexp_exp_i32_f32_e32 v18, v16
	v_frexp_mant_f32_e32 v16, v16
	v_mul_f32_e32 v11, v16, v11
	v_sub_u32_e32 v8, v18, v8
	v_ldexp_f32 v8, v11, v8
	v_mul_f32_e32 v11, v8, v8
	v_mov_b32_e32 v16, 0xbc7a590c
	v_fmac_f32_e32 v16, 0x3b2d2a58, v11
	v_fma_f32 v16, v11, v16, v30
	v_fma_f32 v16, v11, v16, v31
	;; [unrolled: 1-line block ×6, first 2 shown]
	v_mul_f32_e32 v11, v11, v16
	v_fmac_f32_e32 v8, v8, v11
	v_sub_f32_e32 v11, 0x3fc90fdb, v8
	v_cndmask_b32_e64 v8, v8, v11, s[0:1]
	v_sub_f32_e32 v11, 0x40490fdb, v8
	v_cmp_gt_f32_e32 vcc, 0, v2
	v_cmp_gt_i32_e64 s[0:1], 0, v2
	v_cndmask_b32_e32 v8, v8, v11, vcc
	v_cndmask_b32_e64 v11, 0, v38, s[0:1]
	v_cmp_eq_f32_e64 s[0:1], 0, v3
	v_cndmask_b32_e64 v8, v8, v11, s[0:1]
	v_cmp_class_f32_e64 s[0:1], v2, s46
	v_cmp_class_f32_e64 s[2:3], v3, s46
	v_cndmask_b32_e32 v11, v39, v40, vcc
	s_and_b64 vcc, s[0:1], s[2:3]
	v_cndmask_b32_e32 v8, v8, v11, vcc
.LBB193_100:                            ;   in Loop: Header=BB193_5 Depth=1
	s_or_b64 exec, exec, s[20:21]
.LBB193_101:                            ;   in Loop: Header=BB193_5 Depth=1
	s_andn2_saveexec_b64 s[0:1], s[18:19]
	s_cbranch_execz .LBB193_107
; %bb.102:                              ;   in Loop: Header=BB193_5 Depth=1
	v_cmp_nlt_f32_e64 s[2:3], |v2|, s52
	v_cmp_nlt_f32_e64 s[18:19], |v3|, s52
	s_or_b64 s[2:3], s[2:3], s[18:19]
                                        ; implicit-def: $vgpr8
	s_and_saveexec_b64 s[18:19], s[2:3]
	s_xor_b64 s[2:3], exec, s[18:19]
; %bb.103:                              ;   in Loop: Header=BB193_5 Depth=1
	v_pk_mul_f32 v[20:21], v[2:3], v[2:3]
	v_add_f32_e32 v8, v20, v21
; %bb.104:                              ;   in Loop: Header=BB193_5 Depth=1
	s_andn2_saveexec_b64 s[2:3], s[2:3]
; %bb.105:                              ;   in Loop: Header=BB193_5 Depth=1
	v_pk_mul_f32 v[20:21], v[2:3], 4.0 op_sel_hi:[1,0]
	v_pk_mul_f32 v[20:21], v[20:21], v[20:21]
	v_add_f32_e32 v2, v20, v21
	v_mul_f32_e32 v8, 0x3d800000, v2
; %bb.106:                              ;   in Loop: Header=BB193_5 Depth=1
	s_or_b64 exec, exec, s[2:3]
	v_cmp_gt_f32_e32 vcc, s48, v8
	v_cndmask_b32_e32 v2, 1.0, v41, vcc
	v_mul_f32_e32 v2, v8, v2
	v_log_f32_e32 v2, v2
	v_cndmask_b32_e32 v8, 0, v42, vcc
	v_mul_f32_e32 v11, 0x3f317217, v2
	v_fma_f32 v16, v2, s49, -v11
	v_fmac_f32_e32 v16, 0x3377d1cf, v2
	v_add_f32_e32 v11, v11, v16
	v_cmp_lt_f32_e64 vcc, |v2|, s44
	v_cndmask_b32_e32 v2, v2, v11, vcc
	v_sub_f32_e32 v21, v2, v8
	v_mov_b32_e32 v8, 0x7fc00000
.LBB193_107:                            ;   in Loop: Header=BB193_5 Depth=1
	s_or_b64 exec, exec, s[0:1]
	v_cmp_o_f32_e32 vcc, v5, v4
                                        ; implicit-def: $vgpr23
                                        ; implicit-def: $vgpr2
	s_and_saveexec_b64 s[0:1], vcc
	s_xor_b64 s[18:19], exec, s[0:1]
	s_cbranch_execz .LBB193_135
; %bb.108:                              ;   in Loop: Header=BB193_5 Depth=1
	v_cmp_lt_f32_e64 s[0:1], |v4|, |v5|
	v_cndmask_b32_e64 v11, v5, v4, s[0:1]
	v_cmp_ngt_f32_e64 s[2:3], |v11|, s36
                                        ; implicit-def: $vgpr23
                                        ; implicit-def: $vgpr2
	s_and_saveexec_b64 s[20:21], s[2:3]
	s_xor_b64 s[20:21], exec, s[20:21]
	s_cbranch_execz .LBB193_132
; %bb.109:                              ;   in Loop: Header=BB193_5 Depth=1
	v_cndmask_b32_e64 v2, v4, v5, s[0:1]
	v_and_b32_e32 v25, 0x7fffffff, v2
	v_and_b32_e32 v24, 0x7fffffff, v11
	v_cmp_neq_f32_e32 vcc, 1.0, v25
                                        ; implicit-def: $vgpr23
                                        ; implicit-def: $vgpr2
	s_and_saveexec_b64 s[2:3], vcc
	s_xor_b64 s[22:23], exec, s[2:3]
	s_cbranch_execz .LBB193_125
; %bb.110:                              ;   in Loop: Header=BB193_5 Depth=1
	v_max_f32_e32 v2, v24, v24
	v_max_f32_e32 v11, v25, v25
	v_min_f32_e32 v16, v11, v2
	v_max_f32_e32 v2, v11, v2
	v_cmp_ngt_f32_e32 vcc, s37, v16
	v_cmp_nlt_f32_e64 s[2:3], s41, v2
	s_and_b64 s[2:3], s[2:3], vcc
                                        ; implicit-def: $vgpr23
                                        ; implicit-def: $vgpr2
	s_and_saveexec_b64 s[24:25], s[2:3]
	s_xor_b64 s[24:25], exec, s[24:25]
	s_cbranch_execz .LBB193_122
; %bb.111:                              ;   in Loop: Header=BB193_5 Depth=1
	v_cmp_le_f32_e32 vcc, 1.0, v25
                                        ; implicit-def: $vgpr23
                                        ; implicit-def: $vgpr2
	s_and_saveexec_b64 s[2:3], vcc
	s_xor_b64 s[26:27], exec, s[2:3]
	s_cbranch_execz .LBB193_113
; %bb.112:                              ;   in Loop: Header=BB193_5 Depth=1
	v_pk_add_f32 v[22:23], v[24:25], s[14:15] op_sel:[1,0]
	v_mov_b32_e32 v2, v23
	v_pk_mul_f32 v[22:23], v[22:23], v[2:3]
	v_pk_fma_f32 v[22:23], v[24:25], v[24:25], v[22:23]
	v_add_f32_e32 v25, 1.0, v22
	v_add_f32_e32 v23, -1.0, v25
	v_mov_b32_e32 v24, v23
	v_pk_add_f32 v[26:27], v[22:23], v[24:25] neg_lo:[0,1] neg_hi:[0,1]
	v_add_f32_e32 v2, 1.0, v27
	v_add_f32_e32 v2, v26, v2
	v_frexp_mant_f32_e32 v11, v25
	v_cvt_f64_f32_e32 v[26:27], v25
	v_frexp_exp_i32_f64_e32 v16, v[26:27]
	v_cmp_gt_f32_e32 vcc, s42, v11
	v_subbrev_co_u32_e32 v16, vcc, 0, v16, vcc
	v_sub_u32_e32 v11, 0, v16
	v_ldexp_f32 v18, v25, v11
	v_ldexp_f32 v2, v2, v11
	v_add_f32_e32 v11, -1.0, v18
	v_add_f32_e32 v23, 1.0, v18
	v_add_f32_e32 v20, 1.0, v11
	v_add_f32_e32 v24, -1.0, v23
	v_sub_f32_e32 v20, v18, v20
	v_sub_f32_e32 v18, v18, v24
	v_add_f32_e32 v20, v2, v20
	v_add_f32_e32 v2, v2, v18
	;; [unrolled: 1-line block ×3, first 2 shown]
	v_sub_f32_e32 v23, v18, v23
	v_sub_f32_e32 v2, v2, v23
	v_rcp_f32_e32 v23, v18
	v_add_f32_e32 v25, v11, v20
	v_sub_f32_e32 v11, v25, v11
	v_sub_f32_e32 v11, v20, v11
	v_mul_f32_e32 v20, v25, v23
	v_mul_f32_e32 v26, v18, v20
	v_fma_f32 v44, v20, v18, -v26
	v_fmac_f32_e32 v44, v20, v2
	v_add_f32_e32 v24, v26, v44
	v_sub_f32_e32 v27, v25, v24
	v_pk_add_f32 v[46:47], v[24:25], v[26:27] neg_lo:[0,1] neg_hi:[0,1]
	v_mov_b32_e32 v45, v24
	v_pk_add_f32 v[24:25], v[46:47], v[44:45] neg_lo:[0,1] neg_hi:[0,1]
	v_add_f32_e32 v11, v11, v25
	v_add_f32_e32 v11, v24, v11
	;; [unrolled: 1-line block ×3, first 2 shown]
	v_mul_f32_e32 v48, v23, v25
	v_mul_f32_e32 v26, v18, v48
	v_fma_f32 v44, v48, v18, -v26
	v_fmac_f32_e32 v44, v48, v2
	v_add_f32_e32 v24, v26, v44
	v_sub_f32_e32 v2, v27, v25
	v_sub_f32_e32 v27, v25, v24
	v_pk_add_f32 v[46:47], v[24:25], v[26:27] neg_lo:[0,1] neg_hi:[0,1]
	v_mov_b32_e32 v45, v24
	v_add_f32_e32 v2, v11, v2
	v_pk_add_f32 v[24:25], v[46:47], v[44:45] neg_lo:[0,1] neg_hi:[0,1]
	v_add_f32_e32 v2, v2, v25
	v_add_f32_e32 v2, v24, v2
	;; [unrolled: 1-line block ×4, first 2 shown]
	v_sub_f32_e32 v11, v18, v20
	v_mul_f32_e32 v2, v23, v2
	v_sub_f32_e32 v11, v48, v11
	v_add_f32_e32 v2, v11, v2
	v_add_f32_e32 v20, v18, v2
	v_cvt_f32_i32_e32 v24, v16
	v_mul_f32_e32 v23, v20, v20
	v_mov_b32_e32 v11, 0x3ecc95a3
	v_fmac_f32_e32 v11, 0x3e9b6dac, v23
	v_fma_f32 v11, v23, v11, v29
	v_mul_f32_e32 v25, v20, v23
	v_pk_mul_f32 v[44:45], v[24:25], v[10:11]
	v_fma_f32 v26, v24, s43, -v44
	v_ldexp_f32 v27, v20, 1
	v_fmac_f32_e32 v26, 0xb102e308, v24
	v_sub_f32_e32 v16, v20, v18
	v_pk_add_f32 v[24:25], v[44:45], v[26:27]
	v_sub_f32_e32 v2, v2, v16
	v_sub_f32_e32 v11, v25, v27
	v_ldexp_f32 v2, v2, 1
	v_sub_f32_e32 v11, v45, v11
	v_add_f32_e32 v47, v2, v11
	v_mov_b32_e32 v46, v44
	v_pk_add_f32 v[44:45], v[24:25], v[44:45] neg_lo:[0,1] neg_hi:[0,1]
	v_pk_add_f32 v[48:49], v[24:25], v[46:47]
	v_mov_b32_e32 v45, v49
	v_mov_b32_e32 v27, v24
	v_pk_add_f32 v[50:51], v[26:27], v[44:45] neg_lo:[0,1] neg_hi:[0,1]
	v_pk_add_f32 v[26:27], v[26:27], v[44:45]
	v_mov_b32_e32 v2, v27
	v_pk_add_f32 v[44:45], v[2:3], v[24:25] neg_lo:[0,1] neg_hi:[0,1]
	v_mov_b32_e32 v11, v44
	v_pk_add_f32 v[52:53], v[48:49], v[10:11] neg_lo:[0,1] neg_hi:[0,1]
	v_mov_b32_e32 v26, v49
	v_mov_b32_e32 v48, v25
	;; [unrolled: 1-line block ×4, first 2 shown]
	v_pk_add_f32 v[26:27], v[26:27], v[48:49] neg_lo:[0,1] neg_hi:[0,1]
	v_mov_b32_e32 v44, v47
	v_mov_b32_e32 v45, v24
	v_pk_add_f32 v[24:25], v[44:45], v[26:27] neg_lo:[0,1] neg_hi:[0,1]
	v_mov_b32_e32 v52, v50
	v_pk_add_f32 v[26:27], v[52:53], v[24:25]
	v_mov_b32_e32 v16, v27
	v_pk_add_f32 v[44:45], v[26:27], v[16:17]
	v_pk_add_f32 v[46:47], v[2:3], v[44:45]
	v_mov_b32_e32 v27, v46
	v_pk_add_f32 v[48:49], v[26:27], v[50:51] neg_lo:[0,1] neg_hi:[0,1]
	v_mov_b32_e32 v25, v44
	v_sub_f32_e32 v2, v26, v48
	v_pk_add_f32 v[24:25], v[24:25], v[48:49] neg_lo:[0,1] neg_hi:[0,1]
	v_sub_f32_e32 v2, v50, v2
	v_add_f32_e32 v2, v24, v2
	v_add_f32_e32 v2, v2, v25
	;; [unrolled: 1-line block ×3, first 2 shown]
	v_cmp_eq_f32_e32 vcc, s44, v22
	v_cndmask_b32_e32 v2, v2, v22, vcc
	v_cmp_ngt_f32_e32 vcc, -1.0, v22
	v_cndmask_b32_e32 v2, v36, v2, vcc
	v_cmp_neq_f32_e32 vcc, -1.0, v22
	v_cndmask_b32_e32 v2, v37, v2, vcc
	v_cmp_lt_f32_e64 vcc, |v22|, s45
	v_cndmask_b32_e32 v2, v2, v22, vcc
	v_mul_f32_e32 v23, 0.5, v2
	v_max_f32_e64 v2, |v5|, |v5|
	v_max_f32_e64 v11, |v4|, |v4|
	v_min_f32_e32 v16, v11, v2
	v_max_f32_e32 v2, v11, v2
	v_frexp_mant_f32_e32 v11, v2
	v_rcp_f32_e32 v11, v11
	v_frexp_exp_i32_f32_e32 v2, v2
	v_frexp_exp_i32_f32_e32 v18, v16
	v_frexp_mant_f32_e32 v16, v16
	v_mul_f32_e32 v11, v16, v11
	v_sub_u32_e32 v2, v18, v2
	v_ldexp_f32 v2, v11, v2
	v_mul_f32_e32 v11, v2, v2
	v_mov_b32_e32 v16, 0xbc7a590c
	v_fmac_f32_e32 v16, 0x3b2d2a58, v11
	v_fma_f32 v16, v11, v16, v30
	v_fma_f32 v16, v11, v16, v31
	;; [unrolled: 1-line block ×6, first 2 shown]
	v_mul_f32_e32 v11, v11, v16
	v_fmac_f32_e32 v2, v2, v11
	v_sub_f32_e32 v11, 0x3fc90fdb, v2
	v_cndmask_b32_e64 v2, v2, v11, s[0:1]
	v_sub_f32_e32 v11, 0x40490fdb, v2
	v_cmp_gt_f32_e32 vcc, 0, v4
	v_cmp_gt_i32_e64 s[2:3], 0, v4
	v_cndmask_b32_e32 v2, v2, v11, vcc
	v_cndmask_b32_e64 v11, 0, v38, s[2:3]
	v_cmp_eq_f32_e64 s[2:3], 0, v5
	v_cndmask_b32_e64 v2, v2, v11, s[2:3]
	v_cmp_class_f32_e64 s[2:3], v4, s46
	v_cmp_class_f32_e64 s[28:29], v5, s46
	v_cndmask_b32_e32 v11, v39, v40, vcc
	s_and_b64 vcc, s[2:3], s[28:29]
	v_cndmask_b32_e32 v2, v2, v11, vcc
                                        ; implicit-def: $vgpr24_vgpr25
.LBB193_113:                            ;   in Loop: Header=BB193_5 Depth=1
	s_andn2_saveexec_b64 s[26:27], s[26:27]
	s_cbranch_execz .LBB193_121
; %bb.114:                              ;   in Loop: Header=BB193_5 Depth=1
	v_pk_mul_f32 v[22:23], v[24:25], v[24:25]
	v_add_f32_e32 v11, v23, v22
	v_cmp_ge_f32_e32 vcc, s47, v11
                                        ; implicit-def: $vgpr23
                                        ; implicit-def: $vgpr2
	s_and_saveexec_b64 s[2:3], vcc
	s_xor_b64 s[28:29], exec, s[2:3]
	s_cbranch_execz .LBB193_116
; %bb.115:                              ;   in Loop: Header=BB193_5 Depth=1
	v_cmp_gt_f32_e32 vcc, s48, v11
	v_cndmask_b32_e32 v2, 1.0, v41, vcc
	v_mul_f32_e32 v2, v11, v2
	v_log_f32_e32 v2, v2
	v_cndmask_b32_e32 v11, 0, v42, vcc
	v_cmp_gt_i32_e64 s[2:3], 0, v4
	v_cmp_class_f32_e64 s[30:31], v5, s46
	v_mul_f32_e32 v16, 0x3f317217, v2
	v_fma_f32 v18, v2, s49, -v16
	v_fmac_f32_e32 v18, 0x3377d1cf, v2
	v_add_f32_e32 v16, v16, v18
	v_cmp_lt_f32_e64 vcc, |v2|, s44
	v_cndmask_b32_e32 v2, v2, v16, vcc
	v_sub_f32_e32 v2, v2, v11
	v_mul_f32_e32 v23, 0.5, v2
	v_max_f32_e64 v2, |v5|, |v5|
	v_max_f32_e64 v11, |v4|, |v4|
	v_min_f32_e32 v16, v11, v2
	v_max_f32_e32 v2, v11, v2
	v_frexp_mant_f32_e32 v11, v2
	v_rcp_f32_e32 v11, v11
	v_frexp_exp_i32_f32_e32 v2, v2
	v_frexp_exp_i32_f32_e32 v18, v16
	v_frexp_mant_f32_e32 v16, v16
	v_mul_f32_e32 v11, v16, v11
	v_sub_u32_e32 v2, v18, v2
	v_ldexp_f32 v2, v11, v2
	v_mul_f32_e32 v11, v2, v2
	v_mov_b32_e32 v16, 0xbc7a590c
	v_fmac_f32_e32 v16, 0x3b2d2a58, v11
	v_fma_f32 v16, v11, v16, v30
	v_fma_f32 v16, v11, v16, v31
	;; [unrolled: 1-line block ×6, first 2 shown]
	v_mul_f32_e32 v11, v11, v16
	v_fmac_f32_e32 v2, v2, v11
	v_sub_f32_e32 v11, 0x3fc90fdb, v2
	v_cndmask_b32_e64 v2, v2, v11, s[0:1]
	v_sub_f32_e32 v11, 0x40490fdb, v2
	v_cmp_gt_f32_e32 vcc, 0, v4
	v_cndmask_b32_e32 v2, v2, v11, vcc
	v_cndmask_b32_e64 v11, 0, v38, s[2:3]
	v_cmp_eq_f32_e64 s[2:3], 0, v5
	v_cndmask_b32_e64 v2, v2, v11, s[2:3]
	v_cmp_class_f32_e64 s[2:3], v4, s46
	v_cndmask_b32_e32 v11, v39, v40, vcc
	s_and_b64 vcc, s[2:3], s[30:31]
	v_cndmask_b32_e32 v2, v2, v11, vcc
                                        ; implicit-def: $vgpr24_vgpr25
.LBB193_116:                            ;   in Loop: Header=BB193_5 Depth=1
	s_andn2_saveexec_b64 s[28:29], s[28:29]
	s_cbranch_execz .LBB193_120
; %bb.117:                              ;   in Loop: Header=BB193_5 Depth=1
	v_and_b32_e32 v27, 0x7fff0000, v24
	v_and_b32_e32 v26, 0x7fff0000, v25
	v_pk_add_f32 v[22:23], v[24:25], v[26:27] op_sel:[1,0] op_sel_hi:[0,1] neg_lo:[0,1] neg_hi:[0,1]
	v_and_b32_e32 v45, 0xffff0000, v23
	v_and_b32_e32 v44, 0xffff0000, v22
	v_pk_add_f32 v[46:47], v[22:23], v[44:45] neg_lo:[0,1] neg_hi:[0,1]
	v_add_f32_e32 v16, v26, v26
	v_add_f32_e32 v20, v27, v27
	v_pk_mul_f32 v[22:23], v[26:27], v[26:27]
	v_mul_f32_e32 v11, v16, v44
	v_mul_f32_e32 v2, v20, v45
	;; [unrolled: 1-line block ×4, first 2 shown]
	v_add_f32_e32 v20, v44, v44
	v_add_f32_e32 v26, v45, v45
	v_pk_mul_f32 v[24:25], v[44:45], v[44:45]
	v_mul_f32_e32 v20, v20, v46
	v_mul_f32_e32 v44, v26, v47
	v_pk_mul_f32 v[26:27], v[46:47], v[46:47]
	s_mov_b64 s[30:31], 0
.LBB193_118:                            ;   Parent Loop BB193_5 Depth=1
                                        ; =>  This Inner Loop Header: Depth=2
	v_cmp_nlt_f32_e32 vcc, v22, v23
	v_cndmask_b32_e32 v45, v22, v23, vcc
	v_cmp_nlt_f32_e64 s[2:3], v45, v11
	v_cndmask_b32_e64 v46, v45, v11, s[2:3]
	v_cndmask_b32_e32 v22, v23, v22, vcc
	s_and_b64 s[54:55], vcc, s[2:3]
	v_cmp_nlt_f32_e32 vcc, v46, v2
	v_cndmask_b32_e64 v23, v11, v45, s[2:3]
	v_cndmask_b32_e32 v45, v46, v2, vcc
	v_cmp_nlt_f32_e64 s[2:3], v45, v24
	v_cndmask_b32_e32 v11, v2, v46, vcc
	v_cndmask_b32_e64 v46, v45, v24, s[2:3]
	s_and_b64 s[56:57], vcc, s[2:3]
	v_cmp_nlt_f32_e32 vcc, v46, v25
	v_cndmask_b32_e64 v2, v24, v45, s[2:3]
	v_cndmask_b32_e32 v45, v46, v25, vcc
	v_cmp_nlt_f32_e64 s[2:3], v45, v18
	v_cndmask_b32_e32 v24, v25, v46, vcc
	v_cndmask_b32_e64 v46, v45, v18, s[2:3]
	v_cndmask_b32_e64 v25, v18, v45, s[2:3]
	s_and_b64 s[2:3], vcc, s[2:3]
	v_cmp_nlt_f32_e32 vcc, v46, v16
	v_cndmask_b32_e32 v45, v46, v16, vcc
	v_cndmask_b32_e32 v18, v16, v46, vcc
	s_and_b64 s[2:3], s[2:3], vcc
	v_cmp_nlt_f32_e32 vcc, v45, v20
	v_cndmask_b32_e32 v46, v45, v20, vcc
	v_cndmask_b32_e32 v16, v20, v45, vcc
	s_and_b64 s[2:3], s[2:3], vcc
	;; [unrolled: 4-line block ×4, first 2 shown]
	v_cmp_nlt_f32_e32 vcc, v46, v27
	s_and_b64 s[2:3], s[2:3], vcc
	s_and_b64 s[2:3], s[2:3], s[56:57]
	s_and_b64 s[2:3], s[2:3], s[54:55]
	s_and_b64 s[2:3], exec, s[2:3]
	v_cndmask_b32_e32 v26, v27, v46, vcc
	s_or_b64 s[30:31], s[2:3], s[30:31]
	v_cndmask_b32_e32 v27, v46, v27, vcc
	s_andn2_b64 exec, exec, s[30:31]
	s_cbranch_execnz .LBB193_118
; %bb.119:                              ;   in Loop: Header=BB193_5 Depth=1
	s_or_b64 exec, exec, s[30:31]
	v_add_f32_e32 v22, -1.0, v22
	v_add_f32_e32 v22, v22, v23
	v_add_f32_e32 v11, v22, v11
	;; [unrolled: 1-line block ×11, first 2 shown]
	v_add_f32_e32 v25, 1.0, v22
	v_add_f32_e32 v23, -1.0, v25
	v_mov_b32_e32 v24, v23
	v_pk_add_f32 v[26:27], v[22:23], v[24:25] neg_lo:[0,1] neg_hi:[0,1]
	v_add_f32_e32 v2, 1.0, v27
	v_add_f32_e32 v2, v26, v2
	v_frexp_mant_f32_e32 v11, v25
	v_cvt_f64_f32_e32 v[26:27], v25
	v_frexp_exp_i32_f64_e32 v16, v[26:27]
	v_cmp_gt_f32_e32 vcc, s42, v11
	v_subbrev_co_u32_e32 v16, vcc, 0, v16, vcc
	v_sub_u32_e32 v11, 0, v16
	v_ldexp_f32 v18, v25, v11
	v_ldexp_f32 v2, v2, v11
	v_add_f32_e32 v11, -1.0, v18
	v_add_f32_e32 v23, 1.0, v18
	v_add_f32_e32 v20, 1.0, v11
	v_add_f32_e32 v24, -1.0, v23
	v_sub_f32_e32 v20, v18, v20
	v_sub_f32_e32 v18, v18, v24
	v_add_f32_e32 v20, v2, v20
	v_add_f32_e32 v2, v2, v18
	;; [unrolled: 1-line block ×3, first 2 shown]
	v_sub_f32_e32 v23, v18, v23
	v_sub_f32_e32 v2, v2, v23
	v_rcp_f32_e32 v23, v18
	v_add_f32_e32 v25, v11, v20
	v_sub_f32_e32 v11, v25, v11
	v_sub_f32_e32 v11, v20, v11
	v_mul_f32_e32 v20, v25, v23
	v_mul_f32_e32 v26, v18, v20
	v_fma_f32 v44, v20, v18, -v26
	v_fmac_f32_e32 v44, v20, v2
	v_add_f32_e32 v24, v26, v44
	v_sub_f32_e32 v27, v25, v24
	v_pk_add_f32 v[46:47], v[24:25], v[26:27] neg_lo:[0,1] neg_hi:[0,1]
	v_mov_b32_e32 v45, v24
	v_pk_add_f32 v[24:25], v[46:47], v[44:45] neg_lo:[0,1] neg_hi:[0,1]
	v_add_f32_e32 v11, v11, v25
	v_add_f32_e32 v11, v24, v11
	v_add_f32_e32 v25, v27, v11
	v_mul_f32_e32 v48, v23, v25
	v_mul_f32_e32 v26, v18, v48
	v_fma_f32 v44, v48, v18, -v26
	v_fmac_f32_e32 v44, v48, v2
	v_add_f32_e32 v24, v26, v44
	v_sub_f32_e32 v2, v27, v25
	v_sub_f32_e32 v27, v25, v24
	v_pk_add_f32 v[46:47], v[24:25], v[26:27] neg_lo:[0,1] neg_hi:[0,1]
	v_mov_b32_e32 v45, v24
	v_add_f32_e32 v2, v11, v2
	v_pk_add_f32 v[24:25], v[46:47], v[44:45] neg_lo:[0,1] neg_hi:[0,1]
	v_add_f32_e32 v2, v2, v25
	v_add_f32_e32 v2, v24, v2
	;; [unrolled: 1-line block ×4, first 2 shown]
	v_sub_f32_e32 v11, v18, v20
	v_mul_f32_e32 v2, v23, v2
	v_sub_f32_e32 v11, v48, v11
	v_add_f32_e32 v2, v11, v2
	v_add_f32_e32 v20, v18, v2
	v_cvt_f32_i32_e32 v24, v16
	v_mul_f32_e32 v23, v20, v20
	v_mov_b32_e32 v11, 0x3ecc95a3
	v_fmac_f32_e32 v11, 0x3e9b6dac, v23
	v_fma_f32 v11, v23, v11, v29
	v_mul_f32_e32 v25, v20, v23
	v_pk_mul_f32 v[44:45], v[24:25], v[10:11]
	v_fma_f32 v26, v24, s43, -v44
	v_ldexp_f32 v27, v20, 1
	v_fmac_f32_e32 v26, 0xb102e308, v24
	v_sub_f32_e32 v16, v20, v18
	v_pk_add_f32 v[24:25], v[44:45], v[26:27]
	v_sub_f32_e32 v2, v2, v16
	v_sub_f32_e32 v11, v25, v27
	v_ldexp_f32 v2, v2, 1
	v_sub_f32_e32 v11, v45, v11
	v_add_f32_e32 v47, v2, v11
	v_mov_b32_e32 v46, v44
	v_pk_add_f32 v[44:45], v[24:25], v[44:45] neg_lo:[0,1] neg_hi:[0,1]
	v_pk_add_f32 v[48:49], v[24:25], v[46:47]
	v_mov_b32_e32 v45, v49
	v_mov_b32_e32 v27, v24
	v_pk_add_f32 v[50:51], v[26:27], v[44:45] neg_lo:[0,1] neg_hi:[0,1]
	v_pk_add_f32 v[26:27], v[26:27], v[44:45]
	v_mov_b32_e32 v2, v27
	v_pk_add_f32 v[44:45], v[2:3], v[24:25] neg_lo:[0,1] neg_hi:[0,1]
	v_mov_b32_e32 v11, v44
	v_pk_add_f32 v[52:53], v[48:49], v[10:11] neg_lo:[0,1] neg_hi:[0,1]
	v_mov_b32_e32 v26, v49
	v_mov_b32_e32 v48, v25
	;; [unrolled: 1-line block ×4, first 2 shown]
	v_pk_add_f32 v[26:27], v[26:27], v[48:49] neg_lo:[0,1] neg_hi:[0,1]
	v_mov_b32_e32 v44, v47
	v_mov_b32_e32 v45, v24
	v_pk_add_f32 v[24:25], v[44:45], v[26:27] neg_lo:[0,1] neg_hi:[0,1]
	v_mov_b32_e32 v52, v50
	v_pk_add_f32 v[26:27], v[52:53], v[24:25]
	v_mov_b32_e32 v16, v27
	v_pk_add_f32 v[44:45], v[26:27], v[16:17]
	v_pk_add_f32 v[46:47], v[2:3], v[44:45]
	v_mov_b32_e32 v27, v46
	v_pk_add_f32 v[48:49], v[26:27], v[50:51] neg_lo:[0,1] neg_hi:[0,1]
	v_mov_b32_e32 v25, v44
	v_sub_f32_e32 v2, v26, v48
	v_pk_add_f32 v[24:25], v[24:25], v[48:49] neg_lo:[0,1] neg_hi:[0,1]
	v_sub_f32_e32 v2, v50, v2
	v_add_f32_e32 v2, v24, v2
	v_add_f32_e32 v2, v2, v25
	;; [unrolled: 1-line block ×3, first 2 shown]
	v_cmp_eq_f32_e32 vcc, s44, v22
	v_cndmask_b32_e32 v2, v2, v22, vcc
	v_cmp_ngt_f32_e32 vcc, -1.0, v22
	v_cndmask_b32_e32 v2, v36, v2, vcc
	v_cmp_neq_f32_e32 vcc, -1.0, v22
	v_cndmask_b32_e32 v2, v37, v2, vcc
	v_cmp_lt_f32_e64 vcc, |v22|, s45
	v_cndmask_b32_e32 v2, v2, v22, vcc
	v_mul_f32_e32 v23, 0.5, v2
	v_max_f32_e64 v2, |v5|, |v5|
	v_max_f32_e64 v11, |v4|, |v4|
	v_min_f32_e32 v16, v11, v2
	v_max_f32_e32 v2, v11, v2
	v_frexp_mant_f32_e32 v11, v2
	v_rcp_f32_e32 v11, v11
	v_frexp_exp_i32_f32_e32 v2, v2
	v_frexp_exp_i32_f32_e32 v18, v16
	v_frexp_mant_f32_e32 v16, v16
	v_mul_f32_e32 v11, v16, v11
	v_sub_u32_e32 v2, v18, v2
	v_ldexp_f32 v2, v11, v2
	v_mul_f32_e32 v11, v2, v2
	v_mov_b32_e32 v16, 0xbc7a590c
	v_fmac_f32_e32 v16, 0x3b2d2a58, v11
	v_fma_f32 v16, v11, v16, v30
	v_fma_f32 v16, v11, v16, v31
	;; [unrolled: 1-line block ×6, first 2 shown]
	v_mul_f32_e32 v11, v11, v16
	v_fmac_f32_e32 v2, v2, v11
	v_sub_f32_e32 v11, 0x3fc90fdb, v2
	v_cndmask_b32_e64 v2, v2, v11, s[0:1]
	v_sub_f32_e32 v11, 0x40490fdb, v2
	v_cmp_gt_f32_e32 vcc, 0, v4
	v_cmp_gt_i32_e64 s[2:3], 0, v4
	v_cndmask_b32_e32 v2, v2, v11, vcc
	v_cndmask_b32_e64 v11, 0, v38, s[2:3]
	v_cmp_eq_f32_e64 s[2:3], 0, v5
	v_cndmask_b32_e64 v2, v2, v11, s[2:3]
	v_cmp_class_f32_e64 s[2:3], v4, s46
	v_cmp_class_f32_e64 s[30:31], v5, s46
	v_cndmask_b32_e32 v11, v39, v40, vcc
	s_and_b64 vcc, s[2:3], s[30:31]
	v_cndmask_b32_e32 v2, v2, v11, vcc
.LBB193_120:                            ;   in Loop: Header=BB193_5 Depth=1
	s_or_b64 exec, exec, s[28:29]
.LBB193_121:                            ;   in Loop: Header=BB193_5 Depth=1
	s_or_b64 exec, exec, s[26:27]
.LBB193_122:                            ;   in Loop: Header=BB193_5 Depth=1
	s_andn2_saveexec_b64 s[24:25], s[24:25]
	s_cbranch_execz .LBB193_124
; %bb.123:                              ;   in Loop: Header=BB193_5 Depth=1
	v_max_f32_e64 v2, |v5|, |v5|
	v_max_f32_e64 v11, |v4|, |v4|
	v_max_f32_e32 v16, v11, v2
	v_cvt_f64_f32_e32 v[22:23], v16
	v_frexp_exp_i32_f64_e32 v18, v[22:23]
	v_sub_u32_e32 v20, 0, v18
	v_ldexp_f32 v22, |v4|, v20
	v_ldexp_f32 v20, |v5|, v20
	v_mul_f32_e32 v20, v20, v20
	v_fmac_f32_e32 v20, v22, v22
	v_sqrt_f32_e32 v20, v20
	v_cmp_neq_f32_e32 vcc, s44, v16
	v_min_f32_e32 v2, v11, v2
	v_frexp_mant_f32_e32 v11, v16
	v_ldexp_f32 v18, v20, v18
	v_cndmask_b32_e32 v18, v43, v18, vcc
	v_cmp_gt_f32_e32 vcc, s48, v18
	v_cndmask_b32_e32 v20, 1.0, v41, vcc
	v_mul_f32_e32 v18, v18, v20
	v_log_f32_e32 v18, v18
	v_rcp_f32_e32 v11, v11
	v_cndmask_b32_e32 v20, 0, v42, vcc
	v_frexp_exp_i32_f32_e32 v16, v16
	v_mul_f32_e32 v22, 0x3f317217, v18
	v_fma_f32 v23, v18, s49, -v22
	v_fmac_f32_e32 v23, 0x3377d1cf, v18
	v_add_f32_e32 v22, v22, v23
	v_cmp_lt_f32_e64 vcc, |v18|, s44
	v_cndmask_b32_e32 v18, v18, v22, vcc
	v_sub_f32_e32 v23, v18, v20
	v_frexp_exp_i32_f32_e32 v18, v2
	v_frexp_mant_f32_e32 v2, v2
	v_mul_f32_e32 v2, v2, v11
	v_sub_u32_e32 v11, v18, v16
	v_ldexp_f32 v2, v2, v11
	v_mul_f32_e32 v11, v2, v2
	v_mov_b32_e32 v16, 0xbc7a590c
	v_fmac_f32_e32 v16, 0x3b2d2a58, v11
	v_fma_f32 v16, v11, v16, v30
	v_fma_f32 v16, v11, v16, v31
	v_fma_f32 v16, v11, v16, v32
	v_fma_f32 v16, v11, v16, v33
	v_fma_f32 v16, v11, v16, v34
	v_fma_f32 v16, v11, v16, v35
	v_mul_f32_e32 v11, v11, v16
	v_fmac_f32_e32 v2, v2, v11
	v_sub_f32_e32 v11, 0x3fc90fdb, v2
	v_cndmask_b32_e64 v2, v2, v11, s[0:1]
	v_sub_f32_e32 v11, 0x40490fdb, v2
	v_cmp_gt_f32_e32 vcc, 0, v4
	v_cmp_gt_i32_e64 s[2:3], 0, v4
	v_cndmask_b32_e32 v2, v2, v11, vcc
	v_cndmask_b32_e64 v11, 0, v38, s[2:3]
	v_cmp_eq_f32_e64 s[2:3], 0, v5
	v_cndmask_b32_e64 v2, v2, v11, s[2:3]
	v_cmp_class_f32_e64 s[2:3], v4, s46
	v_cmp_class_f32_e64 s[26:27], v5, s46
	v_cndmask_b32_e32 v11, v39, v40, vcc
	s_and_b64 vcc, s[2:3], s[26:27]
	v_cndmask_b32_e32 v2, v2, v11, vcc
.LBB193_124:                            ;   in Loop: Header=BB193_5 Depth=1
	s_or_b64 exec, exec, s[24:25]
                                        ; implicit-def: $vgpr24
.LBB193_125:                            ;   in Loop: Header=BB193_5 Depth=1
	s_andn2_saveexec_b64 s[22:23], s[22:23]
	s_cbranch_execz .LBB193_131
; %bb.126:                              ;   in Loop: Header=BB193_5 Depth=1
	v_cmp_ngt_f32_e32 vcc, s50, v24
                                        ; implicit-def: $vgpr23
                                        ; implicit-def: $vgpr2
	s_and_saveexec_b64 s[2:3], vcc
	s_xor_b64 s[24:25], exec, s[2:3]
	s_cbranch_execz .LBB193_128
; %bb.127:                              ;   in Loop: Header=BB193_5 Depth=1
	v_pk_mul_f32 v[22:23], v[24:25], v[24:25]
	v_add_f32_e32 v25, 1.0, v22
	v_add_f32_e32 v23, -1.0, v25
	v_mov_b32_e32 v24, v23
	v_pk_add_f32 v[26:27], v[22:23], v[24:25] neg_lo:[0,1] neg_hi:[0,1]
	v_add_f32_e32 v2, 1.0, v27
	v_add_f32_e32 v2, v26, v2
	v_frexp_mant_f32_e32 v11, v25
	v_cvt_f64_f32_e32 v[26:27], v25
	v_frexp_exp_i32_f64_e32 v16, v[26:27]
	v_cmp_gt_f32_e32 vcc, s42, v11
	v_subbrev_co_u32_e32 v16, vcc, 0, v16, vcc
	v_sub_u32_e32 v11, 0, v16
	v_ldexp_f32 v18, v25, v11
	v_ldexp_f32 v2, v2, v11
	v_add_f32_e32 v11, -1.0, v18
	v_add_f32_e32 v23, 1.0, v18
	v_add_f32_e32 v20, 1.0, v11
	v_add_f32_e32 v24, -1.0, v23
	v_sub_f32_e32 v20, v18, v20
	v_sub_f32_e32 v18, v18, v24
	v_add_f32_e32 v20, v2, v20
	v_add_f32_e32 v2, v2, v18
	;; [unrolled: 1-line block ×3, first 2 shown]
	v_sub_f32_e32 v23, v23, v18
	v_add_f32_e32 v2, v2, v23
	v_rcp_f32_e32 v23, v18
	v_add_f32_e32 v25, v11, v20
	v_sub_f32_e32 v11, v11, v25
	v_add_f32_e32 v11, v20, v11
	v_mul_f32_e32 v20, v25, v23
	v_mul_f32_e32 v26, v18, v20
	v_fma_f32 v44, v20, v18, -v26
	v_fmac_f32_e32 v44, v20, v2
	v_add_f32_e32 v24, v26, v44
	v_sub_f32_e32 v27, v25, v24
	v_pk_add_f32 v[46:47], v[24:25], v[26:27] neg_lo:[0,1] neg_hi:[0,1]
	v_mov_b32_e32 v45, v24
	v_pk_add_f32 v[24:25], v[46:47], v[44:45] neg_lo:[0,1] neg_hi:[0,1]
	v_add_f32_e32 v11, v11, v25
	v_add_f32_e32 v11, v24, v11
	;; [unrolled: 1-line block ×3, first 2 shown]
	v_mul_f32_e32 v48, v23, v25
	v_mul_f32_e32 v26, v18, v48
	v_fma_f32 v44, v48, v18, -v26
	v_fmac_f32_e32 v44, v48, v2
	v_add_f32_e32 v24, v26, v44
	v_sub_f32_e32 v2, v27, v25
	v_sub_f32_e32 v27, v25, v24
	v_pk_add_f32 v[46:47], v[24:25], v[26:27] neg_lo:[0,1] neg_hi:[0,1]
	v_mov_b32_e32 v45, v24
	v_add_f32_e32 v2, v11, v2
	v_pk_add_f32 v[24:25], v[46:47], v[44:45] neg_lo:[0,1] neg_hi:[0,1]
	v_add_f32_e32 v2, v2, v25
	v_add_f32_e32 v2, v24, v2
	;; [unrolled: 1-line block ×4, first 2 shown]
	v_sub_f32_e32 v11, v18, v20
	v_mul_f32_e32 v2, v23, v2
	v_sub_f32_e32 v11, v48, v11
	v_add_f32_e32 v2, v11, v2
	v_add_f32_e32 v20, v18, v2
	v_cvt_f32_i32_e32 v24, v16
	v_mul_f32_e32 v23, v20, v20
	v_mov_b32_e32 v11, 0x3ecc95a3
	v_fmac_f32_e32 v11, 0x3e9b6dac, v23
	v_fma_f32 v11, v23, v11, v29
	v_mul_f32_e32 v25, v20, v23
	v_pk_mul_f32 v[44:45], v[24:25], v[10:11]
	v_fma_f32 v26, v24, s43, -v44
	v_ldexp_f32 v27, v20, 1
	v_fmac_f32_e32 v26, 0xb102e308, v24
	v_sub_f32_e32 v16, v20, v18
	v_pk_add_f32 v[24:25], v[44:45], v[26:27]
	v_sub_f32_e32 v2, v2, v16
	v_sub_f32_e32 v11, v25, v27
	v_ldexp_f32 v2, v2, 1
	v_sub_f32_e32 v11, v45, v11
	v_add_f32_e32 v47, v2, v11
	v_mov_b32_e32 v46, v44
	v_pk_add_f32 v[44:45], v[24:25], v[44:45] neg_lo:[0,1] neg_hi:[0,1]
	v_pk_add_f32 v[48:49], v[24:25], v[46:47]
	v_mov_b32_e32 v45, v49
	v_mov_b32_e32 v27, v24
	v_pk_add_f32 v[50:51], v[26:27], v[44:45] neg_lo:[0,1] neg_hi:[0,1]
	v_pk_add_f32 v[26:27], v[26:27], v[44:45]
	v_mov_b32_e32 v2, v27
	v_pk_add_f32 v[44:45], v[2:3], v[24:25] neg_lo:[0,1] neg_hi:[0,1]
	v_mov_b32_e32 v11, v44
	v_pk_add_f32 v[52:53], v[48:49], v[10:11] neg_lo:[0,1] neg_hi:[0,1]
	v_mov_b32_e32 v26, v49
	v_mov_b32_e32 v48, v25
	;; [unrolled: 1-line block ×4, first 2 shown]
	v_pk_add_f32 v[26:27], v[26:27], v[48:49] neg_lo:[0,1] neg_hi:[0,1]
	v_mov_b32_e32 v44, v47
	v_mov_b32_e32 v45, v24
	v_pk_add_f32 v[24:25], v[44:45], v[26:27] neg_lo:[0,1] neg_hi:[0,1]
	v_mov_b32_e32 v52, v50
	v_pk_add_f32 v[26:27], v[52:53], v[24:25]
	v_mov_b32_e32 v16, v27
	v_pk_add_f32 v[44:45], v[26:27], v[16:17]
	v_pk_add_f32 v[46:47], v[2:3], v[44:45]
	v_mov_b32_e32 v27, v46
	v_pk_add_f32 v[48:49], v[26:27], v[50:51] neg_lo:[0,1] neg_hi:[0,1]
	v_mov_b32_e32 v25, v44
	v_sub_f32_e32 v2, v26, v48
	v_pk_add_f32 v[24:25], v[24:25], v[48:49] neg_lo:[0,1] neg_hi:[0,1]
	v_sub_f32_e32 v2, v50, v2
	v_add_f32_e32 v2, v24, v2
	v_add_f32_e32 v2, v2, v25
	v_cmp_eq_f32_e32 vcc, s44, v22
	v_cmp_lt_f32_e64 s[2:3], |v22|, s45
	v_add_f32_e32 v2, v46, v2
	s_or_b64 vcc, vcc, s[2:3]
	v_cndmask_b32_e32 v2, v2, v22, vcc
	v_mul_f32_e32 v23, 0.5, v2
	v_max_f32_e64 v2, |v5|, |v5|
	v_max_f32_e64 v11, |v4|, |v4|
	v_min_f32_e32 v16, v11, v2
	v_max_f32_e32 v2, v11, v2
	v_frexp_mant_f32_e32 v11, v2
	v_rcp_f32_e32 v11, v11
	v_frexp_exp_i32_f32_e32 v2, v2
	v_frexp_exp_i32_f32_e32 v18, v16
	v_frexp_mant_f32_e32 v16, v16
	v_mul_f32_e32 v11, v16, v11
	v_sub_u32_e32 v2, v18, v2
	v_ldexp_f32 v2, v11, v2
	v_mul_f32_e32 v11, v2, v2
	v_mov_b32_e32 v16, 0xbc7a590c
	v_fmac_f32_e32 v16, 0x3b2d2a58, v11
	v_fma_f32 v16, v11, v16, v30
	v_fma_f32 v16, v11, v16, v31
	;; [unrolled: 1-line block ×6, first 2 shown]
	v_mul_f32_e32 v11, v11, v16
	v_fmac_f32_e32 v2, v2, v11
	v_sub_f32_e32 v11, 0x3fc90fdb, v2
	v_cndmask_b32_e64 v2, v2, v11, s[0:1]
	v_sub_f32_e32 v11, 0x40490fdb, v2
	v_cmp_gt_f32_e32 vcc, 0, v4
	v_cmp_gt_i32_e64 s[2:3], 0, v4
	v_cndmask_b32_e32 v2, v2, v11, vcc
	v_cndmask_b32_e64 v11, 0, v38, s[2:3]
	v_cmp_eq_f32_e64 s[2:3], 0, v5
	v_cndmask_b32_e64 v2, v2, v11, s[2:3]
	v_cmp_class_f32_e64 s[2:3], v4, s46
	v_cmp_class_f32_e64 s[26:27], v5, s46
	v_cndmask_b32_e32 v11, v39, v40, vcc
	s_and_b64 vcc, s[2:3], s[26:27]
	v_cndmask_b32_e32 v2, v2, v11, vcc
                                        ; implicit-def: $vgpr24
.LBB193_128:                            ;   in Loop: Header=BB193_5 Depth=1
	s_andn2_saveexec_b64 s[24:25], s[24:25]
	s_cbranch_execz .LBB193_130
; %bb.129:                              ;   in Loop: Header=BB193_5 Depth=1
	v_mul_f32_e32 v2, 0.5, v24
	v_mul_f32_e32 v23, v24, v2
	v_max_f32_e64 v2, |v5|, |v5|
	v_max_f32_e64 v11, |v4|, |v4|
	v_min_f32_e32 v16, v11, v2
	v_max_f32_e32 v2, v11, v2
	v_frexp_mant_f32_e32 v11, v2
	v_rcp_f32_e32 v11, v11
	v_frexp_exp_i32_f32_e32 v2, v2
	v_frexp_exp_i32_f32_e32 v18, v16
	v_frexp_mant_f32_e32 v16, v16
	v_mul_f32_e32 v11, v16, v11
	v_sub_u32_e32 v2, v18, v2
	v_ldexp_f32 v2, v11, v2
	v_mul_f32_e32 v11, v2, v2
	v_mov_b32_e32 v16, 0xbc7a590c
	v_fmac_f32_e32 v16, 0x3b2d2a58, v11
	v_fma_f32 v16, v11, v16, v30
	v_fma_f32 v16, v11, v16, v31
	;; [unrolled: 1-line block ×6, first 2 shown]
	v_mul_f32_e32 v11, v11, v16
	v_fmac_f32_e32 v2, v2, v11
	v_sub_f32_e32 v11, 0x3fc90fdb, v2
	v_cndmask_b32_e64 v2, v2, v11, s[0:1]
	v_sub_f32_e32 v11, 0x40490fdb, v2
	v_cmp_gt_f32_e32 vcc, 0, v4
	v_cmp_gt_i32_e64 s[2:3], 0, v4
	v_cndmask_b32_e32 v2, v2, v11, vcc
	v_cndmask_b32_e64 v11, 0, v38, s[2:3]
	v_cmp_eq_f32_e64 s[2:3], 0, v5
	v_cndmask_b32_e64 v2, v2, v11, s[2:3]
	v_cmp_class_f32_e64 s[2:3], v4, s46
	v_cmp_class_f32_e64 s[26:27], v5, s46
	v_cndmask_b32_e32 v11, v39, v40, vcc
	s_and_b64 vcc, s[2:3], s[26:27]
	v_cndmask_b32_e32 v2, v2, v11, vcc
.LBB193_130:                            ;   in Loop: Header=BB193_5 Depth=1
	s_or_b64 exec, exec, s[24:25]
.LBB193_131:                            ;   in Loop: Header=BB193_5 Depth=1
	s_or_b64 exec, exec, s[22:23]
.LBB193_132:                            ;   in Loop: Header=BB193_5 Depth=1
	s_andn2_saveexec_b64 s[20:21], s[20:21]
	s_cbranch_execz .LBB193_134
; %bb.133:                              ;   in Loop: Header=BB193_5 Depth=1
	v_div_scale_f32 v2, s[2:3], s51, s51, v4
	v_rcp_f32_e32 v11, v2
	v_div_scale_f32 v16, vcc, v4, s51, v4
	v_fma_f32 v18, -v2, v11, 1.0
	v_fmac_f32_e32 v11, v18, v11
	v_mul_f32_e32 v18, v16, v11
	v_fma_f32 v20, -v2, v18, v16
	v_fmac_f32_e32 v18, v20, v11
	v_fma_f32 v2, -v2, v18, v16
	v_div_scale_f32 v16, s[2:3], s51, s51, v5
	v_rcp_f32_e32 v20, v16
	v_div_fmas_f32 v2, v2, v11, v18
	v_div_fixup_f32 v2, v2, s51, v4
	v_fma_f32 v11, -v16, v20, 1.0
	v_fmac_f32_e32 v20, v11, v20
	v_div_scale_f32 v11, vcc, v5, s51, v5
	v_mul_f32_e32 v18, v11, v20
	v_fma_f32 v22, -v16, v18, v11
	v_fmac_f32_e32 v18, v22, v20
	v_fma_f32 v11, -v16, v18, v11
	v_div_fmas_f32 v11, v11, v20, v18
	v_div_fixup_f32 v11, v11, s51, v5
	v_max_f32_e64 v16, |v2|, |v11|
	v_cvt_f64_f32_e32 v[22:23], v16
	v_frexp_exp_i32_f64_e32 v18, v[22:23]
	v_sub_u32_e32 v20, 0, v18
	v_ldexp_f32 v11, |v11|, v20
	v_ldexp_f32 v2, |v2|, v20
	v_mul_f32_e32 v11, v11, v11
	v_fmac_f32_e32 v11, v2, v2
	v_sqrt_f32_e32 v2, v11
	v_cmp_neq_f32_e32 vcc, s44, v16
	v_ldexp_f32 v2, v2, v18
	v_cndmask_b32_e32 v2, v43, v2, vcc
	v_cmp_gt_f32_e32 vcc, s48, v2
	v_cndmask_b32_e32 v11, 1.0, v41, vcc
	v_mul_f32_e32 v2, v2, v11
	v_log_f32_e32 v2, v2
	v_mul_f32_e32 v11, 0x3f317217, v2
	v_fma_f32 v16, v2, s49, -v11
	v_fmac_f32_e32 v16, 0x3377d1cf, v2
	v_add_f32_e32 v11, v11, v16
	v_cmp_lt_f32_e64 s[2:3], |v2|, s44
	v_cndmask_b32_e64 v2, v2, v11, s[2:3]
	v_cndmask_b32_e32 v11, 0, v42, vcc
	v_sub_f32_e32 v2, v2, v11
	v_add_f32_e32 v23, 1.0, v2
	v_max_f32_e64 v2, |v5|, |v5|
	v_max_f32_e64 v11, |v4|, |v4|
	v_min_f32_e32 v16, v11, v2
	v_max_f32_e32 v2, v11, v2
	v_frexp_mant_f32_e32 v11, v2
	v_rcp_f32_e32 v11, v11
	v_frexp_exp_i32_f32_e32 v2, v2
	v_frexp_exp_i32_f32_e32 v18, v16
	v_frexp_mant_f32_e32 v16, v16
	v_mul_f32_e32 v11, v16, v11
	v_sub_u32_e32 v2, v18, v2
	v_ldexp_f32 v2, v11, v2
	v_mul_f32_e32 v11, v2, v2
	v_mov_b32_e32 v16, 0xbc7a590c
	v_fmac_f32_e32 v16, 0x3b2d2a58, v11
	v_fma_f32 v16, v11, v16, v30
	v_fma_f32 v16, v11, v16, v31
	;; [unrolled: 1-line block ×6, first 2 shown]
	v_mul_f32_e32 v11, v11, v16
	v_fmac_f32_e32 v2, v2, v11
	v_sub_f32_e32 v11, 0x3fc90fdb, v2
	v_cndmask_b32_e64 v2, v2, v11, s[0:1]
	v_sub_f32_e32 v11, 0x40490fdb, v2
	v_cmp_gt_f32_e32 vcc, 0, v4
	v_cmp_gt_i32_e64 s[0:1], 0, v4
	v_cndmask_b32_e32 v2, v2, v11, vcc
	v_cndmask_b32_e64 v11, 0, v38, s[0:1]
	v_cmp_eq_f32_e64 s[0:1], 0, v5
	v_cndmask_b32_e64 v2, v2, v11, s[0:1]
	v_cmp_class_f32_e64 s[0:1], v4, s46
	v_cmp_class_f32_e64 s[2:3], v5, s46
	v_cndmask_b32_e32 v11, v39, v40, vcc
	s_and_b64 vcc, s[0:1], s[2:3]
	v_cndmask_b32_e32 v2, v2, v11, vcc
.LBB193_134:                            ;   in Loop: Header=BB193_5 Depth=1
	s_or_b64 exec, exec, s[20:21]
.LBB193_135:                            ;   in Loop: Header=BB193_5 Depth=1
	s_andn2_saveexec_b64 s[0:1], s[18:19]
	s_cbranch_execz .LBB193_4
; %bb.136:                              ;   in Loop: Header=BB193_5 Depth=1
	v_cmp_nlt_f32_e64 s[2:3], |v4|, s52
	v_cmp_nlt_f32_e64 s[18:19], |v5|, s52
	s_or_b64 s[2:3], s[2:3], s[18:19]
                                        ; implicit-def: $vgpr2
	s_and_saveexec_b64 s[18:19], s[2:3]
	s_xor_b64 s[2:3], exec, s[18:19]
; %bb.137:                              ;   in Loop: Header=BB193_5 Depth=1
	v_pk_mul_f32 v[22:23], v[4:5], v[4:5]
	v_add_f32_e32 v2, v22, v23
; %bb.138:                              ;   in Loop: Header=BB193_5 Depth=1
	s_andn2_saveexec_b64 s[2:3], s[2:3]
	s_cbranch_execz .LBB193_3
; %bb.139:                              ;   in Loop: Header=BB193_5 Depth=1
	v_pk_mul_f32 v[22:23], v[4:5], 4.0 op_sel_hi:[1,0]
	v_pk_mul_f32 v[22:23], v[22:23], v[22:23]
	v_add_f32_e32 v2, v22, v23
	v_mul_f32_e32 v2, 0x3d800000, v2
	s_branch .LBB193_3
.LBB193_140:
	s_or_b64 exec, exec, s[8:9]
	s_mov_b64 s[0:1], 0
.LBB193_141:
	s_andn2_b64 vcc, exec, s[0:1]
	s_cbranch_vccnz .LBB193_297
; %bb.142:
	v_cmp_lt_i64_e64 s[0:1], s[12:13], 1
	s_and_b64 vcc, exec, s[0:1]
	s_cbranch_vccnz .LBB193_297
; %bb.143:
	s_load_dword s0, s[4:5], 0xc5c
	v_mov_b32_e32 v2, 0x10000
	v_mov_b32_e32 v3, 0
	v_cmp_lt_u64_e32 vcc, s[12:13], v[2:3]
	s_mov_b32 s2, 0
	s_waitcnt lgkmcnt(0)
	s_and_b32 s21, s0, 0xffff
	s_and_b64 s[0:1], vcc, exec
	s_mov_b32 s18, -1.0
	s_cselect_b32 s15, s13, 0
	s_cselect_b32 s14, s12, 0x10000
	s_lshl_b32 s41, s21, 1
	s_mul_i32 s42, s21, 3
	s_lshl_b32 s43, s21, 2
	s_mov_b64 s[16:17], 0
	v_mov_b32_e32 v1, s2
	v_mov_b32_e32 v32, s2
	;; [unrolled: 1-line block ×3, first 2 shown]
	s_brev_b32 s44, -2
	s_mov_b32 s45, 0x77f684df
	s_mov_b32 s19, 1.0
	s_mov_b32 s46, 0x358637bd
	s_mov_b32 s47, 0x49742400
	s_mov_b32 s48, 0x3f2aaaab
	v_mov_b32_e32 v34, 0x3f2aaada
	s_mov_b32 s49, 0x3f317218
	s_mov_b32 s50, 0x7f800000
	;; [unrolled: 1-line block ×3, first 2 shown]
	v_mov_b32_e32 v35, 0x3d29fb3f
	v_mov_b32_e32 v36, 0xbd97d4d7
	;; [unrolled: 1-line block ×6, first 2 shown]
	s_movk_i32 s52, 0x204
	s_mov_b32 s53, 0x3f333333
	s_mov_b32 s54, 0x800000
	;; [unrolled: 1-line block ×5, first 2 shown]
	s_brev_b32 s58, 4
	s_mov_b32 s20, 0x3fb8aa3b
	v_mov_b32_e32 v2, 0x3f317218
	v_mov_b32_e32 v41, 0x7fc00000
	;; [unrolled: 1-line block ×9, first 2 shown]
	s_branch .LBB193_145
.LBB193_144:                            ;   in Loop: Header=BB193_145 Depth=1
	s_or_b64 exec, exec, s[0:1]
	s_add_u32 s16, s16, s43
	s_addc_u32 s17, s17, 0
	v_pk_mov_b32 v[4:5], s[12:13], s[12:13] op_sel:[0,1]
	v_cmp_ge_i64_e32 vcc, s[16:17], v[4:5]
	v_mov_b32_e32 v4, 0xffff
	v_mov_b32_e32 v5, 0
	v_cmp_gt_u64_e64 s[0:1], s[16:17], v[4:5]
	s_or_b64 s[0:1], vcc, s[0:1]
	s_and_b64 vcc, exec, s[0:1]
	s_cbranch_vccnz .LBB193_297
.LBB193_145:                            ; =>This Loop Header: Depth=1
                                        ;     Child Loop BB193_164 Depth 2
                                        ;     Child Loop BB193_198 Depth 2
	;; [unrolled: 1-line block ×4, first 2 shown]
	v_mov_b32_e32 v3, s17
	v_add_co_u32_e32 v6, vcc, s16, v0
	v_addc_co_u32_e32 v7, vcc, 0, v3, vcc
	v_cmp_gt_u64_e64 s[0:1], s[14:15], v[6:7]
	v_mov_b32_e32 v14, 0
	v_mov_b32_e32 v15, 0
	s_and_saveexec_b64 s[2:3], s[0:1]
	s_cbranch_execz .LBB193_147
; %bb.146:                              ;   in Loop: Header=BB193_145 Depth=1
	v_lshlrev_b64 v[4:5], 3, v[6:7]
	v_mov_b32_e32 v3, s38
	v_add_co_u32_e32 v4, vcc, s33, v4
	v_addc_co_u32_e32 v5, vcc, v3, v5, vcc
	global_load_dwordx2 v[14:15], v[4:5], off
.LBB193_147:                            ;   in Loop: Header=BB193_145 Depth=1
	s_or_b64 exec, exec, s[2:3]
	v_add_co_u32_e32 v8, vcc, s21, v6
	v_addc_co_u32_e32 v9, vcc, v7, v1, vcc
	v_cmp_gt_u64_e64 s[2:3], s[14:15], v[8:9]
	v_mov_b32_e32 v4, 0
	v_mov_b32_e32 v16, 0
	;; [unrolled: 1-line block ×3, first 2 shown]
	s_and_saveexec_b64 s[4:5], s[2:3]
	s_cbranch_execz .LBB193_149
; %bb.148:                              ;   in Loop: Header=BB193_145 Depth=1
	v_lshlrev_b64 v[10:11], 3, v[8:9]
	v_mov_b32_e32 v3, s38
	v_add_co_u32_e32 v10, vcc, s33, v10
	v_addc_co_u32_e32 v11, vcc, v3, v11, vcc
	global_load_dwordx2 v[16:17], v[10:11], off
.LBB193_149:                            ;   in Loop: Header=BB193_145 Depth=1
	s_or_b64 exec, exec, s[4:5]
	v_add_co_u32_e32 v10, vcc, s41, v6
	v_addc_co_u32_e32 v11, vcc, v7, v32, vcc
	v_cmp_gt_u64_e64 s[4:5], s[14:15], v[10:11]
	v_mov_b32_e32 v5, 0
	s_and_saveexec_b64 s[6:7], s[4:5]
	s_cbranch_execz .LBB193_151
; %bb.150:                              ;   in Loop: Header=BB193_145 Depth=1
	v_lshlrev_b64 v[4:5], 3, v[10:11]
	v_mov_b32_e32 v3, s38
	v_add_co_u32_e32 v4, vcc, s33, v4
	v_addc_co_u32_e32 v5, vcc, v3, v5, vcc
	global_load_dwordx2 v[4:5], v[4:5], off
.LBB193_151:                            ;   in Loop: Header=BB193_145 Depth=1
	s_or_b64 exec, exec, s[6:7]
	v_add_co_u32_e32 v12, vcc, s42, v6
	v_addc_co_u32_e32 v13, vcc, v7, v33, vcc
	v_mov_b32_e32 v18, 0
	v_cmp_gt_u64_e64 s[6:7], s[14:15], v[12:13]
	v_mov_b32_e32 v19, v18
	s_and_saveexec_b64 s[8:9], s[6:7]
	s_cbranch_execz .LBB193_153
; %bb.152:                              ;   in Loop: Header=BB193_145 Depth=1
	v_lshlrev_b64 v[18:19], 3, v[12:13]
	v_mov_b32_e32 v3, s38
	v_add_co_u32_e32 v18, vcc, s33, v18
	v_addc_co_u32_e32 v19, vcc, v3, v19, vcc
	global_load_dwordx2 v[18:19], v[18:19], off
.LBB193_153:                            ;   in Loop: Header=BB193_145 Depth=1
	s_or_b64 exec, exec, s[8:9]
	s_waitcnt vmcnt(0)
	v_cmp_o_f32_e32 vcc, v15, v14
                                        ; implicit-def: $vgpr21
                                        ; implicit-def: $vgpr20
	s_and_saveexec_b64 s[8:9], vcc
	s_xor_b64 s[22:23], exec, s[8:9]
	s_cbranch_execz .LBB193_181
; %bb.154:                              ;   in Loop: Header=BB193_145 Depth=1
	v_cmp_lt_f32_e64 s[8:9], |v14|, |v15|
	v_cndmask_b32_e64 v3, v15, v14, s[8:9]
	v_cmp_ngt_f32_e64 s[10:11], |v3|, s45
                                        ; implicit-def: $vgpr21
                                        ; implicit-def: $vgpr20
	s_and_saveexec_b64 s[24:25], s[10:11]
	s_xor_b64 s[24:25], exec, s[24:25]
	s_cbranch_execz .LBB193_178
; %bb.155:                              ;   in Loop: Header=BB193_145 Depth=1
	v_cndmask_b32_e64 v20, v14, v15, s[8:9]
	v_and_b32_e32 v23, 0x7fffffff, v20
	v_and_b32_e32 v22, 0x7fffffff, v3
	v_cmp_neq_f32_e32 vcc, 1.0, v23
                                        ; implicit-def: $vgpr21
                                        ; implicit-def: $vgpr20
	s_and_saveexec_b64 s[10:11], vcc
	s_xor_b64 s[26:27], exec, s[10:11]
	s_cbranch_execz .LBB193_171
; %bb.156:                              ;   in Loop: Header=BB193_145 Depth=1
	v_max_f32_e32 v3, v22, v22
	v_max_f32_e32 v20, v23, v23
	v_min_f32_e32 v21, v20, v3
	v_max_f32_e32 v3, v20, v3
	v_cmp_ngt_f32_e32 vcc, s46, v21
	v_cmp_nlt_f32_e64 s[10:11], s47, v3
	s_and_b64 s[10:11], s[10:11], vcc
                                        ; implicit-def: $vgpr21
                                        ; implicit-def: $vgpr20
	s_and_saveexec_b64 s[28:29], s[10:11]
	s_xor_b64 s[28:29], exec, s[28:29]
	s_cbranch_execz .LBB193_168
; %bb.157:                              ;   in Loop: Header=BB193_145 Depth=1
	v_cmp_le_f32_e32 vcc, 1.0, v23
                                        ; implicit-def: $vgpr21
                                        ; implicit-def: $vgpr20
	s_and_saveexec_b64 s[10:11], vcc
	s_xor_b64 s[30:31], exec, s[10:11]
	s_cbranch_execz .LBB193_159
; %bb.158:                              ;   in Loop: Header=BB193_145 Depth=1
	v_pk_add_f32 v[20:21], v[22:23], s[18:19] op_sel:[1,0]
	v_mov_b32_e32 v24, v21
	v_pk_mul_f32 v[20:21], v[20:21], v[24:25]
	v_pk_fma_f32 v[20:21], v[22:23], v[22:23], v[20:21]
	v_add_f32_e32 v23, 1.0, v20
	v_add_f32_e32 v21, -1.0, v23
	v_mov_b32_e32 v22, v21
	v_pk_add_f32 v[24:25], v[20:21], v[22:23] neg_lo:[0,1] neg_hi:[0,1]
	v_add_f32_e32 v3, 1.0, v25
	v_add_f32_e32 v3, v24, v3
	v_frexp_mant_f32_e32 v21, v23
	v_cvt_f64_f32_e32 v[24:25], v23
	v_frexp_exp_i32_f64_e32 v22, v[24:25]
	v_cmp_gt_f32_e32 vcc, s48, v21
	v_subbrev_co_u32_e32 v21, vcc, 0, v22, vcc
	v_sub_u32_e32 v22, 0, v21
	v_ldexp_f32 v23, v23, v22
	v_ldexp_f32 v3, v3, v22
	v_add_f32_e32 v22, -1.0, v23
	v_add_f32_e32 v25, 1.0, v23
	v_add_f32_e32 v24, 1.0, v22
	v_add_f32_e32 v26, -1.0, v25
	v_sub_f32_e32 v24, v23, v24
	v_sub_f32_e32 v23, v23, v26
	v_add_f32_e32 v24, v3, v24
	v_add_f32_e32 v3, v3, v23
	;; [unrolled: 1-line block ×3, first 2 shown]
	v_rcp_f32_e32 v31, v30
	v_sub_f32_e32 v23, v30, v25
	v_sub_f32_e32 v3, v3, v23
	v_add_f32_e32 v23, v22, v24
	v_sub_f32_e32 v22, v23, v22
	v_mul_f32_e32 v50, v23, v31
	v_sub_f32_e32 v49, v24, v22
	v_mul_f32_e32 v24, v30, v50
	v_fma_f32 v26, v50, v30, -v24
	v_fmac_f32_e32 v26, v50, v3
	v_add_f32_e32 v22, v24, v26
	v_sub_f32_e32 v25, v23, v22
	v_pk_add_f32 v[28:29], v[22:23], v[24:25] neg_lo:[0,1] neg_hi:[0,1]
	v_mov_b32_e32 v27, v22
	v_pk_add_f32 v[22:23], v[28:29], v[26:27] neg_lo:[0,1] neg_hi:[0,1]
	v_add_f32_e32 v23, v49, v23
	v_add_f32_e32 v22, v22, v23
	v_add_f32_e32 v23, v25, v22
	v_mul_f32_e32 v49, v31, v23
	v_mul_f32_e32 v24, v30, v49
	v_fma_f32 v26, v49, v30, -v24
	v_fmac_f32_e32 v26, v49, v3
	v_sub_f32_e32 v3, v25, v23
	v_add_f32_e32 v3, v22, v3
	v_add_f32_e32 v22, v24, v26
	v_sub_f32_e32 v25, v23, v22
	v_pk_add_f32 v[28:29], v[22:23], v[24:25] neg_lo:[0,1] neg_hi:[0,1]
	v_mov_b32_e32 v27, v22
	v_pk_add_f32 v[22:23], v[28:29], v[26:27] neg_lo:[0,1] neg_hi:[0,1]
	v_add_f32_e32 v3, v3, v23
	v_add_f32_e32 v3, v22, v3
	;; [unrolled: 1-line block ×4, first 2 shown]
	v_sub_f32_e32 v22, v23, v50
	v_mul_f32_e32 v3, v31, v3
	v_sub_f32_e32 v22, v49, v22
	v_add_f32_e32 v24, v22, v3
	v_add_f32_e32 v26, v23, v24
	v_cvt_f32_i32_e32 v22, v21
	v_mul_f32_e32 v27, v26, v26
	v_mov_b32_e32 v3, 0x3ecc95a3
	v_fmac_f32_e32 v3, 0x3e9b6dac, v27
	v_fma_f32 v3, v27, v3, v34
	v_sub_f32_e32 v21, v26, v23
	v_mul_f32_e32 v23, v26, v27
	v_ldexp_f32 v25, v26, 1
	v_pk_mul_f32 v[26:27], v[22:23], v[2:3]
	v_sub_f32_e32 v21, v24, v21
	v_fma_f32 v24, v22, s49, -v26
	v_fmac_f32_e32 v24, 0xb102e308, v22
	v_pk_add_f32 v[22:23], v[26:27], v[24:25]
	v_sub_f32_e32 v3, v23, v25
	v_ldexp_f32 v21, v21, 1
	v_sub_f32_e32 v3, v27, v3
	v_add_f32_e32 v29, v21, v3
	v_mov_b32_e32 v28, v26
	v_pk_add_f32 v[26:27], v[22:23], v[26:27] neg_lo:[0,1] neg_hi:[0,1]
	v_pk_add_f32 v[30:31], v[22:23], v[28:29]
	v_mov_b32_e32 v27, v31
	v_mov_b32_e32 v25, v22
	v_pk_add_f32 v[50:51], v[24:25], v[26:27] neg_lo:[0,1] neg_hi:[0,1]
	v_pk_add_f32 v[24:25], v[24:25], v[26:27]
	v_mov_b32_e32 v26, v25
	v_pk_add_f32 v[52:53], v[26:27], v[22:23] neg_lo:[0,1] neg_hi:[0,1]
	v_mov_b32_e32 v3, v52
	v_pk_add_f32 v[54:55], v[30:31], v[2:3] neg_lo:[0,1] neg_hi:[0,1]
	v_mov_b32_e32 v24, v31
	v_mov_b32_e32 v30, v23
	;; [unrolled: 1-line block ×4, first 2 shown]
	v_pk_add_f32 v[24:25], v[24:25], v[30:31] neg_lo:[0,1] neg_hi:[0,1]
	v_mov_b32_e32 v28, v29
	v_mov_b32_e32 v29, v22
	v_pk_add_f32 v[22:23], v[28:29], v[24:25] neg_lo:[0,1] neg_hi:[0,1]
	v_mov_b32_e32 v54, v50
	v_pk_add_f32 v[24:25], v[54:55], v[22:23]
	v_mov_b32_e32 v28, v25
	v_pk_add_f32 v[28:29], v[24:25], v[28:29]
	v_pk_add_f32 v[26:27], v[26:27], v[28:29]
	v_mov_b32_e32 v25, v26
	v_pk_add_f32 v[30:31], v[24:25], v[50:51] neg_lo:[0,1] neg_hi:[0,1]
	v_mov_b32_e32 v23, v28
	v_sub_f32_e32 v3, v24, v30
	v_pk_add_f32 v[22:23], v[22:23], v[30:31] neg_lo:[0,1] neg_hi:[0,1]
	v_sub_f32_e32 v3, v50, v3
	v_add_f32_e32 v3, v22, v3
	v_add_f32_e32 v3, v3, v23
	;; [unrolled: 1-line block ×3, first 2 shown]
	v_cmp_eq_f32_e32 vcc, s50, v20
	v_cndmask_b32_e32 v3, v3, v20, vcc
	v_cmp_ngt_f32_e32 vcc, -1.0, v20
	v_cndmask_b32_e32 v3, v41, v3, vcc
	v_cmp_neq_f32_e32 vcc, -1.0, v20
	v_cndmask_b32_e32 v3, v42, v3, vcc
	v_cmp_lt_f32_e64 vcc, |v20|, s51
	v_cndmask_b32_e32 v3, v3, v20, vcc
	v_mul_f32_e32 v21, 0.5, v3
	v_max_f32_e64 v3, |v15|, |v15|
	v_max_f32_e64 v20, |v14|, |v14|
	v_min_f32_e32 v22, v20, v3
	v_max_f32_e32 v3, v20, v3
	v_frexp_mant_f32_e32 v20, v3
	v_rcp_f32_e32 v20, v20
	v_frexp_exp_i32_f32_e32 v3, v3
	v_frexp_exp_i32_f32_e32 v23, v22
	v_frexp_mant_f32_e32 v22, v22
	v_mul_f32_e32 v20, v22, v20
	v_sub_u32_e32 v3, v23, v3
	v_ldexp_f32 v3, v20, v3
	v_mul_f32_e32 v20, v3, v3
	v_mov_b32_e32 v22, 0xbc7a590c
	v_fmac_f32_e32 v22, 0x3b2d2a58, v20
	v_fma_f32 v22, v20, v22, v35
	v_fma_f32 v22, v20, v22, v36
	v_fma_f32 v22, v20, v22, v37
	v_fma_f32 v22, v20, v22, v38
	v_fma_f32 v22, v20, v22, v39
	v_fma_f32 v22, v20, v22, v40
	v_mul_f32_e32 v20, v20, v22
	v_fmac_f32_e32 v3, v3, v20
	v_sub_f32_e32 v20, 0x3fc90fdb, v3
	v_cndmask_b32_e64 v3, v3, v20, s[8:9]
	v_sub_f32_e32 v20, 0x40490fdb, v3
	v_cmp_gt_f32_e32 vcc, 0, v14
	v_cmp_gt_i32_e64 s[10:11], 0, v14
	v_cndmask_b32_e32 v3, v3, v20, vcc
	v_cndmask_b32_e64 v20, 0, v43, s[10:11]
	v_cmp_eq_f32_e64 s[10:11], 0, v15
	v_cndmask_b32_e64 v3, v3, v20, s[10:11]
	v_cmp_class_f32_e64 s[10:11], v14, s52
	v_cmp_class_f32_e64 s[34:35], v15, s52
	v_cndmask_b32_e32 v20, v44, v45, vcc
	s_and_b64 vcc, s[34:35], s[10:11]
	v_cndmask_b32_e32 v20, v3, v20, vcc
                                        ; implicit-def: $vgpr22_vgpr23
.LBB193_159:                            ;   in Loop: Header=BB193_145 Depth=1
	s_andn2_saveexec_b64 s[30:31], s[30:31]
	s_cbranch_execz .LBB193_167
; %bb.160:                              ;   in Loop: Header=BB193_145 Depth=1
	v_pk_mul_f32 v[20:21], v[22:23], v[22:23]
	v_add_f32_e32 v3, v21, v20
	v_cmp_ge_f32_e32 vcc, s53, v3
                                        ; implicit-def: $vgpr21
                                        ; implicit-def: $vgpr20
	s_and_saveexec_b64 s[10:11], vcc
	s_xor_b64 s[34:35], exec, s[10:11]
	s_cbranch_execz .LBB193_162
; %bb.161:                              ;   in Loop: Header=BB193_145 Depth=1
	v_cmp_gt_f32_e32 vcc, s54, v3
	v_cndmask_b32_e32 v20, 1.0, v46, vcc
	v_mul_f32_e32 v3, v3, v20
	v_log_f32_e32 v3, v3
	v_cndmask_b32_e32 v20, 0, v47, vcc
	v_cmp_gt_i32_e64 s[10:11], 0, v14
	v_cmp_class_f32_e64 s[36:37], v15, s52
	v_mul_f32_e32 v21, 0x3f317217, v3
	v_fma_f32 v22, v3, s55, -v21
	v_fmac_f32_e32 v22, 0x3377d1cf, v3
	v_add_f32_e32 v21, v21, v22
	v_cmp_lt_f32_e64 vcc, |v3|, s50
	v_cndmask_b32_e32 v3, v3, v21, vcc
	v_sub_f32_e32 v3, v3, v20
	v_mul_f32_e32 v21, 0.5, v3
	v_max_f32_e64 v3, |v15|, |v15|
	v_max_f32_e64 v20, |v14|, |v14|
	v_min_f32_e32 v22, v20, v3
	v_max_f32_e32 v3, v20, v3
	v_frexp_mant_f32_e32 v20, v3
	v_rcp_f32_e32 v20, v20
	v_frexp_exp_i32_f32_e32 v3, v3
	v_frexp_exp_i32_f32_e32 v23, v22
	v_frexp_mant_f32_e32 v22, v22
	v_mul_f32_e32 v20, v22, v20
	v_sub_u32_e32 v3, v23, v3
	v_ldexp_f32 v3, v20, v3
	v_mul_f32_e32 v20, v3, v3
	v_mov_b32_e32 v22, 0xbc7a590c
	v_fmac_f32_e32 v22, 0x3b2d2a58, v20
	v_fma_f32 v22, v20, v22, v35
	v_fma_f32 v22, v20, v22, v36
	;; [unrolled: 1-line block ×6, first 2 shown]
	v_mul_f32_e32 v20, v20, v22
	v_fmac_f32_e32 v3, v3, v20
	v_sub_f32_e32 v20, 0x3fc90fdb, v3
	v_cndmask_b32_e64 v3, v3, v20, s[8:9]
	v_sub_f32_e32 v20, 0x40490fdb, v3
	v_cmp_gt_f32_e32 vcc, 0, v14
	v_cndmask_b32_e32 v3, v3, v20, vcc
	v_cndmask_b32_e64 v20, 0, v43, s[10:11]
	v_cmp_eq_f32_e64 s[10:11], 0, v15
	v_cndmask_b32_e64 v3, v3, v20, s[10:11]
	v_cmp_class_f32_e64 s[10:11], v14, s52
	v_cndmask_b32_e32 v20, v44, v45, vcc
	s_and_b64 vcc, s[36:37], s[10:11]
	v_cndmask_b32_e32 v20, v3, v20, vcc
                                        ; implicit-def: $vgpr22_vgpr23
.LBB193_162:                            ;   in Loop: Header=BB193_145 Depth=1
	s_andn2_saveexec_b64 s[34:35], s[34:35]
	s_cbranch_execz .LBB193_166
; %bb.163:                              ;   in Loop: Header=BB193_145 Depth=1
	v_and_b32_e32 v25, 0x7fff0000, v22
	v_and_b32_e32 v24, 0x7fff0000, v23
	v_pk_add_f32 v[20:21], v[22:23], v[24:25] op_sel:[1,0] op_sel_hi:[0,1] neg_lo:[0,1] neg_hi:[0,1]
	v_and_b32_e32 v31, 0xffff0000, v21
	v_and_b32_e32 v30, 0xffff0000, v20
	v_pk_add_f32 v[50:51], v[20:21], v[30:31] neg_lo:[0,1] neg_hi:[0,1]
	v_pk_mul_f32 v[20:21], v[24:25], v[24:25]
	v_add_f32_e32 v24, v24, v24
	v_mul_f32_e32 v26, v24, v30
	v_mul_f32_e32 v28, v24, v50
	v_add_f32_e32 v24, v30, v30
	v_add_f32_e32 v25, v25, v25
	v_mul_f32_e32 v29, v24, v50
	v_add_f32_e32 v24, v31, v31
	v_mul_f32_e32 v3, v25, v31
	v_pk_mul_f32 v[22:23], v[30:31], v[30:31]
	v_mul_f32_e32 v27, v25, v51
	v_mul_f32_e32 v30, v24, v51
	v_pk_mul_f32 v[24:25], v[50:51], v[50:51]
	s_mov_b64 s[36:37], 0
.LBB193_164:                            ;   Parent Loop BB193_145 Depth=1
                                        ; =>  This Inner Loop Header: Depth=2
	v_cmp_nlt_f32_e32 vcc, v20, v21
	v_cndmask_b32_e32 v31, v20, v21, vcc
	v_cmp_nlt_f32_e64 s[10:11], v31, v26
	v_cndmask_b32_e64 v49, v31, v26, s[10:11]
	v_cndmask_b32_e32 v20, v21, v20, vcc
	s_and_b64 s[60:61], vcc, s[10:11]
	v_cmp_nlt_f32_e32 vcc, v49, v3
	v_cndmask_b32_e64 v21, v26, v31, s[10:11]
	v_cndmask_b32_e32 v31, v49, v3, vcc
	v_cmp_nlt_f32_e64 s[10:11], v31, v22
	v_cndmask_b32_e32 v26, v3, v49, vcc
	v_cndmask_b32_e64 v49, v31, v22, s[10:11]
	s_and_b64 s[62:63], vcc, s[10:11]
	v_cmp_nlt_f32_e32 vcc, v49, v23
	v_cndmask_b32_e64 v3, v22, v31, s[10:11]
	v_cndmask_b32_e32 v31, v49, v23, vcc
	v_cmp_nlt_f32_e64 s[10:11], v31, v28
	v_cndmask_b32_e32 v22, v23, v49, vcc
	v_cndmask_b32_e64 v49, v31, v28, s[10:11]
	v_cndmask_b32_e64 v23, v28, v31, s[10:11]
	s_and_b64 s[10:11], vcc, s[10:11]
	v_cmp_nlt_f32_e32 vcc, v49, v27
	v_cndmask_b32_e32 v31, v49, v27, vcc
	v_cndmask_b32_e32 v28, v27, v49, vcc
	s_and_b64 s[10:11], s[10:11], vcc
	v_cmp_nlt_f32_e32 vcc, v31, v29
	v_cndmask_b32_e32 v49, v31, v29, vcc
	v_cndmask_b32_e32 v27, v29, v31, vcc
	s_and_b64 s[10:11], s[10:11], vcc
	;; [unrolled: 4-line block ×4, first 2 shown]
	v_cmp_nlt_f32_e32 vcc, v49, v25
	s_and_b64 s[10:11], s[10:11], vcc
	s_and_b64 s[10:11], s[10:11], s[62:63]
	s_and_b64 s[10:11], s[10:11], s[60:61]
	s_and_b64 s[10:11], exec, s[10:11]
	v_cndmask_b32_e32 v24, v25, v49, vcc
	s_or_b64 s[36:37], s[10:11], s[36:37]
	v_cndmask_b32_e32 v25, v49, v25, vcc
	s_andn2_b64 exec, exec, s[36:37]
	s_cbranch_execnz .LBB193_164
; %bb.165:                              ;   in Loop: Header=BB193_145 Depth=1
	s_or_b64 exec, exec, s[36:37]
	v_add_f32_e32 v20, -1.0, v20
	v_add_f32_e32 v20, v20, v21
	v_add_f32_e32 v20, v20, v26
	;; [unrolled: 1-line block ×11, first 2 shown]
	v_add_f32_e32 v23, 1.0, v20
	v_add_f32_e32 v21, -1.0, v23
	v_mov_b32_e32 v22, v21
	v_pk_add_f32 v[24:25], v[20:21], v[22:23] neg_lo:[0,1] neg_hi:[0,1]
	v_add_f32_e32 v3, 1.0, v25
	v_add_f32_e32 v3, v24, v3
	v_frexp_mant_f32_e32 v21, v23
	v_cvt_f64_f32_e32 v[24:25], v23
	v_frexp_exp_i32_f64_e32 v22, v[24:25]
	v_cmp_gt_f32_e32 vcc, s48, v21
	v_subbrev_co_u32_e32 v21, vcc, 0, v22, vcc
	v_sub_u32_e32 v22, 0, v21
	v_ldexp_f32 v23, v23, v22
	v_ldexp_f32 v3, v3, v22
	v_add_f32_e32 v22, -1.0, v23
	v_add_f32_e32 v25, 1.0, v23
	v_add_f32_e32 v24, 1.0, v22
	v_add_f32_e32 v26, -1.0, v25
	v_sub_f32_e32 v24, v23, v24
	v_sub_f32_e32 v23, v23, v26
	v_add_f32_e32 v24, v3, v24
	v_add_f32_e32 v3, v3, v23
	;; [unrolled: 1-line block ×3, first 2 shown]
	v_rcp_f32_e32 v31, v30
	v_sub_f32_e32 v23, v30, v25
	v_sub_f32_e32 v3, v3, v23
	v_add_f32_e32 v23, v22, v24
	v_sub_f32_e32 v22, v23, v22
	v_mul_f32_e32 v50, v23, v31
	v_sub_f32_e32 v49, v24, v22
	v_mul_f32_e32 v24, v30, v50
	v_fma_f32 v26, v50, v30, -v24
	v_fmac_f32_e32 v26, v50, v3
	v_add_f32_e32 v22, v24, v26
	v_sub_f32_e32 v25, v23, v22
	v_pk_add_f32 v[28:29], v[22:23], v[24:25] neg_lo:[0,1] neg_hi:[0,1]
	v_mov_b32_e32 v27, v22
	v_pk_add_f32 v[22:23], v[28:29], v[26:27] neg_lo:[0,1] neg_hi:[0,1]
	v_add_f32_e32 v23, v49, v23
	v_add_f32_e32 v22, v22, v23
	;; [unrolled: 1-line block ×3, first 2 shown]
	v_mul_f32_e32 v49, v31, v23
	v_mul_f32_e32 v24, v30, v49
	v_fma_f32 v26, v49, v30, -v24
	v_fmac_f32_e32 v26, v49, v3
	v_sub_f32_e32 v3, v25, v23
	v_add_f32_e32 v3, v22, v3
	v_add_f32_e32 v22, v24, v26
	v_sub_f32_e32 v25, v23, v22
	v_pk_add_f32 v[28:29], v[22:23], v[24:25] neg_lo:[0,1] neg_hi:[0,1]
	v_mov_b32_e32 v27, v22
	v_pk_add_f32 v[22:23], v[28:29], v[26:27] neg_lo:[0,1] neg_hi:[0,1]
	v_add_f32_e32 v3, v3, v23
	v_add_f32_e32 v3, v22, v3
	;; [unrolled: 1-line block ×4, first 2 shown]
	v_sub_f32_e32 v22, v23, v50
	v_mul_f32_e32 v3, v31, v3
	v_sub_f32_e32 v22, v49, v22
	v_add_f32_e32 v24, v22, v3
	v_add_f32_e32 v26, v23, v24
	v_cvt_f32_i32_e32 v22, v21
	v_mul_f32_e32 v27, v26, v26
	v_mov_b32_e32 v3, 0x3ecc95a3
	v_fmac_f32_e32 v3, 0x3e9b6dac, v27
	v_fma_f32 v3, v27, v3, v34
	v_sub_f32_e32 v21, v26, v23
	v_mul_f32_e32 v23, v26, v27
	v_ldexp_f32 v25, v26, 1
	v_pk_mul_f32 v[26:27], v[22:23], v[2:3]
	v_sub_f32_e32 v21, v24, v21
	v_fma_f32 v24, v22, s49, -v26
	v_fmac_f32_e32 v24, 0xb102e308, v22
	v_pk_add_f32 v[22:23], v[26:27], v[24:25]
	v_sub_f32_e32 v3, v23, v25
	v_ldexp_f32 v21, v21, 1
	v_sub_f32_e32 v3, v27, v3
	v_add_f32_e32 v29, v21, v3
	v_mov_b32_e32 v28, v26
	v_pk_add_f32 v[26:27], v[22:23], v[26:27] neg_lo:[0,1] neg_hi:[0,1]
	v_pk_add_f32 v[30:31], v[22:23], v[28:29]
	v_mov_b32_e32 v27, v31
	v_mov_b32_e32 v25, v22
	v_pk_add_f32 v[50:51], v[24:25], v[26:27] neg_lo:[0,1] neg_hi:[0,1]
	v_pk_add_f32 v[24:25], v[24:25], v[26:27]
	v_mov_b32_e32 v26, v25
	v_pk_add_f32 v[52:53], v[26:27], v[22:23] neg_lo:[0,1] neg_hi:[0,1]
	v_mov_b32_e32 v3, v52
	v_pk_add_f32 v[54:55], v[30:31], v[2:3] neg_lo:[0,1] neg_hi:[0,1]
	v_mov_b32_e32 v24, v31
	v_mov_b32_e32 v30, v23
	v_mov_b32_e32 v31, v52
	v_mov_b32_e32 v51, v25
	v_pk_add_f32 v[24:25], v[24:25], v[30:31] neg_lo:[0,1] neg_hi:[0,1]
	v_mov_b32_e32 v28, v29
	v_mov_b32_e32 v29, v22
	v_pk_add_f32 v[22:23], v[28:29], v[24:25] neg_lo:[0,1] neg_hi:[0,1]
	v_mov_b32_e32 v54, v50
	v_pk_add_f32 v[24:25], v[54:55], v[22:23]
	v_mov_b32_e32 v28, v25
	v_pk_add_f32 v[28:29], v[24:25], v[28:29]
	v_pk_add_f32 v[26:27], v[26:27], v[28:29]
	v_mov_b32_e32 v25, v26
	v_pk_add_f32 v[30:31], v[24:25], v[50:51] neg_lo:[0,1] neg_hi:[0,1]
	v_mov_b32_e32 v23, v28
	v_sub_f32_e32 v3, v24, v30
	v_pk_add_f32 v[22:23], v[22:23], v[30:31] neg_lo:[0,1] neg_hi:[0,1]
	v_sub_f32_e32 v3, v50, v3
	v_add_f32_e32 v3, v22, v3
	v_add_f32_e32 v3, v3, v23
	v_add_f32_e32 v3, v26, v3
	v_cmp_eq_f32_e32 vcc, s50, v20
	v_cndmask_b32_e32 v3, v3, v20, vcc
	v_cmp_ngt_f32_e32 vcc, -1.0, v20
	v_cndmask_b32_e32 v3, v41, v3, vcc
	v_cmp_neq_f32_e32 vcc, -1.0, v20
	v_cndmask_b32_e32 v3, v42, v3, vcc
	v_cmp_lt_f32_e64 vcc, |v20|, s51
	v_cndmask_b32_e32 v3, v3, v20, vcc
	v_mul_f32_e32 v21, 0.5, v3
	v_max_f32_e64 v3, |v15|, |v15|
	v_max_f32_e64 v20, |v14|, |v14|
	v_min_f32_e32 v22, v20, v3
	v_max_f32_e32 v3, v20, v3
	v_frexp_mant_f32_e32 v20, v3
	v_rcp_f32_e32 v20, v20
	v_frexp_exp_i32_f32_e32 v3, v3
	v_frexp_exp_i32_f32_e32 v23, v22
	v_frexp_mant_f32_e32 v22, v22
	v_mul_f32_e32 v20, v22, v20
	v_sub_u32_e32 v3, v23, v3
	v_ldexp_f32 v3, v20, v3
	v_mul_f32_e32 v20, v3, v3
	v_mov_b32_e32 v22, 0xbc7a590c
	v_fmac_f32_e32 v22, 0x3b2d2a58, v20
	v_fma_f32 v22, v20, v22, v35
	v_fma_f32 v22, v20, v22, v36
	;; [unrolled: 1-line block ×6, first 2 shown]
	v_mul_f32_e32 v20, v20, v22
	v_fmac_f32_e32 v3, v3, v20
	v_sub_f32_e32 v20, 0x3fc90fdb, v3
	v_cndmask_b32_e64 v3, v3, v20, s[8:9]
	v_sub_f32_e32 v20, 0x40490fdb, v3
	v_cmp_gt_f32_e32 vcc, 0, v14
	v_cmp_gt_i32_e64 s[10:11], 0, v14
	v_cndmask_b32_e32 v3, v3, v20, vcc
	v_cndmask_b32_e64 v20, 0, v43, s[10:11]
	v_cmp_eq_f32_e64 s[10:11], 0, v15
	v_cndmask_b32_e64 v3, v3, v20, s[10:11]
	v_cmp_class_f32_e64 s[10:11], v14, s52
	v_cmp_class_f32_e64 s[36:37], v15, s52
	v_cndmask_b32_e32 v20, v44, v45, vcc
	s_and_b64 vcc, s[36:37], s[10:11]
	v_cndmask_b32_e32 v20, v3, v20, vcc
.LBB193_166:                            ;   in Loop: Header=BB193_145 Depth=1
	s_or_b64 exec, exec, s[34:35]
.LBB193_167:                            ;   in Loop: Header=BB193_145 Depth=1
	s_or_b64 exec, exec, s[30:31]
.LBB193_168:                            ;   in Loop: Header=BB193_145 Depth=1
	s_andn2_saveexec_b64 s[28:29], s[28:29]
	s_cbranch_execz .LBB193_170
; %bb.169:                              ;   in Loop: Header=BB193_145 Depth=1
	v_max_f32_e64 v3, |v15|, |v15|
	v_max_f32_e64 v22, |v14|, |v14|
	v_max_f32_e32 v23, v22, v3
	v_cvt_f64_f32_e32 v[20:21], v23
	v_frexp_exp_i32_f64_e32 v20, v[20:21]
	v_sub_u32_e32 v21, 0, v20
	v_ldexp_f32 v24, |v14|, v21
	v_ldexp_f32 v21, |v15|, v21
	v_mul_f32_e32 v21, v21, v21
	v_fmac_f32_e32 v21, v24, v24
	v_sqrt_f32_e32 v21, v21
	v_cmp_neq_f32_e32 vcc, s50, v23
	v_min_f32_e32 v3, v22, v3
	v_frexp_exp_i32_f32_e32 v22, v23
	v_ldexp_f32 v20, v21, v20
	v_cndmask_b32_e32 v20, v48, v20, vcc
	v_cmp_gt_f32_e32 vcc, s54, v20
	v_cndmask_b32_e32 v21, 1.0, v46, vcc
	v_mul_f32_e32 v20, v20, v21
	v_log_f32_e32 v20, v20
	v_cndmask_b32_e32 v21, 0, v47, vcc
	v_cmp_gt_i32_e64 s[10:11], 0, v14
	v_cmp_class_f32_e64 s[30:31], v15, s52
	v_mul_f32_e32 v24, 0x3f317217, v20
	v_fma_f32 v25, v20, s55, -v24
	v_fmac_f32_e32 v25, 0x3377d1cf, v20
	v_add_f32_e32 v24, v24, v25
	v_cmp_lt_f32_e64 vcc, |v20|, s50
	v_cndmask_b32_e32 v20, v20, v24, vcc
	v_sub_f32_e32 v21, v20, v21
	v_frexp_mant_f32_e32 v20, v23
	v_rcp_f32_e32 v20, v20
	v_frexp_exp_i32_f32_e32 v23, v3
	v_frexp_mant_f32_e32 v3, v3
	v_cmp_gt_f32_e32 vcc, 0, v14
	v_mul_f32_e32 v3, v3, v20
	v_sub_u32_e32 v20, v23, v22
	v_ldexp_f32 v3, v3, v20
	v_mul_f32_e32 v20, v3, v3
	v_mov_b32_e32 v22, 0xbc7a590c
	v_fmac_f32_e32 v22, 0x3b2d2a58, v20
	v_fma_f32 v22, v20, v22, v35
	v_fma_f32 v22, v20, v22, v36
	v_fma_f32 v22, v20, v22, v37
	v_fma_f32 v22, v20, v22, v38
	v_fma_f32 v22, v20, v22, v39
	v_fma_f32 v22, v20, v22, v40
	v_mul_f32_e32 v20, v20, v22
	v_fmac_f32_e32 v3, v3, v20
	v_sub_f32_e32 v20, 0x3fc90fdb, v3
	v_cndmask_b32_e64 v3, v3, v20, s[8:9]
	v_sub_f32_e32 v20, 0x40490fdb, v3
	v_cndmask_b32_e32 v3, v3, v20, vcc
	v_cndmask_b32_e64 v20, 0, v43, s[10:11]
	v_cmp_eq_f32_e64 s[10:11], 0, v15
	v_cndmask_b32_e64 v3, v3, v20, s[10:11]
	v_cmp_class_f32_e64 s[10:11], v14, s52
	v_cndmask_b32_e32 v20, v44, v45, vcc
	s_and_b64 vcc, s[30:31], s[10:11]
	v_cndmask_b32_e32 v20, v3, v20, vcc
.LBB193_170:                            ;   in Loop: Header=BB193_145 Depth=1
	s_or_b64 exec, exec, s[28:29]
                                        ; implicit-def: $vgpr22
.LBB193_171:                            ;   in Loop: Header=BB193_145 Depth=1
	s_andn2_saveexec_b64 s[26:27], s[26:27]
	s_cbranch_execz .LBB193_177
; %bb.172:                              ;   in Loop: Header=BB193_145 Depth=1
	v_cmp_ngt_f32_e32 vcc, s56, v22
                                        ; implicit-def: $vgpr21
                                        ; implicit-def: $vgpr20
	s_and_saveexec_b64 s[10:11], vcc
	s_xor_b64 s[28:29], exec, s[10:11]
	s_cbranch_execz .LBB193_174
; %bb.173:                              ;   in Loop: Header=BB193_145 Depth=1
	v_pk_mul_f32 v[20:21], v[22:23], v[22:23]
	v_add_f32_e32 v23, 1.0, v20
	v_add_f32_e32 v21, -1.0, v23
	v_mov_b32_e32 v22, v21
	v_pk_add_f32 v[24:25], v[20:21], v[22:23] neg_lo:[0,1] neg_hi:[0,1]
	v_add_f32_e32 v3, 1.0, v25
	v_add_f32_e32 v3, v24, v3
	v_frexp_mant_f32_e32 v21, v23
	v_cvt_f64_f32_e32 v[24:25], v23
	v_frexp_exp_i32_f64_e32 v22, v[24:25]
	v_cmp_gt_f32_e32 vcc, s48, v21
	v_subbrev_co_u32_e32 v21, vcc, 0, v22, vcc
	v_sub_u32_e32 v22, 0, v21
	v_ldexp_f32 v23, v23, v22
	v_ldexp_f32 v3, v3, v22
	v_add_f32_e32 v22, -1.0, v23
	v_add_f32_e32 v25, 1.0, v23
	v_add_f32_e32 v24, 1.0, v22
	v_add_f32_e32 v26, -1.0, v25
	v_sub_f32_e32 v24, v23, v24
	v_sub_f32_e32 v23, v23, v26
	v_add_f32_e32 v24, v3, v24
	v_add_f32_e32 v3, v3, v23
	;; [unrolled: 1-line block ×3, first 2 shown]
	v_rcp_f32_e32 v31, v30
	v_sub_f32_e32 v23, v25, v30
	v_add_f32_e32 v3, v3, v23
	v_add_f32_e32 v23, v22, v24
	v_sub_f32_e32 v22, v22, v23
	v_mul_f32_e32 v50, v23, v31
	v_add_f32_e32 v49, v24, v22
	v_mul_f32_e32 v24, v30, v50
	v_fma_f32 v26, v50, v30, -v24
	v_fmac_f32_e32 v26, v50, v3
	v_add_f32_e32 v22, v24, v26
	v_sub_f32_e32 v25, v23, v22
	v_pk_add_f32 v[28:29], v[22:23], v[24:25] neg_lo:[0,1] neg_hi:[0,1]
	v_mov_b32_e32 v27, v22
	v_pk_add_f32 v[22:23], v[28:29], v[26:27] neg_lo:[0,1] neg_hi:[0,1]
	v_add_f32_e32 v23, v49, v23
	v_add_f32_e32 v22, v22, v23
	;; [unrolled: 1-line block ×3, first 2 shown]
	v_mul_f32_e32 v49, v31, v23
	v_mul_f32_e32 v24, v30, v49
	v_fma_f32 v26, v49, v30, -v24
	v_fmac_f32_e32 v26, v49, v3
	v_sub_f32_e32 v3, v25, v23
	v_add_f32_e32 v3, v22, v3
	v_add_f32_e32 v22, v24, v26
	v_sub_f32_e32 v25, v23, v22
	v_pk_add_f32 v[28:29], v[22:23], v[24:25] neg_lo:[0,1] neg_hi:[0,1]
	v_mov_b32_e32 v27, v22
	v_pk_add_f32 v[22:23], v[28:29], v[26:27] neg_lo:[0,1] neg_hi:[0,1]
	v_add_f32_e32 v3, v3, v23
	v_add_f32_e32 v3, v22, v3
	;; [unrolled: 1-line block ×4, first 2 shown]
	v_sub_f32_e32 v22, v23, v50
	v_mul_f32_e32 v3, v31, v3
	v_sub_f32_e32 v22, v49, v22
	v_add_f32_e32 v24, v22, v3
	v_add_f32_e32 v26, v23, v24
	v_cvt_f32_i32_e32 v22, v21
	v_mul_f32_e32 v27, v26, v26
	v_mov_b32_e32 v3, 0x3ecc95a3
	v_fmac_f32_e32 v3, 0x3e9b6dac, v27
	v_fma_f32 v3, v27, v3, v34
	v_sub_f32_e32 v21, v26, v23
	v_mul_f32_e32 v23, v26, v27
	v_ldexp_f32 v25, v26, 1
	v_pk_mul_f32 v[26:27], v[22:23], v[2:3]
	v_sub_f32_e32 v21, v24, v21
	v_fma_f32 v24, v22, s49, -v26
	v_fmac_f32_e32 v24, 0xb102e308, v22
	v_pk_add_f32 v[22:23], v[26:27], v[24:25]
	v_sub_f32_e32 v3, v23, v25
	v_ldexp_f32 v21, v21, 1
	v_sub_f32_e32 v3, v27, v3
	v_add_f32_e32 v29, v21, v3
	v_mov_b32_e32 v28, v26
	v_pk_add_f32 v[26:27], v[22:23], v[26:27] neg_lo:[0,1] neg_hi:[0,1]
	v_pk_add_f32 v[30:31], v[22:23], v[28:29]
	v_mov_b32_e32 v27, v31
	v_mov_b32_e32 v25, v22
	v_pk_add_f32 v[50:51], v[24:25], v[26:27] neg_lo:[0,1] neg_hi:[0,1]
	v_pk_add_f32 v[24:25], v[24:25], v[26:27]
	v_mov_b32_e32 v26, v25
	v_pk_add_f32 v[52:53], v[26:27], v[22:23] neg_lo:[0,1] neg_hi:[0,1]
	v_mov_b32_e32 v3, v52
	v_pk_add_f32 v[54:55], v[30:31], v[2:3] neg_lo:[0,1] neg_hi:[0,1]
	v_mov_b32_e32 v24, v31
	v_mov_b32_e32 v30, v23
	;; [unrolled: 1-line block ×4, first 2 shown]
	v_pk_add_f32 v[24:25], v[24:25], v[30:31] neg_lo:[0,1] neg_hi:[0,1]
	v_mov_b32_e32 v28, v29
	v_mov_b32_e32 v29, v22
	v_pk_add_f32 v[22:23], v[28:29], v[24:25] neg_lo:[0,1] neg_hi:[0,1]
	v_mov_b32_e32 v54, v50
	v_pk_add_f32 v[24:25], v[54:55], v[22:23]
	v_mov_b32_e32 v28, v25
	v_pk_add_f32 v[28:29], v[24:25], v[28:29]
	v_pk_add_f32 v[26:27], v[26:27], v[28:29]
	v_mov_b32_e32 v25, v26
	v_pk_add_f32 v[30:31], v[24:25], v[50:51] neg_lo:[0,1] neg_hi:[0,1]
	v_mov_b32_e32 v23, v28
	v_sub_f32_e32 v3, v24, v30
	v_pk_add_f32 v[22:23], v[22:23], v[30:31] neg_lo:[0,1] neg_hi:[0,1]
	v_sub_f32_e32 v3, v50, v3
	v_add_f32_e32 v3, v22, v3
	v_add_f32_e32 v3, v3, v23
	v_cmp_eq_f32_e32 vcc, s50, v20
	v_cmp_lt_f32_e64 s[10:11], |v20|, s51
	v_add_f32_e32 v3, v26, v3
	s_or_b64 vcc, vcc, s[10:11]
	v_cndmask_b32_e32 v3, v3, v20, vcc
	v_mul_f32_e32 v21, 0.5, v3
	v_max_f32_e64 v3, |v15|, |v15|
	v_max_f32_e64 v20, |v14|, |v14|
	v_min_f32_e32 v22, v20, v3
	v_max_f32_e32 v3, v20, v3
	v_frexp_mant_f32_e32 v20, v3
	v_rcp_f32_e32 v20, v20
	v_frexp_exp_i32_f32_e32 v3, v3
	v_frexp_exp_i32_f32_e32 v23, v22
	v_frexp_mant_f32_e32 v22, v22
	v_mul_f32_e32 v20, v22, v20
	v_sub_u32_e32 v3, v23, v3
	v_ldexp_f32 v3, v20, v3
	v_mul_f32_e32 v20, v3, v3
	v_mov_b32_e32 v22, 0xbc7a590c
	v_fmac_f32_e32 v22, 0x3b2d2a58, v20
	v_fma_f32 v22, v20, v22, v35
	v_fma_f32 v22, v20, v22, v36
	v_fma_f32 v22, v20, v22, v37
	v_fma_f32 v22, v20, v22, v38
	v_fma_f32 v22, v20, v22, v39
	v_fma_f32 v22, v20, v22, v40
	v_mul_f32_e32 v20, v20, v22
	v_fmac_f32_e32 v3, v3, v20
	v_sub_f32_e32 v20, 0x3fc90fdb, v3
	v_cndmask_b32_e64 v3, v3, v20, s[8:9]
	v_sub_f32_e32 v20, 0x40490fdb, v3
	v_cmp_gt_f32_e32 vcc, 0, v14
	v_cmp_gt_i32_e64 s[10:11], 0, v14
	v_cndmask_b32_e32 v3, v3, v20, vcc
	v_cndmask_b32_e64 v20, 0, v43, s[10:11]
	v_cmp_eq_f32_e64 s[10:11], 0, v15
	v_cndmask_b32_e64 v3, v3, v20, s[10:11]
	v_cmp_class_f32_e64 s[10:11], v14, s52
	v_cmp_class_f32_e64 s[30:31], v15, s52
	v_cndmask_b32_e32 v20, v44, v45, vcc
	s_and_b64 vcc, s[30:31], s[10:11]
	v_cndmask_b32_e32 v20, v3, v20, vcc
                                        ; implicit-def: $vgpr22
.LBB193_174:                            ;   in Loop: Header=BB193_145 Depth=1
	s_andn2_saveexec_b64 s[28:29], s[28:29]
	s_cbranch_execz .LBB193_176
; %bb.175:                              ;   in Loop: Header=BB193_145 Depth=1
	v_mul_f32_e32 v3, 0.5, v22
	v_mul_f32_e32 v21, v22, v3
	v_max_f32_e64 v3, |v15|, |v15|
	v_max_f32_e64 v20, |v14|, |v14|
	v_min_f32_e32 v22, v20, v3
	v_max_f32_e32 v3, v20, v3
	v_frexp_mant_f32_e32 v20, v3
	v_rcp_f32_e32 v20, v20
	v_frexp_exp_i32_f32_e32 v3, v3
	v_frexp_exp_i32_f32_e32 v23, v22
	v_frexp_mant_f32_e32 v22, v22
	v_mul_f32_e32 v20, v22, v20
	v_sub_u32_e32 v3, v23, v3
	v_ldexp_f32 v3, v20, v3
	v_mul_f32_e32 v20, v3, v3
	v_mov_b32_e32 v22, 0xbc7a590c
	v_fmac_f32_e32 v22, 0x3b2d2a58, v20
	v_fma_f32 v22, v20, v22, v35
	v_fma_f32 v22, v20, v22, v36
	;; [unrolled: 1-line block ×6, first 2 shown]
	v_mul_f32_e32 v20, v20, v22
	v_fmac_f32_e32 v3, v3, v20
	v_sub_f32_e32 v20, 0x3fc90fdb, v3
	v_cndmask_b32_e64 v3, v3, v20, s[8:9]
	v_sub_f32_e32 v20, 0x40490fdb, v3
	v_cmp_gt_f32_e32 vcc, 0, v14
	v_cmp_gt_i32_e64 s[10:11], 0, v14
	v_cndmask_b32_e32 v3, v3, v20, vcc
	v_cndmask_b32_e64 v20, 0, v43, s[10:11]
	v_cmp_eq_f32_e64 s[10:11], 0, v15
	v_cndmask_b32_e64 v3, v3, v20, s[10:11]
	v_cmp_class_f32_e64 s[10:11], v14, s52
	v_cmp_class_f32_e64 s[30:31], v15, s52
	v_cndmask_b32_e32 v20, v44, v45, vcc
	s_and_b64 vcc, s[30:31], s[10:11]
	v_cndmask_b32_e32 v20, v3, v20, vcc
.LBB193_176:                            ;   in Loop: Header=BB193_145 Depth=1
	s_or_b64 exec, exec, s[28:29]
.LBB193_177:                            ;   in Loop: Header=BB193_145 Depth=1
	s_or_b64 exec, exec, s[26:27]
.LBB193_178:                            ;   in Loop: Header=BB193_145 Depth=1
	s_andn2_saveexec_b64 s[24:25], s[24:25]
	s_cbranch_execz .LBB193_180
; %bb.179:                              ;   in Loop: Header=BB193_145 Depth=1
	v_div_scale_f32 v3, s[10:11], s57, s57, v14
	v_rcp_f32_e32 v20, v3
	v_div_scale_f32 v21, vcc, v14, s57, v14
	v_fma_f32 v22, -v3, v20, 1.0
	v_fmac_f32_e32 v20, v22, v20
	v_mul_f32_e32 v22, v21, v20
	v_fma_f32 v23, -v3, v22, v21
	v_fmac_f32_e32 v22, v23, v20
	v_fma_f32 v3, -v3, v22, v21
	v_div_scale_f32 v21, s[10:11], s57, s57, v15
	v_rcp_f32_e32 v23, v21
	v_div_fmas_f32 v3, v3, v20, v22
	v_div_fixup_f32 v3, v3, s57, v14
	v_fma_f32 v20, -v21, v23, 1.0
	v_fmac_f32_e32 v23, v20, v23
	v_div_scale_f32 v20, vcc, v15, s57, v15
	v_mul_f32_e32 v22, v20, v23
	v_fma_f32 v24, -v21, v22, v20
	v_fmac_f32_e32 v22, v24, v23
	v_fma_f32 v20, -v21, v22, v20
	v_div_fmas_f32 v20, v20, v23, v22
	v_div_fixup_f32 v22, v20, s57, v15
	v_max_f32_e64 v23, |v3|, |v22|
	v_cvt_f64_f32_e32 v[20:21], v23
	v_frexp_exp_i32_f64_e32 v20, v[20:21]
	v_sub_u32_e32 v21, 0, v20
	v_ldexp_f32 v3, |v3|, v21
	v_ldexp_f32 v21, |v22|, v21
	v_mul_f32_e32 v21, v21, v21
	v_fmac_f32_e32 v21, v3, v3
	v_sqrt_f32_e32 v3, v21
	v_cmp_neq_f32_e32 vcc, s50, v23
	v_ldexp_f32 v3, v3, v20
	v_cndmask_b32_e32 v3, v48, v3, vcc
	v_cmp_gt_f32_e32 vcc, s54, v3
	v_cndmask_b32_e32 v20, 1.0, v46, vcc
	v_mul_f32_e32 v3, v3, v20
	v_log_f32_e32 v3, v3
	v_mul_f32_e32 v20, 0x3f317217, v3
	v_fma_f32 v21, v3, s55, -v20
	v_fmac_f32_e32 v21, 0x3377d1cf, v3
	v_add_f32_e32 v20, v20, v21
	v_cmp_lt_f32_e64 s[10:11], |v3|, s50
	v_cndmask_b32_e64 v3, v3, v20, s[10:11]
	v_cndmask_b32_e32 v20, 0, v47, vcc
	v_sub_f32_e32 v3, v3, v20
	v_add_f32_e32 v21, 1.0, v3
	v_max_f32_e64 v3, |v15|, |v15|
	v_max_f32_e64 v20, |v14|, |v14|
	v_min_f32_e32 v22, v20, v3
	v_max_f32_e32 v3, v20, v3
	v_frexp_mant_f32_e32 v20, v3
	v_rcp_f32_e32 v20, v20
	v_frexp_exp_i32_f32_e32 v3, v3
	v_frexp_exp_i32_f32_e32 v23, v22
	v_frexp_mant_f32_e32 v22, v22
	v_mul_f32_e32 v20, v22, v20
	v_sub_u32_e32 v3, v23, v3
	v_ldexp_f32 v3, v20, v3
	v_mul_f32_e32 v20, v3, v3
	v_mov_b32_e32 v22, 0xbc7a590c
	v_fmac_f32_e32 v22, 0x3b2d2a58, v20
	v_fma_f32 v22, v20, v22, v35
	v_fma_f32 v22, v20, v22, v36
	;; [unrolled: 1-line block ×6, first 2 shown]
	v_mul_f32_e32 v20, v20, v22
	v_fmac_f32_e32 v3, v3, v20
	v_sub_f32_e32 v20, 0x3fc90fdb, v3
	v_cndmask_b32_e64 v3, v3, v20, s[8:9]
	v_sub_f32_e32 v20, 0x40490fdb, v3
	v_cmp_gt_f32_e32 vcc, 0, v14
	v_cmp_gt_i32_e64 s[8:9], 0, v14
	v_cndmask_b32_e32 v3, v3, v20, vcc
	v_cndmask_b32_e64 v20, 0, v43, s[8:9]
	v_cmp_eq_f32_e64 s[8:9], 0, v15
	v_cndmask_b32_e64 v3, v3, v20, s[8:9]
	v_cmp_class_f32_e64 s[8:9], v14, s52
	v_cmp_class_f32_e64 s[10:11], v15, s52
	v_cndmask_b32_e32 v20, v44, v45, vcc
	s_and_b64 vcc, s[10:11], s[8:9]
	v_cndmask_b32_e32 v20, v3, v20, vcc
.LBB193_180:                            ;   in Loop: Header=BB193_145 Depth=1
	s_or_b64 exec, exec, s[24:25]
.LBB193_181:                            ;   in Loop: Header=BB193_145 Depth=1
	s_andn2_saveexec_b64 s[8:9], s[22:23]
	s_cbranch_execz .LBB193_187
; %bb.182:                              ;   in Loop: Header=BB193_145 Depth=1
	v_cmp_nlt_f32_e64 s[10:11], |v14|, s58
	v_cmp_nlt_f32_e64 s[22:23], |v15|, s58
	s_or_b64 s[10:11], s[22:23], s[10:11]
                                        ; implicit-def: $vgpr3
	s_and_saveexec_b64 s[22:23], s[10:11]
	s_xor_b64 s[10:11], exec, s[22:23]
; %bb.183:                              ;   in Loop: Header=BB193_145 Depth=1
	v_pk_mul_f32 v[20:21], v[14:15], v[14:15]
	v_add_f32_e32 v3, v21, v20
; %bb.184:                              ;   in Loop: Header=BB193_145 Depth=1
	s_andn2_saveexec_b64 s[10:11], s[10:11]
; %bb.185:                              ;   in Loop: Header=BB193_145 Depth=1
	v_pk_mul_f32 v[20:21], v[14:15], 4.0 op_sel_hi:[1,0]
	v_pk_mul_f32 v[20:21], v[20:21], v[20:21]
	v_add_f32_e32 v3, v21, v20
	v_mul_f32_e32 v3, 0x3d800000, v3
; %bb.186:                              ;   in Loop: Header=BB193_145 Depth=1
	s_or_b64 exec, exec, s[10:11]
	v_cmp_gt_f32_e32 vcc, s54, v3
	v_cndmask_b32_e32 v14, 1.0, v46, vcc
	v_mul_f32_e32 v3, v3, v14
	v_log_f32_e32 v3, v3
	v_cndmask_b32_e32 v14, 0, v47, vcc
	v_mul_f32_e32 v20, 0x3f317217, v3
	v_fma_f32 v21, v3, s55, -v20
	v_fmac_f32_e32 v21, 0x3377d1cf, v3
	v_add_f32_e32 v20, v20, v21
	v_cmp_lt_f32_e64 vcc, |v3|, s50
	v_cndmask_b32_e32 v3, v3, v20, vcc
	v_sub_f32_e32 v21, v3, v14
	v_mov_b32_e32 v20, 0x7fc00000
.LBB193_187:                            ;   in Loop: Header=BB193_145 Depth=1
	s_or_b64 exec, exec, s[8:9]
	v_cmp_o_f32_e32 vcc, v17, v16
                                        ; implicit-def: $vgpr23
                                        ; implicit-def: $vgpr14
	s_and_saveexec_b64 s[8:9], vcc
	s_xor_b64 s[22:23], exec, s[8:9]
	s_cbranch_execz .LBB193_215
; %bb.188:                              ;   in Loop: Header=BB193_145 Depth=1
	v_cmp_lt_f32_e64 s[8:9], |v16|, |v17|
	v_cndmask_b32_e64 v3, v17, v16, s[8:9]
	v_cmp_ngt_f32_e64 s[10:11], |v3|, s45
                                        ; implicit-def: $vgpr23
                                        ; implicit-def: $vgpr14
	s_and_saveexec_b64 s[24:25], s[10:11]
	s_xor_b64 s[24:25], exec, s[24:25]
	s_cbranch_execz .LBB193_212
; %bb.189:                              ;   in Loop: Header=BB193_145 Depth=1
	v_cndmask_b32_e64 v14, v16, v17, s[8:9]
	v_and_b32_e32 v25, 0x7fffffff, v14
	v_and_b32_e32 v24, 0x7fffffff, v3
	v_cmp_neq_f32_e32 vcc, 1.0, v25
                                        ; implicit-def: $vgpr23
                                        ; implicit-def: $vgpr14
	s_and_saveexec_b64 s[10:11], vcc
	s_xor_b64 s[26:27], exec, s[10:11]
	s_cbranch_execz .LBB193_205
; %bb.190:                              ;   in Loop: Header=BB193_145 Depth=1
	v_max_f32_e32 v3, v24, v24
	v_max_f32_e32 v14, v25, v25
	v_min_f32_e32 v22, v14, v3
	v_max_f32_e32 v3, v14, v3
	v_cmp_ngt_f32_e32 vcc, s46, v22
	v_cmp_nlt_f32_e64 s[10:11], s47, v3
	s_and_b64 s[10:11], s[10:11], vcc
                                        ; implicit-def: $vgpr23
                                        ; implicit-def: $vgpr14
	s_and_saveexec_b64 s[28:29], s[10:11]
	s_xor_b64 s[28:29], exec, s[28:29]
	s_cbranch_execz .LBB193_202
; %bb.191:                              ;   in Loop: Header=BB193_145 Depth=1
	v_cmp_le_f32_e32 vcc, 1.0, v25
                                        ; implicit-def: $vgpr23
                                        ; implicit-def: $vgpr14
	s_and_saveexec_b64 s[10:11], vcc
	s_xor_b64 s[30:31], exec, s[10:11]
	s_cbranch_execz .LBB193_193
; %bb.192:                              ;   in Loop: Header=BB193_145 Depth=1
	v_pk_add_f32 v[22:23], v[24:25], s[18:19] op_sel:[1,0]
	v_mov_b32_e32 v14, v23
	v_pk_mul_f32 v[22:23], v[22:23], v[14:15]
	v_pk_fma_f32 v[22:23], v[24:25], v[24:25], v[22:23]
	v_add_f32_e32 v25, 1.0, v22
	v_add_f32_e32 v23, -1.0, v25
	v_mov_b32_e32 v24, v23
	v_pk_add_f32 v[26:27], v[22:23], v[24:25] neg_lo:[0,1] neg_hi:[0,1]
	v_add_f32_e32 v3, 1.0, v27
	v_add_f32_e32 v3, v26, v3
	v_frexp_mant_f32_e32 v14, v25
	v_cvt_f64_f32_e32 v[26:27], v25
	v_frexp_exp_i32_f64_e32 v23, v[26:27]
	v_cmp_gt_f32_e32 vcc, s48, v14
	v_subbrev_co_u32_e32 v14, vcc, 0, v23, vcc
	v_sub_u32_e32 v23, 0, v14
	v_ldexp_f32 v24, v25, v23
	v_ldexp_f32 v3, v3, v23
	v_add_f32_e32 v23, -1.0, v24
	v_add_f32_e32 v25, 1.0, v23
	v_sub_f32_e32 v25, v24, v25
	v_add_f32_e32 v26, v3, v25
	v_add_f32_e32 v25, 1.0, v24
	v_add_f32_e32 v27, -1.0, v25
	v_sub_f32_e32 v24, v24, v27
	v_add_f32_e32 v3, v3, v24
	v_add_f32_e32 v49, v25, v3
	v_rcp_f32_e32 v50, v49
	v_sub_f32_e32 v24, v49, v25
	v_add_f32_e32 v25, v23, v26
	v_sub_f32_e32 v23, v25, v23
	v_mul_f32_e32 v51, v25, v50
	v_sub_f32_e32 v23, v26, v23
	v_mul_f32_e32 v26, v49, v51
	v_sub_f32_e32 v3, v3, v24
	v_fma_f32 v28, v51, v49, -v26
	v_fmac_f32_e32 v28, v51, v3
	v_add_f32_e32 v24, v26, v28
	v_sub_f32_e32 v27, v25, v24
	v_pk_add_f32 v[30:31], v[24:25], v[26:27] neg_lo:[0,1] neg_hi:[0,1]
	v_mov_b32_e32 v29, v24
	v_pk_add_f32 v[24:25], v[30:31], v[28:29] neg_lo:[0,1] neg_hi:[0,1]
	v_add_f32_e32 v23, v23, v25
	v_add_f32_e32 v23, v24, v23
	;; [unrolled: 1-line block ×3, first 2 shown]
	v_mul_f32_e32 v52, v50, v25
	v_mul_f32_e32 v26, v49, v52
	v_fma_f32 v28, v52, v49, -v26
	v_fmac_f32_e32 v28, v52, v3
	v_add_f32_e32 v24, v26, v28
	v_sub_f32_e32 v3, v27, v25
	v_sub_f32_e32 v27, v25, v24
	v_pk_add_f32 v[30:31], v[24:25], v[26:27] neg_lo:[0,1] neg_hi:[0,1]
	v_mov_b32_e32 v29, v24
	v_add_f32_e32 v3, v23, v3
	v_pk_add_f32 v[24:25], v[30:31], v[28:29] neg_lo:[0,1] neg_hi:[0,1]
	v_add_f32_e32 v3, v3, v25
	v_add_f32_e32 v3, v24, v3
	;; [unrolled: 1-line block ×4, first 2 shown]
	v_sub_f32_e32 v24, v23, v51
	v_mul_f32_e32 v3, v50, v3
	v_sub_f32_e32 v24, v52, v24
	v_add_f32_e32 v25, v24, v3
	v_add_f32_e32 v26, v23, v25
	v_cvt_f32_i32_e32 v24, v14
	v_mul_f32_e32 v28, v26, v26
	v_mov_b32_e32 v3, 0x3ecc95a3
	v_fmac_f32_e32 v3, 0x3e9b6dac, v28
	v_sub_f32_e32 v14, v26, v23
	v_fma_f32 v3, v28, v3, v34
	v_sub_f32_e32 v14, v25, v14
	v_mul_f32_e32 v25, v26, v28
	v_pk_mul_f32 v[28:29], v[24:25], v[2:3]
	v_ldexp_f32 v27, v26, 1
	v_fma_f32 v26, v24, s49, -v28
	v_fmac_f32_e32 v26, 0xb102e308, v24
	v_pk_add_f32 v[24:25], v[28:29], v[26:27]
	v_sub_f32_e32 v3, v25, v27
	v_ldexp_f32 v14, v14, 1
	v_sub_f32_e32 v3, v29, v3
	v_add_f32_e32 v31, v14, v3
	v_mov_b32_e32 v30, v28
	v_pk_add_f32 v[28:29], v[24:25], v[28:29] neg_lo:[0,1] neg_hi:[0,1]
	v_pk_add_f32 v[50:51], v[24:25], v[30:31]
	v_mov_b32_e32 v29, v51
	v_mov_b32_e32 v27, v24
	v_pk_add_f32 v[52:53], v[26:27], v[28:29] neg_lo:[0,1] neg_hi:[0,1]
	v_pk_add_f32 v[26:27], v[26:27], v[28:29]
	v_mov_b32_e32 v14, v27
	v_pk_add_f32 v[28:29], v[14:15], v[24:25] neg_lo:[0,1] neg_hi:[0,1]
	v_mov_b32_e32 v3, v28
	v_pk_add_f32 v[54:55], v[50:51], v[2:3] neg_lo:[0,1] neg_hi:[0,1]
	v_mov_b32_e32 v26, v51
	v_mov_b32_e32 v50, v25
	;; [unrolled: 1-line block ×4, first 2 shown]
	v_pk_add_f32 v[26:27], v[26:27], v[50:51] neg_lo:[0,1] neg_hi:[0,1]
	v_mov_b32_e32 v28, v31
	v_mov_b32_e32 v29, v24
	v_pk_add_f32 v[24:25], v[28:29], v[26:27] neg_lo:[0,1] neg_hi:[0,1]
	v_mov_b32_e32 v54, v52
	v_pk_add_f32 v[26:27], v[54:55], v[24:25]
	v_mov_b32_e32 v28, v27
	v_pk_add_f32 v[28:29], v[26:27], v[28:29]
	v_pk_add_f32 v[30:31], v[14:15], v[28:29]
	v_mov_b32_e32 v27, v30
	v_pk_add_f32 v[50:51], v[26:27], v[52:53] neg_lo:[0,1] neg_hi:[0,1]
	v_mov_b32_e32 v25, v28
	v_sub_f32_e32 v3, v26, v50
	v_pk_add_f32 v[24:25], v[24:25], v[50:51] neg_lo:[0,1] neg_hi:[0,1]
	v_sub_f32_e32 v3, v52, v3
	v_add_f32_e32 v3, v24, v3
	v_add_f32_e32 v3, v3, v25
	;; [unrolled: 1-line block ×3, first 2 shown]
	v_cmp_eq_f32_e32 vcc, s50, v22
	v_cndmask_b32_e32 v3, v3, v22, vcc
	v_cmp_ngt_f32_e32 vcc, -1.0, v22
	v_cndmask_b32_e32 v3, v41, v3, vcc
	v_cmp_neq_f32_e32 vcc, -1.0, v22
	v_cndmask_b32_e32 v3, v42, v3, vcc
	v_cmp_lt_f32_e64 vcc, |v22|, s51
	v_cndmask_b32_e32 v3, v3, v22, vcc
	v_mul_f32_e32 v23, 0.5, v3
	v_max_f32_e64 v3, |v17|, |v17|
	v_max_f32_e64 v14, |v16|, |v16|
	v_min_f32_e32 v22, v14, v3
	v_max_f32_e32 v3, v14, v3
	v_frexp_mant_f32_e32 v14, v3
	v_rcp_f32_e32 v14, v14
	v_frexp_exp_i32_f32_e32 v3, v3
	v_frexp_exp_i32_f32_e32 v24, v22
	v_frexp_mant_f32_e32 v22, v22
	v_mul_f32_e32 v14, v22, v14
	v_sub_u32_e32 v3, v24, v3
	v_ldexp_f32 v3, v14, v3
	v_mul_f32_e32 v14, v3, v3
	v_mov_b32_e32 v22, 0xbc7a590c
	v_fmac_f32_e32 v22, 0x3b2d2a58, v14
	v_fma_f32 v22, v14, v22, v35
	v_fma_f32 v22, v14, v22, v36
	;; [unrolled: 1-line block ×6, first 2 shown]
	v_mul_f32_e32 v14, v14, v22
	v_fmac_f32_e32 v3, v3, v14
	v_sub_f32_e32 v14, 0x3fc90fdb, v3
	v_cndmask_b32_e64 v3, v3, v14, s[8:9]
	v_sub_f32_e32 v14, 0x40490fdb, v3
	v_cmp_gt_f32_e32 vcc, 0, v16
	v_cmp_gt_i32_e64 s[10:11], 0, v16
	v_cndmask_b32_e32 v3, v3, v14, vcc
	v_cndmask_b32_e64 v14, 0, v43, s[10:11]
	v_cmp_eq_f32_e64 s[10:11], 0, v17
	v_cndmask_b32_e64 v3, v3, v14, s[10:11]
	v_cmp_class_f32_e64 s[10:11], v16, s52
	v_cmp_class_f32_e64 s[34:35], v17, s52
	v_cndmask_b32_e32 v14, v44, v45, vcc
	s_and_b64 vcc, s[34:35], s[10:11]
	v_cndmask_b32_e32 v14, v3, v14, vcc
                                        ; implicit-def: $vgpr24_vgpr25
.LBB193_193:                            ;   in Loop: Header=BB193_145 Depth=1
	s_andn2_saveexec_b64 s[30:31], s[30:31]
	s_cbranch_execz .LBB193_201
; %bb.194:                              ;   in Loop: Header=BB193_145 Depth=1
	v_pk_mul_f32 v[22:23], v[24:25], v[24:25]
	v_add_f32_e32 v3, v23, v22
	v_cmp_ge_f32_e32 vcc, s53, v3
                                        ; implicit-def: $vgpr23
                                        ; implicit-def: $vgpr14
	s_and_saveexec_b64 s[10:11], vcc
	s_xor_b64 s[34:35], exec, s[10:11]
	s_cbranch_execz .LBB193_196
; %bb.195:                              ;   in Loop: Header=BB193_145 Depth=1
	v_cmp_gt_f32_e32 vcc, s54, v3
	v_cndmask_b32_e32 v14, 1.0, v46, vcc
	v_mul_f32_e32 v3, v3, v14
	v_log_f32_e32 v3, v3
	v_cndmask_b32_e32 v14, 0, v47, vcc
	v_cmp_gt_i32_e64 s[10:11], 0, v16
	v_cmp_class_f32_e64 s[36:37], v17, s52
	v_mul_f32_e32 v22, 0x3f317217, v3
	v_fma_f32 v23, v3, s55, -v22
	v_fmac_f32_e32 v23, 0x3377d1cf, v3
	v_add_f32_e32 v22, v22, v23
	v_cmp_lt_f32_e64 vcc, |v3|, s50
	v_cndmask_b32_e32 v3, v3, v22, vcc
	v_sub_f32_e32 v3, v3, v14
	v_mul_f32_e32 v23, 0.5, v3
	v_max_f32_e64 v3, |v17|, |v17|
	v_max_f32_e64 v14, |v16|, |v16|
	v_min_f32_e32 v22, v14, v3
	v_max_f32_e32 v3, v14, v3
	v_frexp_mant_f32_e32 v14, v3
	v_rcp_f32_e32 v14, v14
	v_frexp_exp_i32_f32_e32 v3, v3
	v_frexp_exp_i32_f32_e32 v24, v22
	v_frexp_mant_f32_e32 v22, v22
	v_mul_f32_e32 v14, v22, v14
	v_sub_u32_e32 v3, v24, v3
	v_ldexp_f32 v3, v14, v3
	v_mul_f32_e32 v14, v3, v3
	v_mov_b32_e32 v22, 0xbc7a590c
	v_fmac_f32_e32 v22, 0x3b2d2a58, v14
	v_fma_f32 v22, v14, v22, v35
	v_fma_f32 v22, v14, v22, v36
	;; [unrolled: 1-line block ×6, first 2 shown]
	v_mul_f32_e32 v14, v14, v22
	v_fmac_f32_e32 v3, v3, v14
	v_sub_f32_e32 v14, 0x3fc90fdb, v3
	v_cndmask_b32_e64 v3, v3, v14, s[8:9]
	v_sub_f32_e32 v14, 0x40490fdb, v3
	v_cmp_gt_f32_e32 vcc, 0, v16
	v_cndmask_b32_e32 v3, v3, v14, vcc
	v_cndmask_b32_e64 v14, 0, v43, s[10:11]
	v_cmp_eq_f32_e64 s[10:11], 0, v17
	v_cndmask_b32_e64 v3, v3, v14, s[10:11]
	v_cmp_class_f32_e64 s[10:11], v16, s52
	v_cndmask_b32_e32 v14, v44, v45, vcc
	s_and_b64 vcc, s[36:37], s[10:11]
	v_cndmask_b32_e32 v14, v3, v14, vcc
                                        ; implicit-def: $vgpr24_vgpr25
.LBB193_196:                            ;   in Loop: Header=BB193_145 Depth=1
	s_andn2_saveexec_b64 s[34:35], s[34:35]
	s_cbranch_execz .LBB193_200
; %bb.197:                              ;   in Loop: Header=BB193_145 Depth=1
	v_and_b32_e32 v27, 0x7fff0000, v24
	v_and_b32_e32 v26, 0x7fff0000, v25
	v_pk_add_f32 v[22:23], v[24:25], v[26:27] op_sel:[1,0] op_sel_hi:[0,1] neg_lo:[0,1] neg_hi:[0,1]
	v_and_b32_e32 v31, 0xffff0000, v23
	v_and_b32_e32 v30, 0xffff0000, v22
	v_pk_add_f32 v[50:51], v[22:23], v[30:31] neg_lo:[0,1] neg_hi:[0,1]
	v_pk_mul_f32 v[22:23], v[26:27], v[26:27]
	v_add_f32_e32 v26, v26, v26
	v_mul_f32_e32 v14, v26, v30
	v_mul_f32_e32 v29, v26, v50
	v_add_f32_e32 v26, v30, v30
	v_add_f32_e32 v27, v27, v27
	v_pk_mul_f32 v[24:25], v[30:31], v[30:31]
	v_mul_f32_e32 v30, v26, v50
	v_add_f32_e32 v26, v31, v31
	v_mul_f32_e32 v3, v27, v31
	v_mul_f32_e32 v28, v27, v51
	;; [unrolled: 1-line block ×3, first 2 shown]
	v_pk_mul_f32 v[26:27], v[50:51], v[50:51]
	s_mov_b64 s[36:37], 0
.LBB193_198:                            ;   Parent Loop BB193_145 Depth=1
                                        ; =>  This Inner Loop Header: Depth=2
	v_cmp_nlt_f32_e32 vcc, v22, v23
	v_cndmask_b32_e32 v49, v22, v23, vcc
	v_cmp_nlt_f32_e64 s[10:11], v49, v14
	v_cndmask_b32_e64 v50, v49, v14, s[10:11]
	v_cndmask_b32_e32 v22, v23, v22, vcc
	s_and_b64 s[60:61], vcc, s[10:11]
	v_cmp_nlt_f32_e32 vcc, v50, v3
	v_cndmask_b32_e64 v23, v14, v49, s[10:11]
	v_cndmask_b32_e32 v49, v50, v3, vcc
	v_cmp_nlt_f32_e64 s[10:11], v49, v24
	v_cndmask_b32_e32 v14, v3, v50, vcc
	v_cndmask_b32_e64 v50, v49, v24, s[10:11]
	s_and_b64 s[62:63], vcc, s[10:11]
	v_cmp_nlt_f32_e32 vcc, v50, v25
	v_cndmask_b32_e64 v3, v24, v49, s[10:11]
	v_cndmask_b32_e32 v49, v50, v25, vcc
	v_cmp_nlt_f32_e64 s[10:11], v49, v29
	v_cndmask_b32_e32 v24, v25, v50, vcc
	v_cndmask_b32_e64 v50, v49, v29, s[10:11]
	v_cndmask_b32_e64 v25, v29, v49, s[10:11]
	s_and_b64 s[10:11], vcc, s[10:11]
	v_cmp_nlt_f32_e32 vcc, v50, v28
	v_cndmask_b32_e32 v49, v50, v28, vcc
	v_cndmask_b32_e32 v29, v28, v50, vcc
	s_and_b64 s[10:11], s[10:11], vcc
	v_cmp_nlt_f32_e32 vcc, v49, v30
	v_cndmask_b32_e32 v50, v49, v30, vcc
	v_cndmask_b32_e32 v28, v30, v49, vcc
	s_and_b64 s[10:11], s[10:11], vcc
	;; [unrolled: 4-line block ×4, first 2 shown]
	v_cmp_nlt_f32_e32 vcc, v50, v27
	s_and_b64 s[10:11], s[10:11], vcc
	s_and_b64 s[10:11], s[10:11], s[62:63]
	s_and_b64 s[10:11], s[10:11], s[60:61]
	s_and_b64 s[10:11], exec, s[10:11]
	v_cndmask_b32_e32 v26, v27, v50, vcc
	s_or_b64 s[36:37], s[10:11], s[36:37]
	v_cndmask_b32_e32 v27, v50, v27, vcc
	s_andn2_b64 exec, exec, s[36:37]
	s_cbranch_execnz .LBB193_198
; %bb.199:                              ;   in Loop: Header=BB193_145 Depth=1
	s_or_b64 exec, exec, s[36:37]
	v_add_f32_e32 v22, -1.0, v22
	v_add_f32_e32 v22, v22, v23
	v_add_f32_e32 v14, v22, v14
	;; [unrolled: 1-line block ×11, first 2 shown]
	v_add_f32_e32 v25, 1.0, v22
	v_add_f32_e32 v23, -1.0, v25
	v_mov_b32_e32 v24, v23
	v_pk_add_f32 v[26:27], v[22:23], v[24:25] neg_lo:[0,1] neg_hi:[0,1]
	v_add_f32_e32 v3, 1.0, v27
	v_add_f32_e32 v3, v26, v3
	v_frexp_mant_f32_e32 v14, v25
	v_cvt_f64_f32_e32 v[26:27], v25
	v_frexp_exp_i32_f64_e32 v23, v[26:27]
	v_cmp_gt_f32_e32 vcc, s48, v14
	v_subbrev_co_u32_e32 v14, vcc, 0, v23, vcc
	v_sub_u32_e32 v23, 0, v14
	v_ldexp_f32 v24, v25, v23
	v_ldexp_f32 v3, v3, v23
	v_add_f32_e32 v23, -1.0, v24
	v_add_f32_e32 v25, 1.0, v23
	v_sub_f32_e32 v25, v24, v25
	v_add_f32_e32 v26, v3, v25
	v_add_f32_e32 v25, 1.0, v24
	v_add_f32_e32 v27, -1.0, v25
	v_sub_f32_e32 v24, v24, v27
	v_add_f32_e32 v3, v3, v24
	v_add_f32_e32 v49, v25, v3
	v_rcp_f32_e32 v50, v49
	v_sub_f32_e32 v24, v49, v25
	v_add_f32_e32 v25, v23, v26
	v_sub_f32_e32 v23, v25, v23
	v_mul_f32_e32 v51, v25, v50
	v_sub_f32_e32 v23, v26, v23
	v_mul_f32_e32 v26, v49, v51
	v_sub_f32_e32 v3, v3, v24
	v_fma_f32 v28, v51, v49, -v26
	v_fmac_f32_e32 v28, v51, v3
	v_add_f32_e32 v24, v26, v28
	v_sub_f32_e32 v27, v25, v24
	v_pk_add_f32 v[30:31], v[24:25], v[26:27] neg_lo:[0,1] neg_hi:[0,1]
	v_mov_b32_e32 v29, v24
	v_pk_add_f32 v[24:25], v[30:31], v[28:29] neg_lo:[0,1] neg_hi:[0,1]
	v_add_f32_e32 v23, v23, v25
	v_add_f32_e32 v23, v24, v23
	;; [unrolled: 1-line block ×3, first 2 shown]
	v_mul_f32_e32 v52, v50, v25
	v_mul_f32_e32 v26, v49, v52
	v_fma_f32 v28, v52, v49, -v26
	v_fmac_f32_e32 v28, v52, v3
	v_add_f32_e32 v24, v26, v28
	v_sub_f32_e32 v3, v27, v25
	v_sub_f32_e32 v27, v25, v24
	v_pk_add_f32 v[30:31], v[24:25], v[26:27] neg_lo:[0,1] neg_hi:[0,1]
	v_mov_b32_e32 v29, v24
	v_add_f32_e32 v3, v23, v3
	v_pk_add_f32 v[24:25], v[30:31], v[28:29] neg_lo:[0,1] neg_hi:[0,1]
	v_add_f32_e32 v3, v3, v25
	v_add_f32_e32 v3, v24, v3
	;; [unrolled: 1-line block ×4, first 2 shown]
	v_sub_f32_e32 v24, v23, v51
	v_mul_f32_e32 v3, v50, v3
	v_sub_f32_e32 v24, v52, v24
	v_add_f32_e32 v25, v24, v3
	v_add_f32_e32 v26, v23, v25
	v_cvt_f32_i32_e32 v24, v14
	v_mul_f32_e32 v28, v26, v26
	v_mov_b32_e32 v3, 0x3ecc95a3
	v_fmac_f32_e32 v3, 0x3e9b6dac, v28
	v_sub_f32_e32 v14, v26, v23
	v_fma_f32 v3, v28, v3, v34
	v_sub_f32_e32 v14, v25, v14
	v_mul_f32_e32 v25, v26, v28
	v_pk_mul_f32 v[28:29], v[24:25], v[2:3]
	v_ldexp_f32 v27, v26, 1
	v_fma_f32 v26, v24, s49, -v28
	v_fmac_f32_e32 v26, 0xb102e308, v24
	v_pk_add_f32 v[24:25], v[28:29], v[26:27]
	v_sub_f32_e32 v3, v25, v27
	v_ldexp_f32 v14, v14, 1
	v_sub_f32_e32 v3, v29, v3
	v_add_f32_e32 v31, v14, v3
	v_mov_b32_e32 v30, v28
	v_pk_add_f32 v[28:29], v[24:25], v[28:29] neg_lo:[0,1] neg_hi:[0,1]
	v_pk_add_f32 v[50:51], v[24:25], v[30:31]
	v_mov_b32_e32 v29, v51
	v_mov_b32_e32 v27, v24
	v_pk_add_f32 v[52:53], v[26:27], v[28:29] neg_lo:[0,1] neg_hi:[0,1]
	v_pk_add_f32 v[26:27], v[26:27], v[28:29]
	v_mov_b32_e32 v14, v27
	v_pk_add_f32 v[28:29], v[14:15], v[24:25] neg_lo:[0,1] neg_hi:[0,1]
	v_mov_b32_e32 v3, v28
	v_pk_add_f32 v[54:55], v[50:51], v[2:3] neg_lo:[0,1] neg_hi:[0,1]
	v_mov_b32_e32 v26, v51
	v_mov_b32_e32 v50, v25
	;; [unrolled: 1-line block ×4, first 2 shown]
	v_pk_add_f32 v[26:27], v[26:27], v[50:51] neg_lo:[0,1] neg_hi:[0,1]
	v_mov_b32_e32 v28, v31
	v_mov_b32_e32 v29, v24
	v_pk_add_f32 v[24:25], v[28:29], v[26:27] neg_lo:[0,1] neg_hi:[0,1]
	v_mov_b32_e32 v54, v52
	v_pk_add_f32 v[26:27], v[54:55], v[24:25]
	v_mov_b32_e32 v28, v27
	v_pk_add_f32 v[28:29], v[26:27], v[28:29]
	v_pk_add_f32 v[30:31], v[14:15], v[28:29]
	v_mov_b32_e32 v27, v30
	v_pk_add_f32 v[50:51], v[26:27], v[52:53] neg_lo:[0,1] neg_hi:[0,1]
	v_mov_b32_e32 v25, v28
	v_sub_f32_e32 v3, v26, v50
	v_pk_add_f32 v[24:25], v[24:25], v[50:51] neg_lo:[0,1] neg_hi:[0,1]
	v_sub_f32_e32 v3, v52, v3
	v_add_f32_e32 v3, v24, v3
	v_add_f32_e32 v3, v3, v25
	v_add_f32_e32 v3, v30, v3
	v_cmp_eq_f32_e32 vcc, s50, v22
	v_cndmask_b32_e32 v3, v3, v22, vcc
	v_cmp_ngt_f32_e32 vcc, -1.0, v22
	v_cndmask_b32_e32 v3, v41, v3, vcc
	v_cmp_neq_f32_e32 vcc, -1.0, v22
	v_cndmask_b32_e32 v3, v42, v3, vcc
	v_cmp_lt_f32_e64 vcc, |v22|, s51
	v_cndmask_b32_e32 v3, v3, v22, vcc
	v_mul_f32_e32 v23, 0.5, v3
	v_max_f32_e64 v3, |v17|, |v17|
	v_max_f32_e64 v14, |v16|, |v16|
	v_min_f32_e32 v22, v14, v3
	v_max_f32_e32 v3, v14, v3
	v_frexp_mant_f32_e32 v14, v3
	v_rcp_f32_e32 v14, v14
	v_frexp_exp_i32_f32_e32 v3, v3
	v_frexp_exp_i32_f32_e32 v24, v22
	v_frexp_mant_f32_e32 v22, v22
	v_mul_f32_e32 v14, v22, v14
	v_sub_u32_e32 v3, v24, v3
	v_ldexp_f32 v3, v14, v3
	v_mul_f32_e32 v14, v3, v3
	v_mov_b32_e32 v22, 0xbc7a590c
	v_fmac_f32_e32 v22, 0x3b2d2a58, v14
	v_fma_f32 v22, v14, v22, v35
	v_fma_f32 v22, v14, v22, v36
	;; [unrolled: 1-line block ×6, first 2 shown]
	v_mul_f32_e32 v14, v14, v22
	v_fmac_f32_e32 v3, v3, v14
	v_sub_f32_e32 v14, 0x3fc90fdb, v3
	v_cndmask_b32_e64 v3, v3, v14, s[8:9]
	v_sub_f32_e32 v14, 0x40490fdb, v3
	v_cmp_gt_f32_e32 vcc, 0, v16
	v_cmp_gt_i32_e64 s[10:11], 0, v16
	v_cndmask_b32_e32 v3, v3, v14, vcc
	v_cndmask_b32_e64 v14, 0, v43, s[10:11]
	v_cmp_eq_f32_e64 s[10:11], 0, v17
	v_cndmask_b32_e64 v3, v3, v14, s[10:11]
	v_cmp_class_f32_e64 s[10:11], v16, s52
	v_cmp_class_f32_e64 s[36:37], v17, s52
	v_cndmask_b32_e32 v14, v44, v45, vcc
	s_and_b64 vcc, s[36:37], s[10:11]
	v_cndmask_b32_e32 v14, v3, v14, vcc
.LBB193_200:                            ;   in Loop: Header=BB193_145 Depth=1
	s_or_b64 exec, exec, s[34:35]
.LBB193_201:                            ;   in Loop: Header=BB193_145 Depth=1
	s_or_b64 exec, exec, s[30:31]
.LBB193_202:                            ;   in Loop: Header=BB193_145 Depth=1
	s_andn2_saveexec_b64 s[28:29], s[28:29]
	s_cbranch_execz .LBB193_204
; %bb.203:                              ;   in Loop: Header=BB193_145 Depth=1
	v_max_f32_e64 v3, |v17|, |v17|
	v_max_f32_e64 v14, |v16|, |v16|
	v_max_f32_e32 v24, v14, v3
	v_cvt_f64_f32_e32 v[22:23], v24
	v_frexp_exp_i32_f64_e32 v22, v[22:23]
	v_sub_u32_e32 v23, 0, v22
	v_ldexp_f32 v25, |v16|, v23
	v_ldexp_f32 v23, |v17|, v23
	v_mul_f32_e32 v23, v23, v23
	v_fmac_f32_e32 v23, v25, v25
	v_sqrt_f32_e32 v23, v23
	v_cmp_neq_f32_e32 vcc, s50, v24
	v_min_f32_e32 v3, v14, v3
	v_frexp_mant_f32_e32 v14, v24
	v_ldexp_f32 v22, v23, v22
	v_cndmask_b32_e32 v22, v48, v22, vcc
	v_cmp_gt_f32_e32 vcc, s54, v22
	v_cndmask_b32_e32 v23, 1.0, v46, vcc
	v_mul_f32_e32 v22, v22, v23
	v_log_f32_e32 v22, v22
	v_rcp_f32_e32 v14, v14
	v_cndmask_b32_e32 v23, 0, v47, vcc
	v_cmp_gt_i32_e64 s[10:11], 0, v16
	v_mul_f32_e32 v25, 0x3f317217, v22
	v_fma_f32 v26, v22, s55, -v25
	v_fmac_f32_e32 v26, 0x3377d1cf, v22
	v_add_f32_e32 v25, v25, v26
	v_cmp_lt_f32_e64 vcc, |v22|, s50
	v_cndmask_b32_e32 v22, v22, v25, vcc
	v_sub_f32_e32 v23, v22, v23
	v_frexp_exp_i32_f32_e32 v22, v24
	v_frexp_exp_i32_f32_e32 v24, v3
	v_frexp_mant_f32_e32 v3, v3
	v_mul_f32_e32 v3, v3, v14
	v_sub_u32_e32 v14, v24, v22
	v_ldexp_f32 v3, v3, v14
	v_mul_f32_e32 v14, v3, v3
	v_mov_b32_e32 v22, 0xbc7a590c
	v_fmac_f32_e32 v22, 0x3b2d2a58, v14
	v_fma_f32 v22, v14, v22, v35
	v_fma_f32 v22, v14, v22, v36
	;; [unrolled: 1-line block ×6, first 2 shown]
	v_mul_f32_e32 v14, v14, v22
	v_fmac_f32_e32 v3, v3, v14
	v_sub_f32_e32 v14, 0x3fc90fdb, v3
	v_cndmask_b32_e64 v3, v3, v14, s[8:9]
	v_sub_f32_e32 v14, 0x40490fdb, v3
	v_cmp_gt_f32_e32 vcc, 0, v16
	v_cndmask_b32_e32 v3, v3, v14, vcc
	v_cndmask_b32_e64 v14, 0, v43, s[10:11]
	v_cmp_eq_f32_e64 s[10:11], 0, v17
	v_cndmask_b32_e64 v3, v3, v14, s[10:11]
	v_cmp_class_f32_e64 s[10:11], v16, s52
	v_cmp_class_f32_e64 s[30:31], v17, s52
	v_cndmask_b32_e32 v14, v44, v45, vcc
	s_and_b64 vcc, s[30:31], s[10:11]
	v_cndmask_b32_e32 v14, v3, v14, vcc
.LBB193_204:                            ;   in Loop: Header=BB193_145 Depth=1
	s_or_b64 exec, exec, s[28:29]
                                        ; implicit-def: $vgpr24
.LBB193_205:                            ;   in Loop: Header=BB193_145 Depth=1
	s_andn2_saveexec_b64 s[26:27], s[26:27]
	s_cbranch_execz .LBB193_211
; %bb.206:                              ;   in Loop: Header=BB193_145 Depth=1
	v_cmp_ngt_f32_e32 vcc, s56, v24
                                        ; implicit-def: $vgpr23
                                        ; implicit-def: $vgpr14
	s_and_saveexec_b64 s[10:11], vcc
	s_xor_b64 s[28:29], exec, s[10:11]
	s_cbranch_execz .LBB193_208
; %bb.207:                              ;   in Loop: Header=BB193_145 Depth=1
	v_pk_mul_f32 v[22:23], v[24:25], v[24:25]
	v_add_f32_e32 v25, 1.0, v22
	v_add_f32_e32 v23, -1.0, v25
	v_mov_b32_e32 v24, v23
	v_pk_add_f32 v[26:27], v[22:23], v[24:25] neg_lo:[0,1] neg_hi:[0,1]
	v_add_f32_e32 v3, 1.0, v27
	v_add_f32_e32 v3, v26, v3
	v_frexp_mant_f32_e32 v14, v25
	v_cvt_f64_f32_e32 v[26:27], v25
	v_frexp_exp_i32_f64_e32 v23, v[26:27]
	v_cmp_gt_f32_e32 vcc, s48, v14
	v_subbrev_co_u32_e32 v14, vcc, 0, v23, vcc
	v_sub_u32_e32 v23, 0, v14
	v_ldexp_f32 v24, v25, v23
	v_ldexp_f32 v3, v3, v23
	v_add_f32_e32 v23, -1.0, v24
	v_add_f32_e32 v25, 1.0, v23
	v_sub_f32_e32 v25, v24, v25
	v_add_f32_e32 v26, v3, v25
	v_add_f32_e32 v25, 1.0, v24
	v_add_f32_e32 v27, -1.0, v25
	v_sub_f32_e32 v24, v24, v27
	v_add_f32_e32 v3, v3, v24
	v_add_f32_e32 v49, v25, v3
	v_rcp_f32_e32 v50, v49
	v_sub_f32_e32 v24, v25, v49
	v_add_f32_e32 v25, v23, v26
	v_sub_f32_e32 v23, v23, v25
	v_mul_f32_e32 v51, v25, v50
	v_add_f32_e32 v23, v26, v23
	v_mul_f32_e32 v26, v49, v51
	v_add_f32_e32 v3, v3, v24
	v_fma_f32 v28, v51, v49, -v26
	v_fmac_f32_e32 v28, v51, v3
	v_add_f32_e32 v24, v26, v28
	v_sub_f32_e32 v27, v25, v24
	v_pk_add_f32 v[30:31], v[24:25], v[26:27] neg_lo:[0,1] neg_hi:[0,1]
	v_mov_b32_e32 v29, v24
	v_pk_add_f32 v[24:25], v[30:31], v[28:29] neg_lo:[0,1] neg_hi:[0,1]
	v_add_f32_e32 v23, v23, v25
	v_add_f32_e32 v23, v24, v23
	;; [unrolled: 1-line block ×3, first 2 shown]
	v_mul_f32_e32 v52, v50, v25
	v_mul_f32_e32 v26, v49, v52
	v_fma_f32 v28, v52, v49, -v26
	v_fmac_f32_e32 v28, v52, v3
	v_add_f32_e32 v24, v26, v28
	v_sub_f32_e32 v3, v27, v25
	v_sub_f32_e32 v27, v25, v24
	v_pk_add_f32 v[30:31], v[24:25], v[26:27] neg_lo:[0,1] neg_hi:[0,1]
	v_mov_b32_e32 v29, v24
	v_add_f32_e32 v3, v23, v3
	v_pk_add_f32 v[24:25], v[30:31], v[28:29] neg_lo:[0,1] neg_hi:[0,1]
	v_add_f32_e32 v3, v3, v25
	v_add_f32_e32 v3, v24, v3
	;; [unrolled: 1-line block ×4, first 2 shown]
	v_sub_f32_e32 v24, v23, v51
	v_mul_f32_e32 v3, v50, v3
	v_sub_f32_e32 v24, v52, v24
	v_add_f32_e32 v25, v24, v3
	v_add_f32_e32 v26, v23, v25
	v_cvt_f32_i32_e32 v24, v14
	v_mul_f32_e32 v28, v26, v26
	v_mov_b32_e32 v3, 0x3ecc95a3
	v_fmac_f32_e32 v3, 0x3e9b6dac, v28
	v_sub_f32_e32 v14, v26, v23
	v_fma_f32 v3, v28, v3, v34
	v_sub_f32_e32 v14, v25, v14
	v_mul_f32_e32 v25, v26, v28
	v_pk_mul_f32 v[28:29], v[24:25], v[2:3]
	v_ldexp_f32 v27, v26, 1
	v_fma_f32 v26, v24, s49, -v28
	v_fmac_f32_e32 v26, 0xb102e308, v24
	v_pk_add_f32 v[24:25], v[28:29], v[26:27]
	v_sub_f32_e32 v3, v25, v27
	v_ldexp_f32 v14, v14, 1
	v_sub_f32_e32 v3, v29, v3
	v_add_f32_e32 v31, v14, v3
	v_mov_b32_e32 v30, v28
	v_pk_add_f32 v[28:29], v[24:25], v[28:29] neg_lo:[0,1] neg_hi:[0,1]
	v_pk_add_f32 v[50:51], v[24:25], v[30:31]
	v_mov_b32_e32 v29, v51
	v_mov_b32_e32 v27, v24
	v_pk_add_f32 v[52:53], v[26:27], v[28:29] neg_lo:[0,1] neg_hi:[0,1]
	v_pk_add_f32 v[26:27], v[26:27], v[28:29]
	v_mov_b32_e32 v14, v27
	v_pk_add_f32 v[28:29], v[14:15], v[24:25] neg_lo:[0,1] neg_hi:[0,1]
	v_mov_b32_e32 v3, v28
	v_pk_add_f32 v[54:55], v[50:51], v[2:3] neg_lo:[0,1] neg_hi:[0,1]
	v_mov_b32_e32 v26, v51
	v_mov_b32_e32 v50, v25
	;; [unrolled: 1-line block ×4, first 2 shown]
	v_pk_add_f32 v[26:27], v[26:27], v[50:51] neg_lo:[0,1] neg_hi:[0,1]
	v_mov_b32_e32 v28, v31
	v_mov_b32_e32 v29, v24
	v_pk_add_f32 v[24:25], v[28:29], v[26:27] neg_lo:[0,1] neg_hi:[0,1]
	v_mov_b32_e32 v54, v52
	v_pk_add_f32 v[26:27], v[54:55], v[24:25]
	v_mov_b32_e32 v28, v27
	v_pk_add_f32 v[28:29], v[26:27], v[28:29]
	v_pk_add_f32 v[30:31], v[14:15], v[28:29]
	v_mov_b32_e32 v27, v30
	v_pk_add_f32 v[50:51], v[26:27], v[52:53] neg_lo:[0,1] neg_hi:[0,1]
	v_mov_b32_e32 v25, v28
	v_sub_f32_e32 v3, v26, v50
	v_pk_add_f32 v[24:25], v[24:25], v[50:51] neg_lo:[0,1] neg_hi:[0,1]
	v_sub_f32_e32 v3, v52, v3
	v_add_f32_e32 v3, v24, v3
	v_add_f32_e32 v3, v3, v25
	v_cmp_eq_f32_e32 vcc, s50, v22
	v_cmp_lt_f32_e64 s[10:11], |v22|, s51
	v_add_f32_e32 v3, v30, v3
	s_or_b64 vcc, vcc, s[10:11]
	v_cndmask_b32_e32 v3, v3, v22, vcc
	v_mul_f32_e32 v23, 0.5, v3
	v_max_f32_e64 v3, |v17|, |v17|
	v_max_f32_e64 v14, |v16|, |v16|
	v_min_f32_e32 v22, v14, v3
	v_max_f32_e32 v3, v14, v3
	v_frexp_mant_f32_e32 v14, v3
	v_rcp_f32_e32 v14, v14
	v_frexp_exp_i32_f32_e32 v3, v3
	v_frexp_exp_i32_f32_e32 v24, v22
	v_frexp_mant_f32_e32 v22, v22
	v_mul_f32_e32 v14, v22, v14
	v_sub_u32_e32 v3, v24, v3
	v_ldexp_f32 v3, v14, v3
	v_mul_f32_e32 v14, v3, v3
	v_mov_b32_e32 v22, 0xbc7a590c
	v_fmac_f32_e32 v22, 0x3b2d2a58, v14
	v_fma_f32 v22, v14, v22, v35
	v_fma_f32 v22, v14, v22, v36
	;; [unrolled: 1-line block ×6, first 2 shown]
	v_mul_f32_e32 v14, v14, v22
	v_fmac_f32_e32 v3, v3, v14
	v_sub_f32_e32 v14, 0x3fc90fdb, v3
	v_cndmask_b32_e64 v3, v3, v14, s[8:9]
	v_sub_f32_e32 v14, 0x40490fdb, v3
	v_cmp_gt_f32_e32 vcc, 0, v16
	v_cmp_gt_i32_e64 s[10:11], 0, v16
	v_cndmask_b32_e32 v3, v3, v14, vcc
	v_cndmask_b32_e64 v14, 0, v43, s[10:11]
	v_cmp_eq_f32_e64 s[10:11], 0, v17
	v_cndmask_b32_e64 v3, v3, v14, s[10:11]
	v_cmp_class_f32_e64 s[10:11], v16, s52
	v_cmp_class_f32_e64 s[30:31], v17, s52
	v_cndmask_b32_e32 v14, v44, v45, vcc
	s_and_b64 vcc, s[30:31], s[10:11]
	v_cndmask_b32_e32 v14, v3, v14, vcc
                                        ; implicit-def: $vgpr24
.LBB193_208:                            ;   in Loop: Header=BB193_145 Depth=1
	s_andn2_saveexec_b64 s[28:29], s[28:29]
	s_cbranch_execz .LBB193_210
; %bb.209:                              ;   in Loop: Header=BB193_145 Depth=1
	v_mul_f32_e32 v3, 0.5, v24
	v_mul_f32_e32 v23, v24, v3
	v_max_f32_e64 v3, |v17|, |v17|
	v_max_f32_e64 v14, |v16|, |v16|
	v_min_f32_e32 v22, v14, v3
	v_max_f32_e32 v3, v14, v3
	v_frexp_mant_f32_e32 v14, v3
	v_rcp_f32_e32 v14, v14
	v_frexp_exp_i32_f32_e32 v3, v3
	v_frexp_exp_i32_f32_e32 v24, v22
	v_frexp_mant_f32_e32 v22, v22
	v_mul_f32_e32 v14, v22, v14
	v_sub_u32_e32 v3, v24, v3
	v_ldexp_f32 v3, v14, v3
	v_mul_f32_e32 v14, v3, v3
	v_mov_b32_e32 v22, 0xbc7a590c
	v_fmac_f32_e32 v22, 0x3b2d2a58, v14
	v_fma_f32 v22, v14, v22, v35
	v_fma_f32 v22, v14, v22, v36
	;; [unrolled: 1-line block ×6, first 2 shown]
	v_mul_f32_e32 v14, v14, v22
	v_fmac_f32_e32 v3, v3, v14
	v_sub_f32_e32 v14, 0x3fc90fdb, v3
	v_cndmask_b32_e64 v3, v3, v14, s[8:9]
	v_sub_f32_e32 v14, 0x40490fdb, v3
	v_cmp_gt_f32_e32 vcc, 0, v16
	v_cmp_gt_i32_e64 s[10:11], 0, v16
	v_cndmask_b32_e32 v3, v3, v14, vcc
	v_cndmask_b32_e64 v14, 0, v43, s[10:11]
	v_cmp_eq_f32_e64 s[10:11], 0, v17
	v_cndmask_b32_e64 v3, v3, v14, s[10:11]
	v_cmp_class_f32_e64 s[10:11], v16, s52
	v_cmp_class_f32_e64 s[30:31], v17, s52
	v_cndmask_b32_e32 v14, v44, v45, vcc
	s_and_b64 vcc, s[30:31], s[10:11]
	v_cndmask_b32_e32 v14, v3, v14, vcc
.LBB193_210:                            ;   in Loop: Header=BB193_145 Depth=1
	s_or_b64 exec, exec, s[28:29]
.LBB193_211:                            ;   in Loop: Header=BB193_145 Depth=1
	s_or_b64 exec, exec, s[26:27]
.LBB193_212:                            ;   in Loop: Header=BB193_145 Depth=1
	s_andn2_saveexec_b64 s[24:25], s[24:25]
	s_cbranch_execz .LBB193_214
; %bb.213:                              ;   in Loop: Header=BB193_145 Depth=1
	v_div_scale_f32 v3, s[10:11], s57, s57, v16
	v_rcp_f32_e32 v14, v3
	v_div_scale_f32 v22, vcc, v16, s57, v16
	v_fma_f32 v23, -v3, v14, 1.0
	v_fmac_f32_e32 v14, v23, v14
	v_mul_f32_e32 v23, v22, v14
	v_fma_f32 v24, -v3, v23, v22
	v_fmac_f32_e32 v23, v24, v14
	v_fma_f32 v3, -v3, v23, v22
	v_div_scale_f32 v22, s[10:11], s57, s57, v17
	v_rcp_f32_e32 v24, v22
	v_div_fmas_f32 v3, v3, v14, v23
	v_div_fixup_f32 v3, v3, s57, v16
	v_fma_f32 v14, -v22, v24, 1.0
	v_fmac_f32_e32 v24, v14, v24
	v_div_scale_f32 v14, vcc, v17, s57, v17
	v_mul_f32_e32 v23, v14, v24
	v_fma_f32 v25, -v22, v23, v14
	v_fmac_f32_e32 v23, v25, v24
	v_fma_f32 v14, -v22, v23, v14
	v_div_fmas_f32 v14, v14, v24, v23
	v_div_fixup_f32 v14, v14, s57, v17
	v_max_f32_e64 v24, |v3|, |v14|
	v_cvt_f64_f32_e32 v[22:23], v24
	v_frexp_exp_i32_f64_e32 v22, v[22:23]
	v_sub_u32_e32 v23, 0, v22
	v_ldexp_f32 v14, |v14|, v23
	v_ldexp_f32 v3, |v3|, v23
	v_mul_f32_e32 v14, v14, v14
	v_fmac_f32_e32 v14, v3, v3
	v_sqrt_f32_e32 v3, v14
	v_cmp_neq_f32_e32 vcc, s50, v24
	v_ldexp_f32 v3, v3, v22
	v_cndmask_b32_e32 v3, v48, v3, vcc
	v_cmp_gt_f32_e32 vcc, s54, v3
	v_cndmask_b32_e32 v14, 1.0, v46, vcc
	v_mul_f32_e32 v3, v3, v14
	v_log_f32_e32 v3, v3
	v_mul_f32_e32 v14, 0x3f317217, v3
	v_fma_f32 v22, v3, s55, -v14
	v_fmac_f32_e32 v22, 0x3377d1cf, v3
	v_add_f32_e32 v14, v14, v22
	v_cmp_lt_f32_e64 s[10:11], |v3|, s50
	v_cndmask_b32_e64 v3, v3, v14, s[10:11]
	v_cndmask_b32_e32 v14, 0, v47, vcc
	v_sub_f32_e32 v3, v3, v14
	v_add_f32_e32 v23, 1.0, v3
	v_max_f32_e64 v3, |v17|, |v17|
	v_max_f32_e64 v14, |v16|, |v16|
	v_min_f32_e32 v22, v14, v3
	v_max_f32_e32 v3, v14, v3
	v_frexp_mant_f32_e32 v14, v3
	v_rcp_f32_e32 v14, v14
	v_frexp_exp_i32_f32_e32 v3, v3
	v_frexp_exp_i32_f32_e32 v24, v22
	v_frexp_mant_f32_e32 v22, v22
	v_mul_f32_e32 v14, v22, v14
	v_sub_u32_e32 v3, v24, v3
	v_ldexp_f32 v3, v14, v3
	v_mul_f32_e32 v14, v3, v3
	v_mov_b32_e32 v22, 0xbc7a590c
	v_fmac_f32_e32 v22, 0x3b2d2a58, v14
	v_fma_f32 v22, v14, v22, v35
	v_fma_f32 v22, v14, v22, v36
	;; [unrolled: 1-line block ×6, first 2 shown]
	v_mul_f32_e32 v14, v14, v22
	v_fmac_f32_e32 v3, v3, v14
	v_sub_f32_e32 v14, 0x3fc90fdb, v3
	v_cndmask_b32_e64 v3, v3, v14, s[8:9]
	v_sub_f32_e32 v14, 0x40490fdb, v3
	v_cmp_gt_f32_e32 vcc, 0, v16
	v_cmp_gt_i32_e64 s[8:9], 0, v16
	v_cndmask_b32_e32 v3, v3, v14, vcc
	v_cndmask_b32_e64 v14, 0, v43, s[8:9]
	v_cmp_eq_f32_e64 s[8:9], 0, v17
	v_cndmask_b32_e64 v3, v3, v14, s[8:9]
	v_cmp_class_f32_e64 s[8:9], v16, s52
	v_cmp_class_f32_e64 s[10:11], v17, s52
	v_cndmask_b32_e32 v14, v44, v45, vcc
	s_and_b64 vcc, s[10:11], s[8:9]
	v_cndmask_b32_e32 v14, v3, v14, vcc
.LBB193_214:                            ;   in Loop: Header=BB193_145 Depth=1
	s_or_b64 exec, exec, s[24:25]
.LBB193_215:                            ;   in Loop: Header=BB193_145 Depth=1
	s_andn2_saveexec_b64 s[8:9], s[22:23]
	s_cbranch_execz .LBB193_221
; %bb.216:                              ;   in Loop: Header=BB193_145 Depth=1
	v_cmp_nlt_f32_e64 s[10:11], |v16|, s58
	v_cmp_nlt_f32_e64 s[22:23], |v17|, s58
	s_or_b64 s[10:11], s[22:23], s[10:11]
                                        ; implicit-def: $vgpr3
	s_and_saveexec_b64 s[22:23], s[10:11]
	s_xor_b64 s[10:11], exec, s[22:23]
; %bb.217:                              ;   in Loop: Header=BB193_145 Depth=1
	v_pk_mul_f32 v[22:23], v[16:17], v[16:17]
	v_add_f32_e32 v3, v23, v22
; %bb.218:                              ;   in Loop: Header=BB193_145 Depth=1
	s_andn2_saveexec_b64 s[10:11], s[10:11]
; %bb.219:                              ;   in Loop: Header=BB193_145 Depth=1
	v_pk_mul_f32 v[22:23], v[16:17], 4.0 op_sel_hi:[1,0]
	v_pk_mul_f32 v[22:23], v[22:23], v[22:23]
	v_add_f32_e32 v3, v23, v22
	v_mul_f32_e32 v3, 0x3d800000, v3
; %bb.220:                              ;   in Loop: Header=BB193_145 Depth=1
	s_or_b64 exec, exec, s[10:11]
	v_cmp_gt_f32_e32 vcc, s54, v3
	v_cndmask_b32_e32 v14, 1.0, v46, vcc
	v_mul_f32_e32 v3, v3, v14
	v_log_f32_e32 v3, v3
	v_cndmask_b32_e32 v14, 0, v47, vcc
	v_mul_f32_e32 v16, 0x3f317217, v3
	v_fma_f32 v22, v3, s55, -v16
	v_fmac_f32_e32 v22, 0x3377d1cf, v3
	v_add_f32_e32 v16, v16, v22
	v_cmp_lt_f32_e64 vcc, |v3|, s50
	v_cndmask_b32_e32 v3, v3, v16, vcc
	v_sub_f32_e32 v23, v3, v14
	v_mov_b32_e32 v14, 0x7fc00000
.LBB193_221:                            ;   in Loop: Header=BB193_145 Depth=1
	s_or_b64 exec, exec, s[8:9]
	v_cmp_o_f32_e32 vcc, v5, v4
                                        ; implicit-def: $vgpr25
                                        ; implicit-def: $vgpr16
	s_and_saveexec_b64 s[8:9], vcc
	s_xor_b64 s[22:23], exec, s[8:9]
	s_cbranch_execz .LBB193_249
; %bb.222:                              ;   in Loop: Header=BB193_145 Depth=1
	v_cmp_lt_f32_e64 s[8:9], |v4|, |v5|
	v_cndmask_b32_e64 v3, v5, v4, s[8:9]
	v_cmp_ngt_f32_e64 s[10:11], |v3|, s45
                                        ; implicit-def: $vgpr25
                                        ; implicit-def: $vgpr16
	s_and_saveexec_b64 s[24:25], s[10:11]
	s_xor_b64 s[24:25], exec, s[24:25]
	s_cbranch_execz .LBB193_246
; %bb.223:                              ;   in Loop: Header=BB193_145 Depth=1
	v_cndmask_b32_e64 v16, v4, v5, s[8:9]
	v_and_b32_e32 v27, 0x7fffffff, v16
	v_and_b32_e32 v26, 0x7fffffff, v3
	v_cmp_neq_f32_e32 vcc, 1.0, v27
                                        ; implicit-def: $vgpr25
                                        ; implicit-def: $vgpr16
	s_and_saveexec_b64 s[10:11], vcc
	s_xor_b64 s[26:27], exec, s[10:11]
	s_cbranch_execz .LBB193_239
; %bb.224:                              ;   in Loop: Header=BB193_145 Depth=1
	v_max_f32_e32 v3, v26, v26
	v_max_f32_e32 v16, v27, v27
	v_min_f32_e32 v22, v16, v3
	v_max_f32_e32 v3, v16, v3
	v_cmp_ngt_f32_e32 vcc, s46, v22
	v_cmp_nlt_f32_e64 s[10:11], s47, v3
	s_and_b64 s[10:11], s[10:11], vcc
                                        ; implicit-def: $vgpr25
                                        ; implicit-def: $vgpr16
	s_and_saveexec_b64 s[28:29], s[10:11]
	s_xor_b64 s[28:29], exec, s[28:29]
	s_cbranch_execz .LBB193_236
; %bb.225:                              ;   in Loop: Header=BB193_145 Depth=1
	v_cmp_le_f32_e32 vcc, 1.0, v27
                                        ; implicit-def: $vgpr25
                                        ; implicit-def: $vgpr16
	s_and_saveexec_b64 s[10:11], vcc
	s_xor_b64 s[30:31], exec, s[10:11]
	s_cbranch_execz .LBB193_227
; %bb.226:                              ;   in Loop: Header=BB193_145 Depth=1
	v_pk_add_f32 v[24:25], v[26:27], s[18:19] op_sel:[1,0]
	v_mov_b32_e32 v16, v25
	v_pk_mul_f32 v[24:25], v[24:25], v[16:17]
	v_pk_fma_f32 v[24:25], v[26:27], v[26:27], v[24:25]
	v_add_f32_e32 v27, 1.0, v24
	v_add_f32_e32 v25, -1.0, v27
	v_mov_b32_e32 v26, v25
	v_pk_add_f32 v[28:29], v[24:25], v[26:27] neg_lo:[0,1] neg_hi:[0,1]
	v_add_f32_e32 v3, 1.0, v29
	v_add_f32_e32 v3, v28, v3
	v_frexp_mant_f32_e32 v16, v27
	v_cvt_f64_f32_e32 v[28:29], v27
	v_frexp_exp_i32_f64_e32 v22, v[28:29]
	v_cmp_gt_f32_e32 vcc, s48, v16
	v_subbrev_co_u32_e32 v16, vcc, 0, v22, vcc
	v_sub_u32_e32 v22, 0, v16
	v_ldexp_f32 v25, v27, v22
	v_ldexp_f32 v3, v3, v22
	v_add_f32_e32 v22, -1.0, v25
	v_add_f32_e32 v27, 1.0, v25
	v_add_f32_e32 v26, 1.0, v22
	v_add_f32_e32 v28, -1.0, v27
	v_sub_f32_e32 v26, v25, v26
	v_sub_f32_e32 v25, v25, v28
	v_add_f32_e32 v26, v3, v26
	v_add_f32_e32 v3, v3, v25
	v_add_f32_e32 v25, v27, v3
	v_rcp_f32_e32 v49, v25
	v_sub_f32_e32 v27, v25, v27
	v_sub_f32_e32 v3, v3, v27
	v_add_f32_e32 v27, v22, v26
	v_mul_f32_e32 v52, v27, v49
	v_mul_f32_e32 v28, v25, v52
	v_fma_f32 v30, v52, v25, -v28
	v_sub_f32_e32 v22, v27, v22
	v_fmac_f32_e32 v30, v52, v3
	v_sub_f32_e32 v22, v26, v22
	v_add_f32_e32 v26, v28, v30
	v_sub_f32_e32 v29, v27, v26
	v_pk_add_f32 v[50:51], v[26:27], v[28:29] neg_lo:[0,1] neg_hi:[0,1]
	v_mov_b32_e32 v31, v26
	v_pk_add_f32 v[26:27], v[50:51], v[30:31] neg_lo:[0,1] neg_hi:[0,1]
	v_add_f32_e32 v22, v22, v27
	v_add_f32_e32 v22, v26, v22
	;; [unrolled: 1-line block ×3, first 2 shown]
	v_mul_f32_e32 v53, v49, v27
	v_mul_f32_e32 v28, v25, v53
	v_fma_f32 v30, v53, v25, -v28
	v_fmac_f32_e32 v30, v53, v3
	v_add_f32_e32 v26, v28, v30
	v_sub_f32_e32 v3, v29, v27
	v_sub_f32_e32 v29, v27, v26
	v_pk_add_f32 v[50:51], v[26:27], v[28:29] neg_lo:[0,1] neg_hi:[0,1]
	v_mov_b32_e32 v31, v26
	v_add_f32_e32 v3, v22, v3
	v_pk_add_f32 v[26:27], v[50:51], v[30:31] neg_lo:[0,1] neg_hi:[0,1]
	v_add_f32_e32 v3, v3, v27
	v_add_f32_e32 v3, v26, v3
	;; [unrolled: 1-line block ×4, first 2 shown]
	v_sub_f32_e32 v25, v22, v52
	v_mul_f32_e32 v3, v49, v3
	v_sub_f32_e32 v25, v53, v25
	v_add_f32_e32 v25, v25, v3
	v_add_f32_e32 v27, v22, v25
	v_cvt_f32_i32_e32 v26, v16
	v_mul_f32_e32 v28, v27, v27
	v_mov_b32_e32 v3, 0x3ecc95a3
	v_fmac_f32_e32 v3, 0x3e9b6dac, v28
	v_fma_f32 v3, v28, v3, v34
	v_sub_f32_e32 v16, v27, v22
	v_ldexp_f32 v29, v27, 1
	v_mul_f32_e32 v27, v27, v28
	v_pk_mul_f32 v[30:31], v[26:27], v[2:3]
	v_fma_f32 v28, v26, s49, -v30
	v_fmac_f32_e32 v28, 0xb102e308, v26
	v_pk_add_f32 v[26:27], v[30:31], v[28:29]
	v_sub_f32_e32 v16, v25, v16
	v_sub_f32_e32 v3, v27, v29
	v_ldexp_f32 v16, v16, 1
	v_sub_f32_e32 v3, v31, v3
	v_add_f32_e32 v51, v16, v3
	v_mov_b32_e32 v50, v30
	v_pk_add_f32 v[30:31], v[26:27], v[30:31] neg_lo:[0,1] neg_hi:[0,1]
	v_pk_add_f32 v[52:53], v[26:27], v[50:51]
	v_mov_b32_e32 v31, v53
	v_mov_b32_e32 v29, v26
	v_pk_add_f32 v[54:55], v[28:29], v[30:31] neg_lo:[0,1] neg_hi:[0,1]
	v_pk_add_f32 v[28:29], v[28:29], v[30:31]
	v_mov_b32_e32 v16, v29
	v_pk_add_f32 v[30:31], v[16:17], v[26:27] neg_lo:[0,1] neg_hi:[0,1]
	v_mov_b32_e32 v3, v30
	v_pk_add_f32 v[56:57], v[52:53], v[2:3] neg_lo:[0,1] neg_hi:[0,1]
	v_mov_b32_e32 v28, v53
	v_mov_b32_e32 v52, v27
	;; [unrolled: 1-line block ×4, first 2 shown]
	v_pk_add_f32 v[28:29], v[28:29], v[52:53] neg_lo:[0,1] neg_hi:[0,1]
	v_mov_b32_e32 v30, v51
	v_mov_b32_e32 v31, v26
	v_pk_add_f32 v[26:27], v[30:31], v[28:29] neg_lo:[0,1] neg_hi:[0,1]
	v_mov_b32_e32 v56, v54
	v_pk_add_f32 v[28:29], v[56:57], v[26:27]
	v_mov_b32_e32 v22, v29
	v_pk_add_f32 v[30:31], v[28:29], v[22:23]
	v_pk_add_f32 v[50:51], v[16:17], v[30:31]
	v_mov_b32_e32 v29, v50
	v_pk_add_f32 v[52:53], v[28:29], v[54:55] neg_lo:[0,1] neg_hi:[0,1]
	v_mov_b32_e32 v27, v30
	v_sub_f32_e32 v3, v28, v52
	v_pk_add_f32 v[26:27], v[26:27], v[52:53] neg_lo:[0,1] neg_hi:[0,1]
	v_sub_f32_e32 v3, v54, v3
	v_add_f32_e32 v3, v26, v3
	v_add_f32_e32 v3, v3, v27
	;; [unrolled: 1-line block ×3, first 2 shown]
	v_cmp_eq_f32_e32 vcc, s50, v24
	v_cndmask_b32_e32 v3, v3, v24, vcc
	v_cmp_ngt_f32_e32 vcc, -1.0, v24
	v_cndmask_b32_e32 v3, v41, v3, vcc
	v_cmp_neq_f32_e32 vcc, -1.0, v24
	v_cndmask_b32_e32 v3, v42, v3, vcc
	v_cmp_lt_f32_e64 vcc, |v24|, s51
	v_cndmask_b32_e32 v3, v3, v24, vcc
	v_mul_f32_e32 v25, 0.5, v3
	v_max_f32_e64 v3, |v5|, |v5|
	v_max_f32_e64 v16, |v4|, |v4|
	v_min_f32_e32 v22, v16, v3
	v_max_f32_e32 v3, v16, v3
	v_frexp_mant_f32_e32 v16, v3
	v_rcp_f32_e32 v16, v16
	v_frexp_exp_i32_f32_e32 v3, v3
	v_frexp_exp_i32_f32_e32 v24, v22
	v_frexp_mant_f32_e32 v22, v22
	v_mul_f32_e32 v16, v22, v16
	v_sub_u32_e32 v3, v24, v3
	v_ldexp_f32 v3, v16, v3
	v_mul_f32_e32 v16, v3, v3
	v_mov_b32_e32 v22, 0xbc7a590c
	v_fmac_f32_e32 v22, 0x3b2d2a58, v16
	v_fma_f32 v22, v16, v22, v35
	v_fma_f32 v22, v16, v22, v36
	;; [unrolled: 1-line block ×6, first 2 shown]
	v_mul_f32_e32 v16, v16, v22
	v_fmac_f32_e32 v3, v3, v16
	v_sub_f32_e32 v16, 0x3fc90fdb, v3
	v_cndmask_b32_e64 v3, v3, v16, s[8:9]
	v_sub_f32_e32 v16, 0x40490fdb, v3
	v_cmp_gt_f32_e32 vcc, 0, v4
	v_cmp_gt_i32_e64 s[10:11], 0, v4
	v_cndmask_b32_e32 v3, v3, v16, vcc
	v_cndmask_b32_e64 v16, 0, v43, s[10:11]
	v_cmp_eq_f32_e64 s[10:11], 0, v5
	v_cndmask_b32_e64 v3, v3, v16, s[10:11]
	v_cmp_class_f32_e64 s[10:11], v4, s52
	v_cmp_class_f32_e64 s[34:35], v5, s52
	v_cndmask_b32_e32 v16, v44, v45, vcc
	s_and_b64 vcc, s[34:35], s[10:11]
	v_cndmask_b32_e32 v16, v3, v16, vcc
                                        ; implicit-def: $vgpr26_vgpr27
.LBB193_227:                            ;   in Loop: Header=BB193_145 Depth=1
	s_andn2_saveexec_b64 s[30:31], s[30:31]
	s_cbranch_execz .LBB193_235
; %bb.228:                              ;   in Loop: Header=BB193_145 Depth=1
	v_pk_mul_f32 v[24:25], v[26:27], v[26:27]
	v_add_f32_e32 v3, v25, v24
	v_cmp_ge_f32_e32 vcc, s53, v3
                                        ; implicit-def: $vgpr25
                                        ; implicit-def: $vgpr16
	s_and_saveexec_b64 s[10:11], vcc
	s_xor_b64 s[34:35], exec, s[10:11]
	s_cbranch_execz .LBB193_230
; %bb.229:                              ;   in Loop: Header=BB193_145 Depth=1
	v_cmp_gt_f32_e32 vcc, s54, v3
	v_cndmask_b32_e32 v16, 1.0, v46, vcc
	v_mul_f32_e32 v3, v3, v16
	v_log_f32_e32 v3, v3
	v_cndmask_b32_e32 v16, 0, v47, vcc
	v_cmp_gt_i32_e64 s[10:11], 0, v4
	v_cmp_class_f32_e64 s[36:37], v5, s52
	v_mul_f32_e32 v22, 0x3f317217, v3
	v_fma_f32 v24, v3, s55, -v22
	v_fmac_f32_e32 v24, 0x3377d1cf, v3
	v_add_f32_e32 v22, v22, v24
	v_cmp_lt_f32_e64 vcc, |v3|, s50
	v_cndmask_b32_e32 v3, v3, v22, vcc
	v_sub_f32_e32 v3, v3, v16
	v_mul_f32_e32 v25, 0.5, v3
	v_max_f32_e64 v3, |v5|, |v5|
	v_max_f32_e64 v16, |v4|, |v4|
	v_min_f32_e32 v22, v16, v3
	v_max_f32_e32 v3, v16, v3
	v_frexp_mant_f32_e32 v16, v3
	v_rcp_f32_e32 v16, v16
	v_frexp_exp_i32_f32_e32 v3, v3
	v_frexp_exp_i32_f32_e32 v24, v22
	v_frexp_mant_f32_e32 v22, v22
	v_mul_f32_e32 v16, v22, v16
	v_sub_u32_e32 v3, v24, v3
	v_ldexp_f32 v3, v16, v3
	v_mul_f32_e32 v16, v3, v3
	v_mov_b32_e32 v22, 0xbc7a590c
	v_fmac_f32_e32 v22, 0x3b2d2a58, v16
	v_fma_f32 v22, v16, v22, v35
	v_fma_f32 v22, v16, v22, v36
	;; [unrolled: 1-line block ×6, first 2 shown]
	v_mul_f32_e32 v16, v16, v22
	v_fmac_f32_e32 v3, v3, v16
	v_sub_f32_e32 v16, 0x3fc90fdb, v3
	v_cndmask_b32_e64 v3, v3, v16, s[8:9]
	v_sub_f32_e32 v16, 0x40490fdb, v3
	v_cmp_gt_f32_e32 vcc, 0, v4
	v_cndmask_b32_e32 v3, v3, v16, vcc
	v_cndmask_b32_e64 v16, 0, v43, s[10:11]
	v_cmp_eq_f32_e64 s[10:11], 0, v5
	v_cndmask_b32_e64 v3, v3, v16, s[10:11]
	v_cmp_class_f32_e64 s[10:11], v4, s52
	v_cndmask_b32_e32 v16, v44, v45, vcc
	s_and_b64 vcc, s[36:37], s[10:11]
	v_cndmask_b32_e32 v16, v3, v16, vcc
                                        ; implicit-def: $vgpr26_vgpr27
.LBB193_230:                            ;   in Loop: Header=BB193_145 Depth=1
	s_andn2_saveexec_b64 s[34:35], s[34:35]
	s_cbranch_execz .LBB193_234
; %bb.231:                              ;   in Loop: Header=BB193_145 Depth=1
	v_and_b32_e32 v29, 0x7fff0000, v26
	v_and_b32_e32 v28, 0x7fff0000, v27
	v_pk_add_f32 v[24:25], v[26:27], v[28:29] op_sel:[1,0] op_sel_hi:[0,1] neg_lo:[0,1] neg_hi:[0,1]
	v_and_b32_e32 v51, 0xffff0000, v25
	v_and_b32_e32 v50, 0xffff0000, v24
	v_pk_add_f32 v[52:53], v[24:25], v[50:51] neg_lo:[0,1] neg_hi:[0,1]
	v_pk_mul_f32 v[24:25], v[28:29], v[28:29]
	v_add_f32_e32 v22, v28, v28
	v_add_f32_e32 v28, v29, v29
	v_mul_f32_e32 v16, v22, v50
	v_mul_f32_e32 v3, v28, v51
	;; [unrolled: 1-line block ×4, first 2 shown]
	v_add_f32_e32 v28, v50, v50
	v_mul_f32_e32 v31, v28, v52
	v_add_f32_e32 v28, v51, v51
	v_pk_mul_f32 v[26:27], v[50:51], v[50:51]
	v_mul_f32_e32 v49, v28, v53
	v_pk_mul_f32 v[28:29], v[52:53], v[52:53]
	s_mov_b64 s[36:37], 0
.LBB193_232:                            ;   Parent Loop BB193_145 Depth=1
                                        ; =>  This Inner Loop Header: Depth=2
	v_cmp_nlt_f32_e32 vcc, v24, v25
	v_cndmask_b32_e32 v50, v24, v25, vcc
	v_cmp_nlt_f32_e64 s[10:11], v50, v16
	v_cndmask_b32_e64 v51, v50, v16, s[10:11]
	v_cndmask_b32_e32 v24, v25, v24, vcc
	s_and_b64 s[60:61], vcc, s[10:11]
	v_cmp_nlt_f32_e32 vcc, v51, v3
	v_cndmask_b32_e64 v25, v16, v50, s[10:11]
	v_cndmask_b32_e32 v50, v51, v3, vcc
	v_cmp_nlt_f32_e64 s[10:11], v50, v26
	v_cndmask_b32_e32 v16, v3, v51, vcc
	v_cndmask_b32_e64 v51, v50, v26, s[10:11]
	s_and_b64 s[62:63], vcc, s[10:11]
	v_cmp_nlt_f32_e32 vcc, v51, v27
	v_cndmask_b32_e64 v3, v26, v50, s[10:11]
	v_cndmask_b32_e32 v50, v51, v27, vcc
	v_cmp_nlt_f32_e64 s[10:11], v50, v30
	v_cndmask_b32_e32 v26, v27, v51, vcc
	v_cndmask_b32_e64 v51, v50, v30, s[10:11]
	v_cndmask_b32_e64 v27, v30, v50, s[10:11]
	s_and_b64 s[10:11], vcc, s[10:11]
	v_cmp_nlt_f32_e32 vcc, v51, v22
	v_cndmask_b32_e32 v50, v51, v22, vcc
	v_cndmask_b32_e32 v30, v22, v51, vcc
	s_and_b64 s[10:11], s[10:11], vcc
	v_cmp_nlt_f32_e32 vcc, v50, v31
	v_cndmask_b32_e32 v51, v50, v31, vcc
	v_cndmask_b32_e32 v22, v31, v50, vcc
	s_and_b64 s[10:11], s[10:11], vcc
	;; [unrolled: 4-line block ×4, first 2 shown]
	v_cmp_nlt_f32_e32 vcc, v51, v29
	s_and_b64 s[10:11], s[10:11], vcc
	s_and_b64 s[10:11], s[10:11], s[62:63]
	s_and_b64 s[10:11], s[10:11], s[60:61]
	s_and_b64 s[10:11], exec, s[10:11]
	v_cndmask_b32_e32 v28, v29, v51, vcc
	s_or_b64 s[36:37], s[10:11], s[36:37]
	v_cndmask_b32_e32 v29, v51, v29, vcc
	s_andn2_b64 exec, exec, s[36:37]
	s_cbranch_execnz .LBB193_232
; %bb.233:                              ;   in Loop: Header=BB193_145 Depth=1
	s_or_b64 exec, exec, s[36:37]
	v_add_f32_e32 v24, -1.0, v24
	v_add_f32_e32 v24, v24, v25
	v_add_f32_e32 v16, v24, v16
	;; [unrolled: 1-line block ×11, first 2 shown]
	v_add_f32_e32 v27, 1.0, v24
	v_add_f32_e32 v25, -1.0, v27
	v_mov_b32_e32 v26, v25
	v_pk_add_f32 v[28:29], v[24:25], v[26:27] neg_lo:[0,1] neg_hi:[0,1]
	v_add_f32_e32 v3, 1.0, v29
	v_add_f32_e32 v3, v28, v3
	v_frexp_mant_f32_e32 v16, v27
	v_cvt_f64_f32_e32 v[28:29], v27
	v_frexp_exp_i32_f64_e32 v22, v[28:29]
	v_cmp_gt_f32_e32 vcc, s48, v16
	v_subbrev_co_u32_e32 v16, vcc, 0, v22, vcc
	v_sub_u32_e32 v22, 0, v16
	v_ldexp_f32 v25, v27, v22
	v_ldexp_f32 v3, v3, v22
	v_add_f32_e32 v22, -1.0, v25
	v_add_f32_e32 v27, 1.0, v25
	v_add_f32_e32 v26, 1.0, v22
	v_add_f32_e32 v28, -1.0, v27
	v_sub_f32_e32 v26, v25, v26
	v_sub_f32_e32 v25, v25, v28
	v_add_f32_e32 v26, v3, v26
	v_add_f32_e32 v3, v3, v25
	;; [unrolled: 1-line block ×3, first 2 shown]
	v_rcp_f32_e32 v49, v25
	v_sub_f32_e32 v27, v25, v27
	v_sub_f32_e32 v3, v3, v27
	v_add_f32_e32 v27, v22, v26
	v_mul_f32_e32 v52, v27, v49
	v_mul_f32_e32 v28, v25, v52
	v_fma_f32 v30, v52, v25, -v28
	v_sub_f32_e32 v22, v27, v22
	v_fmac_f32_e32 v30, v52, v3
	v_sub_f32_e32 v22, v26, v22
	v_add_f32_e32 v26, v28, v30
	v_sub_f32_e32 v29, v27, v26
	v_pk_add_f32 v[50:51], v[26:27], v[28:29] neg_lo:[0,1] neg_hi:[0,1]
	v_mov_b32_e32 v31, v26
	v_pk_add_f32 v[26:27], v[50:51], v[30:31] neg_lo:[0,1] neg_hi:[0,1]
	v_add_f32_e32 v22, v22, v27
	v_add_f32_e32 v22, v26, v22
	;; [unrolled: 1-line block ×3, first 2 shown]
	v_mul_f32_e32 v53, v49, v27
	v_mul_f32_e32 v28, v25, v53
	v_fma_f32 v30, v53, v25, -v28
	v_fmac_f32_e32 v30, v53, v3
	v_add_f32_e32 v26, v28, v30
	v_sub_f32_e32 v3, v29, v27
	v_sub_f32_e32 v29, v27, v26
	v_pk_add_f32 v[50:51], v[26:27], v[28:29] neg_lo:[0,1] neg_hi:[0,1]
	v_mov_b32_e32 v31, v26
	v_add_f32_e32 v3, v22, v3
	v_pk_add_f32 v[26:27], v[50:51], v[30:31] neg_lo:[0,1] neg_hi:[0,1]
	v_add_f32_e32 v3, v3, v27
	v_add_f32_e32 v3, v26, v3
	;; [unrolled: 1-line block ×4, first 2 shown]
	v_sub_f32_e32 v25, v22, v52
	v_mul_f32_e32 v3, v49, v3
	v_sub_f32_e32 v25, v53, v25
	v_add_f32_e32 v25, v25, v3
	v_add_f32_e32 v27, v22, v25
	v_cvt_f32_i32_e32 v26, v16
	v_mul_f32_e32 v28, v27, v27
	v_mov_b32_e32 v3, 0x3ecc95a3
	v_fmac_f32_e32 v3, 0x3e9b6dac, v28
	v_fma_f32 v3, v28, v3, v34
	v_sub_f32_e32 v16, v27, v22
	v_ldexp_f32 v29, v27, 1
	v_mul_f32_e32 v27, v27, v28
	v_pk_mul_f32 v[30:31], v[26:27], v[2:3]
	v_fma_f32 v28, v26, s49, -v30
	v_fmac_f32_e32 v28, 0xb102e308, v26
	v_pk_add_f32 v[26:27], v[30:31], v[28:29]
	v_sub_f32_e32 v16, v25, v16
	v_sub_f32_e32 v3, v27, v29
	v_ldexp_f32 v16, v16, 1
	v_sub_f32_e32 v3, v31, v3
	v_add_f32_e32 v51, v16, v3
	v_mov_b32_e32 v50, v30
	v_pk_add_f32 v[30:31], v[26:27], v[30:31] neg_lo:[0,1] neg_hi:[0,1]
	v_pk_add_f32 v[52:53], v[26:27], v[50:51]
	v_mov_b32_e32 v31, v53
	v_mov_b32_e32 v29, v26
	v_pk_add_f32 v[54:55], v[28:29], v[30:31] neg_lo:[0,1] neg_hi:[0,1]
	v_pk_add_f32 v[28:29], v[28:29], v[30:31]
	v_mov_b32_e32 v16, v29
	v_pk_add_f32 v[30:31], v[16:17], v[26:27] neg_lo:[0,1] neg_hi:[0,1]
	v_mov_b32_e32 v3, v30
	v_pk_add_f32 v[56:57], v[52:53], v[2:3] neg_lo:[0,1] neg_hi:[0,1]
	v_mov_b32_e32 v28, v53
	v_mov_b32_e32 v52, v27
	;; [unrolled: 1-line block ×4, first 2 shown]
	v_pk_add_f32 v[28:29], v[28:29], v[52:53] neg_lo:[0,1] neg_hi:[0,1]
	v_mov_b32_e32 v30, v51
	v_mov_b32_e32 v31, v26
	v_pk_add_f32 v[26:27], v[30:31], v[28:29] neg_lo:[0,1] neg_hi:[0,1]
	v_mov_b32_e32 v56, v54
	v_pk_add_f32 v[28:29], v[56:57], v[26:27]
	v_mov_b32_e32 v22, v29
	v_pk_add_f32 v[30:31], v[28:29], v[22:23]
	v_pk_add_f32 v[50:51], v[16:17], v[30:31]
	v_mov_b32_e32 v29, v50
	v_pk_add_f32 v[52:53], v[28:29], v[54:55] neg_lo:[0,1] neg_hi:[0,1]
	v_mov_b32_e32 v27, v30
	v_sub_f32_e32 v3, v28, v52
	v_pk_add_f32 v[26:27], v[26:27], v[52:53] neg_lo:[0,1] neg_hi:[0,1]
	v_sub_f32_e32 v3, v54, v3
	v_add_f32_e32 v3, v26, v3
	v_add_f32_e32 v3, v3, v27
	;; [unrolled: 1-line block ×3, first 2 shown]
	v_cmp_eq_f32_e32 vcc, s50, v24
	v_cndmask_b32_e32 v3, v3, v24, vcc
	v_cmp_ngt_f32_e32 vcc, -1.0, v24
	v_cndmask_b32_e32 v3, v41, v3, vcc
	v_cmp_neq_f32_e32 vcc, -1.0, v24
	v_cndmask_b32_e32 v3, v42, v3, vcc
	v_cmp_lt_f32_e64 vcc, |v24|, s51
	v_cndmask_b32_e32 v3, v3, v24, vcc
	v_mul_f32_e32 v25, 0.5, v3
	v_max_f32_e64 v3, |v5|, |v5|
	v_max_f32_e64 v16, |v4|, |v4|
	v_min_f32_e32 v22, v16, v3
	v_max_f32_e32 v3, v16, v3
	v_frexp_mant_f32_e32 v16, v3
	v_rcp_f32_e32 v16, v16
	v_frexp_exp_i32_f32_e32 v3, v3
	v_frexp_exp_i32_f32_e32 v24, v22
	v_frexp_mant_f32_e32 v22, v22
	v_mul_f32_e32 v16, v22, v16
	v_sub_u32_e32 v3, v24, v3
	v_ldexp_f32 v3, v16, v3
	v_mul_f32_e32 v16, v3, v3
	v_mov_b32_e32 v22, 0xbc7a590c
	v_fmac_f32_e32 v22, 0x3b2d2a58, v16
	v_fma_f32 v22, v16, v22, v35
	v_fma_f32 v22, v16, v22, v36
	;; [unrolled: 1-line block ×6, first 2 shown]
	v_mul_f32_e32 v16, v16, v22
	v_fmac_f32_e32 v3, v3, v16
	v_sub_f32_e32 v16, 0x3fc90fdb, v3
	v_cndmask_b32_e64 v3, v3, v16, s[8:9]
	v_sub_f32_e32 v16, 0x40490fdb, v3
	v_cmp_gt_f32_e32 vcc, 0, v4
	v_cmp_gt_i32_e64 s[10:11], 0, v4
	v_cndmask_b32_e32 v3, v3, v16, vcc
	v_cndmask_b32_e64 v16, 0, v43, s[10:11]
	v_cmp_eq_f32_e64 s[10:11], 0, v5
	v_cndmask_b32_e64 v3, v3, v16, s[10:11]
	v_cmp_class_f32_e64 s[10:11], v4, s52
	v_cmp_class_f32_e64 s[36:37], v5, s52
	v_cndmask_b32_e32 v16, v44, v45, vcc
	s_and_b64 vcc, s[36:37], s[10:11]
	v_cndmask_b32_e32 v16, v3, v16, vcc
.LBB193_234:                            ;   in Loop: Header=BB193_145 Depth=1
	s_or_b64 exec, exec, s[34:35]
.LBB193_235:                            ;   in Loop: Header=BB193_145 Depth=1
	s_or_b64 exec, exec, s[30:31]
.LBB193_236:                            ;   in Loop: Header=BB193_145 Depth=1
	s_andn2_saveexec_b64 s[28:29], s[28:29]
	s_cbranch_execz .LBB193_238
; %bb.237:                              ;   in Loop: Header=BB193_145 Depth=1
	v_max_f32_e64 v3, |v5|, |v5|
	v_max_f32_e64 v16, |v4|, |v4|
	v_max_f32_e32 v22, v16, v3
	v_cvt_f64_f32_e32 v[24:25], v22
	v_frexp_exp_i32_f64_e32 v24, v[24:25]
	v_sub_u32_e32 v25, 0, v24
	v_ldexp_f32 v26, |v4|, v25
	v_ldexp_f32 v25, |v5|, v25
	v_mul_f32_e32 v25, v25, v25
	v_fmac_f32_e32 v25, v26, v26
	v_sqrt_f32_e32 v25, v25
	v_cmp_neq_f32_e32 vcc, s50, v22
	v_min_f32_e32 v3, v16, v3
	v_frexp_mant_f32_e32 v16, v22
	v_ldexp_f32 v24, v25, v24
	v_cndmask_b32_e32 v24, v48, v24, vcc
	v_cmp_gt_f32_e32 vcc, s54, v24
	v_cndmask_b32_e32 v25, 1.0, v46, vcc
	v_mul_f32_e32 v24, v24, v25
	v_log_f32_e32 v24, v24
	v_rcp_f32_e32 v16, v16
	v_cndmask_b32_e32 v25, 0, v47, vcc
	v_frexp_exp_i32_f32_e32 v22, v22
	v_mul_f32_e32 v26, 0x3f317217, v24
	v_fma_f32 v27, v24, s55, -v26
	v_fmac_f32_e32 v27, 0x3377d1cf, v24
	v_add_f32_e32 v26, v26, v27
	v_cmp_lt_f32_e64 vcc, |v24|, s50
	v_cndmask_b32_e32 v24, v24, v26, vcc
	v_sub_f32_e32 v25, v24, v25
	v_frexp_exp_i32_f32_e32 v24, v3
	v_frexp_mant_f32_e32 v3, v3
	v_mul_f32_e32 v3, v3, v16
	v_sub_u32_e32 v16, v24, v22
	v_ldexp_f32 v3, v3, v16
	v_mul_f32_e32 v16, v3, v3
	v_mov_b32_e32 v22, 0xbc7a590c
	v_fmac_f32_e32 v22, 0x3b2d2a58, v16
	v_fma_f32 v22, v16, v22, v35
	v_fma_f32 v22, v16, v22, v36
	v_fma_f32 v22, v16, v22, v37
	v_fma_f32 v22, v16, v22, v38
	v_fma_f32 v22, v16, v22, v39
	v_fma_f32 v22, v16, v22, v40
	v_mul_f32_e32 v16, v16, v22
	v_fmac_f32_e32 v3, v3, v16
	v_sub_f32_e32 v16, 0x3fc90fdb, v3
	v_cndmask_b32_e64 v3, v3, v16, s[8:9]
	v_sub_f32_e32 v16, 0x40490fdb, v3
	v_cmp_gt_f32_e32 vcc, 0, v4
	v_cmp_gt_i32_e64 s[10:11], 0, v4
	v_cndmask_b32_e32 v3, v3, v16, vcc
	v_cndmask_b32_e64 v16, 0, v43, s[10:11]
	v_cmp_eq_f32_e64 s[10:11], 0, v5
	v_cndmask_b32_e64 v3, v3, v16, s[10:11]
	v_cmp_class_f32_e64 s[10:11], v4, s52
	v_cmp_class_f32_e64 s[30:31], v5, s52
	v_cndmask_b32_e32 v16, v44, v45, vcc
	s_and_b64 vcc, s[30:31], s[10:11]
	v_cndmask_b32_e32 v16, v3, v16, vcc
.LBB193_238:                            ;   in Loop: Header=BB193_145 Depth=1
	s_or_b64 exec, exec, s[28:29]
                                        ; implicit-def: $vgpr26
.LBB193_239:                            ;   in Loop: Header=BB193_145 Depth=1
	s_andn2_saveexec_b64 s[26:27], s[26:27]
	s_cbranch_execz .LBB193_245
; %bb.240:                              ;   in Loop: Header=BB193_145 Depth=1
	v_cmp_ngt_f32_e32 vcc, s56, v26
                                        ; implicit-def: $vgpr25
                                        ; implicit-def: $vgpr16
	s_and_saveexec_b64 s[10:11], vcc
	s_xor_b64 s[28:29], exec, s[10:11]
	s_cbranch_execz .LBB193_242
; %bb.241:                              ;   in Loop: Header=BB193_145 Depth=1
	v_pk_mul_f32 v[24:25], v[26:27], v[26:27]
	v_add_f32_e32 v27, 1.0, v24
	v_add_f32_e32 v25, -1.0, v27
	v_mov_b32_e32 v26, v25
	v_pk_add_f32 v[28:29], v[24:25], v[26:27] neg_lo:[0,1] neg_hi:[0,1]
	v_add_f32_e32 v3, 1.0, v29
	v_add_f32_e32 v3, v28, v3
	v_frexp_mant_f32_e32 v16, v27
	v_cvt_f64_f32_e32 v[28:29], v27
	v_frexp_exp_i32_f64_e32 v22, v[28:29]
	v_cmp_gt_f32_e32 vcc, s48, v16
	v_subbrev_co_u32_e32 v16, vcc, 0, v22, vcc
	v_sub_u32_e32 v22, 0, v16
	v_ldexp_f32 v25, v27, v22
	v_ldexp_f32 v3, v3, v22
	v_add_f32_e32 v22, -1.0, v25
	v_add_f32_e32 v27, 1.0, v25
	v_add_f32_e32 v26, 1.0, v22
	v_add_f32_e32 v28, -1.0, v27
	v_sub_f32_e32 v26, v25, v26
	v_sub_f32_e32 v25, v25, v28
	v_add_f32_e32 v26, v3, v26
	v_add_f32_e32 v3, v3, v25
	;; [unrolled: 1-line block ×3, first 2 shown]
	v_rcp_f32_e32 v49, v25
	v_sub_f32_e32 v27, v27, v25
	v_add_f32_e32 v3, v3, v27
	v_add_f32_e32 v27, v22, v26
	v_mul_f32_e32 v52, v27, v49
	v_mul_f32_e32 v28, v25, v52
	v_fma_f32 v30, v52, v25, -v28
	v_sub_f32_e32 v22, v22, v27
	v_fmac_f32_e32 v30, v52, v3
	v_add_f32_e32 v22, v26, v22
	v_add_f32_e32 v26, v28, v30
	v_sub_f32_e32 v29, v27, v26
	v_pk_add_f32 v[50:51], v[26:27], v[28:29] neg_lo:[0,1] neg_hi:[0,1]
	v_mov_b32_e32 v31, v26
	v_pk_add_f32 v[26:27], v[50:51], v[30:31] neg_lo:[0,1] neg_hi:[0,1]
	v_add_f32_e32 v22, v22, v27
	v_add_f32_e32 v22, v26, v22
	;; [unrolled: 1-line block ×3, first 2 shown]
	v_mul_f32_e32 v53, v49, v27
	v_mul_f32_e32 v28, v25, v53
	v_fma_f32 v30, v53, v25, -v28
	v_fmac_f32_e32 v30, v53, v3
	v_add_f32_e32 v26, v28, v30
	v_sub_f32_e32 v3, v29, v27
	v_sub_f32_e32 v29, v27, v26
	v_pk_add_f32 v[50:51], v[26:27], v[28:29] neg_lo:[0,1] neg_hi:[0,1]
	v_mov_b32_e32 v31, v26
	v_add_f32_e32 v3, v22, v3
	v_pk_add_f32 v[26:27], v[50:51], v[30:31] neg_lo:[0,1] neg_hi:[0,1]
	v_add_f32_e32 v3, v3, v27
	v_add_f32_e32 v3, v26, v3
	;; [unrolled: 1-line block ×4, first 2 shown]
	v_sub_f32_e32 v25, v22, v52
	v_mul_f32_e32 v3, v49, v3
	v_sub_f32_e32 v25, v53, v25
	v_add_f32_e32 v25, v25, v3
	v_add_f32_e32 v27, v22, v25
	v_cvt_f32_i32_e32 v26, v16
	v_mul_f32_e32 v28, v27, v27
	v_mov_b32_e32 v3, 0x3ecc95a3
	v_fmac_f32_e32 v3, 0x3e9b6dac, v28
	v_fma_f32 v3, v28, v3, v34
	v_sub_f32_e32 v16, v27, v22
	v_ldexp_f32 v29, v27, 1
	v_mul_f32_e32 v27, v27, v28
	v_pk_mul_f32 v[30:31], v[26:27], v[2:3]
	v_fma_f32 v28, v26, s49, -v30
	v_fmac_f32_e32 v28, 0xb102e308, v26
	v_pk_add_f32 v[26:27], v[30:31], v[28:29]
	v_sub_f32_e32 v16, v25, v16
	v_sub_f32_e32 v3, v27, v29
	v_ldexp_f32 v16, v16, 1
	v_sub_f32_e32 v3, v31, v3
	v_add_f32_e32 v51, v16, v3
	v_mov_b32_e32 v50, v30
	v_pk_add_f32 v[30:31], v[26:27], v[30:31] neg_lo:[0,1] neg_hi:[0,1]
	v_pk_add_f32 v[52:53], v[26:27], v[50:51]
	v_mov_b32_e32 v31, v53
	v_mov_b32_e32 v29, v26
	v_pk_add_f32 v[54:55], v[28:29], v[30:31] neg_lo:[0,1] neg_hi:[0,1]
	v_pk_add_f32 v[28:29], v[28:29], v[30:31]
	v_mov_b32_e32 v16, v29
	v_pk_add_f32 v[30:31], v[16:17], v[26:27] neg_lo:[0,1] neg_hi:[0,1]
	v_mov_b32_e32 v3, v30
	v_pk_add_f32 v[56:57], v[52:53], v[2:3] neg_lo:[0,1] neg_hi:[0,1]
	v_mov_b32_e32 v28, v53
	v_mov_b32_e32 v52, v27
	;; [unrolled: 1-line block ×4, first 2 shown]
	v_pk_add_f32 v[28:29], v[28:29], v[52:53] neg_lo:[0,1] neg_hi:[0,1]
	v_mov_b32_e32 v30, v51
	v_mov_b32_e32 v31, v26
	v_pk_add_f32 v[26:27], v[30:31], v[28:29] neg_lo:[0,1] neg_hi:[0,1]
	v_mov_b32_e32 v56, v54
	v_pk_add_f32 v[28:29], v[56:57], v[26:27]
	v_mov_b32_e32 v22, v29
	v_pk_add_f32 v[30:31], v[28:29], v[22:23]
	v_pk_add_f32 v[50:51], v[16:17], v[30:31]
	v_mov_b32_e32 v29, v50
	v_pk_add_f32 v[52:53], v[28:29], v[54:55] neg_lo:[0,1] neg_hi:[0,1]
	v_mov_b32_e32 v27, v30
	v_sub_f32_e32 v3, v28, v52
	v_pk_add_f32 v[26:27], v[26:27], v[52:53] neg_lo:[0,1] neg_hi:[0,1]
	v_sub_f32_e32 v3, v54, v3
	v_add_f32_e32 v3, v26, v3
	v_add_f32_e32 v3, v3, v27
	v_cmp_eq_f32_e32 vcc, s50, v24
	v_cmp_lt_f32_e64 s[10:11], |v24|, s51
	v_add_f32_e32 v3, v50, v3
	s_or_b64 vcc, vcc, s[10:11]
	v_cndmask_b32_e32 v3, v3, v24, vcc
	v_mul_f32_e32 v25, 0.5, v3
	v_max_f32_e64 v3, |v5|, |v5|
	v_max_f32_e64 v16, |v4|, |v4|
	v_min_f32_e32 v22, v16, v3
	v_max_f32_e32 v3, v16, v3
	v_frexp_mant_f32_e32 v16, v3
	v_rcp_f32_e32 v16, v16
	v_frexp_exp_i32_f32_e32 v3, v3
	v_frexp_exp_i32_f32_e32 v24, v22
	v_frexp_mant_f32_e32 v22, v22
	v_mul_f32_e32 v16, v22, v16
	v_sub_u32_e32 v3, v24, v3
	v_ldexp_f32 v3, v16, v3
	v_mul_f32_e32 v16, v3, v3
	v_mov_b32_e32 v22, 0xbc7a590c
	v_fmac_f32_e32 v22, 0x3b2d2a58, v16
	v_fma_f32 v22, v16, v22, v35
	v_fma_f32 v22, v16, v22, v36
	;; [unrolled: 1-line block ×6, first 2 shown]
	v_mul_f32_e32 v16, v16, v22
	v_fmac_f32_e32 v3, v3, v16
	v_sub_f32_e32 v16, 0x3fc90fdb, v3
	v_cndmask_b32_e64 v3, v3, v16, s[8:9]
	v_sub_f32_e32 v16, 0x40490fdb, v3
	v_cmp_gt_f32_e32 vcc, 0, v4
	v_cmp_gt_i32_e64 s[10:11], 0, v4
	v_cndmask_b32_e32 v3, v3, v16, vcc
	v_cndmask_b32_e64 v16, 0, v43, s[10:11]
	v_cmp_eq_f32_e64 s[10:11], 0, v5
	v_cndmask_b32_e64 v3, v3, v16, s[10:11]
	v_cmp_class_f32_e64 s[10:11], v4, s52
	v_cmp_class_f32_e64 s[30:31], v5, s52
	v_cndmask_b32_e32 v16, v44, v45, vcc
	s_and_b64 vcc, s[30:31], s[10:11]
	v_cndmask_b32_e32 v16, v3, v16, vcc
                                        ; implicit-def: $vgpr26
.LBB193_242:                            ;   in Loop: Header=BB193_145 Depth=1
	s_andn2_saveexec_b64 s[28:29], s[28:29]
	s_cbranch_execz .LBB193_244
; %bb.243:                              ;   in Loop: Header=BB193_145 Depth=1
	v_mul_f32_e32 v3, 0.5, v26
	v_mul_f32_e32 v25, v26, v3
	v_max_f32_e64 v3, |v5|, |v5|
	v_max_f32_e64 v16, |v4|, |v4|
	v_min_f32_e32 v22, v16, v3
	v_max_f32_e32 v3, v16, v3
	v_frexp_mant_f32_e32 v16, v3
	v_rcp_f32_e32 v16, v16
	v_frexp_exp_i32_f32_e32 v3, v3
	v_frexp_exp_i32_f32_e32 v24, v22
	v_frexp_mant_f32_e32 v22, v22
	v_mul_f32_e32 v16, v22, v16
	v_sub_u32_e32 v3, v24, v3
	v_ldexp_f32 v3, v16, v3
	v_mul_f32_e32 v16, v3, v3
	v_mov_b32_e32 v22, 0xbc7a590c
	v_fmac_f32_e32 v22, 0x3b2d2a58, v16
	v_fma_f32 v22, v16, v22, v35
	v_fma_f32 v22, v16, v22, v36
	;; [unrolled: 1-line block ×6, first 2 shown]
	v_mul_f32_e32 v16, v16, v22
	v_fmac_f32_e32 v3, v3, v16
	v_sub_f32_e32 v16, 0x3fc90fdb, v3
	v_cndmask_b32_e64 v3, v3, v16, s[8:9]
	v_sub_f32_e32 v16, 0x40490fdb, v3
	v_cmp_gt_f32_e32 vcc, 0, v4
	v_cmp_gt_i32_e64 s[10:11], 0, v4
	v_cndmask_b32_e32 v3, v3, v16, vcc
	v_cndmask_b32_e64 v16, 0, v43, s[10:11]
	v_cmp_eq_f32_e64 s[10:11], 0, v5
	v_cndmask_b32_e64 v3, v3, v16, s[10:11]
	v_cmp_class_f32_e64 s[10:11], v4, s52
	v_cmp_class_f32_e64 s[30:31], v5, s52
	v_cndmask_b32_e32 v16, v44, v45, vcc
	s_and_b64 vcc, s[30:31], s[10:11]
	v_cndmask_b32_e32 v16, v3, v16, vcc
.LBB193_244:                            ;   in Loop: Header=BB193_145 Depth=1
	s_or_b64 exec, exec, s[28:29]
.LBB193_245:                            ;   in Loop: Header=BB193_145 Depth=1
	s_or_b64 exec, exec, s[26:27]
.LBB193_246:                            ;   in Loop: Header=BB193_145 Depth=1
	s_andn2_saveexec_b64 s[24:25], s[24:25]
	s_cbranch_execz .LBB193_248
; %bb.247:                              ;   in Loop: Header=BB193_145 Depth=1
	v_div_scale_f32 v3, s[10:11], s57, s57, v4
	v_rcp_f32_e32 v16, v3
	v_div_scale_f32 v22, vcc, v4, s57, v4
	v_fma_f32 v24, -v3, v16, 1.0
	v_fmac_f32_e32 v16, v24, v16
	v_mul_f32_e32 v24, v22, v16
	v_fma_f32 v25, -v3, v24, v22
	v_fmac_f32_e32 v24, v25, v16
	v_fma_f32 v3, -v3, v24, v22
	v_div_scale_f32 v22, s[10:11], s57, s57, v5
	v_rcp_f32_e32 v25, v22
	v_div_fmas_f32 v3, v3, v16, v24
	v_div_fixup_f32 v3, v3, s57, v4
	v_fma_f32 v16, -v22, v25, 1.0
	v_fmac_f32_e32 v25, v16, v25
	v_div_scale_f32 v16, vcc, v5, s57, v5
	v_mul_f32_e32 v24, v16, v25
	v_fma_f32 v26, -v22, v24, v16
	v_fmac_f32_e32 v24, v26, v25
	v_fma_f32 v16, -v22, v24, v16
	v_div_fmas_f32 v16, v16, v25, v24
	v_div_fixup_f32 v16, v16, s57, v5
	v_max_f32_e64 v22, |v3|, |v16|
	v_cvt_f64_f32_e32 v[24:25], v22
	v_frexp_exp_i32_f64_e32 v24, v[24:25]
	v_sub_u32_e32 v25, 0, v24
	v_ldexp_f32 v16, |v16|, v25
	v_ldexp_f32 v3, |v3|, v25
	v_mul_f32_e32 v16, v16, v16
	v_fmac_f32_e32 v16, v3, v3
	v_sqrt_f32_e32 v3, v16
	v_cmp_neq_f32_e32 vcc, s50, v22
	v_ldexp_f32 v3, v3, v24
	v_cndmask_b32_e32 v3, v48, v3, vcc
	v_cmp_gt_f32_e32 vcc, s54, v3
	v_cndmask_b32_e32 v16, 1.0, v46, vcc
	v_mul_f32_e32 v3, v3, v16
	v_log_f32_e32 v3, v3
	v_mul_f32_e32 v16, 0x3f317217, v3
	v_fma_f32 v22, v3, s55, -v16
	v_fmac_f32_e32 v22, 0x3377d1cf, v3
	v_add_f32_e32 v16, v16, v22
	v_cmp_lt_f32_e64 s[10:11], |v3|, s50
	v_cndmask_b32_e64 v3, v3, v16, s[10:11]
	v_cndmask_b32_e32 v16, 0, v47, vcc
	v_sub_f32_e32 v3, v3, v16
	v_add_f32_e32 v25, 1.0, v3
	v_max_f32_e64 v3, |v5|, |v5|
	v_max_f32_e64 v16, |v4|, |v4|
	v_min_f32_e32 v22, v16, v3
	v_max_f32_e32 v3, v16, v3
	v_frexp_mant_f32_e32 v16, v3
	v_rcp_f32_e32 v16, v16
	v_frexp_exp_i32_f32_e32 v3, v3
	v_frexp_exp_i32_f32_e32 v24, v22
	v_frexp_mant_f32_e32 v22, v22
	v_mul_f32_e32 v16, v22, v16
	v_sub_u32_e32 v3, v24, v3
	v_ldexp_f32 v3, v16, v3
	v_mul_f32_e32 v16, v3, v3
	v_mov_b32_e32 v22, 0xbc7a590c
	v_fmac_f32_e32 v22, 0x3b2d2a58, v16
	v_fma_f32 v22, v16, v22, v35
	v_fma_f32 v22, v16, v22, v36
	;; [unrolled: 1-line block ×6, first 2 shown]
	v_mul_f32_e32 v16, v16, v22
	v_fmac_f32_e32 v3, v3, v16
	v_sub_f32_e32 v16, 0x3fc90fdb, v3
	v_cndmask_b32_e64 v3, v3, v16, s[8:9]
	v_sub_f32_e32 v16, 0x40490fdb, v3
	v_cmp_gt_f32_e32 vcc, 0, v4
	v_cmp_gt_i32_e64 s[8:9], 0, v4
	v_cndmask_b32_e32 v3, v3, v16, vcc
	v_cndmask_b32_e64 v16, 0, v43, s[8:9]
	v_cmp_eq_f32_e64 s[8:9], 0, v5
	v_cndmask_b32_e64 v3, v3, v16, s[8:9]
	v_cmp_class_f32_e64 s[8:9], v4, s52
	v_cmp_class_f32_e64 s[10:11], v5, s52
	v_cndmask_b32_e32 v16, v44, v45, vcc
	s_and_b64 vcc, s[10:11], s[8:9]
	v_cndmask_b32_e32 v16, v3, v16, vcc
.LBB193_248:                            ;   in Loop: Header=BB193_145 Depth=1
	s_or_b64 exec, exec, s[24:25]
.LBB193_249:                            ;   in Loop: Header=BB193_145 Depth=1
	s_andn2_saveexec_b64 s[8:9], s[22:23]
	s_cbranch_execz .LBB193_255
; %bb.250:                              ;   in Loop: Header=BB193_145 Depth=1
	v_cmp_nlt_f32_e64 s[10:11], |v4|, s58
	v_cmp_nlt_f32_e64 s[22:23], |v5|, s58
	s_or_b64 s[10:11], s[22:23], s[10:11]
                                        ; implicit-def: $vgpr3
	s_and_saveexec_b64 s[22:23], s[10:11]
	s_xor_b64 s[10:11], exec, s[22:23]
; %bb.251:                              ;   in Loop: Header=BB193_145 Depth=1
	v_pk_mul_f32 v[24:25], v[4:5], v[4:5]
	v_add_f32_e32 v3, v25, v24
; %bb.252:                              ;   in Loop: Header=BB193_145 Depth=1
	s_andn2_saveexec_b64 s[10:11], s[10:11]
; %bb.253:                              ;   in Loop: Header=BB193_145 Depth=1
	v_pk_mul_f32 v[24:25], v[4:5], 4.0 op_sel_hi:[1,0]
	v_pk_mul_f32 v[24:25], v[24:25], v[24:25]
	v_add_f32_e32 v3, v25, v24
	v_mul_f32_e32 v3, 0x3d800000, v3
; %bb.254:                              ;   in Loop: Header=BB193_145 Depth=1
	s_or_b64 exec, exec, s[10:11]
	v_cmp_gt_f32_e32 vcc, s54, v3
	v_cndmask_b32_e32 v4, 1.0, v46, vcc
	v_mul_f32_e32 v3, v3, v4
	v_log_f32_e32 v3, v3
	v_cndmask_b32_e32 v4, 0, v47, vcc
	v_mul_f32_e32 v16, 0x3f317217, v3
	v_fma_f32 v22, v3, s55, -v16
	v_fmac_f32_e32 v22, 0x3377d1cf, v3
	v_add_f32_e32 v16, v16, v22
	v_cmp_lt_f32_e64 vcc, |v3|, s50
	v_cndmask_b32_e32 v3, v3, v16, vcc
	v_sub_f32_e32 v25, v3, v4
	v_mov_b32_e32 v16, 0x7fc00000
.LBB193_255:                            ;   in Loop: Header=BB193_145 Depth=1
	s_or_b64 exec, exec, s[8:9]
	v_cmp_o_f32_e32 vcc, v19, v18
                                        ; implicit-def: $vgpr27
                                        ; implicit-def: $vgpr3
	s_and_saveexec_b64 s[8:9], vcc
	s_xor_b64 s[22:23], exec, s[8:9]
	s_cbranch_execnz .LBB193_261
; %bb.256:                              ;   in Loop: Header=BB193_145 Depth=1
	s_andn2_saveexec_b64 s[8:9], s[22:23]
	s_cbranch_execnz .LBB193_288
.LBB193_257:                            ;   in Loop: Header=BB193_145 Depth=1
	s_or_b64 exec, exec, s[8:9]
	s_and_saveexec_b64 s[8:9], s[0:1]
	s_xor_b64 s[0:1], exec, s[8:9]
	s_cbranch_execnz .LBB193_293
.LBB193_258:                            ;   in Loop: Header=BB193_145 Depth=1
	s_or_b64 exec, exec, s[0:1]
	s_and_saveexec_b64 s[0:1], s[2:3]
	s_cbranch_execnz .LBB193_294
.LBB193_259:                            ;   in Loop: Header=BB193_145 Depth=1
	s_or_b64 exec, exec, s[0:1]
	s_and_saveexec_b64 s[0:1], s[4:5]
	s_cbranch_execnz .LBB193_295
.LBB193_260:                            ;   in Loop: Header=BB193_145 Depth=1
	s_or_b64 exec, exec, s[0:1]
	s_and_saveexec_b64 s[0:1], s[6:7]
	s_cbranch_execz .LBB193_144
	s_branch .LBB193_296
.LBB193_261:                            ;   in Loop: Header=BB193_145 Depth=1
	v_cmp_lt_f32_e64 s[8:9], |v18|, |v19|
	v_cndmask_b32_e64 v4, v19, v18, s[8:9]
	v_cmp_ngt_f32_e64 s[10:11], |v4|, s45
                                        ; implicit-def: $vgpr27
                                        ; implicit-def: $vgpr3
	s_and_saveexec_b64 s[24:25], s[10:11]
	s_xor_b64 s[24:25], exec, s[24:25]
	s_cbranch_execz .LBB193_285
; %bb.262:                              ;   in Loop: Header=BB193_145 Depth=1
	v_cndmask_b32_e64 v3, v18, v19, s[8:9]
	v_and_b32_e32 v29, 0x7fffffff, v3
	v_and_b32_e32 v28, 0x7fffffff, v4
	v_cmp_neq_f32_e32 vcc, 1.0, v29
                                        ; implicit-def: $vgpr27
                                        ; implicit-def: $vgpr3
	s_and_saveexec_b64 s[10:11], vcc
	s_xor_b64 s[26:27], exec, s[10:11]
	s_cbranch_execz .LBB193_278
; %bb.263:                              ;   in Loop: Header=BB193_145 Depth=1
	v_max_f32_e32 v3, v28, v28
	v_max_f32_e32 v4, v29, v29
	v_min_f32_e32 v22, v4, v3
	v_max_f32_e32 v3, v4, v3
	v_cmp_ngt_f32_e32 vcc, s46, v22
	v_cmp_nlt_f32_e64 s[10:11], s47, v3
	s_and_b64 s[10:11], s[10:11], vcc
                                        ; implicit-def: $vgpr27
                                        ; implicit-def: $vgpr3
	s_and_saveexec_b64 s[28:29], s[10:11]
	s_xor_b64 s[28:29], exec, s[28:29]
	s_cbranch_execz .LBB193_275
; %bb.264:                              ;   in Loop: Header=BB193_145 Depth=1
	v_cmp_le_f32_e32 vcc, 1.0, v29
                                        ; implicit-def: $vgpr27
                                        ; implicit-def: $vgpr3
	s_and_saveexec_b64 s[10:11], vcc
	s_xor_b64 s[30:31], exec, s[10:11]
	s_cbranch_execz .LBB193_266
; %bb.265:                              ;   in Loop: Header=BB193_145 Depth=1
	v_pk_add_f32 v[26:27], v[28:29], s[18:19] op_sel:[1,0]
	v_mov_b32_e32 v4, v27
	v_pk_mul_f32 v[26:27], v[26:27], v[4:5]
	v_pk_fma_f32 v[26:27], v[28:29], v[28:29], v[26:27]
	v_add_f32_e32 v29, 1.0, v26
	v_add_f32_e32 v27, -1.0, v29
	v_mov_b32_e32 v28, v27
	v_pk_add_f32 v[30:31], v[26:27], v[28:29] neg_lo:[0,1] neg_hi:[0,1]
	v_add_f32_e32 v3, 1.0, v31
	v_add_f32_e32 v3, v30, v3
	v_frexp_mant_f32_e32 v4, v29
	v_cvt_f64_f32_e32 v[30:31], v29
	v_frexp_exp_i32_f64_e32 v22, v[30:31]
	v_cmp_gt_f32_e32 vcc, s48, v4
	v_subbrev_co_u32_e32 v4, vcc, 0, v22, vcc
	v_sub_u32_e32 v22, 0, v4
	v_ldexp_f32 v24, v29, v22
	v_ldexp_f32 v3, v3, v22
	v_add_f32_e32 v22, -1.0, v24
	v_add_f32_e32 v28, 1.0, v24
	v_add_f32_e32 v27, 1.0, v22
	v_add_f32_e32 v29, -1.0, v28
	v_sub_f32_e32 v27, v24, v27
	v_sub_f32_e32 v24, v24, v29
	v_add_f32_e32 v27, v3, v27
	v_add_f32_e32 v3, v3, v24
	;; [unrolled: 1-line block ×3, first 2 shown]
	v_rcp_f32_e32 v49, v24
	v_add_f32_e32 v29, v22, v27
	v_sub_f32_e32 v22, v29, v22
	v_sub_f32_e32 v22, v27, v22
	v_mul_f32_e32 v27, v29, v49
	v_sub_f32_e32 v28, v24, v28
	v_mul_f32_e32 v30, v24, v27
	v_sub_f32_e32 v3, v3, v28
	v_fma_f32 v50, v27, v24, -v30
	v_fmac_f32_e32 v50, v27, v3
	v_add_f32_e32 v28, v30, v50
	v_sub_f32_e32 v31, v29, v28
	v_pk_add_f32 v[52:53], v[28:29], v[30:31] neg_lo:[0,1] neg_hi:[0,1]
	v_mov_b32_e32 v51, v28
	v_pk_add_f32 v[28:29], v[52:53], v[50:51] neg_lo:[0,1] neg_hi:[0,1]
	v_add_f32_e32 v22, v22, v29
	v_add_f32_e32 v22, v28, v22
	;; [unrolled: 1-line block ×3, first 2 shown]
	v_mul_f32_e32 v54, v49, v29
	v_mul_f32_e32 v30, v24, v54
	v_fma_f32 v50, v54, v24, -v30
	v_fmac_f32_e32 v50, v54, v3
	v_add_f32_e32 v28, v30, v50
	v_sub_f32_e32 v3, v31, v29
	v_sub_f32_e32 v31, v29, v28
	v_pk_add_f32 v[52:53], v[28:29], v[30:31] neg_lo:[0,1] neg_hi:[0,1]
	v_mov_b32_e32 v51, v28
	v_add_f32_e32 v3, v22, v3
	v_pk_add_f32 v[28:29], v[52:53], v[50:51] neg_lo:[0,1] neg_hi:[0,1]
	v_add_f32_e32 v3, v3, v29
	v_add_f32_e32 v3, v28, v3
	;; [unrolled: 1-line block ×4, first 2 shown]
	v_sub_f32_e32 v24, v22, v27
	v_mul_f32_e32 v3, v49, v3
	v_sub_f32_e32 v24, v54, v24
	v_add_f32_e32 v24, v24, v3
	v_add_f32_e32 v27, v22, v24
	v_cvt_f32_i32_e32 v28, v4
	v_mul_f32_e32 v29, v27, v27
	v_mov_b32_e32 v3, 0x3ecc95a3
	v_fmac_f32_e32 v3, 0x3e9b6dac, v29
	v_fma_f32 v3, v29, v3, v34
	v_mul_f32_e32 v29, v27, v29
	v_pk_mul_f32 v[50:51], v[28:29], v[2:3]
	v_fma_f32 v30, v28, s49, -v50
	v_ldexp_f32 v31, v27, 1
	v_fmac_f32_e32 v30, 0xb102e308, v28
	v_sub_f32_e32 v4, v27, v22
	v_pk_add_f32 v[28:29], v[50:51], v[30:31]
	v_sub_f32_e32 v4, v24, v4
	v_sub_f32_e32 v3, v29, v31
	v_ldexp_f32 v4, v4, 1
	v_sub_f32_e32 v3, v51, v3
	v_add_f32_e32 v53, v4, v3
	v_mov_b32_e32 v52, v50
	v_pk_add_f32 v[50:51], v[28:29], v[50:51] neg_lo:[0,1] neg_hi:[0,1]
	v_pk_add_f32 v[54:55], v[28:29], v[52:53]
	v_mov_b32_e32 v51, v55
	v_mov_b32_e32 v31, v28
	v_pk_add_f32 v[56:57], v[30:31], v[50:51] neg_lo:[0,1] neg_hi:[0,1]
	v_pk_add_f32 v[30:31], v[30:31], v[50:51]
	v_mov_b32_e32 v4, v31
	v_pk_add_f32 v[50:51], v[4:5], v[28:29] neg_lo:[0,1] neg_hi:[0,1]
	v_mov_b32_e32 v3, v50
	v_pk_add_f32 v[58:59], v[54:55], v[2:3] neg_lo:[0,1] neg_hi:[0,1]
	v_mov_b32_e32 v30, v55
	v_mov_b32_e32 v54, v29
	;; [unrolled: 1-line block ×4, first 2 shown]
	v_pk_add_f32 v[30:31], v[30:31], v[54:55] neg_lo:[0,1] neg_hi:[0,1]
	v_mov_b32_e32 v50, v53
	v_mov_b32_e32 v51, v28
	v_pk_add_f32 v[28:29], v[50:51], v[30:31] neg_lo:[0,1] neg_hi:[0,1]
	v_mov_b32_e32 v58, v56
	v_pk_add_f32 v[30:31], v[58:59], v[28:29]
	v_mov_b32_e32 v22, v31
	v_pk_add_f32 v[50:51], v[30:31], v[22:23]
	v_pk_add_f32 v[52:53], v[4:5], v[50:51]
	v_mov_b32_e32 v31, v52
	v_pk_add_f32 v[54:55], v[30:31], v[56:57] neg_lo:[0,1] neg_hi:[0,1]
	v_mov_b32_e32 v29, v50
	v_sub_f32_e32 v3, v30, v54
	v_pk_add_f32 v[28:29], v[28:29], v[54:55] neg_lo:[0,1] neg_hi:[0,1]
	v_sub_f32_e32 v3, v56, v3
	v_add_f32_e32 v3, v28, v3
	v_add_f32_e32 v3, v3, v29
	;; [unrolled: 1-line block ×3, first 2 shown]
	v_cmp_eq_f32_e32 vcc, s50, v26
	v_cndmask_b32_e32 v3, v3, v26, vcc
	v_cmp_ngt_f32_e32 vcc, -1.0, v26
	v_cndmask_b32_e32 v3, v41, v3, vcc
	v_cmp_neq_f32_e32 vcc, -1.0, v26
	v_cndmask_b32_e32 v3, v42, v3, vcc
	v_cmp_lt_f32_e64 vcc, |v26|, s51
	v_cndmask_b32_e32 v3, v3, v26, vcc
	v_mul_f32_e32 v27, 0.5, v3
	v_max_f32_e64 v3, |v19|, |v19|
	v_max_f32_e64 v4, |v18|, |v18|
	v_min_f32_e32 v22, v4, v3
	v_max_f32_e32 v3, v4, v3
	v_frexp_mant_f32_e32 v4, v3
	v_rcp_f32_e32 v4, v4
	v_frexp_exp_i32_f32_e32 v3, v3
	v_frexp_exp_i32_f32_e32 v24, v22
	v_frexp_mant_f32_e32 v22, v22
	v_mul_f32_e32 v4, v22, v4
	v_sub_u32_e32 v3, v24, v3
	v_ldexp_f32 v3, v4, v3
	v_mul_f32_e32 v4, v3, v3
	v_mov_b32_e32 v22, 0xbc7a590c
	v_fmac_f32_e32 v22, 0x3b2d2a58, v4
	v_fma_f32 v22, v4, v22, v35
	v_fma_f32 v22, v4, v22, v36
	;; [unrolled: 1-line block ×6, first 2 shown]
	v_mul_f32_e32 v4, v4, v22
	v_fmac_f32_e32 v3, v3, v4
	v_sub_f32_e32 v4, 0x3fc90fdb, v3
	v_cndmask_b32_e64 v3, v3, v4, s[8:9]
	v_sub_f32_e32 v4, 0x40490fdb, v3
	v_cmp_gt_f32_e32 vcc, 0, v18
	v_cmp_gt_i32_e64 s[10:11], 0, v18
	v_cndmask_b32_e32 v3, v3, v4, vcc
	v_cndmask_b32_e64 v4, 0, v43, s[10:11]
	v_cmp_eq_f32_e64 s[10:11], 0, v19
	v_cndmask_b32_e64 v3, v3, v4, s[10:11]
	v_cmp_class_f32_e64 s[10:11], v18, s52
	v_cmp_class_f32_e64 s[34:35], v19, s52
	v_cndmask_b32_e32 v4, v44, v45, vcc
	s_and_b64 vcc, s[34:35], s[10:11]
	v_cndmask_b32_e32 v3, v3, v4, vcc
                                        ; implicit-def: $vgpr28_vgpr29
.LBB193_266:                            ;   in Loop: Header=BB193_145 Depth=1
	s_andn2_saveexec_b64 s[30:31], s[30:31]
	s_cbranch_execz .LBB193_274
; %bb.267:                              ;   in Loop: Header=BB193_145 Depth=1
	v_pk_mul_f32 v[26:27], v[28:29], v[28:29]
	v_add_f32_e32 v4, v27, v26
	v_cmp_ge_f32_e32 vcc, s53, v4
                                        ; implicit-def: $vgpr27
                                        ; implicit-def: $vgpr3
	s_and_saveexec_b64 s[10:11], vcc
	s_xor_b64 s[34:35], exec, s[10:11]
	s_cbranch_execz .LBB193_269
; %bb.268:                              ;   in Loop: Header=BB193_145 Depth=1
	v_cmp_gt_f32_e32 vcc, s54, v4
	v_cndmask_b32_e32 v3, 1.0, v46, vcc
	v_mul_f32_e32 v3, v4, v3
	v_log_f32_e32 v3, v3
	v_cndmask_b32_e32 v4, 0, v47, vcc
	v_cmp_gt_i32_e64 s[10:11], 0, v18
	v_cmp_class_f32_e64 s[36:37], v19, s52
	v_mul_f32_e32 v22, 0x3f317217, v3
	v_fma_f32 v24, v3, s55, -v22
	v_fmac_f32_e32 v24, 0x3377d1cf, v3
	v_add_f32_e32 v22, v22, v24
	v_cmp_lt_f32_e64 vcc, |v3|, s50
	v_cndmask_b32_e32 v3, v3, v22, vcc
	v_sub_f32_e32 v3, v3, v4
	v_mul_f32_e32 v27, 0.5, v3
	v_max_f32_e64 v3, |v19|, |v19|
	v_max_f32_e64 v4, |v18|, |v18|
	v_min_f32_e32 v22, v4, v3
	v_max_f32_e32 v3, v4, v3
	v_frexp_mant_f32_e32 v4, v3
	v_rcp_f32_e32 v4, v4
	v_frexp_exp_i32_f32_e32 v3, v3
	v_frexp_exp_i32_f32_e32 v24, v22
	v_frexp_mant_f32_e32 v22, v22
	v_mul_f32_e32 v4, v22, v4
	v_sub_u32_e32 v3, v24, v3
	v_ldexp_f32 v3, v4, v3
	v_mul_f32_e32 v4, v3, v3
	v_mov_b32_e32 v22, 0xbc7a590c
	v_fmac_f32_e32 v22, 0x3b2d2a58, v4
	v_fma_f32 v22, v4, v22, v35
	v_fma_f32 v22, v4, v22, v36
	;; [unrolled: 1-line block ×6, first 2 shown]
	v_mul_f32_e32 v4, v4, v22
	v_fmac_f32_e32 v3, v3, v4
	v_sub_f32_e32 v4, 0x3fc90fdb, v3
	v_cndmask_b32_e64 v3, v3, v4, s[8:9]
	v_sub_f32_e32 v4, 0x40490fdb, v3
	v_cmp_gt_f32_e32 vcc, 0, v18
	v_cndmask_b32_e32 v3, v3, v4, vcc
	v_cndmask_b32_e64 v4, 0, v43, s[10:11]
	v_cmp_eq_f32_e64 s[10:11], 0, v19
	v_cndmask_b32_e64 v3, v3, v4, s[10:11]
	v_cmp_class_f32_e64 s[10:11], v18, s52
	v_cndmask_b32_e32 v4, v44, v45, vcc
	s_and_b64 vcc, s[36:37], s[10:11]
	v_cndmask_b32_e32 v3, v3, v4, vcc
                                        ; implicit-def: $vgpr28_vgpr29
.LBB193_269:                            ;   in Loop: Header=BB193_145 Depth=1
	s_andn2_saveexec_b64 s[34:35], s[34:35]
	s_cbranch_execz .LBB193_273
; %bb.270:                              ;   in Loop: Header=BB193_145 Depth=1
	v_and_b32_e32 v31, 0x7fff0000, v28
	v_and_b32_e32 v30, 0x7fff0000, v29
	v_pk_add_f32 v[26:27], v[28:29], v[30:31] op_sel:[1,0] op_sel_hi:[0,1] neg_lo:[0,1] neg_hi:[0,1]
	v_and_b32_e32 v51, 0xffff0000, v27
	v_and_b32_e32 v50, 0xffff0000, v26
	v_pk_add_f32 v[52:53], v[26:27], v[50:51] neg_lo:[0,1] neg_hi:[0,1]
	v_pk_mul_f32 v[26:27], v[30:31], v[30:31]
	v_add_f32_e32 v22, v30, v30
	v_add_f32_e32 v30, v31, v31
	v_mul_f32_e32 v4, v22, v50
	v_mul_f32_e32 v3, v30, v51
	;; [unrolled: 1-line block ×4, first 2 shown]
	v_add_f32_e32 v30, v50, v50
	v_mul_f32_e32 v49, v30, v52
	v_add_f32_e32 v30, v51, v51
	v_pk_mul_f32 v[28:29], v[50:51], v[50:51]
	v_mul_f32_e32 v50, v30, v53
	v_pk_mul_f32 v[30:31], v[52:53], v[52:53]
	s_mov_b64 s[36:37], 0
.LBB193_271:                            ;   Parent Loop BB193_145 Depth=1
                                        ; =>  This Inner Loop Header: Depth=2
	v_cmp_nlt_f32_e32 vcc, v26, v27
	v_cndmask_b32_e32 v51, v26, v27, vcc
	v_cmp_nlt_f32_e64 s[10:11], v51, v4
	v_cndmask_b32_e64 v52, v51, v4, s[10:11]
	v_cndmask_b32_e32 v26, v27, v26, vcc
	s_and_b64 s[60:61], vcc, s[10:11]
	v_cmp_nlt_f32_e32 vcc, v52, v3
	v_cndmask_b32_e64 v27, v4, v51, s[10:11]
	v_cndmask_b32_e32 v51, v52, v3, vcc
	v_cmp_nlt_f32_e64 s[10:11], v51, v28
	v_cndmask_b32_e32 v4, v3, v52, vcc
	v_cndmask_b32_e64 v52, v51, v28, s[10:11]
	s_and_b64 s[62:63], vcc, s[10:11]
	v_cmp_nlt_f32_e32 vcc, v52, v29
	v_cndmask_b32_e64 v3, v28, v51, s[10:11]
	v_cndmask_b32_e32 v51, v52, v29, vcc
	v_cmp_nlt_f32_e64 s[10:11], v51, v24
	v_cndmask_b32_e32 v28, v29, v52, vcc
	v_cndmask_b32_e64 v52, v51, v24, s[10:11]
	v_cndmask_b32_e64 v29, v24, v51, s[10:11]
	s_and_b64 s[10:11], vcc, s[10:11]
	v_cmp_nlt_f32_e32 vcc, v52, v22
	v_cndmask_b32_e32 v51, v52, v22, vcc
	v_cndmask_b32_e32 v24, v22, v52, vcc
	s_and_b64 s[10:11], s[10:11], vcc
	v_cmp_nlt_f32_e32 vcc, v51, v49
	v_cndmask_b32_e32 v52, v51, v49, vcc
	v_cndmask_b32_e32 v22, v49, v51, vcc
	s_and_b64 s[10:11], s[10:11], vcc
	v_cmp_nlt_f32_e32 vcc, v52, v50
	v_cndmask_b32_e32 v51, v52, v50, vcc
	v_cndmask_b32_e32 v49, v50, v52, vcc
	s_and_b64 s[10:11], s[10:11], vcc
	v_cmp_nlt_f32_e32 vcc, v51, v30
	v_cndmask_b32_e32 v52, v51, v30, vcc
	v_cndmask_b32_e32 v50, v30, v51, vcc
	s_and_b64 s[10:11], s[10:11], vcc
	v_cmp_nlt_f32_e32 vcc, v52, v31
	s_and_b64 s[10:11], s[10:11], vcc
	s_and_b64 s[10:11], s[10:11], s[62:63]
	s_and_b64 s[10:11], s[10:11], s[60:61]
	s_and_b64 s[10:11], exec, s[10:11]
	v_cndmask_b32_e32 v30, v31, v52, vcc
	s_or_b64 s[36:37], s[10:11], s[36:37]
	v_cndmask_b32_e32 v31, v52, v31, vcc
	s_andn2_b64 exec, exec, s[36:37]
	s_cbranch_execnz .LBB193_271
; %bb.272:                              ;   in Loop: Header=BB193_145 Depth=1
	s_or_b64 exec, exec, s[36:37]
	v_add_f32_e32 v26, -1.0, v26
	v_add_f32_e32 v26, v26, v27
	v_add_f32_e32 v4, v26, v4
	v_add_f32_e32 v3, v4, v3
	v_add_f32_e32 v3, v3, v28
	v_add_f32_e32 v3, v3, v29
	v_add_f32_e32 v3, v3, v24
	v_add_f32_e32 v3, v3, v22
	v_add_f32_e32 v3, v3, v49
	v_add_f32_e32 v3, v3, v50
	v_add_f32_e32 v3, v3, v30
	v_add_f32_e32 v26, v31, v3
	v_add_f32_e32 v29, 1.0, v26
	v_add_f32_e32 v27, -1.0, v29
	v_mov_b32_e32 v28, v27
	v_pk_add_f32 v[30:31], v[26:27], v[28:29] neg_lo:[0,1] neg_hi:[0,1]
	v_add_f32_e32 v3, 1.0, v31
	v_add_f32_e32 v3, v30, v3
	v_frexp_mant_f32_e32 v4, v29
	v_cvt_f64_f32_e32 v[30:31], v29
	v_frexp_exp_i32_f64_e32 v22, v[30:31]
	v_cmp_gt_f32_e32 vcc, s48, v4
	v_subbrev_co_u32_e32 v4, vcc, 0, v22, vcc
	v_sub_u32_e32 v22, 0, v4
	v_ldexp_f32 v24, v29, v22
	v_ldexp_f32 v3, v3, v22
	v_add_f32_e32 v22, -1.0, v24
	v_add_f32_e32 v28, 1.0, v24
	v_add_f32_e32 v27, 1.0, v22
	v_add_f32_e32 v29, -1.0, v28
	v_sub_f32_e32 v27, v24, v27
	v_sub_f32_e32 v24, v24, v29
	v_add_f32_e32 v27, v3, v27
	v_add_f32_e32 v3, v3, v24
	;; [unrolled: 1-line block ×3, first 2 shown]
	v_rcp_f32_e32 v49, v24
	v_add_f32_e32 v29, v22, v27
	v_sub_f32_e32 v22, v29, v22
	v_sub_f32_e32 v22, v27, v22
	v_mul_f32_e32 v27, v29, v49
	v_sub_f32_e32 v28, v24, v28
	v_mul_f32_e32 v30, v24, v27
	v_sub_f32_e32 v3, v3, v28
	v_fma_f32 v50, v27, v24, -v30
	v_fmac_f32_e32 v50, v27, v3
	v_add_f32_e32 v28, v30, v50
	v_sub_f32_e32 v31, v29, v28
	v_pk_add_f32 v[52:53], v[28:29], v[30:31] neg_lo:[0,1] neg_hi:[0,1]
	v_mov_b32_e32 v51, v28
	v_pk_add_f32 v[28:29], v[52:53], v[50:51] neg_lo:[0,1] neg_hi:[0,1]
	v_add_f32_e32 v22, v22, v29
	v_add_f32_e32 v22, v28, v22
	;; [unrolled: 1-line block ×3, first 2 shown]
	v_mul_f32_e32 v54, v49, v29
	v_mul_f32_e32 v30, v24, v54
	v_fma_f32 v50, v54, v24, -v30
	v_fmac_f32_e32 v50, v54, v3
	v_add_f32_e32 v28, v30, v50
	v_sub_f32_e32 v3, v31, v29
	v_sub_f32_e32 v31, v29, v28
	v_pk_add_f32 v[52:53], v[28:29], v[30:31] neg_lo:[0,1] neg_hi:[0,1]
	v_mov_b32_e32 v51, v28
	v_add_f32_e32 v3, v22, v3
	v_pk_add_f32 v[28:29], v[52:53], v[50:51] neg_lo:[0,1] neg_hi:[0,1]
	v_add_f32_e32 v3, v3, v29
	v_add_f32_e32 v3, v28, v3
	;; [unrolled: 1-line block ×4, first 2 shown]
	v_sub_f32_e32 v24, v22, v27
	v_mul_f32_e32 v3, v49, v3
	v_sub_f32_e32 v24, v54, v24
	v_add_f32_e32 v24, v24, v3
	v_add_f32_e32 v27, v22, v24
	v_cvt_f32_i32_e32 v28, v4
	v_mul_f32_e32 v29, v27, v27
	v_mov_b32_e32 v3, 0x3ecc95a3
	v_fmac_f32_e32 v3, 0x3e9b6dac, v29
	v_fma_f32 v3, v29, v3, v34
	v_mul_f32_e32 v29, v27, v29
	v_pk_mul_f32 v[50:51], v[28:29], v[2:3]
	v_fma_f32 v30, v28, s49, -v50
	v_ldexp_f32 v31, v27, 1
	v_fmac_f32_e32 v30, 0xb102e308, v28
	v_sub_f32_e32 v4, v27, v22
	v_pk_add_f32 v[28:29], v[50:51], v[30:31]
	v_sub_f32_e32 v4, v24, v4
	v_sub_f32_e32 v3, v29, v31
	v_ldexp_f32 v4, v4, 1
	v_sub_f32_e32 v3, v51, v3
	v_add_f32_e32 v53, v4, v3
	v_mov_b32_e32 v52, v50
	v_pk_add_f32 v[50:51], v[28:29], v[50:51] neg_lo:[0,1] neg_hi:[0,1]
	v_pk_add_f32 v[54:55], v[28:29], v[52:53]
	v_mov_b32_e32 v51, v55
	v_mov_b32_e32 v31, v28
	v_pk_add_f32 v[56:57], v[30:31], v[50:51] neg_lo:[0,1] neg_hi:[0,1]
	v_pk_add_f32 v[30:31], v[30:31], v[50:51]
	v_mov_b32_e32 v4, v31
	v_pk_add_f32 v[50:51], v[4:5], v[28:29] neg_lo:[0,1] neg_hi:[0,1]
	v_mov_b32_e32 v3, v50
	v_pk_add_f32 v[58:59], v[54:55], v[2:3] neg_lo:[0,1] neg_hi:[0,1]
	v_mov_b32_e32 v30, v55
	v_mov_b32_e32 v54, v29
	;; [unrolled: 1-line block ×4, first 2 shown]
	v_pk_add_f32 v[30:31], v[30:31], v[54:55] neg_lo:[0,1] neg_hi:[0,1]
	v_mov_b32_e32 v50, v53
	v_mov_b32_e32 v51, v28
	v_pk_add_f32 v[28:29], v[50:51], v[30:31] neg_lo:[0,1] neg_hi:[0,1]
	v_mov_b32_e32 v58, v56
	v_pk_add_f32 v[30:31], v[58:59], v[28:29]
	v_mov_b32_e32 v22, v31
	v_pk_add_f32 v[50:51], v[30:31], v[22:23]
	v_pk_add_f32 v[52:53], v[4:5], v[50:51]
	v_mov_b32_e32 v31, v52
	v_pk_add_f32 v[54:55], v[30:31], v[56:57] neg_lo:[0,1] neg_hi:[0,1]
	v_mov_b32_e32 v29, v50
	v_sub_f32_e32 v3, v30, v54
	v_pk_add_f32 v[28:29], v[28:29], v[54:55] neg_lo:[0,1] neg_hi:[0,1]
	v_sub_f32_e32 v3, v56, v3
	v_add_f32_e32 v3, v28, v3
	v_add_f32_e32 v3, v3, v29
	;; [unrolled: 1-line block ×3, first 2 shown]
	v_cmp_eq_f32_e32 vcc, s50, v26
	v_cndmask_b32_e32 v3, v3, v26, vcc
	v_cmp_ngt_f32_e32 vcc, -1.0, v26
	v_cndmask_b32_e32 v3, v41, v3, vcc
	v_cmp_neq_f32_e32 vcc, -1.0, v26
	v_cndmask_b32_e32 v3, v42, v3, vcc
	v_cmp_lt_f32_e64 vcc, |v26|, s51
	v_cndmask_b32_e32 v3, v3, v26, vcc
	v_mul_f32_e32 v27, 0.5, v3
	v_max_f32_e64 v3, |v19|, |v19|
	v_max_f32_e64 v4, |v18|, |v18|
	v_min_f32_e32 v22, v4, v3
	v_max_f32_e32 v3, v4, v3
	v_frexp_mant_f32_e32 v4, v3
	v_rcp_f32_e32 v4, v4
	v_frexp_exp_i32_f32_e32 v3, v3
	v_frexp_exp_i32_f32_e32 v24, v22
	v_frexp_mant_f32_e32 v22, v22
	v_mul_f32_e32 v4, v22, v4
	v_sub_u32_e32 v3, v24, v3
	v_ldexp_f32 v3, v4, v3
	v_mul_f32_e32 v4, v3, v3
	v_mov_b32_e32 v22, 0xbc7a590c
	v_fmac_f32_e32 v22, 0x3b2d2a58, v4
	v_fma_f32 v22, v4, v22, v35
	v_fma_f32 v22, v4, v22, v36
	;; [unrolled: 1-line block ×6, first 2 shown]
	v_mul_f32_e32 v4, v4, v22
	v_fmac_f32_e32 v3, v3, v4
	v_sub_f32_e32 v4, 0x3fc90fdb, v3
	v_cndmask_b32_e64 v3, v3, v4, s[8:9]
	v_sub_f32_e32 v4, 0x40490fdb, v3
	v_cmp_gt_f32_e32 vcc, 0, v18
	v_cmp_gt_i32_e64 s[10:11], 0, v18
	v_cndmask_b32_e32 v3, v3, v4, vcc
	v_cndmask_b32_e64 v4, 0, v43, s[10:11]
	v_cmp_eq_f32_e64 s[10:11], 0, v19
	v_cndmask_b32_e64 v3, v3, v4, s[10:11]
	v_cmp_class_f32_e64 s[10:11], v18, s52
	v_cmp_class_f32_e64 s[36:37], v19, s52
	v_cndmask_b32_e32 v4, v44, v45, vcc
	s_and_b64 vcc, s[36:37], s[10:11]
	v_cndmask_b32_e32 v3, v3, v4, vcc
.LBB193_273:                            ;   in Loop: Header=BB193_145 Depth=1
	s_or_b64 exec, exec, s[34:35]
.LBB193_274:                            ;   in Loop: Header=BB193_145 Depth=1
	s_or_b64 exec, exec, s[30:31]
.LBB193_275:                            ;   in Loop: Header=BB193_145 Depth=1
	s_andn2_saveexec_b64 s[28:29], s[28:29]
	s_cbranch_execz .LBB193_277
; %bb.276:                              ;   in Loop: Header=BB193_145 Depth=1
	v_max_f32_e64 v3, |v19|, |v19|
	v_max_f32_e64 v4, |v18|, |v18|
	v_max_f32_e32 v22, v4, v3
	v_cvt_f64_f32_e32 v[26:27], v22
	v_frexp_exp_i32_f64_e32 v24, v[26:27]
	v_sub_u32_e32 v26, 0, v24
	v_ldexp_f32 v27, |v18|, v26
	v_ldexp_f32 v26, |v19|, v26
	v_mul_f32_e32 v26, v26, v26
	v_fmac_f32_e32 v26, v27, v27
	v_sqrt_f32_e32 v26, v26
	v_cmp_neq_f32_e32 vcc, s50, v22
	v_min_f32_e32 v3, v4, v3
	v_frexp_mant_f32_e32 v4, v22
	v_ldexp_f32 v24, v26, v24
	v_cndmask_b32_e32 v24, v48, v24, vcc
	v_cmp_gt_f32_e32 vcc, s54, v24
	v_cndmask_b32_e32 v26, 1.0, v46, vcc
	v_mul_f32_e32 v24, v24, v26
	v_log_f32_e32 v24, v24
	v_rcp_f32_e32 v4, v4
	v_cndmask_b32_e32 v26, 0, v47, vcc
	v_frexp_exp_i32_f32_e32 v22, v22
	v_mul_f32_e32 v27, 0x3f317217, v24
	v_fma_f32 v28, v24, s55, -v27
	v_fmac_f32_e32 v28, 0x3377d1cf, v24
	v_add_f32_e32 v27, v27, v28
	v_cmp_lt_f32_e64 vcc, |v24|, s50
	v_cndmask_b32_e32 v24, v24, v27, vcc
	v_sub_f32_e32 v27, v24, v26
	v_frexp_exp_i32_f32_e32 v24, v3
	v_frexp_mant_f32_e32 v3, v3
	v_mul_f32_e32 v3, v3, v4
	v_sub_u32_e32 v4, v24, v22
	v_ldexp_f32 v3, v3, v4
	v_mul_f32_e32 v4, v3, v3
	v_mov_b32_e32 v22, 0xbc7a590c
	v_fmac_f32_e32 v22, 0x3b2d2a58, v4
	v_fma_f32 v22, v4, v22, v35
	v_fma_f32 v22, v4, v22, v36
	;; [unrolled: 1-line block ×6, first 2 shown]
	v_mul_f32_e32 v4, v4, v22
	v_fmac_f32_e32 v3, v3, v4
	v_sub_f32_e32 v4, 0x3fc90fdb, v3
	v_cndmask_b32_e64 v3, v3, v4, s[8:9]
	v_sub_f32_e32 v4, 0x40490fdb, v3
	v_cmp_gt_f32_e32 vcc, 0, v18
	v_cmp_gt_i32_e64 s[10:11], 0, v18
	v_cndmask_b32_e32 v3, v3, v4, vcc
	v_cndmask_b32_e64 v4, 0, v43, s[10:11]
	v_cmp_eq_f32_e64 s[10:11], 0, v19
	v_cndmask_b32_e64 v3, v3, v4, s[10:11]
	v_cmp_class_f32_e64 s[10:11], v18, s52
	v_cmp_class_f32_e64 s[30:31], v19, s52
	v_cndmask_b32_e32 v4, v44, v45, vcc
	s_and_b64 vcc, s[30:31], s[10:11]
	v_cndmask_b32_e32 v3, v3, v4, vcc
.LBB193_277:                            ;   in Loop: Header=BB193_145 Depth=1
	s_or_b64 exec, exec, s[28:29]
                                        ; implicit-def: $vgpr28
.LBB193_278:                            ;   in Loop: Header=BB193_145 Depth=1
	s_andn2_saveexec_b64 s[26:27], s[26:27]
	s_cbranch_execz .LBB193_284
; %bb.279:                              ;   in Loop: Header=BB193_145 Depth=1
	v_cmp_ngt_f32_e32 vcc, s56, v28
                                        ; implicit-def: $vgpr27
                                        ; implicit-def: $vgpr3
	s_and_saveexec_b64 s[10:11], vcc
	s_xor_b64 s[28:29], exec, s[10:11]
	s_cbranch_execz .LBB193_281
; %bb.280:                              ;   in Loop: Header=BB193_145 Depth=1
	v_pk_mul_f32 v[26:27], v[28:29], v[28:29]
	v_add_f32_e32 v29, 1.0, v26
	v_add_f32_e32 v27, -1.0, v29
	v_mov_b32_e32 v28, v27
	v_pk_add_f32 v[30:31], v[26:27], v[28:29] neg_lo:[0,1] neg_hi:[0,1]
	v_add_f32_e32 v3, 1.0, v31
	v_add_f32_e32 v3, v30, v3
	v_frexp_mant_f32_e32 v4, v29
	v_cvt_f64_f32_e32 v[30:31], v29
	v_frexp_exp_i32_f64_e32 v22, v[30:31]
	v_cmp_gt_f32_e32 vcc, s48, v4
	v_subbrev_co_u32_e32 v4, vcc, 0, v22, vcc
	v_sub_u32_e32 v22, 0, v4
	v_ldexp_f32 v24, v29, v22
	v_ldexp_f32 v3, v3, v22
	v_add_f32_e32 v22, -1.0, v24
	v_add_f32_e32 v28, 1.0, v24
	v_add_f32_e32 v27, 1.0, v22
	v_add_f32_e32 v29, -1.0, v28
	v_sub_f32_e32 v27, v24, v27
	v_sub_f32_e32 v24, v24, v29
	v_add_f32_e32 v27, v3, v27
	v_add_f32_e32 v3, v3, v24
	v_add_f32_e32 v24, v28, v3
	v_rcp_f32_e32 v49, v24
	v_add_f32_e32 v29, v22, v27
	v_sub_f32_e32 v22, v22, v29
	v_add_f32_e32 v22, v27, v22
	v_mul_f32_e32 v27, v29, v49
	v_sub_f32_e32 v28, v28, v24
	v_mul_f32_e32 v30, v24, v27
	v_add_f32_e32 v3, v3, v28
	v_fma_f32 v50, v27, v24, -v30
	v_fmac_f32_e32 v50, v27, v3
	v_add_f32_e32 v28, v30, v50
	v_sub_f32_e32 v31, v29, v28
	v_pk_add_f32 v[52:53], v[28:29], v[30:31] neg_lo:[0,1] neg_hi:[0,1]
	v_mov_b32_e32 v51, v28
	v_pk_add_f32 v[28:29], v[52:53], v[50:51] neg_lo:[0,1] neg_hi:[0,1]
	v_add_f32_e32 v22, v22, v29
	v_add_f32_e32 v22, v28, v22
	;; [unrolled: 1-line block ×3, first 2 shown]
	v_mul_f32_e32 v54, v49, v29
	v_mul_f32_e32 v30, v24, v54
	v_fma_f32 v50, v54, v24, -v30
	v_fmac_f32_e32 v50, v54, v3
	v_add_f32_e32 v28, v30, v50
	v_sub_f32_e32 v3, v31, v29
	v_sub_f32_e32 v31, v29, v28
	v_pk_add_f32 v[52:53], v[28:29], v[30:31] neg_lo:[0,1] neg_hi:[0,1]
	v_mov_b32_e32 v51, v28
	v_add_f32_e32 v3, v22, v3
	v_pk_add_f32 v[28:29], v[52:53], v[50:51] neg_lo:[0,1] neg_hi:[0,1]
	v_add_f32_e32 v3, v3, v29
	v_add_f32_e32 v3, v28, v3
	;; [unrolled: 1-line block ×4, first 2 shown]
	v_sub_f32_e32 v24, v22, v27
	v_mul_f32_e32 v3, v49, v3
	v_sub_f32_e32 v24, v54, v24
	v_add_f32_e32 v24, v24, v3
	v_add_f32_e32 v27, v22, v24
	v_cvt_f32_i32_e32 v28, v4
	v_mul_f32_e32 v29, v27, v27
	v_mov_b32_e32 v3, 0x3ecc95a3
	v_fmac_f32_e32 v3, 0x3e9b6dac, v29
	v_fma_f32 v3, v29, v3, v34
	v_mul_f32_e32 v29, v27, v29
	v_pk_mul_f32 v[50:51], v[28:29], v[2:3]
	v_fma_f32 v30, v28, s49, -v50
	v_ldexp_f32 v31, v27, 1
	v_fmac_f32_e32 v30, 0xb102e308, v28
	v_sub_f32_e32 v4, v27, v22
	v_pk_add_f32 v[28:29], v[50:51], v[30:31]
	v_sub_f32_e32 v4, v24, v4
	v_sub_f32_e32 v3, v29, v31
	v_ldexp_f32 v4, v4, 1
	v_sub_f32_e32 v3, v51, v3
	v_add_f32_e32 v53, v4, v3
	v_mov_b32_e32 v52, v50
	v_pk_add_f32 v[50:51], v[28:29], v[50:51] neg_lo:[0,1] neg_hi:[0,1]
	v_pk_add_f32 v[54:55], v[28:29], v[52:53]
	v_mov_b32_e32 v51, v55
	v_mov_b32_e32 v31, v28
	v_pk_add_f32 v[56:57], v[30:31], v[50:51] neg_lo:[0,1] neg_hi:[0,1]
	v_pk_add_f32 v[30:31], v[30:31], v[50:51]
	v_mov_b32_e32 v4, v31
	v_pk_add_f32 v[50:51], v[4:5], v[28:29] neg_lo:[0,1] neg_hi:[0,1]
	v_mov_b32_e32 v3, v50
	v_pk_add_f32 v[58:59], v[54:55], v[2:3] neg_lo:[0,1] neg_hi:[0,1]
	v_mov_b32_e32 v30, v55
	v_mov_b32_e32 v54, v29
	;; [unrolled: 1-line block ×4, first 2 shown]
	v_pk_add_f32 v[30:31], v[30:31], v[54:55] neg_lo:[0,1] neg_hi:[0,1]
	v_mov_b32_e32 v50, v53
	v_mov_b32_e32 v51, v28
	v_pk_add_f32 v[28:29], v[50:51], v[30:31] neg_lo:[0,1] neg_hi:[0,1]
	v_mov_b32_e32 v58, v56
	v_pk_add_f32 v[30:31], v[58:59], v[28:29]
	v_mov_b32_e32 v22, v31
	v_pk_add_f32 v[50:51], v[30:31], v[22:23]
	v_pk_add_f32 v[52:53], v[4:5], v[50:51]
	v_mov_b32_e32 v31, v52
	v_pk_add_f32 v[54:55], v[30:31], v[56:57] neg_lo:[0,1] neg_hi:[0,1]
	v_mov_b32_e32 v29, v50
	v_sub_f32_e32 v3, v30, v54
	v_pk_add_f32 v[28:29], v[28:29], v[54:55] neg_lo:[0,1] neg_hi:[0,1]
	v_sub_f32_e32 v3, v56, v3
	v_add_f32_e32 v3, v28, v3
	v_add_f32_e32 v3, v3, v29
	v_cmp_eq_f32_e32 vcc, s50, v26
	v_cmp_lt_f32_e64 s[10:11], |v26|, s51
	v_add_f32_e32 v3, v52, v3
	s_or_b64 vcc, vcc, s[10:11]
	v_cndmask_b32_e32 v3, v3, v26, vcc
	v_mul_f32_e32 v27, 0.5, v3
	v_max_f32_e64 v3, |v19|, |v19|
	v_max_f32_e64 v4, |v18|, |v18|
	v_min_f32_e32 v22, v4, v3
	v_max_f32_e32 v3, v4, v3
	v_frexp_mant_f32_e32 v4, v3
	v_rcp_f32_e32 v4, v4
	v_frexp_exp_i32_f32_e32 v3, v3
	v_frexp_exp_i32_f32_e32 v24, v22
	v_frexp_mant_f32_e32 v22, v22
	v_mul_f32_e32 v4, v22, v4
	v_sub_u32_e32 v3, v24, v3
	v_ldexp_f32 v3, v4, v3
	v_mul_f32_e32 v4, v3, v3
	v_mov_b32_e32 v22, 0xbc7a590c
	v_fmac_f32_e32 v22, 0x3b2d2a58, v4
	v_fma_f32 v22, v4, v22, v35
	v_fma_f32 v22, v4, v22, v36
	;; [unrolled: 1-line block ×6, first 2 shown]
	v_mul_f32_e32 v4, v4, v22
	v_fmac_f32_e32 v3, v3, v4
	v_sub_f32_e32 v4, 0x3fc90fdb, v3
	v_cndmask_b32_e64 v3, v3, v4, s[8:9]
	v_sub_f32_e32 v4, 0x40490fdb, v3
	v_cmp_gt_f32_e32 vcc, 0, v18
	v_cmp_gt_i32_e64 s[10:11], 0, v18
	v_cndmask_b32_e32 v3, v3, v4, vcc
	v_cndmask_b32_e64 v4, 0, v43, s[10:11]
	v_cmp_eq_f32_e64 s[10:11], 0, v19
	v_cndmask_b32_e64 v3, v3, v4, s[10:11]
	v_cmp_class_f32_e64 s[10:11], v18, s52
	v_cmp_class_f32_e64 s[30:31], v19, s52
	v_cndmask_b32_e32 v4, v44, v45, vcc
	s_and_b64 vcc, s[30:31], s[10:11]
	v_cndmask_b32_e32 v3, v3, v4, vcc
                                        ; implicit-def: $vgpr28
.LBB193_281:                            ;   in Loop: Header=BB193_145 Depth=1
	s_andn2_saveexec_b64 s[28:29], s[28:29]
	s_cbranch_execz .LBB193_283
; %bb.282:                              ;   in Loop: Header=BB193_145 Depth=1
	v_mul_f32_e32 v3, 0.5, v28
	v_mul_f32_e32 v27, v28, v3
	v_max_f32_e64 v3, |v19|, |v19|
	v_max_f32_e64 v4, |v18|, |v18|
	v_min_f32_e32 v22, v4, v3
	v_max_f32_e32 v3, v4, v3
	v_frexp_mant_f32_e32 v4, v3
	v_rcp_f32_e32 v4, v4
	v_frexp_exp_i32_f32_e32 v3, v3
	v_frexp_exp_i32_f32_e32 v24, v22
	v_frexp_mant_f32_e32 v22, v22
	v_mul_f32_e32 v4, v22, v4
	v_sub_u32_e32 v3, v24, v3
	v_ldexp_f32 v3, v4, v3
	v_mul_f32_e32 v4, v3, v3
	v_mov_b32_e32 v22, 0xbc7a590c
	v_fmac_f32_e32 v22, 0x3b2d2a58, v4
	v_fma_f32 v22, v4, v22, v35
	v_fma_f32 v22, v4, v22, v36
	;; [unrolled: 1-line block ×6, first 2 shown]
	v_mul_f32_e32 v4, v4, v22
	v_fmac_f32_e32 v3, v3, v4
	v_sub_f32_e32 v4, 0x3fc90fdb, v3
	v_cndmask_b32_e64 v3, v3, v4, s[8:9]
	v_sub_f32_e32 v4, 0x40490fdb, v3
	v_cmp_gt_f32_e32 vcc, 0, v18
	v_cmp_gt_i32_e64 s[10:11], 0, v18
	v_cndmask_b32_e32 v3, v3, v4, vcc
	v_cndmask_b32_e64 v4, 0, v43, s[10:11]
	v_cmp_eq_f32_e64 s[10:11], 0, v19
	v_cndmask_b32_e64 v3, v3, v4, s[10:11]
	v_cmp_class_f32_e64 s[10:11], v18, s52
	v_cmp_class_f32_e64 s[30:31], v19, s52
	v_cndmask_b32_e32 v4, v44, v45, vcc
	s_and_b64 vcc, s[30:31], s[10:11]
	v_cndmask_b32_e32 v3, v3, v4, vcc
.LBB193_283:                            ;   in Loop: Header=BB193_145 Depth=1
	s_or_b64 exec, exec, s[28:29]
.LBB193_284:                            ;   in Loop: Header=BB193_145 Depth=1
	s_or_b64 exec, exec, s[26:27]
.LBB193_285:                            ;   in Loop: Header=BB193_145 Depth=1
	s_andn2_saveexec_b64 s[24:25], s[24:25]
	s_cbranch_execz .LBB193_287
; %bb.286:                              ;   in Loop: Header=BB193_145 Depth=1
	v_div_scale_f32 v3, s[10:11], s57, s57, v18
	v_rcp_f32_e32 v4, v3
	v_div_scale_f32 v22, vcc, v18, s57, v18
	v_fma_f32 v24, -v3, v4, 1.0
	v_fmac_f32_e32 v4, v24, v4
	v_mul_f32_e32 v24, v22, v4
	v_fma_f32 v26, -v3, v24, v22
	v_fmac_f32_e32 v24, v26, v4
	v_fma_f32 v3, -v3, v24, v22
	v_div_scale_f32 v22, s[10:11], s57, s57, v19
	v_rcp_f32_e32 v26, v22
	v_div_fmas_f32 v3, v3, v4, v24
	v_div_fixup_f32 v3, v3, s57, v18
	v_fma_f32 v4, -v22, v26, 1.0
	v_fmac_f32_e32 v26, v4, v26
	v_div_scale_f32 v4, vcc, v19, s57, v19
	v_mul_f32_e32 v24, v4, v26
	v_fma_f32 v27, -v22, v24, v4
	v_fmac_f32_e32 v24, v27, v26
	v_fma_f32 v4, -v22, v24, v4
	v_div_fmas_f32 v4, v4, v26, v24
	v_div_fixup_f32 v4, v4, s57, v19
	v_max_f32_e64 v22, |v3|, |v4|
	v_cvt_f64_f32_e32 v[26:27], v22
	v_frexp_exp_i32_f64_e32 v24, v[26:27]
	v_sub_u32_e32 v26, 0, v24
	v_ldexp_f32 v4, |v4|, v26
	v_ldexp_f32 v3, |v3|, v26
	v_mul_f32_e32 v4, v4, v4
	v_fmac_f32_e32 v4, v3, v3
	v_sqrt_f32_e32 v3, v4
	v_cmp_neq_f32_e32 vcc, s50, v22
	v_ldexp_f32 v3, v3, v24
	v_cndmask_b32_e32 v3, v48, v3, vcc
	v_cmp_gt_f32_e32 vcc, s54, v3
	v_cndmask_b32_e32 v4, 1.0, v46, vcc
	v_mul_f32_e32 v3, v3, v4
	v_log_f32_e32 v3, v3
	v_mul_f32_e32 v4, 0x3f317217, v3
	v_fma_f32 v22, v3, s55, -v4
	v_fmac_f32_e32 v22, 0x3377d1cf, v3
	v_add_f32_e32 v4, v4, v22
	v_cmp_lt_f32_e64 s[10:11], |v3|, s50
	v_cndmask_b32_e64 v3, v3, v4, s[10:11]
	v_cndmask_b32_e32 v4, 0, v47, vcc
	v_sub_f32_e32 v3, v3, v4
	v_add_f32_e32 v27, 1.0, v3
	v_max_f32_e64 v3, |v19|, |v19|
	v_max_f32_e64 v4, |v18|, |v18|
	v_min_f32_e32 v22, v4, v3
	v_max_f32_e32 v3, v4, v3
	v_frexp_mant_f32_e32 v4, v3
	v_rcp_f32_e32 v4, v4
	v_frexp_exp_i32_f32_e32 v3, v3
	v_frexp_exp_i32_f32_e32 v24, v22
	v_frexp_mant_f32_e32 v22, v22
	v_mul_f32_e32 v4, v22, v4
	v_sub_u32_e32 v3, v24, v3
	v_ldexp_f32 v3, v4, v3
	v_mul_f32_e32 v4, v3, v3
	v_mov_b32_e32 v22, 0xbc7a590c
	v_fmac_f32_e32 v22, 0x3b2d2a58, v4
	v_fma_f32 v22, v4, v22, v35
	v_fma_f32 v22, v4, v22, v36
	;; [unrolled: 1-line block ×6, first 2 shown]
	v_mul_f32_e32 v4, v4, v22
	v_fmac_f32_e32 v3, v3, v4
	v_sub_f32_e32 v4, 0x3fc90fdb, v3
	v_cndmask_b32_e64 v3, v3, v4, s[8:9]
	v_sub_f32_e32 v4, 0x40490fdb, v3
	v_cmp_gt_f32_e32 vcc, 0, v18
	v_cmp_gt_i32_e64 s[8:9], 0, v18
	v_cndmask_b32_e32 v3, v3, v4, vcc
	v_cndmask_b32_e64 v4, 0, v43, s[8:9]
	v_cmp_eq_f32_e64 s[8:9], 0, v19
	v_cndmask_b32_e64 v3, v3, v4, s[8:9]
	v_cmp_class_f32_e64 s[8:9], v18, s52
	v_cmp_class_f32_e64 s[10:11], v19, s52
	v_cndmask_b32_e32 v4, v44, v45, vcc
	s_and_b64 vcc, s[10:11], s[8:9]
	v_cndmask_b32_e32 v3, v3, v4, vcc
.LBB193_287:                            ;   in Loop: Header=BB193_145 Depth=1
	s_or_b64 exec, exec, s[24:25]
	s_andn2_saveexec_b64 s[8:9], s[22:23]
	s_cbranch_execz .LBB193_257
.LBB193_288:                            ;   in Loop: Header=BB193_145 Depth=1
	v_cmp_nlt_f32_e64 s[10:11], |v18|, s58
	v_cmp_nlt_f32_e64 s[22:23], |v19|, s58
	s_or_b64 s[10:11], s[22:23], s[10:11]
                                        ; implicit-def: $vgpr3
	s_and_saveexec_b64 s[22:23], s[10:11]
	s_xor_b64 s[10:11], exec, s[22:23]
; %bb.289:                              ;   in Loop: Header=BB193_145 Depth=1
	v_pk_mul_f32 v[26:27], v[18:19], v[18:19]
	v_add_f32_e32 v3, v27, v26
; %bb.290:                              ;   in Loop: Header=BB193_145 Depth=1
	s_andn2_saveexec_b64 s[10:11], s[10:11]
; %bb.291:                              ;   in Loop: Header=BB193_145 Depth=1
	v_pk_mul_f32 v[26:27], v[18:19], 4.0 op_sel_hi:[1,0]
	v_pk_mul_f32 v[26:27], v[26:27], v[26:27]
	v_add_f32_e32 v3, v27, v26
	v_mul_f32_e32 v3, 0x3d800000, v3
; %bb.292:                              ;   in Loop: Header=BB193_145 Depth=1
	s_or_b64 exec, exec, s[10:11]
	v_cmp_gt_f32_e32 vcc, s54, v3
	v_cndmask_b32_e32 v4, 1.0, v46, vcc
	v_mul_f32_e32 v3, v3, v4
	v_log_f32_e32 v3, v3
	v_cndmask_b32_e32 v4, 0, v47, vcc
	v_mul_f32_e32 v18, 0x3f317217, v3
	v_fma_f32 v22, v3, s55, -v18
	v_fmac_f32_e32 v22, 0x3377d1cf, v3
	v_add_f32_e32 v18, v18, v22
	v_cmp_lt_f32_e64 vcc, |v3|, s50
	v_cndmask_b32_e32 v3, v3, v18, vcc
	v_sub_f32_e32 v27, v3, v4
	v_mov_b32_e32 v3, 0x7fc00000
	s_or_b64 exec, exec, s[8:9]
	s_and_saveexec_b64 s[8:9], s[0:1]
	s_xor_b64 s[0:1], exec, s[8:9]
	s_cbranch_execz .LBB193_258
.LBB193_293:                            ;   in Loop: Header=BB193_145 Depth=1
	v_bfi_b32 v20, s44, v20, v15
	v_mov_b32_e32 v28, v21
	v_mov_b32_e32 v29, v20
	v_pk_fma_f32 v[30:31], v[20:21], 0, v[28:29] op_sel_hi:[1,0,1]
	v_pk_fma_f32 v[20:21], v[20:21], 0, v[28:29] op_sel_hi:[1,0,1] neg_lo:[1,0,0] neg_hi:[1,0,0]
	v_lshlrev_b64 v[6:7], 3, v[6:7]
	v_mov_b32_e32 v31, v21
	v_mov_b32_e32 v4, s40
	v_add_co_u32_e32 v6, vcc, s39, v6
	v_pk_mul_f32 v[20:21], v[30:31], s[20:21] op_sel_hi:[1,0]
	v_addc_co_u32_e32 v7, vcc, v4, v7, vcc
	global_store_dwordx2 v[6:7], v[20:21], off
	s_or_b64 exec, exec, s[0:1]
	s_and_saveexec_b64 s[0:1], s[2:3]
	s_cbranch_execz .LBB193_259
.LBB193_294:                            ;   in Loop: Header=BB193_145 Depth=1
	v_bfi_b32 v22, s44, v14, v17
	v_mov_b32_e32 v6, v23
	v_mov_b32_e32 v7, v22
	v_pk_fma_f32 v[14:15], v[22:23], 0, v[6:7] op_sel_hi:[1,0,1]
	v_pk_fma_f32 v[6:7], v[22:23], 0, v[6:7] op_sel_hi:[1,0,1] neg_lo:[1,0,0] neg_hi:[1,0,0]
	v_lshlrev_b64 v[8:9], 3, v[8:9]
	v_mov_b32_e32 v15, v7
	v_mov_b32_e32 v4, s40
	v_add_co_u32_e32 v8, vcc, s39, v8
	v_pk_mul_f32 v[6:7], v[14:15], s[20:21] op_sel_hi:[1,0]
	v_addc_co_u32_e32 v9, vcc, v4, v9, vcc
	global_store_dwordx2 v[8:9], v[6:7], off
	s_or_b64 exec, exec, s[0:1]
	s_and_saveexec_b64 s[0:1], s[4:5]
	s_cbranch_execz .LBB193_260
.LBB193_295:                            ;   in Loop: Header=BB193_145 Depth=1
	v_bfi_b32 v24, s44, v16, v5
	v_mov_b32_e32 v4, v25
	v_mov_b32_e32 v5, v24
	v_pk_fma_f32 v[6:7], v[24:25], 0, v[4:5] op_sel_hi:[1,0,1]
	v_pk_fma_f32 v[4:5], v[24:25], 0, v[4:5] op_sel_hi:[1,0,1] neg_lo:[1,0,0] neg_hi:[1,0,0]
	v_mov_b32_e32 v7, v5
	v_pk_mul_f32 v[4:5], v[6:7], s[20:21] op_sel_hi:[1,0]
	v_lshlrev_b64 v[6:7], 3, v[10:11]
	v_mov_b32_e32 v8, s40
	v_add_co_u32_e32 v6, vcc, s39, v6
	v_addc_co_u32_e32 v7, vcc, v8, v7, vcc
	global_store_dwordx2 v[6:7], v[4:5], off
	s_or_b64 exec, exec, s[0:1]
	s_and_saveexec_b64 s[0:1], s[6:7]
	s_cbranch_execz .LBB193_144
.LBB193_296:                            ;   in Loop: Header=BB193_145 Depth=1
	v_bfi_b32 v26, s44, v3, v19
	v_mov_b32_e32 v4, v27
	v_mov_b32_e32 v5, v26
	v_pk_fma_f32 v[6:7], v[26:27], 0, v[4:5] op_sel_hi:[1,0,1]
	v_pk_fma_f32 v[4:5], v[26:27], 0, v[4:5] op_sel_hi:[1,0,1] neg_lo:[1,0,0] neg_hi:[1,0,0]
	v_mov_b32_e32 v7, v5
	v_pk_mul_f32 v[4:5], v[6:7], s[20:21] op_sel_hi:[1,0]
	v_lshlrev_b64 v[6:7], 3, v[12:13]
	v_mov_b32_e32 v3, s40
	v_add_co_u32_e32 v6, vcc, s39, v6
	v_addc_co_u32_e32 v7, vcc, v3, v7, vcc
	global_store_dwordx2 v[6:7], v[4:5], off
	s_branch .LBB193_144
.LBB193_297:
	s_endpgm
	.section	.rodata,"a",@progbits
	.p2align	6, 0x0
	.amdhsa_kernel _ZN2at6native12_GLOBAL__N_125multi_tensor_apply_kernelINS1_18TensorListMetadataILi2EEENS1_14UnaryOpFunctorIN3c107complexIfEELi2ELi1ELi1EEEJNS0_4Log2IS8_EEEEEvT_T0_DpT1_
		.amdhsa_group_segment_fixed_size 0
		.amdhsa_private_segment_fixed_size 0
		.amdhsa_kernarg_size 3408
		.amdhsa_user_sgpr_count 6
		.amdhsa_user_sgpr_private_segment_buffer 1
		.amdhsa_user_sgpr_dispatch_ptr 0
		.amdhsa_user_sgpr_queue_ptr 0
		.amdhsa_user_sgpr_kernarg_segment_ptr 1
		.amdhsa_user_sgpr_dispatch_id 0
		.amdhsa_user_sgpr_flat_scratch_init 0
		.amdhsa_user_sgpr_kernarg_preload_length 0
		.amdhsa_user_sgpr_kernarg_preload_offset 0
		.amdhsa_user_sgpr_private_segment_size 0
		.amdhsa_uses_dynamic_stack 0
		.amdhsa_system_sgpr_private_segment_wavefront_offset 0
		.amdhsa_system_sgpr_workgroup_id_x 1
		.amdhsa_system_sgpr_workgroup_id_y 0
		.amdhsa_system_sgpr_workgroup_id_z 0
		.amdhsa_system_sgpr_workgroup_info 0
		.amdhsa_system_vgpr_workitem_id 0
		.amdhsa_next_free_vgpr 60
		.amdhsa_next_free_sgpr 64
		.amdhsa_accum_offset 60
		.amdhsa_reserve_vcc 1
		.amdhsa_reserve_flat_scratch 0
		.amdhsa_float_round_mode_32 0
		.amdhsa_float_round_mode_16_64 0
		.amdhsa_float_denorm_mode_32 3
		.amdhsa_float_denorm_mode_16_64 3
		.amdhsa_dx10_clamp 1
		.amdhsa_ieee_mode 1
		.amdhsa_fp16_overflow 0
		.amdhsa_tg_split 0
		.amdhsa_exception_fp_ieee_invalid_op 0
		.amdhsa_exception_fp_denorm_src 0
		.amdhsa_exception_fp_ieee_div_zero 0
		.amdhsa_exception_fp_ieee_overflow 0
		.amdhsa_exception_fp_ieee_underflow 0
		.amdhsa_exception_fp_ieee_inexact 0
		.amdhsa_exception_int_div_zero 0
	.end_amdhsa_kernel
	.section	.text._ZN2at6native12_GLOBAL__N_125multi_tensor_apply_kernelINS1_18TensorListMetadataILi2EEENS1_14UnaryOpFunctorIN3c107complexIfEELi2ELi1ELi1EEEJNS0_4Log2IS8_EEEEEvT_T0_DpT1_,"axG",@progbits,_ZN2at6native12_GLOBAL__N_125multi_tensor_apply_kernelINS1_18TensorListMetadataILi2EEENS1_14UnaryOpFunctorIN3c107complexIfEELi2ELi1ELi1EEEJNS0_4Log2IS8_EEEEEvT_T0_DpT1_,comdat
.Lfunc_end193:
	.size	_ZN2at6native12_GLOBAL__N_125multi_tensor_apply_kernelINS1_18TensorListMetadataILi2EEENS1_14UnaryOpFunctorIN3c107complexIfEELi2ELi1ELi1EEEJNS0_4Log2IS8_EEEEEvT_T0_DpT1_, .Lfunc_end193-_ZN2at6native12_GLOBAL__N_125multi_tensor_apply_kernelINS1_18TensorListMetadataILi2EEENS1_14UnaryOpFunctorIN3c107complexIfEELi2ELi1ELi1EEEJNS0_4Log2IS8_EEEEEvT_T0_DpT1_
                                        ; -- End function
	.section	.AMDGPU.csdata,"",@progbits
; Kernel info:
; codeLenInByte = 39784
; NumSgprs: 68
; NumVgprs: 60
; NumAgprs: 0
; TotalNumVgprs: 60
; ScratchSize: 0
; MemoryBound: 1
; FloatMode: 240
; IeeeMode: 1
; LDSByteSize: 0 bytes/workgroup (compile time only)
; SGPRBlocks: 8
; VGPRBlocks: 7
; NumSGPRsForWavesPerEU: 68
; NumVGPRsForWavesPerEU: 60
; AccumOffset: 60
; Occupancy: 8
; WaveLimiterHint : 0
; COMPUTE_PGM_RSRC2:SCRATCH_EN: 0
; COMPUTE_PGM_RSRC2:USER_SGPR: 6
; COMPUTE_PGM_RSRC2:TRAP_HANDLER: 0
; COMPUTE_PGM_RSRC2:TGID_X_EN: 1
; COMPUTE_PGM_RSRC2:TGID_Y_EN: 0
; COMPUTE_PGM_RSRC2:TGID_Z_EN: 0
; COMPUTE_PGM_RSRC2:TIDIG_COMP_CNT: 0
; COMPUTE_PGM_RSRC3_GFX90A:ACCUM_OFFSET: 14
; COMPUTE_PGM_RSRC3_GFX90A:TG_SPLIT: 0
	.section	.text._ZN2at6native12_GLOBAL__N_125multi_tensor_apply_kernelINS1_18TensorListMetadataILi2EEENS1_14UnaryOpFunctorIN3c104HalfELi2ELi1ELi1EEEJNS0_4Log2IfEEEEEvT_T0_DpT1_,"axG",@progbits,_ZN2at6native12_GLOBAL__N_125multi_tensor_apply_kernelINS1_18TensorListMetadataILi2EEENS1_14UnaryOpFunctorIN3c104HalfELi2ELi1ELi1EEEJNS0_4Log2IfEEEEEvT_T0_DpT1_,comdat
	.globl	_ZN2at6native12_GLOBAL__N_125multi_tensor_apply_kernelINS1_18TensorListMetadataILi2EEENS1_14UnaryOpFunctorIN3c104HalfELi2ELi1ELi1EEEJNS0_4Log2IfEEEEEvT_T0_DpT1_ ; -- Begin function _ZN2at6native12_GLOBAL__N_125multi_tensor_apply_kernelINS1_18TensorListMetadataILi2EEENS1_14UnaryOpFunctorIN3c104HalfELi2ELi1ELi1EEEJNS0_4Log2IfEEEEEvT_T0_DpT1_
	.p2align	8
	.type	_ZN2at6native12_GLOBAL__N_125multi_tensor_apply_kernelINS1_18TensorListMetadataILi2EEENS1_14UnaryOpFunctorIN3c104HalfELi2ELi1ELi1EEEJNS0_4Log2IfEEEEEvT_T0_DpT1_,@function
_ZN2at6native12_GLOBAL__N_125multi_tensor_apply_kernelINS1_18TensorListMetadataILi2EEENS1_14UnaryOpFunctorIN3c104HalfELi2ELi1ELi1EEEJNS0_4Log2IfEEEEEvT_T0_DpT1_: ; @_ZN2at6native12_GLOBAL__N_125multi_tensor_apply_kernelINS1_18TensorListMetadataILi2EEENS1_14UnaryOpFunctorIN3c104HalfELi2ELi1ELi1EEEJNS0_4Log2IfEEEEEvT_T0_DpT1_
; %bb.0:
	v_mov_b32_e32 v1, s6
	global_load_ubyte v1, v1, s[4:5] offset:1536
	s_add_u32 s0, s4, s6
	s_mul_hi_u32 s2, s6, 3
	s_mul_i32 s6, s6, 3
	s_addc_u32 s7, s5, 0
	s_add_u32 s6, s0, s6
	s_addc_u32 s7, s7, s2
	s_load_dword s12, s[6:7], 0x740
	s_mov_b32 s1, 0
	s_mov_b32 s11, s1
	;; [unrolled: 1-line block ×3, first 2 shown]
	s_waitcnt lgkmcnt(0)
	s_ashr_i32 s13, s12, 31
	s_lshl_b64 s[8:9], s[12:13], 17
	s_waitcnt vmcnt(0)
	v_readfirstlane_b32 s0, v1
	s_lshl_b32 s0, s0, 3
	s_load_dwordx2 s[14:15], s[4:5], s0 offset:0x0
	s_load_dwordx2 s[16:17], s[4:5], s0 offset:0x400
	;; [unrolled: 1-line block ×3, first 2 shown]
	s_waitcnt lgkmcnt(0)
	s_add_u32 s20, s14, s8
	s_addc_u32 s21, s15, s9
	s_and_b32 s0, s20, 7
	s_add_u32 s22, s6, s8
	s_addc_u32 s23, s7, s9
	s_and_b32 s10, s16, 3
	s_and_b32 s2, s22, 7
	s_or_b64 s[10:11], s[0:1], s[10:11]
	s_or_b64 s[2:3], s[2:3], s[10:11]
	s_lshl_b64 s[10:11], s[12:13], 16
	s_sub_u32 s10, s16, s10
	s_subb_u32 s11, s17, s11
	s_cmp_eq_u64 s[2:3], 0
	s_mov_b64 s[2:3], -1
	s_cbranch_scc0 .LBB194_5
; %bb.1:
	v_mov_b32_e32 v3, 0
	v_lshlrev_b32_e32 v2, 2, v0
	v_cmp_gt_i64_e32 vcc, s[10:11], v[2:3]
	s_and_saveexec_b64 s[12:13], vcc
	s_cbranch_execz .LBB194_4
; %bb.2:
	s_load_dword s0, s[4:5], 0xc5c
	v_lshlrev_b32_e32 v4, 3, v0
	s_mov_b64 s[16:17], 0
	s_mov_b64 s[18:19], 0xffff
	v_mov_b32_e32 v1, s1
	s_waitcnt lgkmcnt(0)
	s_and_b32 s0, s0, 0xffff
	v_add_lshl_u32 v2, v0, s0, 2
	s_lshl_b32 s24, s0, 2
	s_lshl_b32 s25, s0, 3
.LBB194_3:                              ; =>This Inner Loop Header: Depth=1
	v_mov_b32_e32 v5, s21
	v_add_co_u32_e32 v6, vcc, s20, v4
	v_addc_co_u32_e32 v7, vcc, 0, v5, vcc
	global_load_dwordx2 v[6:7], v[6:7], off
	v_cmp_le_i64_e32 vcc, s[10:11], v[2:3]
	v_cmp_lt_u64_e64 s[0:1], s[18:19], v[2:3]
	v_add_co_u32_e64 v2, s[2:3], s24, v2
	v_addc_co_u32_e64 v3, s[2:3], v3, v1, s[2:3]
	v_mov_b32_e32 v5, s23
	v_add_co_u32_e64 v8, s[2:3], s22, v4
	v_addc_co_u32_e64 v9, s[2:3], 0, v5, s[2:3]
	s_or_b64 s[0:1], vcc, s[0:1]
	s_add_u32 s20, s20, s25
	s_addc_u32 s21, s21, 0
	s_add_u32 s22, s22, s25
	s_addc_u32 s23, s23, 0
	s_and_b64 s[0:1], exec, s[0:1]
	s_or_b64 s[16:17], s[0:1], s[16:17]
	s_waitcnt vmcnt(0)
	v_cvt_f32_f16_e32 v5, v6
	v_cvt_f32_f16_e32 v10, v7
	v_cvt_f32_f16_sdwa v7, v7 dst_sel:DWORD dst_unused:UNUSED_PAD src0_sel:WORD_1
	v_cvt_f32_f16_sdwa v6, v6 dst_sel:DWORD dst_unused:UNUSED_PAD src0_sel:WORD_1
	v_log_f32_e32 v5, v5
	v_log_f32_e32 v10, v10
	;; [unrolled: 1-line block ×4, first 2 shown]
	v_cvt_f16_f32_e32 v5, v5
	v_cvt_f16_f32_e32 v10, v10
	;; [unrolled: 1-line block ×4, first 2 shown]
	v_pack_b32_f16 v7, v10, v7
	v_pack_b32_f16 v6, v5, v6
	global_store_dwordx2 v[8:9], v[6:7], off
	s_andn2_b64 exec, exec, s[16:17]
	s_cbranch_execnz .LBB194_3
.LBB194_4:
	s_or_b64 exec, exec, s[12:13]
	s_mov_b64 s[2:3], 0
.LBB194_5:
	s_andn2_b64 vcc, exec, s[2:3]
	s_cbranch_vccnz .LBB194_25
; %bb.6:
	v_cmp_lt_i64_e64 s[0:1], s[10:11], 1
	s_and_b64 vcc, exec, s[0:1]
	s_cbranch_vccnz .LBB194_25
; %bb.7:
	s_load_dword s0, s[4:5], 0xc5c
	v_mov_b32_e32 v2, 0x10000
	v_mov_b32_e32 v3, 0
	v_cmp_lt_u64_e32 vcc, s[10:11], v[2:3]
	v_lshlrev_b32_e32 v10, 1, v0
	s_waitcnt lgkmcnt(0)
	s_and_b32 s2, s0, 0xffff
	s_and_b64 s[0:1], vcc, exec
	v_mov_b32_e32 v13, s15
	v_add_co_u32_e32 v2, vcc, s14, v10
	v_addc_co_u32_e32 v1, vcc, 0, v13, vcc
	v_mov_b32_e32 v11, 0
	v_mov_b32_e32 v15, s7
	v_add_co_u32_e32 v4, vcc, s6, v10
	v_addc_co_u32_e32 v3, vcc, 0, v15, vcc
	v_mad_u64_u32 v[8:9], s[0:1], s2, 6, v[10:11]
	v_add_co_u32_e32 v6, vcc, s14, v8
	v_addc_co_u32_e32 v5, vcc, v13, v9, vcc
	v_add_co_u32_e32 v8, vcc, s6, v8
	s_mul_i32 s4, s2, 3
	v_addc_co_u32_e32 v7, vcc, v15, v9, vcc
	s_cselect_b32 s13, s11, 0
	s_cselect_b32 s12, s10, 0x10000
	s_lshl_b32 s19, s2, 2
	v_add_co_u32_e32 v17, vcc, s4, v0
	v_addc_co_u32_e64 v18, s[0:1], 0, 0, vcc
	v_add_co_u32_e32 v11, vcc, s19, v10
	v_addc_co_u32_e64 v14, s[0:1], 0, 0, vcc
	v_add_co_u32_e32 v10, vcc, s14, v11
	v_addc_co_u32_e32 v9, vcc, v13, v14, vcc
	v_add_co_u32_e32 v12, vcc, s6, v11
	s_lshl_b32 s3, s2, 1
	v_addc_co_u32_e32 v11, vcc, v15, v14, vcc
	v_add_co_u32_e32 v19, vcc, s3, v0
	v_addc_co_u32_e64 v20, s[0:1], 0, 0, vcc
	v_add_co_u32_e32 v21, vcc, s2, v0
	v_lshlrev_b32_e32 v16, 1, v21
	v_addc_co_u32_e64 v22, s[0:1], 0, 0, vcc
	v_add_co_u32_e32 v14, vcc, s14, v16
	v_addc_co_u32_e32 v13, vcc, 0, v13, vcc
	v_add_co_u32_e32 v16, vcc, s6, v16
	s_mov_b32 s18, 0
	s_lshl_b32 s20, s2, 3
	v_addc_co_u32_e32 v15, vcc, 0, v15, vcc
	s_mov_b64 s[14:15], 0
	s_branch .LBB194_9
.LBB194_8:                              ;   in Loop: Header=BB194_9 Depth=1
	s_or_b64 exec, exec, s[0:1]
	s_add_u32 s14, s14, s19
	s_addc_u32 s15, s15, 0
	s_waitcnt vmcnt(0)
	v_pk_mov_b32 v[24:25], s[10:11], s[10:11] op_sel:[0,1]
	v_cmp_ge_i64_e32 vcc, s[14:15], v[24:25]
	v_mov_b32_e32 v24, 0xffff
	v_mov_b32_e32 v25, 0
	v_cmp_gt_u64_e64 s[0:1], s[14:15], v[24:25]
	s_or_b64 s[0:1], vcc, s[0:1]
	v_mov_b32_e32 v23, s18
	v_add_co_u32_e32 v2, vcc, s20, v2
	v_addc_co_u32_e32 v1, vcc, v1, v23, vcc
	v_add_co_u32_e32 v4, vcc, s20, v4
	v_addc_co_u32_e32 v3, vcc, v3, v23, vcc
	;; [unrolled: 2-line block ×8, first 2 shown]
	s_and_b64 vcc, exec, s[0:1]
	s_cbranch_vccnz .LBB194_25
.LBB194_9:                              ; =>This Inner Loop Header: Depth=1
	v_mov_b32_e32 v23, s15
	v_add_co_u32_e32 v24, vcc, s14, v0
	v_addc_co_u32_e32 v25, vcc, 0, v23, vcc
	v_cmp_gt_u64_e32 vcc, s[12:13], v[24:25]
	v_mov_b32_e32 v24, 0
	s_and_saveexec_b64 s[2:3], vcc
	s_cbranch_execz .LBB194_11
; %bb.10:                               ;   in Loop: Header=BB194_9 Depth=1
	v_mov_b32_e32 v23, s9
	v_add_co_u32_e64 v24, s[0:1], s8, v2
	v_addc_co_u32_e64 v25, s[0:1], v1, v23, s[0:1]
	global_load_ushort v24, v[24:25], off
.LBB194_11:                             ;   in Loop: Header=BB194_9 Depth=1
	s_or_b64 exec, exec, s[2:3]
	v_mov_b32_e32 v23, s15
	v_add_co_u32_e64 v26, s[0:1], s14, v21
	v_addc_co_u32_e64 v27, s[0:1], v22, v23, s[0:1]
	v_cmp_gt_u64_e64 s[0:1], s[12:13], v[26:27]
	v_mov_b32_e32 v25, 0
	s_and_saveexec_b64 s[4:5], s[0:1]
	s_cbranch_execz .LBB194_13
; %bb.12:                               ;   in Loop: Header=BB194_9 Depth=1
	v_mov_b32_e32 v23, s9
	v_add_co_u32_e64 v26, s[2:3], s8, v14
	v_addc_co_u32_e64 v27, s[2:3], v13, v23, s[2:3]
	global_load_ushort v25, v[26:27], off
.LBB194_13:                             ;   in Loop: Header=BB194_9 Depth=1
	s_or_b64 exec, exec, s[4:5]
	v_mov_b32_e32 v23, s15
	v_add_co_u32_e64 v26, s[2:3], s14, v19
	v_addc_co_u32_e64 v27, s[2:3], v20, v23, s[2:3]
	v_cmp_gt_u64_e64 s[2:3], s[12:13], v[26:27]
	v_mov_b32_e32 v23, 0
	v_mov_b32_e32 v26, 0
	s_and_saveexec_b64 s[6:7], s[2:3]
	s_cbranch_execz .LBB194_15
; %bb.14:                               ;   in Loop: Header=BB194_9 Depth=1
	v_mov_b32_e32 v27, s9
	v_add_co_u32_e64 v26, s[4:5], s8, v10
	v_addc_co_u32_e64 v27, s[4:5], v9, v27, s[4:5]
	global_load_ushort v26, v[26:27], off
.LBB194_15:                             ;   in Loop: Header=BB194_9 Depth=1
	s_or_b64 exec, exec, s[6:7]
	v_mov_b32_e32 v27, s15
	v_add_co_u32_e64 v28, s[4:5], s14, v17
	v_addc_co_u32_e64 v29, s[4:5], v18, v27, s[4:5]
	v_cmp_gt_u64_e64 s[4:5], s[12:13], v[28:29]
	s_and_saveexec_b64 s[16:17], s[4:5]
	s_cbranch_execnz .LBB194_20
; %bb.16:                               ;   in Loop: Header=BB194_9 Depth=1
	s_or_b64 exec, exec, s[16:17]
	s_and_saveexec_b64 s[6:7], vcc
	s_cbranch_execnz .LBB194_21
.LBB194_17:                             ;   in Loop: Header=BB194_9 Depth=1
	s_or_b64 exec, exec, s[6:7]
	s_and_saveexec_b64 s[6:7], s[0:1]
	s_cbranch_execnz .LBB194_22
.LBB194_18:                             ;   in Loop: Header=BB194_9 Depth=1
	s_or_b64 exec, exec, s[6:7]
	s_and_saveexec_b64 s[0:1], s[2:3]
	s_cbranch_execnz .LBB194_23
.LBB194_19:                             ;   in Loop: Header=BB194_9 Depth=1
	s_or_b64 exec, exec, s[0:1]
	s_and_saveexec_b64 s[0:1], s[4:5]
	s_cbranch_execz .LBB194_8
	s_branch .LBB194_24
.LBB194_20:                             ;   in Loop: Header=BB194_9 Depth=1
	v_mov_b32_e32 v23, s9
	v_add_co_u32_e64 v28, s[6:7], s8, v6
	v_addc_co_u32_e64 v29, s[6:7], v5, v23, s[6:7]
	global_load_ushort v23, v[28:29], off
	s_or_b64 exec, exec, s[16:17]
	s_and_saveexec_b64 s[6:7], vcc
	s_cbranch_execz .LBB194_17
.LBB194_21:                             ;   in Loop: Header=BB194_9 Depth=1
	s_waitcnt vmcnt(0)
	v_cvt_f32_f16_e32 v24, v24
	v_mov_b32_e32 v27, s9
	v_add_co_u32_e32 v28, vcc, s8, v4
	v_log_f32_e32 v24, v24
	v_addc_co_u32_e32 v29, vcc, v3, v27, vcc
	v_cvt_f16_f32_e32 v24, v24
	global_store_short v[28:29], v24, off
	s_or_b64 exec, exec, s[6:7]
	s_and_saveexec_b64 s[6:7], s[0:1]
	s_cbranch_execz .LBB194_18
.LBB194_22:                             ;   in Loop: Header=BB194_9 Depth=1
	s_waitcnt vmcnt(0)
	v_cvt_f32_f16_e32 v24, v25
	v_mov_b32_e32 v25, s9
	v_log_f32_e32 v24, v24
	v_cvt_f16_f32_e32 v27, v24
	v_add_co_u32_e32 v24, vcc, s8, v16
	v_addc_co_u32_e32 v25, vcc, v15, v25, vcc
	global_store_short v[24:25], v27, off
	s_or_b64 exec, exec, s[6:7]
	s_and_saveexec_b64 s[0:1], s[2:3]
	s_cbranch_execz .LBB194_19
.LBB194_23:                             ;   in Loop: Header=BB194_9 Depth=1
	s_waitcnt vmcnt(0)
	v_cvt_f32_f16_e32 v24, v26
	v_mov_b32_e32 v25, s9
	v_log_f32_e32 v24, v24
	v_cvt_f16_f32_e32 v26, v24
	v_add_co_u32_e32 v24, vcc, s8, v12
	v_addc_co_u32_e32 v25, vcc, v11, v25, vcc
	global_store_short v[24:25], v26, off
	s_or_b64 exec, exec, s[0:1]
	s_and_saveexec_b64 s[0:1], s[4:5]
	s_cbranch_execz .LBB194_8
.LBB194_24:                             ;   in Loop: Header=BB194_9 Depth=1
	s_waitcnt vmcnt(0)
	v_cvt_f32_f16_e32 v23, v23
	v_mov_b32_e32 v25, s9
	v_add_co_u32_e32 v24, vcc, s8, v8
	v_log_f32_e32 v23, v23
	v_addc_co_u32_e32 v25, vcc, v7, v25, vcc
	v_cvt_f16_f32_e32 v23, v23
	global_store_short v[24:25], v23, off
	s_branch .LBB194_8
.LBB194_25:
	s_endpgm
	.section	.rodata,"a",@progbits
	.p2align	6, 0x0
	.amdhsa_kernel _ZN2at6native12_GLOBAL__N_125multi_tensor_apply_kernelINS1_18TensorListMetadataILi2EEENS1_14UnaryOpFunctorIN3c104HalfELi2ELi1ELi1EEEJNS0_4Log2IfEEEEEvT_T0_DpT1_
		.amdhsa_group_segment_fixed_size 0
		.amdhsa_private_segment_fixed_size 0
		.amdhsa_kernarg_size 3408
		.amdhsa_user_sgpr_count 6
		.amdhsa_user_sgpr_private_segment_buffer 1
		.amdhsa_user_sgpr_dispatch_ptr 0
		.amdhsa_user_sgpr_queue_ptr 0
		.amdhsa_user_sgpr_kernarg_segment_ptr 1
		.amdhsa_user_sgpr_dispatch_id 0
		.amdhsa_user_sgpr_flat_scratch_init 0
		.amdhsa_user_sgpr_kernarg_preload_length 0
		.amdhsa_user_sgpr_kernarg_preload_offset 0
		.amdhsa_user_sgpr_private_segment_size 0
		.amdhsa_uses_dynamic_stack 0
		.amdhsa_system_sgpr_private_segment_wavefront_offset 0
		.amdhsa_system_sgpr_workgroup_id_x 1
		.amdhsa_system_sgpr_workgroup_id_y 0
		.amdhsa_system_sgpr_workgroup_id_z 0
		.amdhsa_system_sgpr_workgroup_info 0
		.amdhsa_system_vgpr_workitem_id 0
		.amdhsa_next_free_vgpr 30
		.amdhsa_next_free_sgpr 26
		.amdhsa_accum_offset 32
		.amdhsa_reserve_vcc 1
		.amdhsa_reserve_flat_scratch 0
		.amdhsa_float_round_mode_32 0
		.amdhsa_float_round_mode_16_64 0
		.amdhsa_float_denorm_mode_32 3
		.amdhsa_float_denorm_mode_16_64 3
		.amdhsa_dx10_clamp 1
		.amdhsa_ieee_mode 1
		.amdhsa_fp16_overflow 0
		.amdhsa_tg_split 0
		.amdhsa_exception_fp_ieee_invalid_op 0
		.amdhsa_exception_fp_denorm_src 0
		.amdhsa_exception_fp_ieee_div_zero 0
		.amdhsa_exception_fp_ieee_overflow 0
		.amdhsa_exception_fp_ieee_underflow 0
		.amdhsa_exception_fp_ieee_inexact 0
		.amdhsa_exception_int_div_zero 0
	.end_amdhsa_kernel
	.section	.text._ZN2at6native12_GLOBAL__N_125multi_tensor_apply_kernelINS1_18TensorListMetadataILi2EEENS1_14UnaryOpFunctorIN3c104HalfELi2ELi1ELi1EEEJNS0_4Log2IfEEEEEvT_T0_DpT1_,"axG",@progbits,_ZN2at6native12_GLOBAL__N_125multi_tensor_apply_kernelINS1_18TensorListMetadataILi2EEENS1_14UnaryOpFunctorIN3c104HalfELi2ELi1ELi1EEEJNS0_4Log2IfEEEEEvT_T0_DpT1_,comdat
.Lfunc_end194:
	.size	_ZN2at6native12_GLOBAL__N_125multi_tensor_apply_kernelINS1_18TensorListMetadataILi2EEENS1_14UnaryOpFunctorIN3c104HalfELi2ELi1ELi1EEEJNS0_4Log2IfEEEEEvT_T0_DpT1_, .Lfunc_end194-_ZN2at6native12_GLOBAL__N_125multi_tensor_apply_kernelINS1_18TensorListMetadataILi2EEENS1_14UnaryOpFunctorIN3c104HalfELi2ELi1ELi1EEEJNS0_4Log2IfEEEEEvT_T0_DpT1_
                                        ; -- End function
	.section	.AMDGPU.csdata,"",@progbits
; Kernel info:
; codeLenInByte = 1336
; NumSgprs: 30
; NumVgprs: 30
; NumAgprs: 0
; TotalNumVgprs: 30
; ScratchSize: 0
; MemoryBound: 0
; FloatMode: 240
; IeeeMode: 1
; LDSByteSize: 0 bytes/workgroup (compile time only)
; SGPRBlocks: 3
; VGPRBlocks: 3
; NumSGPRsForWavesPerEU: 30
; NumVGPRsForWavesPerEU: 30
; AccumOffset: 32
; Occupancy: 8
; WaveLimiterHint : 0
; COMPUTE_PGM_RSRC2:SCRATCH_EN: 0
; COMPUTE_PGM_RSRC2:USER_SGPR: 6
; COMPUTE_PGM_RSRC2:TRAP_HANDLER: 0
; COMPUTE_PGM_RSRC2:TGID_X_EN: 1
; COMPUTE_PGM_RSRC2:TGID_Y_EN: 0
; COMPUTE_PGM_RSRC2:TGID_Z_EN: 0
; COMPUTE_PGM_RSRC2:TIDIG_COMP_CNT: 0
; COMPUTE_PGM_RSRC3_GFX90A:ACCUM_OFFSET: 7
; COMPUTE_PGM_RSRC3_GFX90A:TG_SPLIT: 0
	.section	.text._ZN2at6native12_GLOBAL__N_125multi_tensor_apply_kernelINS1_18TensorListMetadataILi2EEENS1_14UnaryOpFunctorIN3c108BFloat16ELi2ELi1ELi1EEEJNS0_4Log2IfEEEEEvT_T0_DpT1_,"axG",@progbits,_ZN2at6native12_GLOBAL__N_125multi_tensor_apply_kernelINS1_18TensorListMetadataILi2EEENS1_14UnaryOpFunctorIN3c108BFloat16ELi2ELi1ELi1EEEJNS0_4Log2IfEEEEEvT_T0_DpT1_,comdat
	.globl	_ZN2at6native12_GLOBAL__N_125multi_tensor_apply_kernelINS1_18TensorListMetadataILi2EEENS1_14UnaryOpFunctorIN3c108BFloat16ELi2ELi1ELi1EEEJNS0_4Log2IfEEEEEvT_T0_DpT1_ ; -- Begin function _ZN2at6native12_GLOBAL__N_125multi_tensor_apply_kernelINS1_18TensorListMetadataILi2EEENS1_14UnaryOpFunctorIN3c108BFloat16ELi2ELi1ELi1EEEJNS0_4Log2IfEEEEEvT_T0_DpT1_
	.p2align	8
	.type	_ZN2at6native12_GLOBAL__N_125multi_tensor_apply_kernelINS1_18TensorListMetadataILi2EEENS1_14UnaryOpFunctorIN3c108BFloat16ELi2ELi1ELi1EEEJNS0_4Log2IfEEEEEvT_T0_DpT1_,@function
_ZN2at6native12_GLOBAL__N_125multi_tensor_apply_kernelINS1_18TensorListMetadataILi2EEENS1_14UnaryOpFunctorIN3c108BFloat16ELi2ELi1ELi1EEEJNS0_4Log2IfEEEEEvT_T0_DpT1_: ; @_ZN2at6native12_GLOBAL__N_125multi_tensor_apply_kernelINS1_18TensorListMetadataILi2EEENS1_14UnaryOpFunctorIN3c108BFloat16ELi2ELi1ELi1EEEJNS0_4Log2IfEEEEEvT_T0_DpT1_
; %bb.0:
	v_mov_b32_e32 v1, s6
	global_load_ubyte v1, v1, s[4:5] offset:1536
	s_add_u32 s0, s4, s6
	s_mul_hi_u32 s2, s6, 3
	s_mul_i32 s6, s6, 3
	s_addc_u32 s7, s5, 0
	s_add_u32 s8, s0, s6
	s_addc_u32 s9, s7, s2
	s_mov_b32 s1, 0
	s_mov_b32 s17, s1
	;; [unrolled: 1-line block ×3, first 2 shown]
	s_waitcnt vmcnt(0)
	v_readfirstlane_b32 s0, v1
	s_lshl_b32 s0, s0, 3
	s_load_dword s10, s[8:9], 0x740
	s_load_dwordx2 s[14:15], s[4:5], s0 offset:0x0
	s_load_dwordx2 s[12:13], s[4:5], s0 offset:0x400
	;; [unrolled: 1-line block ×3, first 2 shown]
	s_waitcnt lgkmcnt(0)
	s_ashr_i32 s11, s10, 31
	s_and_b32 s0, s14, 7
	s_and_b32 s16, s12, 3
	;; [unrolled: 1-line block ×3, first 2 shown]
	s_or_b64 s[16:17], s[0:1], s[16:17]
	s_lshl_b64 s[8:9], s[10:11], 17
	s_or_b64 s[2:3], s[2:3], s[16:17]
	s_lshl_b64 s[10:11], s[10:11], 16
	s_sub_u32 s10, s12, s10
	s_subb_u32 s11, s13, s11
	s_cmp_eq_u64 s[2:3], 0
	s_mov_b64 s[2:3], -1
	s_cbranch_scc0 .LBB195_5
; %bb.1:
	v_mov_b32_e32 v3, 0
	v_lshlrev_b32_e32 v2, 2, v0
	v_cmp_gt_i64_e32 vcc, s[10:11], v[2:3]
	s_and_saveexec_b64 s[12:13], vcc
	s_cbranch_execz .LBB195_4
; %bb.2:
	s_load_dword s0, s[4:5], 0xc5c
	v_lshlrev_b32_e32 v1, 3, v0
	v_mov_b32_e32 v2, s9
	v_add_co_u32_e32 v4, vcc, s8, v1
	s_waitcnt lgkmcnt(0)
	s_and_b32 s0, s0, 0xffff
	v_addc_co_u32_e32 v1, vcc, 0, v2, vcc
	s_lshl_b32 s20, s0, 3
	v_add_lshl_u32 v2, v0, s0, 2
	s_lshl_b32 s21, s0, 2
	s_mov_b64 s[16:17], 0
	v_mov_b32_e32 v5, s15
	s_mov_b32 s22, 0x800000
	v_mov_b32_e32 v6, 0x4f800000
	v_mov_b32_e32 v7, 0x42000000
	s_movk_i32 s23, 0x7fff
	v_mov_b32_e32 v8, s7
	v_mov_b32_e32 v9, 0x7fc00000
	;; [unrolled: 1-line block ×3, first 2 shown]
	s_mov_b64 s[18:19], 0xffff
	v_mov_b32_e32 v11, s1
	v_mov_b32_e32 v12, s1
.LBB195_3:                              ; =>This Inner Loop Header: Depth=1
	v_add_co_u32_e32 v14, vcc, s14, v4
	v_addc_co_u32_e32 v15, vcc, v5, v1, vcc
	global_load_dwordx2 v[14:15], v[14:15], off
	v_add_co_u32_e32 v16, vcc, s6, v4
	v_addc_co_u32_e32 v17, vcc, v8, v1, vcc
	v_cmp_le_i64_e32 vcc, s[10:11], v[2:3]
	v_cmp_lt_u64_e64 s[0:1], s[18:19], v[2:3]
	v_add_co_u32_e64 v4, s[2:3], s20, v4
	v_addc_co_u32_e64 v1, s[2:3], v1, v11, s[2:3]
	s_or_b64 s[0:1], vcc, s[0:1]
	v_add_co_u32_e64 v2, s[2:3], s21, v2
	s_and_b64 s[0:1], exec, s[0:1]
	v_addc_co_u32_e64 v3, s[2:3], v3, v12, s[2:3]
	s_or_b64 s[16:17], s[0:1], s[16:17]
	s_waitcnt vmcnt(0)
	v_lshlrev_b32_e32 v18, 16, v14
	v_and_b32_e32 v13, 0xffff0000, v14
	v_alignbit_b32 v14, v15, v14, 16
	v_cmp_gt_f32_e32 vcc, s22, v18
	v_and_b32_e32 v15, 0xffff0000, v15
	v_cndmask_b32_e32 v19, 1.0, v6, vcc
	v_cmp_gt_f32_e64 s[0:1], s22, v13
	v_and_b32_e32 v14, 0xffff0000, v14
	v_cndmask_b32_e64 v20, 1.0, v6, s[0:1]
	v_cmp_gt_f32_e64 s[2:3], s22, v15
	v_mul_f32_e32 v18, v18, v19
	v_cndmask_b32_e32 v19, 0, v7, vcc
	v_cmp_gt_f32_e32 vcc, s22, v14
	v_cndmask_b32_e64 v21, 1.0, v6, s[2:3]
	v_mul_f32_e32 v13, v13, v20
	v_cndmask_b32_e32 v22, 1.0, v6, vcc
	v_mul_f32_e32 v15, v15, v21
	v_log_f32_e32 v18, v18
	v_log_f32_e32 v13, v13
	v_mul_f32_e32 v14, v14, v22
	v_log_f32_e32 v15, v15
	v_log_f32_e32 v14, v14
	v_cndmask_b32_e64 v20, 0, v7, s[0:1]
	v_cndmask_b32_e64 v21, 0, v7, s[2:3]
	v_cndmask_b32_e32 v22, 0, v7, vcc
	v_sub_f32_e32 v18, v18, v19
	v_sub_f32_e32 v13, v13, v20
	;; [unrolled: 1-line block ×3, first 2 shown]
	v_bfe_u32 v19, v18, 16, 1
	v_bfe_u32 v20, v13, 16, 1
	v_sub_f32_e32 v14, v14, v22
	v_bfe_u32 v21, v15, 16, 1
	v_add3_u32 v19, v18, v19, s23
	v_add3_u32 v20, v13, v20, s23
	v_bfe_u32 v22, v14, 16, 1
	v_add3_u32 v21, v15, v21, s23
	v_lshrrev_b32_e32 v19, 16, v19
	v_and_b32_e32 v20, 0xffff0000, v20
	v_add3_u32 v22, v14, v22, s23
	v_cmp_o_f32_e32 vcc, v13, v13
	v_cmp_o_f32_e64 s[0:1], v18, v18
	v_and_b32_e32 v21, 0xffff0000, v21
	v_cmp_o_f32_e64 s[2:3], v15, v15
	v_lshrrev_b32_e32 v13, 16, v22
	v_cndmask_b32_e32 v18, v9, v20, vcc
	v_cndmask_b32_e64 v19, v10, v19, s[0:1]
	v_cmp_o_f32_e32 vcc, v14, v14
	v_cndmask_b32_e64 v15, v9, v21, s[2:3]
	v_cndmask_b32_e32 v13, v10, v13, vcc
	v_or_b32_e32 v14, v19, v18
	v_or3_b32 v15, 0, v13, v15
	v_or3_b32 v14, v14, 0, 0
	global_store_dwordx2 v[16:17], v[14:15], off
	s_andn2_b64 exec, exec, s[16:17]
	s_cbranch_execnz .LBB195_3
.LBB195_4:
	s_or_b64 exec, exec, s[12:13]
	s_mov_b64 s[2:3], 0
.LBB195_5:
	s_andn2_b64 vcc, exec, s[2:3]
	s_cbranch_vccnz .LBB195_25
; %bb.6:
	v_cmp_lt_i64_e64 s[0:1], s[10:11], 1
	s_and_b64 vcc, exec, s[0:1]
	s_cbranch_vccnz .LBB195_25
; %bb.7:
	s_load_dword s0, s[4:5], 0xc5c
	v_mov_b32_e32 v2, 0x10000
	v_mov_b32_e32 v3, 0
	v_cmp_lt_u64_e32 vcc, s[10:11], v[2:3]
	v_lshlrev_b32_e32 v10, 1, v0
	s_waitcnt lgkmcnt(0)
	s_and_b32 s2, s0, 0xffff
	s_and_b64 s[0:1], vcc, exec
	v_mov_b32_e32 v13, s15
	v_add_co_u32_e32 v2, vcc, s14, v10
	v_addc_co_u32_e32 v1, vcc, 0, v13, vcc
	v_mov_b32_e32 v11, 0
	v_mov_b32_e32 v15, s7
	v_add_co_u32_e32 v4, vcc, s6, v10
	v_addc_co_u32_e32 v3, vcc, 0, v15, vcc
	v_mad_u64_u32 v[8:9], s[0:1], s2, 6, v[10:11]
	v_add_co_u32_e32 v6, vcc, s14, v8
	v_addc_co_u32_e32 v5, vcc, v13, v9, vcc
	v_add_co_u32_e32 v8, vcc, s6, v8
	s_mul_i32 s4, s2, 3
	v_addc_co_u32_e32 v7, vcc, v15, v9, vcc
	s_cselect_b32 s13, s11, 0
	s_cselect_b32 s12, s10, 0x10000
	s_lshl_b32 s19, s2, 2
	v_add_co_u32_e32 v17, vcc, s4, v0
	v_addc_co_u32_e64 v18, s[0:1], 0, 0, vcc
	v_add_co_u32_e32 v11, vcc, s19, v10
	v_addc_co_u32_e64 v14, s[0:1], 0, 0, vcc
	v_add_co_u32_e32 v10, vcc, s14, v11
	v_addc_co_u32_e32 v9, vcc, v13, v14, vcc
	v_add_co_u32_e32 v12, vcc, s6, v11
	s_lshl_b32 s3, s2, 1
	v_addc_co_u32_e32 v11, vcc, v15, v14, vcc
	v_add_co_u32_e32 v19, vcc, s3, v0
	v_addc_co_u32_e64 v20, s[0:1], 0, 0, vcc
	v_add_co_u32_e32 v21, vcc, s2, v0
	v_lshlrev_b32_e32 v16, 1, v21
	v_addc_co_u32_e64 v22, s[0:1], 0, 0, vcc
	v_add_co_u32_e32 v14, vcc, s14, v16
	v_addc_co_u32_e32 v13, vcc, 0, v13, vcc
	v_add_co_u32_e32 v16, vcc, s6, v16
	s_mov_b32 s18, 0
	s_lshl_b32 s20, s2, 3
	v_addc_co_u32_e32 v15, vcc, 0, v15, vcc
	s_mov_b64 s[14:15], 0
	s_mov_b32 s21, 0x800000
	s_movk_i32 s22, 0x7fff
	v_mov_b32_e32 v23, 0x42000000
	v_mov_b32_e32 v24, 0x4f800000
	v_mov_b32_e32 v25, 0x7fc0
	s_branch .LBB195_9
.LBB195_8:                              ;   in Loop: Header=BB195_9 Depth=1
	s_or_b64 exec, exec, s[0:1]
	s_add_u32 s14, s14, s19
	s_addc_u32 s15, s15, 0
	s_waitcnt vmcnt(0)
	v_pk_mov_b32 v[26:27], s[10:11], s[10:11] op_sel:[0,1]
	v_cmp_ge_i64_e32 vcc, s[14:15], v[26:27]
	v_mov_b32_e32 v26, 0xffff
	v_mov_b32_e32 v27, 0
	v_cmp_gt_u64_e64 s[0:1], s[14:15], v[26:27]
	s_or_b64 s[0:1], vcc, s[0:1]
	v_mov_b32_e32 v26, s18
	v_add_co_u32_e32 v2, vcc, s20, v2
	v_addc_co_u32_e32 v1, vcc, v1, v26, vcc
	v_add_co_u32_e32 v4, vcc, s20, v4
	v_addc_co_u32_e32 v3, vcc, v3, v26, vcc
	;; [unrolled: 2-line block ×8, first 2 shown]
	s_and_b64 vcc, exec, s[0:1]
	s_cbranch_vccnz .LBB195_25
.LBB195_9:                              ; =>This Inner Loop Header: Depth=1
	v_mov_b32_e32 v27, s15
	v_add_co_u32_e32 v26, vcc, s14, v0
	v_addc_co_u32_e32 v27, vcc, 0, v27, vcc
	v_cmp_gt_u64_e64 s[4:5], s[12:13], v[26:27]
	v_mov_b32_e32 v29, 0
	s_and_saveexec_b64 s[0:1], s[4:5]
	s_cbranch_execz .LBB195_11
; %bb.10:                               ;   in Loop: Header=BB195_9 Depth=1
	v_mov_b32_e32 v27, s9
	v_add_co_u32_e32 v26, vcc, s8, v2
	v_addc_co_u32_e32 v27, vcc, v1, v27, vcc
	global_load_ushort v29, v[26:27], off
.LBB195_11:                             ;   in Loop: Header=BB195_9 Depth=1
	s_or_b64 exec, exec, s[0:1]
	v_mov_b32_e32 v27, s15
	v_add_co_u32_e32 v26, vcc, s14, v21
	v_addc_co_u32_e32 v27, vcc, v22, v27, vcc
	v_cmp_gt_u64_e64 s[2:3], s[12:13], v[26:27]
	v_mov_b32_e32 v28, 0
	s_and_saveexec_b64 s[0:1], s[2:3]
	s_cbranch_execz .LBB195_13
; %bb.12:                               ;   in Loop: Header=BB195_9 Depth=1
	v_mov_b32_e32 v27, s9
	v_add_co_u32_e32 v26, vcc, s8, v14
	v_addc_co_u32_e32 v27, vcc, v13, v27, vcc
	global_load_ushort v28, v[26:27], off
.LBB195_13:                             ;   in Loop: Header=BB195_9 Depth=1
	s_or_b64 exec, exec, s[0:1]
	v_mov_b32_e32 v27, s15
	v_add_co_u32_e32 v26, vcc, s14, v19
	v_addc_co_u32_e32 v27, vcc, v20, v27, vcc
	v_cmp_gt_u64_e64 s[0:1], s[12:13], v[26:27]
	v_mov_b32_e32 v26, 0
	v_mov_b32_e32 v27, 0
	s_and_saveexec_b64 s[6:7], s[0:1]
	s_cbranch_execz .LBB195_15
; %bb.14:                               ;   in Loop: Header=BB195_9 Depth=1
	v_mov_b32_e32 v27, s9
	v_add_co_u32_e32 v30, vcc, s8, v10
	v_addc_co_u32_e32 v31, vcc, v9, v27, vcc
	global_load_ushort v27, v[30:31], off
.LBB195_15:                             ;   in Loop: Header=BB195_9 Depth=1
	s_or_b64 exec, exec, s[6:7]
	v_mov_b32_e32 v31, s15
	v_add_co_u32_e32 v30, vcc, s14, v17
	v_addc_co_u32_e32 v31, vcc, v18, v31, vcc
	v_cmp_gt_u64_e32 vcc, s[12:13], v[30:31]
	s_and_saveexec_b64 s[16:17], vcc
	s_cbranch_execnz .LBB195_20
; %bb.16:                               ;   in Loop: Header=BB195_9 Depth=1
	s_or_b64 exec, exec, s[16:17]
	s_and_saveexec_b64 s[6:7], s[4:5]
	s_cbranch_execnz .LBB195_21
.LBB195_17:                             ;   in Loop: Header=BB195_9 Depth=1
	s_or_b64 exec, exec, s[6:7]
	s_and_saveexec_b64 s[4:5], s[2:3]
	s_cbranch_execnz .LBB195_22
.LBB195_18:                             ;   in Loop: Header=BB195_9 Depth=1
	s_or_b64 exec, exec, s[4:5]
	s_and_saveexec_b64 s[2:3], s[0:1]
	s_cbranch_execnz .LBB195_23
.LBB195_19:                             ;   in Loop: Header=BB195_9 Depth=1
	s_or_b64 exec, exec, s[2:3]
	s_and_saveexec_b64 s[0:1], vcc
	s_cbranch_execz .LBB195_8
	s_branch .LBB195_24
.LBB195_20:                             ;   in Loop: Header=BB195_9 Depth=1
	v_mov_b32_e32 v26, s9
	v_add_co_u32_e64 v30, s[6:7], s8, v6
	v_addc_co_u32_e64 v31, s[6:7], v5, v26, s[6:7]
	global_load_ushort v26, v[30:31], off
	s_or_b64 exec, exec, s[16:17]
	s_and_saveexec_b64 s[6:7], s[4:5]
	s_cbranch_execz .LBB195_17
.LBB195_21:                             ;   in Loop: Header=BB195_9 Depth=1
	s_waitcnt vmcnt(0)
	v_lshlrev_b32_e32 v29, 16, v29
	v_cmp_gt_f32_e64 s[4:5], s21, v29
	v_cndmask_b32_e64 v31, 1.0, v24, s[4:5]
	v_mul_f32_e32 v29, v29, v31
	v_log_f32_e32 v29, v29
	v_cndmask_b32_e64 v30, 0, v23, s[4:5]
	v_mov_b32_e32 v31, s9
	v_sub_f32_e32 v29, v29, v30
	v_bfe_u32 v30, v29, 16, 1
	v_add3_u32 v30, v29, v30, s22
	v_lshrrev_b32_e32 v30, 16, v30
	v_cmp_o_f32_e64 s[4:5], v29, v29
	v_cndmask_b32_e64 v29, v25, v30, s[4:5]
	v_add_co_u32_e64 v30, s[4:5], s8, v4
	v_addc_co_u32_e64 v31, s[4:5], v3, v31, s[4:5]
	global_store_short v[30:31], v29, off
	s_or_b64 exec, exec, s[6:7]
	s_and_saveexec_b64 s[4:5], s[2:3]
	s_cbranch_execz .LBB195_18
.LBB195_22:                             ;   in Loop: Header=BB195_9 Depth=1
	s_waitcnt vmcnt(0)
	v_lshlrev_b32_e32 v28, 16, v28
	v_cmp_gt_f32_e64 s[2:3], s21, v28
	v_cndmask_b32_e64 v30, 1.0, v24, s[2:3]
	v_mul_f32_e32 v28, v28, v30
	v_log_f32_e32 v28, v28
	v_cndmask_b32_e64 v29, 0, v23, s[2:3]
	v_mov_b32_e32 v30, s9
	v_sub_f32_e32 v28, v28, v29
	v_bfe_u32 v29, v28, 16, 1
	v_add3_u32 v29, v28, v29, s22
	v_lshrrev_b32_e32 v29, 16, v29
	v_cmp_o_f32_e64 s[2:3], v28, v28
	v_cndmask_b32_e64 v31, v25, v29, s[2:3]
	v_add_co_u32_e64 v28, s[2:3], s8, v16
	v_addc_co_u32_e64 v29, s[2:3], v15, v30, s[2:3]
	global_store_short v[28:29], v31, off
	s_or_b64 exec, exec, s[4:5]
	s_and_saveexec_b64 s[2:3], s[0:1]
	s_cbranch_execz .LBB195_19
.LBB195_23:                             ;   in Loop: Header=BB195_9 Depth=1
	s_waitcnt vmcnt(0)
	v_lshlrev_b32_e32 v27, 16, v27
	v_cmp_gt_f32_e64 s[0:1], s21, v27
	v_cndmask_b32_e64 v29, 1.0, v24, s[0:1]
	v_mul_f32_e32 v27, v27, v29
	v_log_f32_e32 v27, v27
	v_cndmask_b32_e64 v28, 0, v23, s[0:1]
	v_mov_b32_e32 v29, s9
	v_sub_f32_e32 v27, v27, v28
	v_bfe_u32 v28, v27, 16, 1
	v_add3_u32 v28, v27, v28, s22
	v_lshrrev_b32_e32 v28, 16, v28
	v_cmp_o_f32_e64 s[0:1], v27, v27
	v_cndmask_b32_e64 v27, v25, v28, s[0:1]
	v_add_co_u32_e64 v28, s[0:1], s8, v12
	v_addc_co_u32_e64 v29, s[0:1], v11, v29, s[0:1]
	global_store_short v[28:29], v27, off
	s_or_b64 exec, exec, s[2:3]
	s_and_saveexec_b64 s[0:1], vcc
	s_cbranch_execz .LBB195_8
.LBB195_24:                             ;   in Loop: Header=BB195_9 Depth=1
	s_waitcnt vmcnt(0)
	v_lshlrev_b32_e32 v26, 16, v26
	v_cmp_gt_f32_e32 vcc, s21, v26
	v_cndmask_b32_e32 v28, 1.0, v24, vcc
	v_mul_f32_e32 v26, v26, v28
	v_log_f32_e32 v26, v26
	v_cndmask_b32_e32 v27, 0, v23, vcc
	v_mov_b32_e32 v28, s9
	v_sub_f32_e32 v26, v26, v27
	v_bfe_u32 v27, v26, 16, 1
	v_add3_u32 v27, v26, v27, s22
	v_lshrrev_b32_e32 v27, 16, v27
	v_cmp_o_f32_e32 vcc, v26, v26
	v_cndmask_b32_e32 v29, v25, v27, vcc
	v_add_co_u32_e32 v26, vcc, s8, v8
	v_addc_co_u32_e32 v27, vcc, v7, v28, vcc
	global_store_short v[26:27], v29, off
	s_branch .LBB195_8
.LBB195_25:
	s_endpgm
	.section	.rodata,"a",@progbits
	.p2align	6, 0x0
	.amdhsa_kernel _ZN2at6native12_GLOBAL__N_125multi_tensor_apply_kernelINS1_18TensorListMetadataILi2EEENS1_14UnaryOpFunctorIN3c108BFloat16ELi2ELi1ELi1EEEJNS0_4Log2IfEEEEEvT_T0_DpT1_
		.amdhsa_group_segment_fixed_size 0
		.amdhsa_private_segment_fixed_size 0
		.amdhsa_kernarg_size 3408
		.amdhsa_user_sgpr_count 6
		.amdhsa_user_sgpr_private_segment_buffer 1
		.amdhsa_user_sgpr_dispatch_ptr 0
		.amdhsa_user_sgpr_queue_ptr 0
		.amdhsa_user_sgpr_kernarg_segment_ptr 1
		.amdhsa_user_sgpr_dispatch_id 0
		.amdhsa_user_sgpr_flat_scratch_init 0
		.amdhsa_user_sgpr_kernarg_preload_length 0
		.amdhsa_user_sgpr_kernarg_preload_offset 0
		.amdhsa_user_sgpr_private_segment_size 0
		.amdhsa_uses_dynamic_stack 0
		.amdhsa_system_sgpr_private_segment_wavefront_offset 0
		.amdhsa_system_sgpr_workgroup_id_x 1
		.amdhsa_system_sgpr_workgroup_id_y 0
		.amdhsa_system_sgpr_workgroup_id_z 0
		.amdhsa_system_sgpr_workgroup_info 0
		.amdhsa_system_vgpr_workitem_id 0
		.amdhsa_next_free_vgpr 32
		.amdhsa_next_free_sgpr 24
		.amdhsa_accum_offset 32
		.amdhsa_reserve_vcc 1
		.amdhsa_reserve_flat_scratch 0
		.amdhsa_float_round_mode_32 0
		.amdhsa_float_round_mode_16_64 0
		.amdhsa_float_denorm_mode_32 3
		.amdhsa_float_denorm_mode_16_64 3
		.amdhsa_dx10_clamp 1
		.amdhsa_ieee_mode 1
		.amdhsa_fp16_overflow 0
		.amdhsa_tg_split 0
		.amdhsa_exception_fp_ieee_invalid_op 0
		.amdhsa_exception_fp_denorm_src 0
		.amdhsa_exception_fp_ieee_div_zero 0
		.amdhsa_exception_fp_ieee_overflow 0
		.amdhsa_exception_fp_ieee_underflow 0
		.amdhsa_exception_fp_ieee_inexact 0
		.amdhsa_exception_int_div_zero 0
	.end_amdhsa_kernel
	.section	.text._ZN2at6native12_GLOBAL__N_125multi_tensor_apply_kernelINS1_18TensorListMetadataILi2EEENS1_14UnaryOpFunctorIN3c108BFloat16ELi2ELi1ELi1EEEJNS0_4Log2IfEEEEEvT_T0_DpT1_,"axG",@progbits,_ZN2at6native12_GLOBAL__N_125multi_tensor_apply_kernelINS1_18TensorListMetadataILi2EEENS1_14UnaryOpFunctorIN3c108BFloat16ELi2ELi1ELi1EEEJNS0_4Log2IfEEEEEvT_T0_DpT1_,comdat
.Lfunc_end195:
	.size	_ZN2at6native12_GLOBAL__N_125multi_tensor_apply_kernelINS1_18TensorListMetadataILi2EEENS1_14UnaryOpFunctorIN3c108BFloat16ELi2ELi1ELi1EEEJNS0_4Log2IfEEEEEvT_T0_DpT1_, .Lfunc_end195-_ZN2at6native12_GLOBAL__N_125multi_tensor_apply_kernelINS1_18TensorListMetadataILi2EEENS1_14UnaryOpFunctorIN3c108BFloat16ELi2ELi1ELi1EEEJNS0_4Log2IfEEEEEvT_T0_DpT1_
                                        ; -- End function
	.section	.AMDGPU.csdata,"",@progbits
; Kernel info:
; codeLenInByte = 1856
; NumSgprs: 28
; NumVgprs: 32
; NumAgprs: 0
; TotalNumVgprs: 32
; ScratchSize: 0
; MemoryBound: 0
; FloatMode: 240
; IeeeMode: 1
; LDSByteSize: 0 bytes/workgroup (compile time only)
; SGPRBlocks: 3
; VGPRBlocks: 3
; NumSGPRsForWavesPerEU: 28
; NumVGPRsForWavesPerEU: 32
; AccumOffset: 32
; Occupancy: 8
; WaveLimiterHint : 0
; COMPUTE_PGM_RSRC2:SCRATCH_EN: 0
; COMPUTE_PGM_RSRC2:USER_SGPR: 6
; COMPUTE_PGM_RSRC2:TRAP_HANDLER: 0
; COMPUTE_PGM_RSRC2:TGID_X_EN: 1
; COMPUTE_PGM_RSRC2:TGID_Y_EN: 0
; COMPUTE_PGM_RSRC2:TGID_Z_EN: 0
; COMPUTE_PGM_RSRC2:TIDIG_COMP_CNT: 0
; COMPUTE_PGM_RSRC3_GFX90A:ACCUM_OFFSET: 7
; COMPUTE_PGM_RSRC3_GFX90A:TG_SPLIT: 0
	.section	.text._ZN2at6native12_GLOBAL__N_125multi_tensor_apply_kernelINS1_18TensorListMetadataILi1EEENS1_14UnaryOpFunctorIdLi1ELi1ELi0EEEJNS0_4Log2IdEEEEEvT_T0_DpT1_,"axG",@progbits,_ZN2at6native12_GLOBAL__N_125multi_tensor_apply_kernelINS1_18TensorListMetadataILi1EEENS1_14UnaryOpFunctorIdLi1ELi1ELi0EEEJNS0_4Log2IdEEEEEvT_T0_DpT1_,comdat
	.globl	_ZN2at6native12_GLOBAL__N_125multi_tensor_apply_kernelINS1_18TensorListMetadataILi1EEENS1_14UnaryOpFunctorIdLi1ELi1ELi0EEEJNS0_4Log2IdEEEEEvT_T0_DpT1_ ; -- Begin function _ZN2at6native12_GLOBAL__N_125multi_tensor_apply_kernelINS1_18TensorListMetadataILi1EEENS1_14UnaryOpFunctorIdLi1ELi1ELi0EEEJNS0_4Log2IdEEEEEvT_T0_DpT1_
	.p2align	8
	.type	_ZN2at6native12_GLOBAL__N_125multi_tensor_apply_kernelINS1_18TensorListMetadataILi1EEENS1_14UnaryOpFunctorIdLi1ELi1ELi0EEEJNS0_4Log2IdEEEEEvT_T0_DpT1_,@function
_ZN2at6native12_GLOBAL__N_125multi_tensor_apply_kernelINS1_18TensorListMetadataILi1EEENS1_14UnaryOpFunctorIdLi1ELi1ELi0EEEJNS0_4Log2IdEEEEEvT_T0_DpT1_: ; @_ZN2at6native12_GLOBAL__N_125multi_tensor_apply_kernelINS1_18TensorListMetadataILi1EEENS1_14UnaryOpFunctorIdLi1ELi1ELi0EEEJNS0_4Log2IdEEEEEvT_T0_DpT1_
; %bb.0:
	v_mov_b32_e32 v1, s6
	global_load_ubyte v1, v1, s[4:5] offset:1760
	s_add_u32 s0, s4, s6
	s_mul_hi_u32 s1, s6, 3
	s_mul_i32 s6, s6, 3
	s_addc_u32 s2, s5, 0
	s_add_u32 s0, s0, s6
	s_addc_u32 s1, s2, s1
	s_load_dword s0, s[0:1], 0x820
	s_mov_b32 s7, 0
	s_waitcnt vmcnt(0)
	v_readfirstlane_b32 s2, v1
	s_lshl_b32 s1, s2, 3
	s_load_dwordx2 s[2:3], s[4:5], s1 offset:0x370
	s_load_dwordx2 s[12:13], s[4:5], s1 offset:0x0
	s_waitcnt lgkmcnt(0)
	s_ashr_i32 s1, s0, 31
	s_lshl_b64 s[14:15], s[0:1], 19
	s_lshl_b64 s[0:1], s[0:1], 16
	s_and_b32 s6, s12, 31
	s_sub_u32 s10, s2, s0
	s_subb_u32 s11, s3, s1
	s_and_b32 s0, s2, 3
	s_mov_b32 s1, s7
	s_or_b64 s[0:1], s[6:7], s[0:1]
	s_cmp_eq_u64 s[0:1], 0
	s_cbranch_scc1 .LBB196_21
; %bb.1:
	v_cmp_lt_i64_e64 s[0:1], s[10:11], 1
	s_and_b64 vcc, exec, s[0:1]
	s_cbranch_vccnz .LBB196_20
; %bb.2:
	s_load_dword s0, s[4:5], 0xd3c
	v_mov_b32_e32 v4, 0x10000
	v_mov_b32_e32 v5, 0
	v_cmp_lt_u64_e32 vcc, s[10:11], v[4:5]
	v_lshlrev_b32_e32 v1, 3, v0
	s_waitcnt lgkmcnt(0)
	s_and_b32 s2, s0, 0xffff
	s_and_b64 s[0:1], vcc, exec
	s_cselect_b32 s17, s11, 0
	s_cselect_b32 s16, s10, 0x10000
	s_lshl_b32 s3, s2, 1
	s_lshl_b32 s31, s2, 2
	s_add_u32 s6, s12, s14
	s_addc_u32 s7, s13, s15
	v_mov_b32_e32 v3, s7
	v_add_co_u32_e32 v4, vcc, s6, v1
	s_mul_i32 s0, s2, 3
	v_addc_co_u32_e32 v5, vcc, 0, v3, vcc
	v_add_co_u32_e32 v1, vcc, s0, v0
	v_addc_co_u32_e64 v28, s[0:1], 0, 0, vcc
	v_add_co_u32_e32 v29, vcc, s3, v0
	v_addc_co_u32_e64 v30, s[0:1], 0, 0, vcc
	v_add_co_u32_e32 v31, vcc, s2, v0
	v_lshlrev_b32_e32 v3, 3, v31
	s_mov_b32 s30, 0
	v_addc_co_u32_e64 v32, s[0:1], 0, 0, vcc
	v_mov_b32_e32 v7, s7
	v_add_co_u32_e32 v6, vcc, s6, v3
	s_mov_b32 s20, 0x55555555
	s_mov_b32 s22, 0xbf559e2b
	;; [unrolled: 1-line block ×4, first 2 shown]
	v_mov_b32_e32 v2, 0
	s_lshl_b32 s33, s2, 5
	s_mul_i32 s34, s2, 24
	s_mov_b32 s35, s30
	s_lshl_b32 s36, s2, 4
	s_mov_b32 s37, s30
	v_addc_co_u32_e32 v7, vcc, 0, v7, vcc
	s_mov_b64 s[18:19], 0
	s_movk_i32 s38, 0x204
	s_mov_b32 s21, 0x3fe55555
	s_mov_b32 s23, 0x3fc3ab76
	;; [unrolled: 1-line block ×4, first 2 shown]
	v_mov_b32_e32 v33, 0x3ff00000
	v_mov_b32_e32 v8, 0x6b47b09a
	;; [unrolled: 1-line block ×15, first 2 shown]
	s_branch .LBB196_4
.LBB196_3:                              ;   in Loop: Header=BB196_4 Depth=1
	s_or_b64 exec, exec, s[0:1]
	s_add_u32 s18, s18, s31
	s_addc_u32 s19, s19, 0
	s_waitcnt vmcnt(0)
	v_pk_mov_b32 v[20:21], s[10:11], s[10:11] op_sel:[0,1]
	v_cmp_lt_i64_e32 vcc, s[18:19], v[20:21]
	v_mov_b32_e32 v20, 0x10000
	v_mov_b32_e32 v21, 0
	v_cmp_lt_u64_e64 s[0:1], s[18:19], v[20:21]
	s_and_b64 s[0:1], vcc, s[0:1]
	v_mov_b32_e32 v3, s30
	v_add_co_u32_e32 v4, vcc, s33, v4
	v_addc_co_u32_e32 v5, vcc, v5, v3, vcc
	v_add_co_u32_e32 v6, vcc, s33, v6
	v_addc_co_u32_e32 v7, vcc, v7, v3, vcc
	s_and_b64 vcc, exec, s[0:1]
	s_cbranch_vccz .LBB196_20
.LBB196_4:                              ; =>This Inner Loop Header: Depth=1
	v_mov_b32_e32 v3, s19
	v_add_co_u32_e32 v20, vcc, s18, v0
	v_addc_co_u32_e32 v21, vcc, 0, v3, vcc
	v_pk_mov_b32 v[24:25], 0, 0
	v_cmp_gt_u64_e64 s[6:7], s[16:17], v[20:21]
	v_pk_mov_b32 v[26:27], v[24:25], v[24:25] op_sel:[0,1]
	s_and_saveexec_b64 s[0:1], s[6:7]
	s_cbranch_execz .LBB196_6
; %bb.5:                                ;   in Loop: Header=BB196_4 Depth=1
	global_load_dwordx2 v[26:27], v[4:5], off
.LBB196_6:                              ;   in Loop: Header=BB196_4 Depth=1
	s_or_b64 exec, exec, s[0:1]
	v_mov_b32_e32 v3, s19
	v_add_co_u32_e32 v20, vcc, s18, v31
	v_addc_co_u32_e32 v21, vcc, v32, v3, vcc
	v_cmp_gt_u64_e64 s[2:3], s[16:17], v[20:21]
	s_and_saveexec_b64 s[0:1], s[2:3]
	s_cbranch_execz .LBB196_8
; %bb.7:                                ;   in Loop: Header=BB196_4 Depth=1
	global_load_dwordx2 v[24:25], v[6:7], off
.LBB196_8:                              ;   in Loop: Header=BB196_4 Depth=1
	s_or_b64 exec, exec, s[0:1]
	v_mov_b32_e32 v3, s19
	v_add_co_u32_e32 v20, vcc, s18, v29
	v_addc_co_u32_e32 v21, vcc, v30, v3, vcc
	v_cmp_gt_u64_e64 s[0:1], s[16:17], v[20:21]
	v_pk_mov_b32 v[20:21], 0, 0
	v_pk_mov_b32 v[22:23], v[20:21], v[20:21] op_sel:[0,1]
	s_and_saveexec_b64 s[8:9], s[0:1]
	s_cbranch_execz .LBB196_10
; %bb.9:                                ;   in Loop: Header=BB196_4 Depth=1
	v_mov_b32_e32 v3, s37
	v_add_co_u32_e32 v22, vcc, s36, v4
	v_addc_co_u32_e32 v23, vcc, v5, v3, vcc
	global_load_dwordx2 v[22:23], v[22:23], off
.LBB196_10:                             ;   in Loop: Header=BB196_4 Depth=1
	s_or_b64 exec, exec, s[8:9]
	v_mov_b32_e32 v3, s19
	v_add_co_u32_e32 v36, vcc, s18, v1
	v_addc_co_u32_e32 v37, vcc, v28, v3, vcc
	v_cmp_gt_u64_e32 vcc, s[16:17], v[36:37]
	s_and_saveexec_b64 s[28:29], vcc
	s_cbranch_execnz .LBB196_15
; %bb.11:                               ;   in Loop: Header=BB196_4 Depth=1
	s_or_b64 exec, exec, s[28:29]
	s_and_saveexec_b64 s[8:9], s[6:7]
	s_cbranch_execnz .LBB196_16
.LBB196_12:                             ;   in Loop: Header=BB196_4 Depth=1
	s_or_b64 exec, exec, s[8:9]
	s_and_saveexec_b64 s[6:7], s[2:3]
	s_cbranch_execnz .LBB196_17
.LBB196_13:                             ;   in Loop: Header=BB196_4 Depth=1
	s_or_b64 exec, exec, s[6:7]
	s_and_saveexec_b64 s[2:3], s[0:1]
	s_cbranch_execnz .LBB196_18
.LBB196_14:                             ;   in Loop: Header=BB196_4 Depth=1
	s_or_b64 exec, exec, s[2:3]
	s_and_saveexec_b64 s[0:1], vcc
	s_cbranch_execz .LBB196_3
	s_branch .LBB196_19
.LBB196_15:                             ;   in Loop: Header=BB196_4 Depth=1
	v_mov_b32_e32 v3, s35
	v_add_co_u32_e64 v20, s[8:9], s34, v4
	v_addc_co_u32_e64 v21, s[8:9], v5, v3, s[8:9]
	global_load_dwordx2 v[20:21], v[20:21], off
	s_or_b64 exec, exec, s[28:29]
	s_and_saveexec_b64 s[8:9], s[6:7]
	s_cbranch_execz .LBB196_12
.LBB196_16:                             ;   in Loop: Header=BB196_4 Depth=1
	s_waitcnt vmcnt(0)
	v_frexp_mant_f64_e32 v[36:37], v[26:27]
	v_cmp_gt_f64_e64 s[6:7], s[20:21], v[36:37]
	v_cndmask_b32_e64 v3, v33, 2.0, s[6:7]
	v_mul_f64 v[36:37], v[36:37], v[2:3]
	v_add_f64 v[38:39], v[36:37], 1.0
	v_rcp_f64_e32 v[40:41], v[38:39]
	v_add_f64 v[42:43], v[36:37], -1.0
	v_add_f64 v[48:49], v[38:39], -1.0
	v_add_f64 v[36:37], v[36:37], -v[48:49]
	v_fma_f64 v[44:45], -v[38:39], v[40:41], 1.0
	v_fmac_f64_e32 v[40:41], v[44:45], v[40:41]
	v_fma_f64 v[44:45], -v[38:39], v[40:41], 1.0
	v_fmac_f64_e32 v[40:41], v[44:45], v[40:41]
	v_mul_f64 v[44:45], v[42:43], v[40:41]
	v_mul_f64 v[46:47], v[38:39], v[44:45]
	v_fma_f64 v[38:39], v[44:45], v[38:39], -v[46:47]
	v_fmac_f64_e32 v[38:39], v[44:45], v[36:37]
	v_add_f64 v[36:37], v[46:47], v[38:39]
	v_add_f64 v[48:49], v[42:43], -v[36:37]
	v_add_f64 v[46:47], v[36:37], -v[46:47]
	;; [unrolled: 1-line block ×5, first 2 shown]
	v_add_f64 v[36:37], v[38:39], v[36:37]
	v_add_f64 v[36:37], v[48:49], v[36:37]
	v_mul_f64 v[36:37], v[40:41], v[36:37]
	v_add_f64 v[38:39], v[44:45], v[36:37]
	v_mul_f64 v[42:43], v[38:39], v[38:39]
	v_pk_mov_b32 v[48:49], v[8:9], v[8:9] op_sel:[0,1]
	v_fmac_f64_e32 v[48:49], s[22:23], v[42:43]
	v_pk_mov_b32 v[50:51], v[10:11], v[10:11] op_sel:[0,1]
	v_fmac_f64_e32 v[50:51], v[42:43], v[48:49]
	;; [unrolled: 2-line block ×5, first 2 shown]
	v_pk_mov_b32 v[50:51], v[18:19], v[18:19] op_sel:[0,1]
	v_mul_f64 v[46:47], v[38:39], v[42:43]
	v_fmac_f64_e32 v[50:51], v[42:43], v[48:49]
	v_ldexp_f64 v[40:41], v[38:39], 1
	v_mul_f64 v[42:43], v[46:47], v[50:51]
	v_add_f64 v[46:47], v[40:41], v[42:43]
	v_add_f64 v[38:39], v[38:39], -v[44:45]
	v_add_f64 v[36:37], v[36:37], -v[38:39]
	v_add_f64 v[38:39], v[46:47], -v[40:41]
	v_ldexp_f64 v[36:37], v[36:37], 1
	v_add_f64 v[38:39], v[42:43], -v[38:39]
	v_add_f64 v[36:37], v[36:37], v[38:39]
	v_add_f64 v[38:39], v[46:47], v[36:37]
	v_mul_f64 v[40:41], v[38:39], s[24:25]
	v_add_f64 v[42:43], v[38:39], -v[46:47]
	v_add_f64 v[36:37], v[36:37], -v[42:43]
	v_fma_f64 v[42:43], v[38:39], s[24:25], -v[40:41]
	v_frexp_exp_i32_f64_e32 v3, v[26:27]
	v_fmac_f64_e32 v[42:43], s[24:25], v[36:37]
	v_fmac_f64_e32 v[42:43], s[26:27], v[38:39]
	v_subbrev_co_u32_e64 v3, s[6:7], 0, v3, s[6:7]
	v_add_f64 v[36:37], v[40:41], v[42:43]
	v_cvt_f64_i32_e32 v[38:39], v3
	v_add_f64 v[44:45], v[36:37], v[38:39]
	v_add_f64 v[40:41], v[36:37], -v[40:41]
	v_add_f64 v[40:41], v[42:43], -v[40:41]
	;; [unrolled: 1-line block ×5, first 2 shown]
	v_add_f64 v[38:39], v[42:43], v[38:39]
	v_add_f64 v[36:37], v[36:37], v[38:39]
	;; [unrolled: 1-line block ×4, first 2 shown]
	v_cmp_class_f64_e64 s[6:7], v[26:27], s38
	v_cndmask_b32_e64 v3, v36, v26, s[6:7]
	v_cndmask_b32_e64 v36, v37, v27, s[6:7]
	v_cmp_ngt_f64_e64 s[6:7], 0, v[26:27]
	v_cndmask_b32_e64 v37, v34, v36, s[6:7]
	v_cmp_nge_f64_e64 s[6:7], 0, v[26:27]
	v_cndmask_b32_e64 v36, 0, v3, s[6:7]
	v_cmp_neq_f64_e64 s[6:7], 0, v[26:27]
	v_cndmask_b32_e64 v37, v35, v37, s[6:7]
	global_store_dwordx2 v[4:5], v[36:37], off
	s_or_b64 exec, exec, s[8:9]
	s_and_saveexec_b64 s[6:7], s[2:3]
	s_cbranch_execz .LBB196_13
.LBB196_17:                             ;   in Loop: Header=BB196_4 Depth=1
	s_waitcnt vmcnt(0)
	v_frexp_mant_f64_e32 v[26:27], v[24:25]
	v_cmp_gt_f64_e64 s[2:3], s[20:21], v[26:27]
	v_cndmask_b32_e64 v3, v33, 2.0, s[2:3]
	v_frexp_exp_i32_f64_e32 v36, v[24:25]
	v_mul_f64 v[26:27], v[26:27], v[2:3]
	v_subbrev_co_u32_e64 v3, s[2:3], 0, v36, s[2:3]
	v_add_f64 v[36:37], v[26:27], 1.0
	v_rcp_f64_e32 v[38:39], v[36:37]
	v_add_f64 v[42:43], v[36:37], -1.0
	v_add_f64 v[40:41], v[26:27], -1.0
	v_add_f64 v[26:27], v[26:27], -v[42:43]
	v_fma_f64 v[42:43], -v[36:37], v[38:39], 1.0
	v_fmac_f64_e32 v[38:39], v[42:43], v[38:39]
	v_fma_f64 v[42:43], -v[36:37], v[38:39], 1.0
	v_fmac_f64_e32 v[38:39], v[42:43], v[38:39]
	v_mul_f64 v[42:43], v[40:41], v[38:39]
	v_mul_f64 v[44:45], v[36:37], v[42:43]
	v_fma_f64 v[36:37], v[42:43], v[36:37], -v[44:45]
	v_fmac_f64_e32 v[36:37], v[42:43], v[26:27]
	v_add_f64 v[26:27], v[44:45], v[36:37]
	v_add_f64 v[46:47], v[40:41], -v[26:27]
	v_add_f64 v[44:45], v[26:27], -v[44:45]
	;; [unrolled: 1-line block ×5, first 2 shown]
	v_add_f64 v[26:27], v[36:37], v[26:27]
	v_add_f64 v[26:27], v[46:47], v[26:27]
	v_mul_f64 v[26:27], v[38:39], v[26:27]
	v_add_f64 v[36:37], v[42:43], v[26:27]
	v_add_f64 v[38:39], v[36:37], -v[42:43]
	v_add_f64 v[26:27], v[26:27], -v[38:39]
	v_mul_f64 v[38:39], v[36:37], v[36:37]
	v_pk_mov_b32 v[40:41], v[8:9], v[8:9] op_sel:[0,1]
	v_fmac_f64_e32 v[40:41], s[22:23], v[38:39]
	v_pk_mov_b32 v[42:43], v[10:11], v[10:11] op_sel:[0,1]
	v_fmac_f64_e32 v[42:43], v[38:39], v[40:41]
	;; [unrolled: 2-line block ×6, first 2 shown]
	v_ldexp_f64 v[40:41], v[36:37], 1
	v_mul_f64 v[36:37], v[36:37], v[38:39]
	v_mul_f64 v[36:37], v[36:37], v[42:43]
	v_add_f64 v[38:39], v[40:41], v[36:37]
	v_add_f64 v[40:41], v[38:39], -v[40:41]
	v_ldexp_f64 v[26:27], v[26:27], 1
	v_add_f64 v[36:37], v[36:37], -v[40:41]
	v_add_f64 v[26:27], v[26:27], v[36:37]
	v_add_f64 v[36:37], v[38:39], v[26:27]
	v_add_f64 v[38:39], v[36:37], -v[38:39]
	v_mul_f64 v[40:41], v[36:37], s[24:25]
	v_add_f64 v[26:27], v[26:27], -v[38:39]
	v_fma_f64 v[42:43], v[36:37], s[24:25], -v[40:41]
	v_fmac_f64_e32 v[42:43], s[24:25], v[26:27]
	v_fmac_f64_e32 v[42:43], s[26:27], v[36:37]
	v_cvt_f64_i32_e32 v[38:39], v3
	v_add_f64 v[26:27], v[40:41], v[42:43]
	v_add_f64 v[36:37], v[26:27], -v[40:41]
	v_add_f64 v[40:41], v[26:27], v[38:39]
	v_add_f64 v[36:37], v[42:43], -v[36:37]
	v_add_f64 v[42:43], v[40:41], -v[38:39]
	;; [unrolled: 1-line block ×3, first 2 shown]
	v_add_f64 v[38:39], v[44:45], v[38:39]
	v_add_f64 v[26:27], v[26:27], -v[42:43]
	v_add_f64 v[26:27], v[26:27], v[38:39]
	v_add_f64 v[26:27], v[36:37], v[26:27]
	;; [unrolled: 1-line block ×3, first 2 shown]
	v_cmp_class_f64_e64 s[2:3], v[24:25], s38
	v_cndmask_b32_e64 v3, v26, v24, s[2:3]
	v_cndmask_b32_e64 v26, v27, v25, s[2:3]
	v_cmp_ngt_f64_e64 s[2:3], 0, v[24:25]
	v_cndmask_b32_e64 v27, v34, v26, s[2:3]
	v_cmp_nge_f64_e64 s[2:3], 0, v[24:25]
	v_cndmask_b32_e64 v26, 0, v3, s[2:3]
	v_cmp_neq_f64_e64 s[2:3], 0, v[24:25]
	v_cndmask_b32_e64 v27, v35, v27, s[2:3]
	global_store_dwordx2 v[6:7], v[26:27], off
	s_or_b64 exec, exec, s[6:7]
	s_and_saveexec_b64 s[2:3], s[0:1]
	s_cbranch_execz .LBB196_14
.LBB196_18:                             ;   in Loop: Header=BB196_4 Depth=1
	s_waitcnt vmcnt(0)
	v_frexp_mant_f64_e32 v[24:25], v[22:23]
	v_cmp_gt_f64_e64 s[0:1], s[20:21], v[24:25]
	v_cndmask_b32_e64 v3, v33, 2.0, s[0:1]
	v_frexp_exp_i32_f64_e32 v26, v[22:23]
	v_mul_f64 v[24:25], v[24:25], v[2:3]
	v_subbrev_co_u32_e64 v3, s[0:1], 0, v26, s[0:1]
	v_add_f64 v[26:27], v[24:25], 1.0
	v_rcp_f64_e32 v[36:37], v[26:27]
	v_add_f64 v[40:41], v[26:27], -1.0
	v_add_f64 v[38:39], v[24:25], -1.0
	v_add_f64 v[24:25], v[24:25], -v[40:41]
	v_fma_f64 v[40:41], -v[26:27], v[36:37], 1.0
	v_fmac_f64_e32 v[36:37], v[40:41], v[36:37]
	v_fma_f64 v[40:41], -v[26:27], v[36:37], 1.0
	v_fmac_f64_e32 v[36:37], v[40:41], v[36:37]
	v_mul_f64 v[40:41], v[38:39], v[36:37]
	v_mul_f64 v[42:43], v[26:27], v[40:41]
	v_fma_f64 v[26:27], v[40:41], v[26:27], -v[42:43]
	v_fmac_f64_e32 v[26:27], v[40:41], v[24:25]
	v_add_f64 v[24:25], v[42:43], v[26:27]
	v_add_f64 v[44:45], v[38:39], -v[24:25]
	v_add_f64 v[42:43], v[24:25], -v[42:43]
	;; [unrolled: 1-line block ×5, first 2 shown]
	v_add_f64 v[24:25], v[26:27], v[24:25]
	v_add_f64 v[24:25], v[44:45], v[24:25]
	v_mul_f64 v[24:25], v[36:37], v[24:25]
	v_add_f64 v[26:27], v[40:41], v[24:25]
	v_add_f64 v[36:37], v[26:27], -v[40:41]
	v_add_f64 v[24:25], v[24:25], -v[36:37]
	v_mul_f64 v[36:37], v[26:27], v[26:27]
	v_pk_mov_b32 v[38:39], v[8:9], v[8:9] op_sel:[0,1]
	v_fmac_f64_e32 v[38:39], s[22:23], v[36:37]
	v_pk_mov_b32 v[40:41], v[10:11], v[10:11] op_sel:[0,1]
	v_fmac_f64_e32 v[40:41], v[36:37], v[38:39]
	;; [unrolled: 2-line block ×6, first 2 shown]
	v_ldexp_f64 v[38:39], v[26:27], 1
	v_mul_f64 v[26:27], v[26:27], v[36:37]
	v_mul_f64 v[26:27], v[26:27], v[40:41]
	v_add_f64 v[36:37], v[38:39], v[26:27]
	v_add_f64 v[38:39], v[36:37], -v[38:39]
	v_ldexp_f64 v[24:25], v[24:25], 1
	v_add_f64 v[26:27], v[26:27], -v[38:39]
	v_add_f64 v[24:25], v[24:25], v[26:27]
	v_add_f64 v[26:27], v[36:37], v[24:25]
	v_add_f64 v[36:37], v[26:27], -v[36:37]
	v_mul_f64 v[38:39], v[26:27], s[24:25]
	v_add_f64 v[24:25], v[24:25], -v[36:37]
	v_fma_f64 v[40:41], v[26:27], s[24:25], -v[38:39]
	v_fmac_f64_e32 v[40:41], s[24:25], v[24:25]
	v_fmac_f64_e32 v[40:41], s[26:27], v[26:27]
	v_cvt_f64_i32_e32 v[36:37], v3
	v_add_f64 v[24:25], v[38:39], v[40:41]
	v_add_f64 v[26:27], v[24:25], -v[38:39]
	v_add_f64 v[38:39], v[24:25], v[36:37]
	v_add_f64 v[26:27], v[40:41], -v[26:27]
	v_add_f64 v[40:41], v[38:39], -v[36:37]
	;; [unrolled: 1-line block ×3, first 2 shown]
	v_add_f64 v[36:37], v[42:43], v[36:37]
	v_add_f64 v[24:25], v[24:25], -v[40:41]
	v_add_f64 v[24:25], v[24:25], v[36:37]
	v_add_f64 v[24:25], v[26:27], v[24:25]
	;; [unrolled: 1-line block ×3, first 2 shown]
	v_cmp_class_f64_e64 s[0:1], v[22:23], s38
	v_cndmask_b32_e64 v3, v24, v22, s[0:1]
	v_cndmask_b32_e64 v24, v25, v23, s[0:1]
	v_cmp_ngt_f64_e64 s[0:1], 0, v[22:23]
	v_cndmask_b32_e64 v25, v34, v24, s[0:1]
	v_cmp_nge_f64_e64 s[0:1], 0, v[22:23]
	v_cndmask_b32_e64 v24, 0, v3, s[0:1]
	v_cmp_neq_f64_e64 s[0:1], 0, v[22:23]
	v_cndmask_b32_e64 v25, v35, v25, s[0:1]
	v_mov_b32_e32 v3, s37
	v_add_co_u32_e64 v22, s[0:1], s36, v4
	v_addc_co_u32_e64 v23, s[0:1], v5, v3, s[0:1]
	global_store_dwordx2 v[22:23], v[24:25], off
	s_or_b64 exec, exec, s[2:3]
	s_and_saveexec_b64 s[0:1], vcc
	s_cbranch_execz .LBB196_3
.LBB196_19:                             ;   in Loop: Header=BB196_4 Depth=1
	s_waitcnt vmcnt(0)
	v_frexp_mant_f64_e32 v[22:23], v[20:21]
	v_cmp_gt_f64_e32 vcc, s[20:21], v[22:23]
	v_cndmask_b32_e64 v3, v33, 2.0, vcc
	v_frexp_exp_i32_f64_e32 v24, v[20:21]
	v_mul_f64 v[22:23], v[22:23], v[2:3]
	v_subbrev_co_u32_e32 v3, vcc, 0, v24, vcc
	v_add_f64 v[24:25], v[22:23], 1.0
	v_rcp_f64_e32 v[26:27], v[24:25]
	v_add_f64 v[38:39], v[24:25], -1.0
	v_add_f64 v[36:37], v[22:23], -1.0
	v_add_f64 v[22:23], v[22:23], -v[38:39]
	v_fma_f64 v[38:39], -v[24:25], v[26:27], 1.0
	v_fmac_f64_e32 v[26:27], v[38:39], v[26:27]
	v_fma_f64 v[38:39], -v[24:25], v[26:27], 1.0
	v_fmac_f64_e32 v[26:27], v[38:39], v[26:27]
	v_mul_f64 v[38:39], v[36:37], v[26:27]
	v_mul_f64 v[40:41], v[24:25], v[38:39]
	v_fma_f64 v[24:25], v[38:39], v[24:25], -v[40:41]
	v_fmac_f64_e32 v[24:25], v[38:39], v[22:23]
	v_add_f64 v[22:23], v[40:41], v[24:25]
	v_add_f64 v[42:43], v[36:37], -v[22:23]
	v_add_f64 v[40:41], v[22:23], -v[40:41]
	;; [unrolled: 1-line block ×5, first 2 shown]
	v_add_f64 v[22:23], v[24:25], v[22:23]
	v_add_f64 v[22:23], v[42:43], v[22:23]
	v_mul_f64 v[22:23], v[26:27], v[22:23]
	v_add_f64 v[24:25], v[38:39], v[22:23]
	v_add_f64 v[26:27], v[24:25], -v[38:39]
	v_add_f64 v[22:23], v[22:23], -v[26:27]
	v_mul_f64 v[26:27], v[24:25], v[24:25]
	v_pk_mov_b32 v[36:37], v[8:9], v[8:9] op_sel:[0,1]
	v_fmac_f64_e32 v[36:37], s[22:23], v[26:27]
	v_pk_mov_b32 v[38:39], v[10:11], v[10:11] op_sel:[0,1]
	v_fmac_f64_e32 v[38:39], v[26:27], v[36:37]
	;; [unrolled: 2-line block ×6, first 2 shown]
	v_ldexp_f64 v[36:37], v[24:25], 1
	v_mul_f64 v[24:25], v[24:25], v[26:27]
	v_mul_f64 v[24:25], v[24:25], v[38:39]
	v_add_f64 v[26:27], v[36:37], v[24:25]
	v_add_f64 v[36:37], v[26:27], -v[36:37]
	v_ldexp_f64 v[22:23], v[22:23], 1
	v_add_f64 v[24:25], v[24:25], -v[36:37]
	v_add_f64 v[22:23], v[22:23], v[24:25]
	v_add_f64 v[24:25], v[26:27], v[22:23]
	v_add_f64 v[26:27], v[24:25], -v[26:27]
	v_mul_f64 v[36:37], v[24:25], s[24:25]
	v_add_f64 v[22:23], v[22:23], -v[26:27]
	v_fma_f64 v[38:39], v[24:25], s[24:25], -v[36:37]
	v_fmac_f64_e32 v[38:39], s[24:25], v[22:23]
	v_fmac_f64_e32 v[38:39], s[26:27], v[24:25]
	v_cvt_f64_i32_e32 v[26:27], v3
	v_add_f64 v[22:23], v[36:37], v[38:39]
	v_add_f64 v[24:25], v[22:23], -v[36:37]
	v_add_f64 v[36:37], v[22:23], v[26:27]
	v_add_f64 v[24:25], v[38:39], -v[24:25]
	v_add_f64 v[38:39], v[36:37], -v[26:27]
	;; [unrolled: 1-line block ×3, first 2 shown]
	v_add_f64 v[26:27], v[40:41], v[26:27]
	v_add_f64 v[22:23], v[22:23], -v[38:39]
	v_add_f64 v[22:23], v[22:23], v[26:27]
	v_add_f64 v[22:23], v[24:25], v[22:23]
	;; [unrolled: 1-line block ×3, first 2 shown]
	v_cmp_class_f64_e64 vcc, v[20:21], s38
	v_cndmask_b32_e32 v3, v22, v20, vcc
	v_cndmask_b32_e32 v22, v23, v21, vcc
	v_cmp_ngt_f64_e32 vcc, 0, v[20:21]
	v_cndmask_b32_e32 v23, v34, v22, vcc
	v_cmp_nge_f64_e32 vcc, 0, v[20:21]
	v_cndmask_b32_e32 v22, 0, v3, vcc
	v_cmp_neq_f64_e32 vcc, 0, v[20:21]
	v_cndmask_b32_e32 v23, v35, v23, vcc
	v_mov_b32_e32 v3, s35
	v_add_co_u32_e32 v20, vcc, s34, v4
	v_addc_co_u32_e32 v21, vcc, v5, v3, vcc
	global_store_dwordx2 v[20:21], v[22:23], off
	s_branch .LBB196_3
.LBB196_20:
	s_cbranch_execz .LBB196_22
	s_branch .LBB196_25
.LBB196_21:
.LBB196_22:
	v_mov_b32_e32 v8, 0
	v_lshlrev_b32_e32 v2, 2, v0
	v_mov_b32_e32 v3, v8
	s_mov_b32 s0, 0
	v_cmp_gt_i64_e32 vcc, s[10:11], v[2:3]
	s_and_saveexec_b64 s[2:3], vcc
	s_cbranch_execz .LBB196_25
; %bb.23:
	s_load_dword s1, s[4:5], 0xd3c
	v_lshlrev_b32_e32 v1, 5, v0
	s_mov_b32 s8, 0x6b47b09a
	s_mov_b32 s4, 0x55555555
	;; [unrolled: 1-line block ×3, first 2 shown]
	s_waitcnt lgkmcnt(0)
	s_and_b32 s1, s1, 0xffff
	s_lshl_b32 s26, s1, 2
	s_add_u32 s2, s12, s14
	s_addc_u32 s3, s13, s15
	v_add_lshl_u32 v10, v0, s1, 2
	v_mov_b32_e32 v0, s3
	v_add_co_u32_e32 v1, vcc, s2, v1
	v_addc_co_u32_e32 v0, vcc, 0, v0, vcc
	v_add_co_u32_e32 v12, vcc, 16, v1
	s_mov_b32 s5, 0x3fe55555
	s_mov_b32 s6, 0xbf559e2b
	v_pk_mov_b32 v[14:15], s[8:9], s[8:9] op_sel:[0,1]
	s_mov_b32 s8, 0xd7f4df2e
	s_mov_b32 s12, 0x16291751
	;; [unrolled: 1-line block ×6, first 2 shown]
	v_mov_b32_e32 v11, v8
	v_addc_co_u32_e32 v13, vcc, 0, v0, vcc
	s_lshl_b32 s27, s1, 5
	s_mov_b64 s[2:3], 0
	v_mov_b32_e32 v16, 0x3ff00000
	s_mov_b32 s7, 0x3fc3ab76
	s_mov_b32 s9, 0x3fc7474d
	s_mov_b32 s13, 0x3fcc71c0
	s_mov_b32 s15, 0x3fd24924
	s_mov_b32 s17, 0x3fd99999
	s_mov_b32 s18, 0x55555780
	s_mov_b32 s19, s5
	s_mov_b32 s21, 0x3ff71547
	s_mov_b32 s23, 0x3c7777d0
	s_movk_i32 s28, 0x204
	v_mov_b32_e32 v17, 0x7ff80000
	v_mov_b32_e32 v18, 0xfff00000
	s_mov_b64 s[24:25], 0xffff
	v_mov_b32_e32 v19, s0
	v_mov_b32_e32 v20, s0
.LBB196_24:                             ; =>This Inner Loop Header: Depth=1
	global_load_dwordx4 v[4:7], v[12:13], off offset:-16
	global_load_dwordx4 v[0:3], v[12:13], off
	v_cmp_lt_u64_e64 s[0:1], s[24:25], v[10:11]
	s_waitcnt vmcnt(1)
	v_frexp_mant_f64_e32 v[22:23], v[4:5]
	v_frexp_exp_i32_f64_e32 v21, v[4:5]
	v_cmp_gt_f64_e32 vcc, s[4:5], v[22:23]
	v_frexp_mant_f64_e32 v[24:25], v[6:7]
	v_cndmask_b32_e64 v9, v16, 2.0, vcc
	v_subbrev_co_u32_e32 v21, vcc, 0, v21, vcc
	v_mul_f64 v[22:23], v[22:23], v[8:9]
	v_cmp_gt_f64_e32 vcc, s[4:5], v[24:25]
	v_cndmask_b32_e64 v9, v16, 2.0, vcc
	v_add_f64 v[28:29], v[22:23], 1.0
	v_mul_f64 v[24:25], v[24:25], v[8:9]
	v_rcp_f64_e32 v[36:37], v[28:29]
	v_add_f64 v[40:41], v[24:25], 1.0
	v_frexp_exp_i32_f64_e32 v26, v[6:7]
	v_add_f64 v[34:35], v[28:29], -1.0
	v_rcp_f64_e32 v[42:43], v[40:41]
	v_subbrev_co_u32_e32 v32, vcc, 0, v26, vcc
	v_add_f64 v[26:27], v[22:23], -1.0
	v_add_f64 v[22:23], v[22:23], -v[34:35]
	v_add_f64 v[34:35], v[40:41], -1.0
	v_add_f64 v[38:39], v[24:25], -1.0
	v_add_f64 v[24:25], v[24:25], -v[34:35]
	v_fma_f64 v[34:35], -v[28:29], v[36:37], 1.0
	v_fmac_f64_e32 v[36:37], v[34:35], v[36:37]
	v_fma_f64 v[34:35], -v[40:41], v[42:43], 1.0
	v_fma_f64 v[44:45], -v[28:29], v[36:37], 1.0
	v_fmac_f64_e32 v[42:43], v[34:35], v[42:43]
	v_fmac_f64_e32 v[36:37], v[44:45], v[36:37]
	v_fma_f64 v[34:35], -v[40:41], v[42:43], 1.0
	v_mul_f64 v[44:45], v[26:27], v[36:37]
	v_fmac_f64_e32 v[42:43], v[34:35], v[42:43]
	v_mul_f64 v[34:35], v[28:29], v[44:45]
	v_mul_f64 v[46:47], v[38:39], v[42:43]
	v_fma_f64 v[28:29], v[44:45], v[28:29], -v[34:35]
	v_mul_f64 v[48:49], v[40:41], v[46:47]
	v_fmac_f64_e32 v[28:29], v[44:45], v[22:23]
	v_fma_f64 v[22:23], v[46:47], v[40:41], -v[48:49]
	v_add_f64 v[40:41], v[34:35], v[28:29]
	v_fmac_f64_e32 v[22:23], v[46:47], v[24:25]
	v_add_f64 v[24:25], v[40:41], -v[34:35]
	v_add_f64 v[34:35], v[26:27], -v[40:41]
	v_add_f64 v[50:51], v[48:49], v[22:23]
	v_add_f64 v[26:27], v[26:27], -v[34:35]
	v_add_f64 v[24:25], v[24:25], -v[28:29]
	;; [unrolled: 1-line block ×6, first 2 shown]
	v_add_f64 v[24:25], v[24:25], v[26:27]
	v_add_f64 v[22:23], v[28:29], -v[22:23]
	v_add_f64 v[26:27], v[38:39], -v[50:51]
	v_add_f64 v[24:25], v[34:35], v[24:25]
	v_add_f64 v[22:23], v[22:23], v[26:27]
	v_mul_f64 v[24:25], v[36:37], v[24:25]
	v_add_f64 v[22:23], v[48:49], v[22:23]
	v_add_f64 v[26:27], v[44:45], v[24:25]
	v_mul_f64 v[22:23], v[42:43], v[22:23]
	v_add_f64 v[28:29], v[26:27], -v[44:45]
	v_mul_f64 v[34:35], v[26:27], v[26:27]
	v_add_f64 v[38:39], v[46:47], v[22:23]
	v_add_f64 v[24:25], v[24:25], -v[28:29]
	v_fma_f64 v[28:29], s[6:7], v[34:35], v[14:15]
	v_add_f64 v[40:41], v[38:39], -v[46:47]
	v_mul_f64 v[42:43], v[38:39], v[38:39]
	v_fma_f64 v[28:29], v[34:35], v[28:29], s[8:9]
	v_add_f64 v[22:23], v[22:23], -v[40:41]
	v_fma_f64 v[40:41], s[6:7], v[42:43], v[14:15]
	v_fma_f64 v[28:29], v[34:35], v[28:29], s[12:13]
	;; [unrolled: 1-line block ×6, first 2 shown]
	v_ldexp_f64 v[36:37], v[26:27], 1
	v_mul_f64 v[26:27], v[26:27], v[34:35]
	v_fma_f64 v[40:41], v[42:43], v[40:41], s[14:15]
	v_fma_f64 v[28:29], v[34:35], v[28:29], s[18:19]
	;; [unrolled: 1-line block ×3, first 2 shown]
	v_mul_f64 v[26:27], v[26:27], v[28:29]
	v_ldexp_f64 v[44:45], v[38:39], 1
	v_mul_f64 v[38:39], v[38:39], v[42:43]
	v_fma_f64 v[28:29], v[42:43], v[34:35], s[18:19]
	v_add_f64 v[34:35], v[36:37], v[26:27]
	v_mul_f64 v[28:29], v[38:39], v[28:29]
	v_add_f64 v[36:37], v[34:35], -v[36:37]
	v_ldexp_f64 v[24:25], v[24:25], 1
	v_add_f64 v[38:39], v[44:45], v[28:29]
	v_add_f64 v[26:27], v[26:27], -v[36:37]
	v_add_f64 v[36:37], v[38:39], -v[44:45]
	v_add_f64 v[24:25], v[24:25], v[26:27]
	v_ldexp_f64 v[22:23], v[22:23], 1
	v_add_f64 v[26:27], v[28:29], -v[36:37]
	v_add_f64 v[28:29], v[34:35], v[24:25]
	v_add_f64 v[22:23], v[22:23], v[26:27]
	v_add_f64 v[26:27], v[28:29], -v[34:35]
	v_mul_f64 v[34:35], v[28:29], s[20:21]
	v_add_f64 v[36:37], v[38:39], v[22:23]
	v_add_f64 v[24:25], v[24:25], -v[26:27]
	v_fma_f64 v[26:27], v[28:29], s[20:21], -v[34:35]
	v_add_f64 v[38:39], v[36:37], -v[38:39]
	v_mul_f64 v[40:41], v[36:37], s[20:21]
	v_fmac_f64_e32 v[26:27], s[20:21], v[24:25]
	v_add_f64 v[22:23], v[22:23], -v[38:39]
	v_fma_f64 v[24:25], v[36:37], s[20:21], -v[40:41]
	v_fmac_f64_e32 v[26:27], s[22:23], v[28:29]
	v_cvt_f64_i32_e32 v[30:31], v21
	v_fmac_f64_e32 v[24:25], s[20:21], v[22:23]
	v_add_f64 v[22:23], v[34:35], v[26:27]
	v_add_f64 v[28:29], v[22:23], -v[34:35]
	v_add_f64 v[34:35], v[22:23], v[30:31]
	v_add_f64 v[26:27], v[26:27], -v[28:29]
	v_add_f64 v[28:29], v[34:35], -v[30:31]
	v_fmac_f64_e32 v[24:25], s[22:23], v[36:37]
	v_add_f64 v[36:37], v[28:29], -v[34:35]
	v_add_f64 v[22:23], v[22:23], -v[28:29]
	v_add_f64 v[28:29], v[36:37], v[30:31]
	v_add_f64 v[22:23], v[22:23], v[28:29]
	;; [unrolled: 1-line block ×4, first 2 shown]
	v_cmp_class_f64_e64 vcc, v[4:5], s28
	v_cndmask_b32_e32 v9, v22, v4, vcc
	v_cndmask_b32_e32 v21, v23, v5, vcc
	v_cmp_ngt_f64_e32 vcc, 0, v[4:5]
	v_cndmask_b32_e32 v21, v17, v21, vcc
	v_cmp_nge_f64_e32 vcc, 0, v[4:5]
	v_cndmask_b32_e32 v22, 0, v9, vcc
	v_cmp_neq_f64_e32 vcc, 0, v[4:5]
	v_add_f64 v[4:5], v[40:41], v[24:25]
	v_cvt_f64_i32_e32 v[32:33], v32
	v_add_f64 v[26:27], v[4:5], -v[40:41]
	v_add_f64 v[24:25], v[24:25], -v[26:27]
	v_add_f64 v[26:27], v[4:5], v[32:33]
	v_add_f64 v[28:29], v[26:27], -v[32:33]
	v_add_f64 v[30:31], v[28:29], -v[26:27]
	v_add_f64 v[30:31], v[30:31], v[32:33]
	v_add_f64 v[4:5], v[4:5], -v[28:29]
	v_add_f64 v[4:5], v[4:5], v[30:31]
	v_add_f64 v[4:5], v[24:25], v[4:5]
	v_cndmask_b32_e32 v23, v18, v21, vcc
	v_add_f64 v[4:5], v[26:27], v[4:5]
	v_cmp_class_f64_e64 vcc, v[6:7], s28
	v_cndmask_b32_e32 v4, v4, v6, vcc
	v_cndmask_b32_e32 v5, v5, v7, vcc
	v_cmp_ngt_f64_e32 vcc, 0, v[6:7]
	v_cndmask_b32_e32 v5, v17, v5, vcc
	v_cmp_nge_f64_e32 vcc, 0, v[6:7]
	v_cndmask_b32_e32 v24, 0, v4, vcc
	v_cmp_neq_f64_e32 vcc, 0, v[6:7]
	v_cndmask_b32_e32 v25, v18, v5, vcc
	s_waitcnt vmcnt(0)
	v_frexp_mant_f64_e32 v[4:5], v[0:1]
	v_cmp_gt_f64_e32 vcc, s[4:5], v[4:5]
	v_cndmask_b32_e64 v9, v16, 2.0, vcc
	v_frexp_exp_i32_f64_e32 v6, v[0:1]
	v_mul_f64 v[4:5], v[4:5], v[8:9]
	v_subbrev_co_u32_e32 v9, vcc, 0, v6, vcc
	v_add_f64 v[6:7], v[4:5], 1.0
	v_rcp_f64_e32 v[26:27], v[6:7]
	v_add_f64 v[30:31], v[6:7], -1.0
	v_add_f64 v[28:29], v[4:5], -1.0
	v_add_f64 v[4:5], v[4:5], -v[30:31]
	v_fma_f64 v[30:31], -v[6:7], v[26:27], 1.0
	v_fmac_f64_e32 v[26:27], v[30:31], v[26:27]
	v_fma_f64 v[30:31], -v[6:7], v[26:27], 1.0
	v_fmac_f64_e32 v[26:27], v[30:31], v[26:27]
	v_mul_f64 v[30:31], v[28:29], v[26:27]
	v_mul_f64 v[32:33], v[6:7], v[30:31]
	v_fma_f64 v[6:7], v[30:31], v[6:7], -v[32:33]
	v_fmac_f64_e32 v[6:7], v[30:31], v[4:5]
	v_add_f64 v[4:5], v[32:33], v[6:7]
	v_add_f64 v[34:35], v[28:29], -v[4:5]
	v_add_f64 v[32:33], v[4:5], -v[32:33]
	;; [unrolled: 1-line block ×5, first 2 shown]
	v_add_f64 v[4:5], v[6:7], v[4:5]
	v_add_f64 v[4:5], v[34:35], v[4:5]
	v_mul_f64 v[4:5], v[26:27], v[4:5]
	v_add_f64 v[6:7], v[30:31], v[4:5]
	v_add_f64 v[26:27], v[6:7], -v[30:31]
	v_add_f64 v[4:5], v[4:5], -v[26:27]
	v_mul_f64 v[26:27], v[6:7], v[6:7]
	v_fma_f64 v[28:29], s[6:7], v[26:27], v[14:15]
	v_fma_f64 v[28:29], v[26:27], v[28:29], s[8:9]
	;; [unrolled: 1-line block ×6, first 2 shown]
	v_ldexp_f64 v[30:31], v[6:7], 1
	v_mul_f64 v[6:7], v[6:7], v[26:27]
	v_mul_f64 v[6:7], v[6:7], v[28:29]
	v_add_f64 v[26:27], v[30:31], v[6:7]
	v_add_f64 v[28:29], v[26:27], -v[30:31]
	v_ldexp_f64 v[4:5], v[4:5], 1
	v_add_f64 v[6:7], v[6:7], -v[28:29]
	v_add_f64 v[4:5], v[4:5], v[6:7]
	v_add_f64 v[6:7], v[26:27], v[4:5]
	v_add_f64 v[26:27], v[6:7], -v[26:27]
	v_mul_f64 v[28:29], v[6:7], s[20:21]
	v_add_f64 v[4:5], v[4:5], -v[26:27]
	v_fma_f64 v[30:31], v[6:7], s[20:21], -v[28:29]
	v_fmac_f64_e32 v[30:31], s[20:21], v[4:5]
	v_fmac_f64_e32 v[30:31], s[22:23], v[6:7]
	v_cvt_f64_i32_e32 v[26:27], v9
	v_add_f64 v[4:5], v[28:29], v[30:31]
	v_add_f64 v[6:7], v[4:5], -v[28:29]
	v_add_f64 v[28:29], v[4:5], v[26:27]
	v_add_f64 v[6:7], v[30:31], -v[6:7]
	v_add_f64 v[30:31], v[28:29], -v[26:27]
	;; [unrolled: 1-line block ×3, first 2 shown]
	v_add_f64 v[26:27], v[32:33], v[26:27]
	v_add_f64 v[4:5], v[4:5], -v[30:31]
	v_add_f64 v[4:5], v[4:5], v[26:27]
	v_add_f64 v[4:5], v[6:7], v[4:5]
	;; [unrolled: 1-line block ×3, first 2 shown]
	v_cmp_class_f64_e64 vcc, v[0:1], s28
	v_cndmask_b32_e32 v4, v4, v0, vcc
	v_cndmask_b32_e32 v5, v5, v1, vcc
	v_cmp_ngt_f64_e32 vcc, 0, v[0:1]
	v_cndmask_b32_e32 v5, v17, v5, vcc
	v_cmp_nge_f64_e32 vcc, 0, v[0:1]
	v_cndmask_b32_e32 v4, 0, v4, vcc
	v_cmp_neq_f64_e32 vcc, 0, v[0:1]
	v_frexp_mant_f64_e32 v[0:1], v[2:3]
	v_cndmask_b32_e32 v5, v18, v5, vcc
	v_cmp_gt_f64_e32 vcc, s[4:5], v[0:1]
	v_cndmask_b32_e64 v9, v16, 2.0, vcc
	v_frexp_exp_i32_f64_e32 v6, v[2:3]
	v_mul_f64 v[0:1], v[0:1], v[8:9]
	v_subbrev_co_u32_e32 v9, vcc, 0, v6, vcc
	v_add_f64 v[6:7], v[0:1], 1.0
	v_rcp_f64_e32 v[26:27], v[6:7]
	v_add_f64 v[30:31], v[6:7], -1.0
	v_add_f64 v[28:29], v[0:1], -1.0
	v_add_f64 v[0:1], v[0:1], -v[30:31]
	v_fma_f64 v[30:31], -v[6:7], v[26:27], 1.0
	v_fmac_f64_e32 v[26:27], v[30:31], v[26:27]
	v_fma_f64 v[30:31], -v[6:7], v[26:27], 1.0
	v_fmac_f64_e32 v[26:27], v[30:31], v[26:27]
	v_mul_f64 v[30:31], v[28:29], v[26:27]
	v_mul_f64 v[32:33], v[6:7], v[30:31]
	v_fma_f64 v[6:7], v[30:31], v[6:7], -v[32:33]
	v_fmac_f64_e32 v[6:7], v[30:31], v[0:1]
	v_add_f64 v[0:1], v[32:33], v[6:7]
	v_add_f64 v[34:35], v[28:29], -v[0:1]
	v_add_f64 v[32:33], v[0:1], -v[32:33]
	;; [unrolled: 1-line block ×5, first 2 shown]
	v_add_f64 v[0:1], v[6:7], v[0:1]
	v_add_f64 v[0:1], v[34:35], v[0:1]
	v_mul_f64 v[0:1], v[26:27], v[0:1]
	v_add_f64 v[6:7], v[30:31], v[0:1]
	v_add_f64 v[26:27], v[6:7], -v[30:31]
	v_add_f64 v[0:1], v[0:1], -v[26:27]
	v_mul_f64 v[26:27], v[6:7], v[6:7]
	v_fma_f64 v[28:29], s[6:7], v[26:27], v[14:15]
	v_fma_f64 v[28:29], v[26:27], v[28:29], s[8:9]
	;; [unrolled: 1-line block ×6, first 2 shown]
	v_ldexp_f64 v[30:31], v[6:7], 1
	v_mul_f64 v[6:7], v[6:7], v[26:27]
	v_mul_f64 v[6:7], v[6:7], v[28:29]
	v_add_f64 v[26:27], v[30:31], v[6:7]
	v_add_f64 v[28:29], v[26:27], -v[30:31]
	v_ldexp_f64 v[0:1], v[0:1], 1
	v_add_f64 v[6:7], v[6:7], -v[28:29]
	v_add_f64 v[0:1], v[0:1], v[6:7]
	v_add_f64 v[6:7], v[26:27], v[0:1]
	v_add_f64 v[26:27], v[6:7], -v[26:27]
	v_mul_f64 v[28:29], v[6:7], s[20:21]
	v_add_f64 v[0:1], v[0:1], -v[26:27]
	v_fma_f64 v[30:31], v[6:7], s[20:21], -v[28:29]
	v_fmac_f64_e32 v[30:31], s[20:21], v[0:1]
	v_fmac_f64_e32 v[30:31], s[22:23], v[6:7]
	v_cvt_f64_i32_e32 v[26:27], v9
	v_add_f64 v[0:1], v[28:29], v[30:31]
	v_add_f64 v[6:7], v[0:1], -v[28:29]
	v_add_f64 v[28:29], v[0:1], v[26:27]
	v_add_f64 v[6:7], v[30:31], -v[6:7]
	v_add_f64 v[30:31], v[28:29], -v[26:27]
	;; [unrolled: 1-line block ×3, first 2 shown]
	v_add_f64 v[26:27], v[32:33], v[26:27]
	v_add_f64 v[0:1], v[0:1], -v[30:31]
	v_add_f64 v[0:1], v[0:1], v[26:27]
	v_add_f64 v[0:1], v[6:7], v[0:1]
	v_add_f64 v[0:1], v[28:29], v[0:1]
	v_cmp_class_f64_e64 vcc, v[2:3], s28
	v_cndmask_b32_e32 v0, v0, v2, vcc
	v_cndmask_b32_e32 v1, v1, v3, vcc
	v_cmp_ngt_f64_e32 vcc, 0, v[2:3]
	v_cndmask_b32_e32 v1, v17, v1, vcc
	v_cmp_nge_f64_e32 vcc, 0, v[2:3]
	v_cndmask_b32_e32 v6, 0, v0, vcc
	v_cmp_neq_f64_e32 vcc, 0, v[2:3]
	v_cndmask_b32_e32 v7, v18, v1, vcc
	v_cmp_le_i64_e32 vcc, s[10:11], v[10:11]
	s_or_b64 s[0:1], vcc, s[0:1]
	v_add_co_u32_e32 v10, vcc, s26, v10
	v_addc_co_u32_e32 v11, vcc, v11, v19, vcc
	global_store_dwordx4 v[12:13], v[22:25], off offset:-16
	global_store_dwordx4 v[12:13], v[4:7], off
	s_and_b64 s[0:1], exec, s[0:1]
	v_add_co_u32_e32 v12, vcc, s27, v12
	s_or_b64 s[2:3], s[0:1], s[2:3]
	v_addc_co_u32_e32 v13, vcc, v13, v20, vcc
	s_andn2_b64 exec, exec, s[2:3]
	s_cbranch_execnz .LBB196_24
.LBB196_25:
	s_endpgm
	.section	.rodata,"a",@progbits
	.p2align	6, 0x0
	.amdhsa_kernel _ZN2at6native12_GLOBAL__N_125multi_tensor_apply_kernelINS1_18TensorListMetadataILi1EEENS1_14UnaryOpFunctorIdLi1ELi1ELi0EEEJNS0_4Log2IdEEEEEvT_T0_DpT1_
		.amdhsa_group_segment_fixed_size 0
		.amdhsa_private_segment_fixed_size 0
		.amdhsa_kernarg_size 3632
		.amdhsa_user_sgpr_count 6
		.amdhsa_user_sgpr_private_segment_buffer 1
		.amdhsa_user_sgpr_dispatch_ptr 0
		.amdhsa_user_sgpr_queue_ptr 0
		.amdhsa_user_sgpr_kernarg_segment_ptr 1
		.amdhsa_user_sgpr_dispatch_id 0
		.amdhsa_user_sgpr_flat_scratch_init 0
		.amdhsa_user_sgpr_kernarg_preload_length 0
		.amdhsa_user_sgpr_kernarg_preload_offset 0
		.amdhsa_user_sgpr_private_segment_size 0
		.amdhsa_uses_dynamic_stack 0
		.amdhsa_system_sgpr_private_segment_wavefront_offset 0
		.amdhsa_system_sgpr_workgroup_id_x 1
		.amdhsa_system_sgpr_workgroup_id_y 0
		.amdhsa_system_sgpr_workgroup_id_z 0
		.amdhsa_system_sgpr_workgroup_info 0
		.amdhsa_system_vgpr_workitem_id 0
		.amdhsa_next_free_vgpr 52
		.amdhsa_next_free_sgpr 39
		.amdhsa_accum_offset 52
		.amdhsa_reserve_vcc 1
		.amdhsa_reserve_flat_scratch 0
		.amdhsa_float_round_mode_32 0
		.amdhsa_float_round_mode_16_64 0
		.amdhsa_float_denorm_mode_32 3
		.amdhsa_float_denorm_mode_16_64 3
		.amdhsa_dx10_clamp 1
		.amdhsa_ieee_mode 1
		.amdhsa_fp16_overflow 0
		.amdhsa_tg_split 0
		.amdhsa_exception_fp_ieee_invalid_op 0
		.amdhsa_exception_fp_denorm_src 0
		.amdhsa_exception_fp_ieee_div_zero 0
		.amdhsa_exception_fp_ieee_overflow 0
		.amdhsa_exception_fp_ieee_underflow 0
		.amdhsa_exception_fp_ieee_inexact 0
		.amdhsa_exception_int_div_zero 0
	.end_amdhsa_kernel
	.section	.text._ZN2at6native12_GLOBAL__N_125multi_tensor_apply_kernelINS1_18TensorListMetadataILi1EEENS1_14UnaryOpFunctorIdLi1ELi1ELi0EEEJNS0_4Log2IdEEEEEvT_T0_DpT1_,"axG",@progbits,_ZN2at6native12_GLOBAL__N_125multi_tensor_apply_kernelINS1_18TensorListMetadataILi1EEENS1_14UnaryOpFunctorIdLi1ELi1ELi0EEEJNS0_4Log2IdEEEEEvT_T0_DpT1_,comdat
.Lfunc_end196:
	.size	_ZN2at6native12_GLOBAL__N_125multi_tensor_apply_kernelINS1_18TensorListMetadataILi1EEENS1_14UnaryOpFunctorIdLi1ELi1ELi0EEEJNS0_4Log2IdEEEEEvT_T0_DpT1_, .Lfunc_end196-_ZN2at6native12_GLOBAL__N_125multi_tensor_apply_kernelINS1_18TensorListMetadataILi1EEENS1_14UnaryOpFunctorIdLi1ELi1ELi0EEEJNS0_4Log2IdEEEEEvT_T0_DpT1_
                                        ; -- End function
	.section	.AMDGPU.csdata,"",@progbits
; Kernel info:
; codeLenInByte = 5740
; NumSgprs: 43
; NumVgprs: 52
; NumAgprs: 0
; TotalNumVgprs: 52
; ScratchSize: 0
; MemoryBound: 0
; FloatMode: 240
; IeeeMode: 1
; LDSByteSize: 0 bytes/workgroup (compile time only)
; SGPRBlocks: 5
; VGPRBlocks: 6
; NumSGPRsForWavesPerEU: 43
; NumVGPRsForWavesPerEU: 52
; AccumOffset: 52
; Occupancy: 8
; WaveLimiterHint : 0
; COMPUTE_PGM_RSRC2:SCRATCH_EN: 0
; COMPUTE_PGM_RSRC2:USER_SGPR: 6
; COMPUTE_PGM_RSRC2:TRAP_HANDLER: 0
; COMPUTE_PGM_RSRC2:TGID_X_EN: 1
; COMPUTE_PGM_RSRC2:TGID_Y_EN: 0
; COMPUTE_PGM_RSRC2:TGID_Z_EN: 0
; COMPUTE_PGM_RSRC2:TIDIG_COMP_CNT: 0
; COMPUTE_PGM_RSRC3_GFX90A:ACCUM_OFFSET: 12
; COMPUTE_PGM_RSRC3_GFX90A:TG_SPLIT: 0
	.section	.text._ZN2at6native12_GLOBAL__N_125multi_tensor_apply_kernelINS1_18TensorListMetadataILi1EEENS1_14UnaryOpFunctorIfLi1ELi1ELi0EEEJNS0_4Log2IfEEEEEvT_T0_DpT1_,"axG",@progbits,_ZN2at6native12_GLOBAL__N_125multi_tensor_apply_kernelINS1_18TensorListMetadataILi1EEENS1_14UnaryOpFunctorIfLi1ELi1ELi0EEEJNS0_4Log2IfEEEEEvT_T0_DpT1_,comdat
	.globl	_ZN2at6native12_GLOBAL__N_125multi_tensor_apply_kernelINS1_18TensorListMetadataILi1EEENS1_14UnaryOpFunctorIfLi1ELi1ELi0EEEJNS0_4Log2IfEEEEEvT_T0_DpT1_ ; -- Begin function _ZN2at6native12_GLOBAL__N_125multi_tensor_apply_kernelINS1_18TensorListMetadataILi1EEENS1_14UnaryOpFunctorIfLi1ELi1ELi0EEEJNS0_4Log2IfEEEEEvT_T0_DpT1_
	.p2align	8
	.type	_ZN2at6native12_GLOBAL__N_125multi_tensor_apply_kernelINS1_18TensorListMetadataILi1EEENS1_14UnaryOpFunctorIfLi1ELi1ELi0EEEJNS0_4Log2IfEEEEEvT_T0_DpT1_,@function
_ZN2at6native12_GLOBAL__N_125multi_tensor_apply_kernelINS1_18TensorListMetadataILi1EEENS1_14UnaryOpFunctorIfLi1ELi1ELi0EEEJNS0_4Log2IfEEEEEvT_T0_DpT1_: ; @_ZN2at6native12_GLOBAL__N_125multi_tensor_apply_kernelINS1_18TensorListMetadataILi1EEENS1_14UnaryOpFunctorIfLi1ELi1ELi0EEEJNS0_4Log2IfEEEEEvT_T0_DpT1_
; %bb.0:
	v_mov_b32_e32 v1, s6
	global_load_ubyte v1, v1, s[4:5] offset:1760
	s_add_u32 s0, s4, s6
	s_mul_hi_u32 s1, s6, 3
	s_mul_i32 s6, s6, 3
	s_addc_u32 s2, s5, 0
	s_add_u32 s0, s0, s6
	s_addc_u32 s1, s2, s1
	s_load_dword s0, s[0:1], 0x820
	s_mov_b32 s7, 0
	s_waitcnt vmcnt(0)
	v_readfirstlane_b32 s2, v1
	s_lshl_b32 s1, s2, 3
	s_load_dwordx2 s[2:3], s[4:5], s1 offset:0x370
	s_load_dwordx2 s[12:13], s[4:5], s1 offset:0x0
	s_waitcnt lgkmcnt(0)
	s_ashr_i32 s1, s0, 31
	s_lshl_b64 s[14:15], s[0:1], 18
	s_lshl_b64 s[0:1], s[0:1], 16
	s_and_b32 s6, s12, 15
	s_sub_u32 s10, s2, s0
	s_subb_u32 s11, s3, s1
	s_and_b32 s0, s2, 3
	s_mov_b32 s1, s7
	s_or_b64 s[0:1], s[6:7], s[0:1]
	s_cmp_eq_u64 s[0:1], 0
	s_cbranch_scc1 .LBB197_21
; %bb.1:
	v_cmp_lt_i64_e64 s[0:1], s[10:11], 1
	s_and_b64 vcc, exec, s[0:1]
	s_cbranch_vccnz .LBB197_20
; %bb.2:
	s_load_dword s0, s[4:5], 0xd3c
	v_mov_b32_e32 v2, 0x10000
	v_mov_b32_e32 v3, 0
	v_cmp_lt_u64_e32 vcc, s[10:11], v[2:3]
	v_lshlrev_b32_e32 v1, 2, v0
	s_waitcnt lgkmcnt(0)
	s_and_b32 s3, s0, 0xffff
	s_and_b64 s[0:1], vcc, exec
	s_cselect_b32 s17, s11, 0
	s_cselect_b32 s16, s10, 0x10000
	s_lshl_b32 s6, s3, 1
	s_lshl_b32 s22, s3, 2
	s_add_u32 s7, s12, s14
	s_addc_u32 s8, s13, s15
	v_mov_b32_e32 v5, s8
	v_add_co_u32_e32 v4, vcc, s7, v1
	s_mul_i32 s0, s3, 3
	v_addc_co_u32_e32 v5, vcc, 0, v5, vcc
	v_add_co_u32_e32 v1, vcc, s0, v0
	v_addc_co_u32_e64 v10, s[0:1], 0, 0, vcc
	v_add_co_u32_e32 v11, vcc, s6, v0
	v_addc_co_u32_e64 v12, s[0:1], 0, 0, vcc
	v_add_co_u32_e32 v13, vcc, s3, v0
	v_lshlrev_b32_e32 v6, 2, v13
	s_mov_b32 s2, 0
	v_addc_co_u32_e64 v14, s[0:1], 0, 0, vcc
	v_mov_b32_e32 v7, s8
	v_add_co_u32_e32 v6, vcc, s7, v6
	s_lshl_b32 s23, s3, 4
	s_mul_i32 s24, s3, 12
	s_mov_b32 s25, s2
	s_lshl_b32 s26, s3, 3
	s_mov_b32 s27, s2
	v_addc_co_u32_e32 v7, vcc, 0, v7, vcc
	s_mov_b64 s[18:19], 0
	s_mov_b32 s28, 0x800000
	v_pk_mov_b32 v[8:9], s[10:11], s[10:11] op_sel:[0,1]
	v_mov_b32_e32 v15, s2
	v_mov_b32_e32 v16, 0x42000000
	;; [unrolled: 1-line block ×3, first 2 shown]
	s_branch .LBB197_4
.LBB197_3:                              ;   in Loop: Header=BB197_4 Depth=1
	s_or_b64 exec, exec, s[0:1]
	s_add_u32 s18, s18, s22
	s_addc_u32 s19, s19, 0
	v_cmp_lt_i64_e32 vcc, s[18:19], v[8:9]
	v_cmp_lt_u64_e64 s[0:1], s[18:19], v[2:3]
	s_and_b64 s[0:1], vcc, s[0:1]
	v_add_co_u32_e32 v4, vcc, s23, v4
	v_addc_co_u32_e32 v5, vcc, v5, v15, vcc
	v_add_co_u32_e32 v6, vcc, s23, v6
	v_addc_co_u32_e32 v7, vcc, v7, v15, vcc
	s_and_b64 vcc, exec, s[0:1]
	s_cbranch_vccz .LBB197_20
.LBB197_4:                              ; =>This Inner Loop Header: Depth=1
	s_waitcnt vmcnt(0)
	v_mov_b32_e32 v19, s19
	v_add_co_u32_e32 v18, vcc, s18, v0
	v_addc_co_u32_e32 v19, vcc, 0, v19, vcc
	v_cmp_gt_u64_e32 vcc, s[16:17], v[18:19]
	v_mov_b32_e32 v19, 0
	s_and_saveexec_b64 s[0:1], vcc
	s_cbranch_execz .LBB197_6
; %bb.5:                                ;   in Loop: Header=BB197_4 Depth=1
	global_load_dword v19, v[4:5], off
.LBB197_6:                              ;   in Loop: Header=BB197_4 Depth=1
	s_or_b64 exec, exec, s[0:1]
	v_mov_b32_e32 v18, s19
	v_add_co_u32_e64 v20, s[0:1], s18, v13
	v_addc_co_u32_e64 v21, s[0:1], v14, v18, s[0:1]
	v_cmp_gt_u64_e64 s[0:1], s[16:17], v[20:21]
	v_mov_b32_e32 v20, 0
	s_and_saveexec_b64 s[2:3], s[0:1]
	s_cbranch_execz .LBB197_8
; %bb.7:                                ;   in Loop: Header=BB197_4 Depth=1
	global_load_dword v20, v[6:7], off
.LBB197_8:                              ;   in Loop: Header=BB197_4 Depth=1
	s_or_b64 exec, exec, s[2:3]
	v_mov_b32_e32 v18, s19
	v_add_co_u32_e64 v22, s[2:3], s18, v11
	v_addc_co_u32_e64 v23, s[2:3], v12, v18, s[2:3]
	v_cmp_gt_u64_e64 s[2:3], s[16:17], v[22:23]
	v_mov_b32_e32 v18, 0
	v_mov_b32_e32 v21, 0
	s_and_saveexec_b64 s[8:9], s[2:3]
	s_cbranch_execz .LBB197_10
; %bb.9:                                ;   in Loop: Header=BB197_4 Depth=1
	v_mov_b32_e32 v21, s27
	v_add_co_u32_e64 v22, s[6:7], s26, v4
	v_addc_co_u32_e64 v23, s[6:7], v5, v21, s[6:7]
	global_load_dword v21, v[22:23], off
.LBB197_10:                             ;   in Loop: Header=BB197_4 Depth=1
	s_or_b64 exec, exec, s[8:9]
	v_mov_b32_e32 v23, s19
	v_add_co_u32_e64 v22, s[6:7], s18, v1
	v_addc_co_u32_e64 v23, s[6:7], v10, v23, s[6:7]
	v_cmp_gt_u64_e64 s[6:7], s[16:17], v[22:23]
	s_and_saveexec_b64 s[20:21], s[6:7]
	s_cbranch_execnz .LBB197_15
; %bb.11:                               ;   in Loop: Header=BB197_4 Depth=1
	s_or_b64 exec, exec, s[20:21]
	s_and_saveexec_b64 s[8:9], vcc
	s_cbranch_execnz .LBB197_16
.LBB197_12:                             ;   in Loop: Header=BB197_4 Depth=1
	s_or_b64 exec, exec, s[8:9]
	s_and_saveexec_b64 s[8:9], s[0:1]
	s_cbranch_execnz .LBB197_17
.LBB197_13:                             ;   in Loop: Header=BB197_4 Depth=1
	s_or_b64 exec, exec, s[8:9]
	s_and_saveexec_b64 s[0:1], s[2:3]
	s_cbranch_execnz .LBB197_18
.LBB197_14:                             ;   in Loop: Header=BB197_4 Depth=1
	s_or_b64 exec, exec, s[0:1]
	s_and_saveexec_b64 s[0:1], s[6:7]
	s_cbranch_execz .LBB197_3
	s_branch .LBB197_19
.LBB197_15:                             ;   in Loop: Header=BB197_4 Depth=1
	v_mov_b32_e32 v18, s25
	v_add_co_u32_e64 v22, s[8:9], s24, v4
	v_addc_co_u32_e64 v23, s[8:9], v5, v18, s[8:9]
	global_load_dword v18, v[22:23], off
	s_or_b64 exec, exec, s[20:21]
	s_and_saveexec_b64 s[8:9], vcc
	s_cbranch_execz .LBB197_12
.LBB197_16:                             ;   in Loop: Header=BB197_4 Depth=1
	s_waitcnt vmcnt(0)
	v_cmp_gt_f32_e32 vcc, s28, v19
	v_cndmask_b32_e32 v23, 1.0, v17, vcc
	v_mul_f32_e32 v19, v19, v23
	v_log_f32_e32 v19, v19
	v_cndmask_b32_e32 v22, 0, v16, vcc
	v_sub_f32_e32 v19, v19, v22
	global_store_dword v[4:5], v19, off
	s_or_b64 exec, exec, s[8:9]
	s_and_saveexec_b64 s[8:9], s[0:1]
	s_cbranch_execz .LBB197_13
.LBB197_17:                             ;   in Loop: Header=BB197_4 Depth=1
	s_waitcnt vmcnt(0)
	v_cmp_gt_f32_e32 vcc, s28, v20
	v_cndmask_b32_e32 v22, 1.0, v17, vcc
	v_mul_f32_e32 v20, v20, v22
	v_log_f32_e32 v20, v20
	v_cndmask_b32_e32 v19, 0, v16, vcc
	v_sub_f32_e32 v19, v20, v19
	global_store_dword v[6:7], v19, off
	s_or_b64 exec, exec, s[8:9]
	s_and_saveexec_b64 s[0:1], s[2:3]
	s_cbranch_execz .LBB197_14
.LBB197_18:                             ;   in Loop: Header=BB197_4 Depth=1
	s_waitcnt vmcnt(0)
	v_cmp_gt_f32_e32 vcc, s28, v21
	v_cndmask_b32_e32 v20, 1.0, v17, vcc
	v_mul_f32_e32 v20, v21, v20
	v_log_f32_e32 v20, v20
	v_cndmask_b32_e32 v19, 0, v16, vcc
	v_mov_b32_e32 v21, s27
	v_sub_f32_e32 v19, v20, v19
	v_add_co_u32_e32 v20, vcc, s26, v4
	v_addc_co_u32_e32 v21, vcc, v5, v21, vcc
	global_store_dword v[20:21], v19, off
	s_or_b64 exec, exec, s[0:1]
	s_and_saveexec_b64 s[0:1], s[6:7]
	s_cbranch_execz .LBB197_3
.LBB197_19:                             ;   in Loop: Header=BB197_4 Depth=1
	s_waitcnt vmcnt(0)
	v_cmp_gt_f32_e32 vcc, s28, v18
	v_cndmask_b32_e32 v20, 1.0, v17, vcc
	v_mul_f32_e32 v18, v18, v20
	v_log_f32_e32 v18, v18
	v_cndmask_b32_e32 v19, 0, v16, vcc
	v_mov_b32_e32 v20, s25
	v_sub_f32_e32 v21, v18, v19
	v_add_co_u32_e32 v18, vcc, s24, v4
	v_addc_co_u32_e32 v19, vcc, v5, v20, vcc
	global_store_dword v[18:19], v21, off
	s_branch .LBB197_3
.LBB197_20:
	s_cbranch_execz .LBB197_22
	s_branch .LBB197_25
.LBB197_21:
.LBB197_22:
	v_mov_b32_e32 v3, 0
	v_lshlrev_b32_e32 v2, 2, v0
	s_mov_b32 s0, 0
	v_cmp_gt_i64_e32 vcc, s[10:11], v[2:3]
	s_and_saveexec_b64 s[2:3], vcc
	s_cbranch_execz .LBB197_25
; %bb.23:
	s_load_dword s1, s[4:5], 0xd3c
	v_lshlrev_b32_e32 v1, 4, v0
	s_mov_b64 s[6:7], 0
	s_mov_b64 s[8:9], 0xffff
	v_mov_b32_e32 v6, s0
	s_waitcnt lgkmcnt(0)
	s_and_b32 s1, s1, 0xffff
	s_add_u32 s2, s12, s14
	s_addc_u32 s3, s13, s15
	v_mov_b32_e32 v2, s3
	v_add_co_u32_e32 v1, vcc, s2, v1
	v_addc_co_u32_e32 v2, vcc, 0, v2, vcc
	v_add_co_u32_e32 v4, vcc, 8, v1
	v_addc_co_u32_e32 v5, vcc, 0, v2, vcc
	s_lshl_b32 s12, s1, 4
	v_add_lshl_u32 v2, v0, s1, 2
	s_lshl_b32 s13, s1, 2
	s_mov_b32 s14, 0x800000
	v_mov_b32_e32 v0, 0x42000000
	v_mov_b32_e32 v1, 0x4f800000
	;; [unrolled: 1-line block ×3, first 2 shown]
.LBB197_24:                             ; =>This Inner Loop Header: Depth=1
	global_load_dwordx4 v[8:11], v[4:5], off offset:-8
	v_cmp_le_i64_e32 vcc, s[10:11], v[2:3]
	v_cmp_lt_u64_e64 s[0:1], s[8:9], v[2:3]
	s_or_b64 s[0:1], vcc, s[0:1]
	s_and_b64 s[0:1], exec, s[0:1]
	s_or_b64 s[6:7], s[0:1], s[6:7]
	s_waitcnt vmcnt(0)
	v_cmp_gt_f32_e32 vcc, s14, v9
	v_cmp_gt_f32_e64 s[0:1], s14, v8
	v_cmp_gt_f32_e64 s[2:3], s14, v11
	;; [unrolled: 1-line block ×3, first 2 shown]
	v_cndmask_b32_e32 v16, 1.0, v1, vcc
	v_cndmask_b32_e64 v17, 1.0, v1, s[0:1]
	v_cndmask_b32_e64 v18, 1.0, v1, s[2:3]
	;; [unrolled: 1-line block ×3, first 2 shown]
	v_mul_f32_e32 v9, v9, v16
	v_mul_f32_e32 v8, v8, v17
	;; [unrolled: 1-line block ×4, first 2 shown]
	v_log_f32_e32 v9, v9
	v_log_f32_e32 v8, v8
	v_log_f32_e32 v11, v11
	v_log_f32_e32 v10, v10
	v_cndmask_b32_e32 v12, 0, v0, vcc
	v_cndmask_b32_e64 v13, 0, v0, s[0:1]
	v_cndmask_b32_e64 v14, 0, v0, s[2:3]
	;; [unrolled: 1-line block ×3, first 2 shown]
	v_sub_f32_e32 v9, v9, v12
	v_sub_f32_e32 v8, v8, v13
	;; [unrolled: 1-line block ×4, first 2 shown]
	global_store_dwordx4 v[4:5], v[8:11], off offset:-8
	v_add_co_u32_e32 v4, vcc, s12, v4
	v_addc_co_u32_e32 v5, vcc, v5, v6, vcc
	v_add_co_u32_e32 v2, vcc, s13, v2
	v_addc_co_u32_e32 v3, vcc, v3, v7, vcc
	s_andn2_b64 exec, exec, s[6:7]
	s_cbranch_execnz .LBB197_24
.LBB197_25:
	s_endpgm
	.section	.rodata,"a",@progbits
	.p2align	6, 0x0
	.amdhsa_kernel _ZN2at6native12_GLOBAL__N_125multi_tensor_apply_kernelINS1_18TensorListMetadataILi1EEENS1_14UnaryOpFunctorIfLi1ELi1ELi0EEEJNS0_4Log2IfEEEEEvT_T0_DpT1_
		.amdhsa_group_segment_fixed_size 0
		.amdhsa_private_segment_fixed_size 0
		.amdhsa_kernarg_size 3632
		.amdhsa_user_sgpr_count 6
		.amdhsa_user_sgpr_private_segment_buffer 1
		.amdhsa_user_sgpr_dispatch_ptr 0
		.amdhsa_user_sgpr_queue_ptr 0
		.amdhsa_user_sgpr_kernarg_segment_ptr 1
		.amdhsa_user_sgpr_dispatch_id 0
		.amdhsa_user_sgpr_flat_scratch_init 0
		.amdhsa_user_sgpr_kernarg_preload_length 0
		.amdhsa_user_sgpr_kernarg_preload_offset 0
		.amdhsa_user_sgpr_private_segment_size 0
		.amdhsa_uses_dynamic_stack 0
		.amdhsa_system_sgpr_private_segment_wavefront_offset 0
		.amdhsa_system_sgpr_workgroup_id_x 1
		.amdhsa_system_sgpr_workgroup_id_y 0
		.amdhsa_system_sgpr_workgroup_id_z 0
		.amdhsa_system_sgpr_workgroup_info 0
		.amdhsa_system_vgpr_workitem_id 0
		.amdhsa_next_free_vgpr 24
		.amdhsa_next_free_sgpr 29
		.amdhsa_accum_offset 24
		.amdhsa_reserve_vcc 1
		.amdhsa_reserve_flat_scratch 0
		.amdhsa_float_round_mode_32 0
		.amdhsa_float_round_mode_16_64 0
		.amdhsa_float_denorm_mode_32 3
		.amdhsa_float_denorm_mode_16_64 3
		.amdhsa_dx10_clamp 1
		.amdhsa_ieee_mode 1
		.amdhsa_fp16_overflow 0
		.amdhsa_tg_split 0
		.amdhsa_exception_fp_ieee_invalid_op 0
		.amdhsa_exception_fp_denorm_src 0
		.amdhsa_exception_fp_ieee_div_zero 0
		.amdhsa_exception_fp_ieee_overflow 0
		.amdhsa_exception_fp_ieee_underflow 0
		.amdhsa_exception_fp_ieee_inexact 0
		.amdhsa_exception_int_div_zero 0
	.end_amdhsa_kernel
	.section	.text._ZN2at6native12_GLOBAL__N_125multi_tensor_apply_kernelINS1_18TensorListMetadataILi1EEENS1_14UnaryOpFunctorIfLi1ELi1ELi0EEEJNS0_4Log2IfEEEEEvT_T0_DpT1_,"axG",@progbits,_ZN2at6native12_GLOBAL__N_125multi_tensor_apply_kernelINS1_18TensorListMetadataILi1EEENS1_14UnaryOpFunctorIfLi1ELi1ELi0EEEJNS0_4Log2IfEEEEEvT_T0_DpT1_,comdat
.Lfunc_end197:
	.size	_ZN2at6native12_GLOBAL__N_125multi_tensor_apply_kernelINS1_18TensorListMetadataILi1EEENS1_14UnaryOpFunctorIfLi1ELi1ELi0EEEJNS0_4Log2IfEEEEEvT_T0_DpT1_, .Lfunc_end197-_ZN2at6native12_GLOBAL__N_125multi_tensor_apply_kernelINS1_18TensorListMetadataILi1EEENS1_14UnaryOpFunctorIfLi1ELi1ELi0EEEJNS0_4Log2IfEEEEEvT_T0_DpT1_
                                        ; -- End function
	.section	.AMDGPU.csdata,"",@progbits
; Kernel info:
; codeLenInByte = 1256
; NumSgprs: 33
; NumVgprs: 24
; NumAgprs: 0
; TotalNumVgprs: 24
; ScratchSize: 0
; MemoryBound: 0
; FloatMode: 240
; IeeeMode: 1
; LDSByteSize: 0 bytes/workgroup (compile time only)
; SGPRBlocks: 4
; VGPRBlocks: 2
; NumSGPRsForWavesPerEU: 33
; NumVGPRsForWavesPerEU: 24
; AccumOffset: 24
; Occupancy: 8
; WaveLimiterHint : 0
; COMPUTE_PGM_RSRC2:SCRATCH_EN: 0
; COMPUTE_PGM_RSRC2:USER_SGPR: 6
; COMPUTE_PGM_RSRC2:TRAP_HANDLER: 0
; COMPUTE_PGM_RSRC2:TGID_X_EN: 1
; COMPUTE_PGM_RSRC2:TGID_Y_EN: 0
; COMPUTE_PGM_RSRC2:TGID_Z_EN: 0
; COMPUTE_PGM_RSRC2:TIDIG_COMP_CNT: 0
; COMPUTE_PGM_RSRC3_GFX90A:ACCUM_OFFSET: 5
; COMPUTE_PGM_RSRC3_GFX90A:TG_SPLIT: 0
	.section	.text._ZN2at6native12_GLOBAL__N_125multi_tensor_apply_kernelINS1_18TensorListMetadataILi1EEENS1_14UnaryOpFunctorIN3c107complexIdEELi1ELi1ELi0EEEJNS0_4Log2IS8_EEEEEvT_T0_DpT1_,"axG",@progbits,_ZN2at6native12_GLOBAL__N_125multi_tensor_apply_kernelINS1_18TensorListMetadataILi1EEENS1_14UnaryOpFunctorIN3c107complexIdEELi1ELi1ELi0EEEJNS0_4Log2IS8_EEEEEvT_T0_DpT1_,comdat
	.globl	_ZN2at6native12_GLOBAL__N_125multi_tensor_apply_kernelINS1_18TensorListMetadataILi1EEENS1_14UnaryOpFunctorIN3c107complexIdEELi1ELi1ELi0EEEJNS0_4Log2IS8_EEEEEvT_T0_DpT1_ ; -- Begin function _ZN2at6native12_GLOBAL__N_125multi_tensor_apply_kernelINS1_18TensorListMetadataILi1EEENS1_14UnaryOpFunctorIN3c107complexIdEELi1ELi1ELi0EEEJNS0_4Log2IS8_EEEEEvT_T0_DpT1_
	.p2align	8
	.type	_ZN2at6native12_GLOBAL__N_125multi_tensor_apply_kernelINS1_18TensorListMetadataILi1EEENS1_14UnaryOpFunctorIN3c107complexIdEELi1ELi1ELi0EEEJNS0_4Log2IS8_EEEEEvT_T0_DpT1_,@function
_ZN2at6native12_GLOBAL__N_125multi_tensor_apply_kernelINS1_18TensorListMetadataILi1EEENS1_14UnaryOpFunctorIN3c107complexIdEELi1ELi1ELi0EEEJNS0_4Log2IS8_EEEEEvT_T0_DpT1_: ; @_ZN2at6native12_GLOBAL__N_125multi_tensor_apply_kernelINS1_18TensorListMetadataILi1EEENS1_14UnaryOpFunctorIN3c107complexIdEELi1ELi1ELi0EEEJNS0_4Log2IS8_EEEEEvT_T0_DpT1_
; %bb.0:
	v_mov_b32_e32 v1, s6
	global_load_ubyte v1, v1, s[4:5] offset:1760
	s_add_u32 s0, s4, s6
	s_mul_hi_u32 s1, s6, 3
	s_mul_i32 s6, s6, 3
	s_addc_u32 s2, s5, 0
	s_add_u32 s0, s0, s6
	s_addc_u32 s1, s2, s1
	s_load_dword s0, s[0:1], 0x820
	s_mov_b32 s9, 0
	s_waitcnt vmcnt(0)
	v_readfirstlane_b32 s1, v1
	s_lshl_b32 s1, s1, 3
	s_load_dwordx2 s[2:3], s[4:5], s1 offset:0x0
	s_load_dwordx2 s[6:7], s[4:5], s1 offset:0x370
	s_waitcnt lgkmcnt(0)
	s_ashr_i32 s1, s0, 31
	s_lshl_b64 s[10:11], s[0:1], 20
	s_add_u32 s33, s2, s10
	s_addc_u32 s70, s3, s11
	s_lshl_b64 s[0:1], s[0:1], 16
	s_and_b32 s8, s33, 63
	s_sub_u32 s16, s6, s0
	s_subb_u32 s17, s7, s1
	s_and_b32 s0, s6, 3
	s_mov_b32 s1, s9
	s_or_b64 s[0:1], s[8:9], s[0:1]
	s_cmp_eq_u64 s[0:1], 0
	s_cbranch_scc1 .LBB198_157
; %bb.1:
	v_cmp_lt_i64_e64 s[0:1], s[16:17], 1
	s_and_b64 vcc, exec, s[0:1]
	s_cbranch_vccnz .LBB198_156
; %bb.2:
	s_load_dword s0, s[4:5], 0xd3c
	v_mov_b32_e32 v2, 0x10000
	v_mov_b32_e32 v3, 0
	v_cmp_lt_u64_e32 vcc, s[16:17], v[2:3]
	s_mov_b32 s2, 0
	s_waitcnt lgkmcnt(0)
	s_and_b32 s71, s0, 0xffff
	s_and_b64 s[0:1], vcc, exec
	s_mov_b32 s22, 0x85ebc8a0
	s_mov_b32 s24, 0x4ad4b81f
	;; [unrolled: 1-line block ×15, first 2 shown]
	s_cselect_b32 s19, s17, 0
	s_cselect_b32 s18, s16, 0x10000
	s_lshl_b32 s72, s71, 1
	s_mul_i32 s73, s71, 3
	s_mov_b32 s74, s2
	s_lshl_b32 s75, s71, 2
	s_mov_b64 s[20:21], 0
	v_mov_b32_e32 v110, s2
	v_mov_b32_e32 v111, s2
	s_brev_b32 s76, -2
	s_mov_b32 s23, 0x7fd1ccf3
	s_mov_b32 s25, 0x358dee7a
	;; [unrolled: 1-line block ×9, first 2 shown]
	s_movk_i32 s77, 0x204
	s_mov_b32 s43, 0x3ff921fb
	s_mov_b32 s45, 0x400921fb
	;; [unrolled: 1-line block ×5, first 2 shown]
	s_brev_b32 s53, 4
	s_mov_b32 s55, 0x3ff71547
	v_mov_b32_e32 v18, 0x6b47b09a
	v_mov_b32_e32 v19, 0x3fc38538
	;; [unrolled: 1-line block ×59, first 2 shown]
	s_branch .LBB198_4
.LBB198_3:                              ;   in Loop: Header=BB198_4 Depth=1
	s_or_b64 exec, exec, s[0:1]
	s_add_u32 s20, s20, s75
	s_addc_u32 s21, s21, 0
	v_pk_mov_b32 v[2:3], s[16:17], s[16:17] op_sel:[0,1]
	v_cmp_ge_i64_e32 vcc, s[20:21], v[2:3]
	v_mov_b32_e32 v2, 0xffff
	v_mov_b32_e32 v3, 0
	v_cmp_gt_u64_e64 s[0:1], s[20:21], v[2:3]
	s_or_b64 s[0:1], vcc, s[0:1]
	s_and_b64 vcc, exec, s[0:1]
	s_cbranch_vccnz .LBB198_156
.LBB198_4:                              ; =>This Loop Header: Depth=1
                                        ;     Child Loop BB198_23 Depth 2
                                        ;     Child Loop BB198_57 Depth 2
	;; [unrolled: 1-line block ×4, first 2 shown]
	v_mov_b32_e32 v1, s21
	v_add_co_u32_e32 v6, vcc, s20, v0
	v_addc_co_u32_e32 v7, vcc, 0, v1, vcc
	v_pk_mov_b32 v[4:5], 0, 0
	v_cmp_gt_u64_e64 s[0:1], s[18:19], v[6:7]
	v_lshlrev_b64 v[70:71], 4, v[6:7]
	v_pk_mov_b32 v[12:13], v[4:5], v[4:5] op_sel:[0,1]
	v_pk_mov_b32 v[10:11], v[4:5], v[4:5] op_sel:[0,1]
	s_and_saveexec_b64 s[2:3], s[0:1]
	s_cbranch_execz .LBB198_6
; %bb.5:                                ;   in Loop: Header=BB198_4 Depth=1
	v_mov_b32_e32 v1, s70
	v_add_co_u32_e32 v2, vcc, s33, v70
	v_addc_co_u32_e32 v3, vcc, v1, v71, vcc
	global_load_dwordx4 v[10:13], v[2:3], off
.LBB198_6:                              ;   in Loop: Header=BB198_4 Depth=1
	s_or_b64 exec, exec, s[2:3]
	v_add_co_u32_e32 v2, vcc, s71, v6
	v_addc_co_u32_e32 v3, vcc, v7, v110, vcc
	v_cmp_gt_u64_e64 s[2:3], s[18:19], v[2:3]
	v_lshlrev_b64 v[72:73], 4, v[2:3]
	v_pk_mov_b32 v[2:3], v[4:5], v[4:5] op_sel:[0,1]
	s_and_saveexec_b64 s[6:7], s[2:3]
	s_cbranch_execz .LBB198_8
; %bb.7:                                ;   in Loop: Header=BB198_4 Depth=1
	v_mov_b32_e32 v1, s70
	v_add_co_u32_e32 v2, vcc, s33, v72
	v_addc_co_u32_e32 v3, vcc, v1, v73, vcc
	global_load_dwordx4 v[2:5], v[2:3], off
.LBB198_8:                              ;   in Loop: Header=BB198_4 Depth=1
	s_or_b64 exec, exec, s[6:7]
	v_add_co_u32_e32 v14, vcc, s72, v6
	v_addc_co_u32_e32 v15, vcc, v7, v111, vcc
	v_pk_mov_b32 v[8:9], 0, 0
	v_cmp_gt_u64_e64 s[6:7], s[18:19], v[14:15]
	v_lshlrev_b64 v[74:75], 4, v[14:15]
	v_pk_mov_b32 v[16:17], v[8:9], v[8:9] op_sel:[0,1]
	v_pk_mov_b32 v[14:15], v[8:9], v[8:9] op_sel:[0,1]
	s_and_saveexec_b64 s[8:9], s[6:7]
	s_cbranch_execz .LBB198_10
; %bb.9:                                ;   in Loop: Header=BB198_4 Depth=1
	v_mov_b32_e32 v1, s70
	v_add_co_u32_e32 v14, vcc, s33, v74
	v_addc_co_u32_e32 v15, vcc, v1, v75, vcc
	global_load_dwordx4 v[14:17], v[14:15], off
.LBB198_10:                             ;   in Loop: Header=BB198_4 Depth=1
	s_or_b64 exec, exec, s[8:9]
	v_mov_b32_e32 v1, s74
	v_add_co_u32_e32 v6, vcc, s73, v6
	v_addc_co_u32_e32 v7, vcc, v7, v1, vcc
	v_cmp_gt_u64_e64 s[8:9], s[18:19], v[6:7]
	v_lshlrev_b64 v[76:77], 4, v[6:7]
	v_pk_mov_b32 v[6:7], v[8:9], v[8:9] op_sel:[0,1]
	s_and_saveexec_b64 s[10:11], s[8:9]
	s_cbranch_execz .LBB198_12
; %bb.11:                               ;   in Loop: Header=BB198_4 Depth=1
	v_mov_b32_e32 v1, s70
	v_add_co_u32_e32 v6, vcc, s33, v76
	v_addc_co_u32_e32 v7, vcc, v1, v77, vcc
	global_load_dwordx4 v[6:9], v[6:7], off
.LBB198_12:                             ;   in Loop: Header=BB198_4 Depth=1
	s_or_b64 exec, exec, s[10:11]
	s_waitcnt vmcnt(0)
	v_cmp_o_f64_e32 vcc, v[10:11], v[12:13]
                                        ; implicit-def: $vgpr78_vgpr79
                                        ; implicit-def: $vgpr80_vgpr81
	s_and_saveexec_b64 s[10:11], vcc
	s_xor_b64 s[56:57], exec, s[10:11]
	s_cbranch_execz .LBB198_40
; %bb.13:                               ;   in Loop: Header=BB198_4 Depth=1
	v_and_b32_e32 v69, 0x7fffffff, v11
	v_and_b32_e32 v1, 0x7fffffff, v13
	v_mov_b32_e32 v84, v12
	v_cmp_lt_f64_e64 s[10:11], |v[10:11]|, |v[12:13]|
	v_cndmask_b32_e64 v83, v1, v69, s[10:11]
	v_cndmask_b32_e64 v82, v84, v10, s[10:11]
	v_cmp_nlt_f64_e32 vcc, s[22:23], v[82:83]
                                        ; implicit-def: $vgpr78_vgpr79
                                        ; implicit-def: $vgpr80_vgpr81
	s_and_saveexec_b64 s[12:13], vcc
	s_xor_b64 s[14:15], exec, s[12:13]
	s_cbranch_execz .LBB198_37
; %bb.14:                               ;   in Loop: Header=BB198_4 Depth=1
	v_cndmask_b32_e64 v87, v69, v1, s[10:11]
	v_cndmask_b32_e64 v86, v10, v84, s[10:11]
	v_cmp_neq_f64_e32 vcc, 1.0, v[86:87]
                                        ; implicit-def: $vgpr78_vgpr79
                                        ; implicit-def: $vgpr80_vgpr81
	s_and_saveexec_b64 s[12:13], vcc
	s_xor_b64 s[58:59], exec, s[12:13]
	s_cbranch_execz .LBB198_30
; %bb.15:                               ;   in Loop: Header=BB198_4 Depth=1
	v_max_f64 v[78:79], v[82:83], v[82:83]
	v_max_f64 v[80:81], v[86:87], v[86:87]
	v_min_f64 v[84:85], v[80:81], v[78:79]
	v_max_f64 v[78:79], v[80:81], v[78:79]
	v_cmp_ngt_f64_e32 vcc, s[24:25], v[84:85]
	v_cmp_nlt_f64_e64 s[12:13], s[26:27], v[78:79]
	s_and_b64 s[12:13], s[12:13], vcc
                                        ; implicit-def: $vgpr78_vgpr79
                                        ; implicit-def: $vgpr80_vgpr81
	s_and_saveexec_b64 s[60:61], s[12:13]
	s_xor_b64 s[60:61], exec, s[60:61]
	s_cbranch_execz .LBB198_27
; %bb.16:                               ;   in Loop: Header=BB198_4 Depth=1
	v_cmp_le_f64_e32 vcc, 1.0, v[86:87]
                                        ; implicit-def: $vgpr78_vgpr79
                                        ; implicit-def: $vgpr80_vgpr81
	s_and_saveexec_b64 s[12:13], vcc
	s_xor_b64 s[12:13], exec, s[12:13]
	s_cbranch_execz .LBB198_18
; %bb.17:                               ;   in Loop: Header=BB198_4 Depth=1
	v_add_f64 v[78:79], v[86:87], -1.0
	v_add_f64 v[80:81], v[86:87], 1.0
	v_mul_f64 v[80:81], v[78:79], v[80:81]
	v_fmac_f64_e32 v[80:81], v[82:83], v[82:83]
	v_add_f64 v[78:79], v[80:81], 1.0
	v_add_f64 v[82:83], v[78:79], -1.0
	v_add_f64 v[84:85], v[82:83], -v[78:79]
	v_add_f64 v[84:85], v[84:85], 1.0
	v_add_f64 v[82:83], v[80:81], -v[82:83]
	v_add_f64 v[82:83], v[82:83], v[84:85]
	v_frexp_mant_f64_e32 v[84:85], v[78:79]
	v_frexp_exp_i32_f64_e32 v1, v[78:79]
	v_cmp_gt_f64_e32 vcc, s[28:29], v[84:85]
	v_subbrev_co_u32_e32 v1, vcc, 0, v1, vcc
	v_sub_u32_e32 v69, 0, v1
	v_ldexp_f64 v[78:79], v[78:79], v69
	v_add_f64 v[84:85], v[78:79], -1.0
	v_add_f64 v[90:91], v[78:79], 1.0
	v_add_f64 v[86:87], v[84:85], 1.0
	v_add_f64 v[92:93], v[90:91], -1.0
	v_ldexp_f64 v[82:83], v[82:83], v69
	v_add_f64 v[86:87], v[78:79], -v[86:87]
	v_add_f64 v[78:79], v[78:79], -v[92:93]
	v_add_f64 v[78:79], v[82:83], v[78:79]
	v_add_f64 v[86:87], v[82:83], v[86:87]
	v_add_f64 v[82:83], v[90:91], v[78:79]
	v_rcp_f64_e32 v[92:93], v[82:83]
	v_add_f64 v[88:89], v[84:85], v[86:87]
	v_add_f64 v[84:85], v[88:89], -v[84:85]
	v_add_f64 v[84:85], v[86:87], -v[84:85]
	v_add_f64 v[86:87], v[82:83], -v[90:91]
	v_add_f64 v[78:79], v[78:79], -v[86:87]
	v_fma_f64 v[86:87], -v[82:83], v[92:93], 1.0
	v_fmac_f64_e32 v[92:93], v[86:87], v[92:93]
	v_fma_f64 v[86:87], -v[82:83], v[92:93], 1.0
	v_fmac_f64_e32 v[92:93], v[86:87], v[92:93]
	v_mul_f64 v[86:87], v[88:89], v[92:93]
	v_mul_f64 v[90:91], v[82:83], v[86:87]
	v_fma_f64 v[94:95], v[86:87], v[82:83], -v[90:91]
	v_fmac_f64_e32 v[94:95], v[86:87], v[78:79]
	v_add_f64 v[96:97], v[90:91], v[94:95]
	v_add_f64 v[98:99], v[88:89], -v[96:97]
	v_add_f64 v[88:89], v[88:89], -v[98:99]
	;; [unrolled: 1-line block ×4, first 2 shown]
	v_add_f64 v[84:85], v[84:85], v[88:89]
	v_add_f64 v[88:89], v[90:91], -v[94:95]
	v_add_f64 v[84:85], v[88:89], v[84:85]
	v_add_f64 v[88:89], v[98:99], v[84:85]
	v_add_f64 v[90:91], v[98:99], -v[88:89]
	v_add_f64 v[84:85], v[84:85], v[90:91]
	v_mul_f64 v[90:91], v[92:93], v[88:89]
	v_mul_f64 v[94:95], v[82:83], v[90:91]
	v_fma_f64 v[82:83], v[90:91], v[82:83], -v[94:95]
	v_fmac_f64_e32 v[82:83], v[90:91], v[78:79]
	v_add_f64 v[78:79], v[94:95], v[82:83]
	v_add_f64 v[96:97], v[88:89], -v[78:79]
	v_add_f64 v[88:89], v[88:89], -v[96:97]
	;; [unrolled: 1-line block ×4, first 2 shown]
	v_add_f64 v[78:79], v[84:85], v[78:79]
	v_add_f64 v[82:83], v[94:95], -v[82:83]
	v_add_f64 v[78:79], v[82:83], v[78:79]
	v_add_f64 v[82:83], v[86:87], v[90:91]
	;; [unrolled: 1-line block ×3, first 2 shown]
	v_add_f64 v[84:85], v[82:83], -v[86:87]
	v_mul_f64 v[78:79], v[92:93], v[78:79]
	v_add_f64 v[84:85], v[90:91], -v[84:85]
	v_add_f64 v[78:79], v[84:85], v[78:79]
	v_add_f64 v[84:85], v[82:83], v[78:79]
	v_add_f64 v[82:83], v[84:85], -v[82:83]
	v_add_f64 v[78:79], v[78:79], -v[82:83]
	v_mul_f64 v[82:83], v[84:85], v[84:85]
	v_pk_mov_b32 v[86:87], v[18:19], v[18:19] op_sel:[0,1]
	v_fmac_f64_e32 v[86:87], s[30:31], v[82:83]
	v_pk_mov_b32 v[88:89], v[20:21], v[20:21] op_sel:[0,1]
	v_fmac_f64_e32 v[88:89], v[82:83], v[86:87]
	;; [unrolled: 2-line block ×6, first 2 shown]
	v_cvt_f64_i32_e32 v[86:87], v1
	v_mul_f64 v[90:91], v[86:87], s[34:35]
	v_fma_f64 v[92:93], v[86:87], s[34:35], -v[90:91]
	v_fmac_f64_e32 v[92:93], s[36:37], v[86:87]
	v_add_f64 v[86:87], v[90:91], v[92:93]
	v_add_f64 v[90:91], v[86:87], -v[90:91]
	v_mul_f64 v[82:83], v[84:85], v[82:83]
	v_add_f64 v[90:91], v[92:93], -v[90:91]
	v_ldexp_f64 v[92:93], v[84:85], 1
	v_mul_f64 v[82:83], v[82:83], v[88:89]
	v_add_f64 v[84:85], v[92:93], v[82:83]
	v_add_f64 v[88:89], v[84:85], -v[92:93]
	v_ldexp_f64 v[78:79], v[78:79], 1
	v_add_f64 v[82:83], v[82:83], -v[88:89]
	v_add_f64 v[78:79], v[78:79], v[82:83]
	v_add_f64 v[82:83], v[84:85], v[78:79]
	v_add_f64 v[84:85], v[82:83], -v[84:85]
	v_add_f64 v[78:79], v[78:79], -v[84:85]
	v_add_f64 v[84:85], v[86:87], v[82:83]
	v_add_f64 v[88:89], v[84:85], -v[86:87]
	v_add_f64 v[92:93], v[84:85], -v[88:89]
	;; [unrolled: 1-line block ×4, first 2 shown]
	v_add_f64 v[82:83], v[82:83], v[86:87]
	v_add_f64 v[86:87], v[90:91], v[78:79]
	v_add_f64 v[88:89], v[86:87], -v[90:91]
	v_add_f64 v[82:83], v[86:87], v[82:83]
	v_add_f64 v[92:93], v[86:87], -v[88:89]
	;; [unrolled: 2-line block ×3, first 2 shown]
	v_add_f64 v[78:79], v[78:79], -v[88:89]
	v_add_f64 v[84:85], v[86:87], -v[84:85]
	v_add_f64 v[78:79], v[78:79], v[90:91]
	v_add_f64 v[82:83], v[82:83], -v[84:85]
	v_add_f64 v[78:79], v[78:79], v[82:83]
	v_max_f64 v[82:83], |v[12:13]|, |v[12:13]|
	v_max_f64 v[84:85], |v[10:11]|, |v[10:11]|
	v_add_f64 v[78:79], v[86:87], v[78:79]
	v_max_f64 v[86:87], v[84:85], v[82:83]
	v_min_f64 v[82:83], v[84:85], v[82:83]
	v_div_scale_f64 v[84:85], s[62:63], v[86:87], v[86:87], v[82:83]
	v_cmp_eq_f64_e32 vcc, s[38:39], v[80:81]
	v_rcp_f64_e32 v[88:89], v[84:85]
	v_cndmask_b32_e32 v79, v79, v81, vcc
	v_cndmask_b32_e32 v78, v78, v80, vcc
	v_mul_f64 v[78:79], v[78:79], 0.5
	v_cmp_ngt_f64_e32 vcc, -1.0, v[80:81]
	v_cndmask_b32_e32 v1, v112, v79, vcc
	v_cmp_nge_f64_e32 vcc, -1.0, v[80:81]
	v_cndmask_b32_e32 v78, 0, v78, vcc
	v_cmp_neq_f64_e32 vcc, -1.0, v[80:81]
	v_fma_f64 v[80:81], -v[84:85], v[88:89], 1.0
	v_fmac_f64_e32 v[88:89], v[88:89], v[80:81]
	v_fma_f64 v[80:81], -v[84:85], v[88:89], 1.0
	v_cndmask_b32_e32 v79, v113, v1, vcc
	v_fmac_f64_e32 v[88:89], v[88:89], v[80:81]
	v_div_scale_f64 v[80:81], vcc, v[82:83], v[86:87], v[82:83]
	v_mul_f64 v[90:91], v[80:81], v[88:89]
	v_fma_f64 v[80:81], -v[84:85], v[90:91], v[80:81]
	v_pk_mov_b32 v[84:85], v[30:31], v[30:31] op_sel:[0,1]
	s_nop 0
	v_div_fmas_f64 v[80:81], v[80:81], v[88:89], v[90:91]
	v_div_fixup_f64 v[80:81], v[80:81], v[86:87], v[82:83]
	v_mul_f64 v[82:83], v[80:81], v[80:81]
	v_fmac_f64_e32 v[84:85], s[40:41], v[82:83]
	v_pk_mov_b32 v[86:87], v[32:33], v[32:33] op_sel:[0,1]
	v_fmac_f64_e32 v[86:87], v[82:83], v[84:85]
	v_pk_mov_b32 v[84:85], v[34:35], v[34:35] op_sel:[0,1]
	;; [unrolled: 2-line block ×18, first 2 shown]
	v_fmac_f64_e32 v[84:85], v[82:83], v[86:87]
	v_cmp_gt_i32_e32 vcc, 0, v11
	v_mul_f64 v[82:83], v[82:83], v[84:85]
	v_cmp_class_f64_e64 s[64:65], v[10:11], s77
	v_cndmask_b32_e32 v10, v116, v117, vcc
	v_fmac_f64_e32 v[80:81], v[80:81], v[82:83]
	v_bfi_b32 v69, s76, v10, v13
	v_ashrrev_i32_e32 v10, 31, v11
	v_and_b32_e32 v82, 0x400921fb, v10
	v_and_b32_e32 v83, 0x54442d18, v10
	v_add_f64 v[10:11], -v[80:81], s[42:43]
	v_cndmask_b32_e64 v11, v81, v11, s[10:11]
	v_cndmask_b32_e64 v10, v80, v10, s[10:11]
	s_mov_b32 s44, s42
	v_add_f64 v[80:81], -v[10:11], s[44:45]
	v_cmp_class_f64_e64 s[62:63], v[12:13], s77
	v_cndmask_b32_e32 v1, v114, v115, vcc
	v_cndmask_b32_e32 v11, v11, v81, vcc
	v_cndmask_b32_e32 v10, v10, v80, vcc
	v_cmp_eq_f64_e32 vcc, 0, v[12:13]
	v_cndmask_b32_e32 v10, v10, v83, vcc
	v_cndmask_b32_e32 v11, v11, v82, vcc
	s_and_b64 vcc, s[62:63], s[64:65]
	v_cndmask_b32_e32 v81, v11, v69, vcc
	v_cndmask_b32_e32 v80, v10, v1, vcc
                                        ; implicit-def: $vgpr82_vgpr83
                                        ; implicit-def: $vgpr86_vgpr87
.LBB198_18:                             ;   in Loop: Header=BB198_4 Depth=1
	s_andn2_saveexec_b64 s[62:63], s[12:13]
	s_cbranch_execz .LBB198_26
; %bb.19:                               ;   in Loop: Header=BB198_4 Depth=1
	v_mul_f64 v[84:85], v[82:83], v[82:83]
	v_fmac_f64_e32 v[84:85], v[86:87], v[86:87]
	v_cmp_ge_f64_e32 vcc, s[46:47], v[84:85]
                                        ; implicit-def: $vgpr78_vgpr79
                                        ; implicit-def: $vgpr80_vgpr81
	s_and_saveexec_b64 s[12:13], vcc
	s_xor_b64 s[12:13], exec, s[12:13]
	s_cbranch_execz .LBB198_21
; %bb.20:                               ;   in Loop: Header=BB198_4 Depth=1
	v_frexp_mant_f64_e32 v[78:79], v[84:85]
	v_cmp_gt_f64_e32 vcc, s[28:29], v[78:79]
	v_cndmask_b32_e64 v69, v118, 2.0, vcc
	v_mul_f64 v[78:79], v[78:79], v[68:69]
	v_add_f64 v[80:81], v[78:79], 1.0
	v_rcp_f64_e32 v[82:83], v[80:81]
	v_add_f64 v[88:89], v[80:81], -1.0
	v_add_f64 v[86:87], v[78:79], -1.0
	v_add_f64 v[78:79], v[78:79], -v[88:89]
	v_fma_f64 v[88:89], -v[80:81], v[82:83], 1.0
	v_fmac_f64_e32 v[82:83], v[88:89], v[82:83]
	v_fma_f64 v[88:89], -v[80:81], v[82:83], 1.0
	v_fmac_f64_e32 v[82:83], v[88:89], v[82:83]
	v_mul_f64 v[88:89], v[86:87], v[82:83]
	v_mul_f64 v[90:91], v[80:81], v[88:89]
	v_fma_f64 v[80:81], v[88:89], v[80:81], -v[90:91]
	v_fmac_f64_e32 v[80:81], v[88:89], v[78:79]
	v_add_f64 v[78:79], v[90:91], v[80:81]
	v_add_f64 v[92:93], v[86:87], -v[78:79]
	v_add_f64 v[90:91], v[78:79], -v[90:91]
	;; [unrolled: 1-line block ×5, first 2 shown]
	v_add_f64 v[78:79], v[80:81], v[78:79]
	v_add_f64 v[78:79], v[92:93], v[78:79]
	v_mul_f64 v[78:79], v[82:83], v[78:79]
	v_add_f64 v[80:81], v[88:89], v[78:79]
	v_add_f64 v[82:83], v[80:81], -v[88:89]
	v_add_f64 v[78:79], v[78:79], -v[82:83]
	v_mul_f64 v[82:83], v[80:81], v[80:81]
	v_pk_mov_b32 v[86:87], v[18:19], v[18:19] op_sel:[0,1]
	v_fmac_f64_e32 v[86:87], s[30:31], v[82:83]
	v_pk_mov_b32 v[88:89], v[20:21], v[20:21] op_sel:[0,1]
	v_fmac_f64_e32 v[88:89], v[82:83], v[86:87]
	;; [unrolled: 2-line block ×6, first 2 shown]
	v_ldexp_f64 v[86:87], v[80:81], 1
	v_mul_f64 v[80:81], v[80:81], v[82:83]
	v_mul_f64 v[80:81], v[80:81], v[88:89]
	v_add_f64 v[82:83], v[86:87], v[80:81]
	v_add_f64 v[86:87], v[82:83], -v[86:87]
	v_ldexp_f64 v[78:79], v[78:79], 1
	v_add_f64 v[80:81], v[80:81], -v[86:87]
	v_add_f64 v[78:79], v[78:79], v[80:81]
	v_frexp_exp_i32_f64_e32 v1, v[84:85]
	v_add_f64 v[80:81], v[82:83], v[78:79]
	v_subbrev_co_u32_e32 v1, vcc, 0, v1, vcc
	v_add_f64 v[82:83], v[80:81], -v[82:83]
	v_add_f64 v[78:79], v[78:79], -v[82:83]
	v_cvt_f64_i32_e32 v[82:83], v1
	v_mul_f64 v[86:87], v[82:83], s[34:35]
	v_fma_f64 v[88:89], v[82:83], s[34:35], -v[86:87]
	v_fmac_f64_e32 v[88:89], s[36:37], v[82:83]
	v_add_f64 v[82:83], v[86:87], v[88:89]
	v_add_f64 v[86:87], v[82:83], -v[86:87]
	v_add_f64 v[86:87], v[88:89], -v[86:87]
	v_add_f64 v[88:89], v[82:83], v[80:81]
	v_add_f64 v[90:91], v[88:89], -v[82:83]
	v_add_f64 v[92:93], v[88:89], -v[90:91]
	;; [unrolled: 1-line block ×4, first 2 shown]
	v_add_f64 v[80:81], v[80:81], v[82:83]
	v_add_f64 v[82:83], v[86:87], v[78:79]
	v_add_f64 v[90:91], v[82:83], -v[86:87]
	v_add_f64 v[92:93], v[82:83], -v[90:91]
	v_add_f64 v[80:81], v[82:83], v[80:81]
	v_add_f64 v[86:87], v[86:87], -v[92:93]
	v_add_f64 v[78:79], v[78:79], -v[90:91]
	v_add_f64 v[82:83], v[88:89], v[80:81]
	v_add_f64 v[78:79], v[78:79], v[86:87]
	v_add_f64 v[86:87], v[82:83], -v[88:89]
	v_add_f64 v[80:81], v[80:81], -v[86:87]
	v_add_f64 v[78:79], v[78:79], v[80:81]
	v_add_f64 v[78:79], v[82:83], v[78:79]
	v_max_f64 v[80:81], |v[12:13]|, |v[12:13]|
	v_max_f64 v[82:83], |v[10:11]|, |v[10:11]|
	v_max_f64 v[86:87], v[82:83], v[80:81]
	v_min_f64 v[80:81], v[82:83], v[80:81]
	v_div_scale_f64 v[82:83], s[64:65], v[86:87], v[86:87], v[80:81]
	v_rcp_f64_e32 v[88:89], v[82:83]
	v_cmp_neq_f64_e32 vcc, 0, v[84:85]
	v_mul_f64 v[78:79], v[78:79], 0.5
	v_cndmask_b32_e32 v79, v113, v79, vcc
	v_fma_f64 v[84:85], -v[82:83], v[88:89], 1.0
	v_fmac_f64_e32 v[88:89], v[88:89], v[84:85]
	v_fma_f64 v[84:85], -v[82:83], v[88:89], 1.0
	v_cndmask_b32_e32 v78, 0, v78, vcc
	v_fmac_f64_e32 v[88:89], v[88:89], v[84:85]
	v_div_scale_f64 v[84:85], vcc, v[80:81], v[86:87], v[80:81]
	v_mul_f64 v[90:91], v[84:85], v[88:89]
	v_fma_f64 v[82:83], -v[82:83], v[90:91], v[84:85]
	v_pk_mov_b32 v[84:85], v[30:31], v[30:31] op_sel:[0,1]
	s_nop 0
	v_div_fmas_f64 v[82:83], v[82:83], v[88:89], v[90:91]
	v_div_fixup_f64 v[80:81], v[82:83], v[86:87], v[80:81]
	v_mul_f64 v[82:83], v[80:81], v[80:81]
	v_fmac_f64_e32 v[84:85], s[40:41], v[82:83]
	v_pk_mov_b32 v[86:87], v[32:33], v[32:33] op_sel:[0,1]
	v_fmac_f64_e32 v[86:87], v[82:83], v[84:85]
	v_pk_mov_b32 v[84:85], v[34:35], v[34:35] op_sel:[0,1]
	;; [unrolled: 2-line block ×18, first 2 shown]
	v_fmac_f64_e32 v[84:85], v[82:83], v[86:87]
	v_cmp_gt_i32_e32 vcc, 0, v11
	v_mul_f64 v[82:83], v[82:83], v[84:85]
	v_cmp_class_f64_e64 s[66:67], v[10:11], s77
	v_cndmask_b32_e32 v10, v116, v117, vcc
	v_fmac_f64_e32 v[80:81], v[80:81], v[82:83]
	v_bfi_b32 v69, s76, v10, v13
	v_ashrrev_i32_e32 v10, 31, v11
	v_and_b32_e32 v82, 0x400921fb, v10
	v_and_b32_e32 v83, 0x54442d18, v10
	v_add_f64 v[10:11], -v[80:81], s[42:43]
	v_cndmask_b32_e64 v11, v81, v11, s[10:11]
	v_cndmask_b32_e64 v10, v80, v10, s[10:11]
	s_mov_b32 s44, s42
	v_add_f64 v[80:81], -v[10:11], s[44:45]
	v_cmp_class_f64_e64 s[64:65], v[12:13], s77
	v_cndmask_b32_e32 v1, v114, v115, vcc
	v_cndmask_b32_e32 v11, v11, v81, vcc
	;; [unrolled: 1-line block ×3, first 2 shown]
	v_cmp_eq_f64_e32 vcc, 0, v[12:13]
	v_cndmask_b32_e32 v10, v10, v83, vcc
	v_cndmask_b32_e32 v11, v11, v82, vcc
	s_and_b64 vcc, s[64:65], s[66:67]
	v_cndmask_b32_e32 v81, v11, v69, vcc
	v_cndmask_b32_e32 v80, v10, v1, vcc
                                        ; implicit-def: $vgpr86_vgpr87
                                        ; implicit-def: $vgpr82_vgpr83
.LBB198_21:                             ;   in Loop: Header=BB198_4 Depth=1
	s_andn2_saveexec_b64 s[64:65], s[12:13]
	s_cbranch_execz .LBB198_25
; %bb.22:                               ;   in Loop: Header=BB198_4 Depth=1
	v_and_b32_e32 v69, 0x7ffffff8, v87
	v_add_f64 v[78:79], v[86:87], -v[68:69]
	v_and_b32_e32 v95, -8, v79
	v_mov_b32_e32 v94, v68
	v_and_b32_e32 v85, 0x7ffffff8, v83
	v_mov_b32_e32 v84, v68
	v_add_f64 v[98:99], v[78:79], -v[94:95]
	v_add_f64 v[78:79], v[82:83], -v[84:85]
	v_and_b32_e32 v97, -8, v79
	v_mov_b32_e32 v96, v68
	v_add_f64 v[88:89], v[68:69], v[68:69]
	v_add_f64 v[102:103], v[84:85], v[84:85]
	v_add_f64 v[100:101], v[78:79], -v[96:97]
	v_mul_f64 v[80:81], v[84:85], v[84:85]
	v_mul_f64 v[86:87], v[88:89], v[94:95]
	;; [unrolled: 1-line block ×5, first 2 shown]
	v_add_f64 v[94:95], v[94:95], v[94:95]
	v_add_f64 v[96:97], v[96:97], v[96:97]
	v_mul_f64 v[78:79], v[68:69], v[68:69]
	v_mul_f64 v[90:91], v[88:89], v[98:99]
	;; [unrolled: 1-line block ×7, first 2 shown]
	s_mov_b64 s[66:67], 0
.LBB198_23:                             ;   Parent Loop BB198_4 Depth=1
                                        ; =>  This Inner Loop Header: Depth=2
	v_cmp_nlt_f64_e32 vcc, v[78:79], v[80:81]
	v_cndmask_b32_e32 v103, v79, v81, vcc
	v_cndmask_b32_e32 v102, v78, v80, vcc
	v_cmp_nlt_f64_e64 s[12:13], v[102:103], v[86:87]
	v_cndmask_b32_e64 v105, v103, v87, s[12:13]
	v_cndmask_b32_e64 v104, v102, v86, s[12:13]
	v_cndmask_b32_e32 v79, v81, v79, vcc
	v_cndmask_b32_e32 v78, v80, v78, vcc
	s_and_b64 s[68:69], vcc, s[12:13]
	v_cmp_nlt_f64_e32 vcc, v[104:105], v[84:85]
	v_cndmask_b32_e64 v81, v87, v103, s[12:13]
	v_cndmask_b32_e64 v80, v86, v102, s[12:13]
	v_cndmask_b32_e32 v103, v105, v85, vcc
	v_cndmask_b32_e32 v102, v104, v84, vcc
	v_cmp_nlt_f64_e64 s[12:13], v[102:103], v[92:93]
	v_cndmask_b32_e32 v87, v85, v105, vcc
	v_cndmask_b32_e32 v86, v84, v104, vcc
	v_cndmask_b32_e64 v105, v103, v93, s[12:13]
	v_cndmask_b32_e64 v104, v102, v92, s[12:13]
	s_and_b64 s[78:79], vcc, s[12:13]
	v_cmp_nlt_f64_e32 vcc, v[104:105], v[82:83]
	v_cndmask_b32_e64 v85, v93, v103, s[12:13]
	v_cndmask_b32_e64 v84, v92, v102, s[12:13]
	v_cndmask_b32_e32 v103, v105, v83, vcc
	v_cndmask_b32_e32 v102, v104, v82, vcc
	v_cmp_nlt_f64_e64 s[12:13], v[102:103], v[90:91]
	v_cndmask_b32_e32 v93, v83, v105, vcc
	v_cndmask_b32_e32 v92, v82, v104, vcc
	v_cndmask_b32_e64 v105, v103, v91, s[12:13]
	v_cndmask_b32_e64 v104, v102, v90, s[12:13]
	;; [unrolled: 1-line block ×4, first 2 shown]
	s_and_b64 s[12:13], vcc, s[12:13]
	v_cmp_nlt_f64_e32 vcc, v[104:105], v[88:89]
	v_cndmask_b32_e32 v103, v105, v89, vcc
	v_cndmask_b32_e32 v102, v104, v88, vcc
	v_cndmask_b32_e32 v91, v89, v105, vcc
	v_cndmask_b32_e32 v90, v88, v104, vcc
	s_and_b64 s[12:13], s[12:13], vcc
	v_cmp_nlt_f64_e32 vcc, v[102:103], v[94:95]
	v_cndmask_b32_e32 v105, v103, v95, vcc
	v_cndmask_b32_e32 v104, v102, v94, vcc
	v_cndmask_b32_e32 v89, v95, v103, vcc
	v_cndmask_b32_e32 v88, v94, v102, vcc
	s_and_b64 s[12:13], s[12:13], vcc
	;; [unrolled: 6-line block ×4, first 2 shown]
	v_cmp_nlt_f64_e32 vcc, v[104:105], v[100:101]
	s_and_b64 s[12:13], s[12:13], vcc
	s_and_b64 s[12:13], s[12:13], s[78:79]
	s_and_b64 s[12:13], s[12:13], s[68:69]
	v_cndmask_b32_e32 v103, v105, v101, vcc
	v_cndmask_b32_e32 v102, v104, v100, vcc
	s_and_b64 s[12:13], exec, s[12:13]
	v_cndmask_b32_e32 v99, v101, v105, vcc
	v_cndmask_b32_e32 v98, v100, v104, vcc
	s_or_b64 s[66:67], s[12:13], s[66:67]
	v_pk_mov_b32 v[100:101], v[102:103], v[102:103] op_sel:[0,1]
	s_andn2_b64 exec, exec, s[66:67]
	s_cbranch_execnz .LBB198_23
; %bb.24:                               ;   in Loop: Header=BB198_4 Depth=1
	s_or_b64 exec, exec, s[66:67]
	v_add_f64 v[78:79], v[78:79], -1.0
	v_add_f64 v[78:79], v[78:79], v[80:81]
	v_add_f64 v[78:79], v[78:79], v[86:87]
	;; [unrolled: 1-line block ×11, first 2 shown]
	v_add_f64 v[78:79], v[80:81], 1.0
	v_add_f64 v[82:83], v[78:79], -1.0
	v_add_f64 v[84:85], v[82:83], -v[78:79]
	v_add_f64 v[84:85], v[84:85], 1.0
	v_add_f64 v[82:83], v[80:81], -v[82:83]
	v_add_f64 v[82:83], v[82:83], v[84:85]
	v_frexp_mant_f64_e32 v[84:85], v[78:79]
	v_frexp_exp_i32_f64_e32 v1, v[78:79]
	v_cmp_gt_f64_e32 vcc, s[28:29], v[84:85]
	v_subbrev_co_u32_e32 v1, vcc, 0, v1, vcc
	v_sub_u32_e32 v69, 0, v1
	v_ldexp_f64 v[78:79], v[78:79], v69
	v_add_f64 v[84:85], v[78:79], -1.0
	v_add_f64 v[90:91], v[78:79], 1.0
	v_add_f64 v[86:87], v[84:85], 1.0
	v_add_f64 v[92:93], v[90:91], -1.0
	v_ldexp_f64 v[82:83], v[82:83], v69
	v_add_f64 v[86:87], v[78:79], -v[86:87]
	v_add_f64 v[78:79], v[78:79], -v[92:93]
	v_add_f64 v[78:79], v[82:83], v[78:79]
	v_add_f64 v[86:87], v[82:83], v[86:87]
	;; [unrolled: 1-line block ×3, first 2 shown]
	v_rcp_f64_e32 v[92:93], v[82:83]
	v_add_f64 v[88:89], v[84:85], v[86:87]
	v_add_f64 v[84:85], v[88:89], -v[84:85]
	v_add_f64 v[84:85], v[86:87], -v[84:85]
	;; [unrolled: 1-line block ×4, first 2 shown]
	v_fma_f64 v[86:87], -v[82:83], v[92:93], 1.0
	v_fmac_f64_e32 v[92:93], v[86:87], v[92:93]
	v_fma_f64 v[86:87], -v[82:83], v[92:93], 1.0
	v_fmac_f64_e32 v[92:93], v[86:87], v[92:93]
	v_mul_f64 v[86:87], v[88:89], v[92:93]
	v_mul_f64 v[90:91], v[82:83], v[86:87]
	v_fma_f64 v[94:95], v[86:87], v[82:83], -v[90:91]
	v_fmac_f64_e32 v[94:95], v[86:87], v[78:79]
	v_add_f64 v[96:97], v[90:91], v[94:95]
	v_add_f64 v[98:99], v[88:89], -v[96:97]
	v_add_f64 v[88:89], v[88:89], -v[98:99]
	;; [unrolled: 1-line block ×4, first 2 shown]
	v_add_f64 v[84:85], v[84:85], v[88:89]
	v_add_f64 v[88:89], v[90:91], -v[94:95]
	v_add_f64 v[84:85], v[88:89], v[84:85]
	v_add_f64 v[88:89], v[98:99], v[84:85]
	v_add_f64 v[90:91], v[98:99], -v[88:89]
	v_add_f64 v[84:85], v[84:85], v[90:91]
	v_mul_f64 v[90:91], v[92:93], v[88:89]
	v_mul_f64 v[94:95], v[82:83], v[90:91]
	v_fma_f64 v[82:83], v[90:91], v[82:83], -v[94:95]
	v_fmac_f64_e32 v[82:83], v[90:91], v[78:79]
	v_add_f64 v[78:79], v[94:95], v[82:83]
	v_add_f64 v[96:97], v[88:89], -v[78:79]
	v_add_f64 v[88:89], v[88:89], -v[96:97]
	;; [unrolled: 1-line block ×4, first 2 shown]
	v_add_f64 v[78:79], v[84:85], v[78:79]
	v_add_f64 v[82:83], v[94:95], -v[82:83]
	v_add_f64 v[78:79], v[82:83], v[78:79]
	v_add_f64 v[82:83], v[86:87], v[90:91]
	;; [unrolled: 1-line block ×3, first 2 shown]
	v_add_f64 v[84:85], v[82:83], -v[86:87]
	v_mul_f64 v[78:79], v[92:93], v[78:79]
	v_add_f64 v[84:85], v[90:91], -v[84:85]
	v_add_f64 v[78:79], v[84:85], v[78:79]
	v_add_f64 v[84:85], v[82:83], v[78:79]
	v_add_f64 v[82:83], v[84:85], -v[82:83]
	v_add_f64 v[78:79], v[78:79], -v[82:83]
	v_mul_f64 v[82:83], v[84:85], v[84:85]
	v_pk_mov_b32 v[86:87], v[18:19], v[18:19] op_sel:[0,1]
	v_fmac_f64_e32 v[86:87], s[30:31], v[82:83]
	v_pk_mov_b32 v[88:89], v[20:21], v[20:21] op_sel:[0,1]
	v_fmac_f64_e32 v[88:89], v[82:83], v[86:87]
	;; [unrolled: 2-line block ×6, first 2 shown]
	v_cvt_f64_i32_e32 v[86:87], v1
	v_mul_f64 v[90:91], v[86:87], s[34:35]
	v_fma_f64 v[92:93], v[86:87], s[34:35], -v[90:91]
	v_fmac_f64_e32 v[92:93], s[36:37], v[86:87]
	v_add_f64 v[86:87], v[90:91], v[92:93]
	v_add_f64 v[90:91], v[86:87], -v[90:91]
	v_mul_f64 v[82:83], v[84:85], v[82:83]
	v_add_f64 v[90:91], v[92:93], -v[90:91]
	v_ldexp_f64 v[92:93], v[84:85], 1
	v_mul_f64 v[82:83], v[82:83], v[88:89]
	v_add_f64 v[84:85], v[92:93], v[82:83]
	v_add_f64 v[88:89], v[84:85], -v[92:93]
	v_ldexp_f64 v[78:79], v[78:79], 1
	v_add_f64 v[82:83], v[82:83], -v[88:89]
	v_add_f64 v[78:79], v[78:79], v[82:83]
	v_add_f64 v[82:83], v[84:85], v[78:79]
	v_add_f64 v[84:85], v[82:83], -v[84:85]
	v_add_f64 v[78:79], v[78:79], -v[84:85]
	v_add_f64 v[84:85], v[86:87], v[82:83]
	v_add_f64 v[88:89], v[84:85], -v[86:87]
	v_add_f64 v[92:93], v[84:85], -v[88:89]
	;; [unrolled: 1-line block ×4, first 2 shown]
	v_add_f64 v[82:83], v[82:83], v[86:87]
	v_add_f64 v[86:87], v[90:91], v[78:79]
	v_add_f64 v[88:89], v[86:87], -v[90:91]
	v_add_f64 v[82:83], v[86:87], v[82:83]
	v_add_f64 v[92:93], v[86:87], -v[88:89]
	;; [unrolled: 2-line block ×3, first 2 shown]
	v_add_f64 v[78:79], v[78:79], -v[88:89]
	v_add_f64 v[84:85], v[86:87], -v[84:85]
	v_add_f64 v[78:79], v[78:79], v[90:91]
	v_add_f64 v[82:83], v[82:83], -v[84:85]
	v_add_f64 v[78:79], v[78:79], v[82:83]
	v_max_f64 v[82:83], |v[12:13]|, |v[12:13]|
	v_max_f64 v[84:85], |v[10:11]|, |v[10:11]|
	v_add_f64 v[78:79], v[86:87], v[78:79]
	v_max_f64 v[86:87], v[84:85], v[82:83]
	v_min_f64 v[82:83], v[84:85], v[82:83]
	v_div_scale_f64 v[84:85], s[12:13], v[86:87], v[86:87], v[82:83]
	v_cmp_eq_f64_e32 vcc, s[38:39], v[80:81]
	v_rcp_f64_e32 v[88:89], v[84:85]
	v_cndmask_b32_e32 v79, v79, v81, vcc
	v_cndmask_b32_e32 v78, v78, v80, vcc
	v_mul_f64 v[78:79], v[78:79], 0.5
	v_cmp_ngt_f64_e32 vcc, -1.0, v[80:81]
	v_cndmask_b32_e32 v1, v112, v79, vcc
	v_cmp_nge_f64_e32 vcc, -1.0, v[80:81]
	v_cndmask_b32_e32 v78, 0, v78, vcc
	v_cmp_neq_f64_e32 vcc, -1.0, v[80:81]
	v_fma_f64 v[80:81], -v[84:85], v[88:89], 1.0
	v_fmac_f64_e32 v[88:89], v[88:89], v[80:81]
	v_fma_f64 v[80:81], -v[84:85], v[88:89], 1.0
	v_cndmask_b32_e32 v79, v113, v1, vcc
	v_fmac_f64_e32 v[88:89], v[88:89], v[80:81]
	v_div_scale_f64 v[80:81], vcc, v[82:83], v[86:87], v[82:83]
	v_mul_f64 v[90:91], v[80:81], v[88:89]
	v_fma_f64 v[80:81], -v[84:85], v[90:91], v[80:81]
	v_pk_mov_b32 v[84:85], v[30:31], v[30:31] op_sel:[0,1]
	s_nop 0
	v_div_fmas_f64 v[80:81], v[80:81], v[88:89], v[90:91]
	v_div_fixup_f64 v[80:81], v[80:81], v[86:87], v[82:83]
	v_mul_f64 v[82:83], v[80:81], v[80:81]
	v_fmac_f64_e32 v[84:85], s[40:41], v[82:83]
	v_pk_mov_b32 v[86:87], v[32:33], v[32:33] op_sel:[0,1]
	v_fmac_f64_e32 v[86:87], v[82:83], v[84:85]
	v_pk_mov_b32 v[84:85], v[34:35], v[34:35] op_sel:[0,1]
	;; [unrolled: 2-line block ×18, first 2 shown]
	v_fmac_f64_e32 v[84:85], v[82:83], v[86:87]
	v_cmp_gt_i32_e32 vcc, 0, v11
	v_mul_f64 v[82:83], v[82:83], v[84:85]
	v_cmp_class_f64_e64 s[66:67], v[10:11], s77
	v_cndmask_b32_e32 v10, v116, v117, vcc
	v_fmac_f64_e32 v[80:81], v[80:81], v[82:83]
	v_bfi_b32 v69, s76, v10, v13
	v_ashrrev_i32_e32 v10, 31, v11
	v_and_b32_e32 v82, 0x400921fb, v10
	v_and_b32_e32 v83, 0x54442d18, v10
	v_add_f64 v[10:11], -v[80:81], s[42:43]
	v_cndmask_b32_e64 v11, v81, v11, s[10:11]
	v_cndmask_b32_e64 v10, v80, v10, s[10:11]
	s_mov_b32 s44, s42
	v_add_f64 v[80:81], -v[10:11], s[44:45]
	v_cmp_class_f64_e64 s[12:13], v[12:13], s77
	v_cndmask_b32_e32 v1, v114, v115, vcc
	v_cndmask_b32_e32 v11, v11, v81, vcc
	;; [unrolled: 1-line block ×3, first 2 shown]
	v_cmp_eq_f64_e32 vcc, 0, v[12:13]
	v_cndmask_b32_e32 v10, v10, v83, vcc
	v_cndmask_b32_e32 v11, v11, v82, vcc
	s_and_b64 vcc, s[12:13], s[66:67]
	v_cndmask_b32_e32 v81, v11, v69, vcc
	v_cndmask_b32_e32 v80, v10, v1, vcc
.LBB198_25:                             ;   in Loop: Header=BB198_4 Depth=1
	s_or_b64 exec, exec, s[64:65]
.LBB198_26:                             ;   in Loop: Header=BB198_4 Depth=1
	s_or_b64 exec, exec, s[62:63]
.LBB198_27:                             ;   in Loop: Header=BB198_4 Depth=1
	s_andn2_saveexec_b64 s[60:61], s[60:61]
	s_cbranch_execz .LBB198_29
; %bb.28:                               ;   in Loop: Header=BB198_4 Depth=1
	v_max_f64 v[78:79], |v[12:13]|, |v[12:13]|
	v_max_f64 v[80:81], |v[10:11]|, |v[10:11]|
	v_max_f64 v[82:83], v[80:81], v[78:79]
	v_frexp_exp_i32_f64_e32 v1, v[82:83]
	v_sub_u32_e32 v69, 0, v1
	v_ldexp_f64 v[86:87], |v[12:13]|, v69
	v_ldexp_f64 v[84:85], |v[10:11]|, v69
	v_mul_f64 v[86:87], v[86:87], v[86:87]
	v_fmac_f64_e32 v[86:87], v[84:85], v[84:85]
	v_rsq_f64_e32 v[84:85], v[86:87]
	v_cmp_eq_f64_e32 vcc, 0, v[86:87]
	v_cmp_class_f64_e64 s[62:63], v[10:11], s77
	v_cmp_class_f64_e64 s[64:65], v[12:13], s77
	v_mul_f64 v[88:89], v[86:87], v[84:85]
	v_mul_f64 v[84:85], v[84:85], 0.5
	v_fma_f64 v[90:91], -v[84:85], v[88:89], 0.5
	v_fmac_f64_e32 v[88:89], v[88:89], v[90:91]
	v_fmac_f64_e32 v[84:85], v[84:85], v[90:91]
	v_fma_f64 v[90:91], -v[88:89], v[88:89], v[86:87]
	v_fmac_f64_e32 v[88:89], v[90:91], v[84:85]
	v_cndmask_b32_e32 v85, v89, v87, vcc
	v_cndmask_b32_e32 v84, v88, v86, vcc
	v_ldexp_f64 v[84:85], v[84:85], v1
	s_or_b64 vcc, s[64:65], s[62:63]
	v_cndmask_b32_e32 v87, v85, v119, vcc
	v_cndmask_b32_e64 v86, v84, 0, vcc
	v_frexp_mant_f64_e32 v[88:89], v[86:87]
	v_cmp_gt_f64_e64 s[12:13], s[28:29], v[88:89]
	v_cndmask_b32_e64 v69, v118, 2.0, s[12:13]
	v_mul_f64 v[88:89], v[88:89], v[68:69]
	v_add_f64 v[90:91], v[88:89], 1.0
	v_rcp_f64_e32 v[92:93], v[90:91]
	v_add_f64 v[96:97], v[90:91], -1.0
	v_add_f64 v[94:95], v[88:89], -1.0
	v_add_f64 v[88:89], v[88:89], -v[96:97]
	v_fma_f64 v[96:97], -v[90:91], v[92:93], 1.0
	v_fmac_f64_e32 v[92:93], v[96:97], v[92:93]
	v_fma_f64 v[96:97], -v[90:91], v[92:93], 1.0
	v_fmac_f64_e32 v[92:93], v[96:97], v[92:93]
	v_mul_f64 v[96:97], v[94:95], v[92:93]
	v_mul_f64 v[98:99], v[90:91], v[96:97]
	v_fma_f64 v[90:91], v[96:97], v[90:91], -v[98:99]
	v_fmac_f64_e32 v[90:91], v[96:97], v[88:89]
	v_add_f64 v[88:89], v[98:99], v[90:91]
	v_add_f64 v[100:101], v[94:95], -v[88:89]
	v_add_f64 v[98:99], v[88:89], -v[98:99]
	;; [unrolled: 1-line block ×5, first 2 shown]
	v_add_f64 v[88:89], v[90:91], v[88:89]
	v_add_f64 v[88:89], v[100:101], v[88:89]
	v_mul_f64 v[88:89], v[92:93], v[88:89]
	v_add_f64 v[90:91], v[96:97], v[88:89]
	v_add_f64 v[92:93], v[90:91], -v[96:97]
	v_add_f64 v[88:89], v[88:89], -v[92:93]
	v_mul_f64 v[92:93], v[90:91], v[90:91]
	v_pk_mov_b32 v[94:95], v[18:19], v[18:19] op_sel:[0,1]
	v_fmac_f64_e32 v[94:95], s[30:31], v[92:93]
	v_pk_mov_b32 v[96:97], v[20:21], v[20:21] op_sel:[0,1]
	v_fmac_f64_e32 v[96:97], v[92:93], v[94:95]
	;; [unrolled: 2-line block ×6, first 2 shown]
	v_ldexp_f64 v[94:95], v[90:91], 1
	v_mul_f64 v[90:91], v[90:91], v[92:93]
	v_mul_f64 v[90:91], v[90:91], v[96:97]
	v_add_f64 v[92:93], v[94:95], v[90:91]
	v_add_f64 v[94:95], v[92:93], -v[94:95]
	v_ldexp_f64 v[88:89], v[88:89], 1
	v_add_f64 v[90:91], v[90:91], -v[94:95]
	v_add_f64 v[88:89], v[88:89], v[90:91]
	v_frexp_exp_i32_f64_e32 v1, v[86:87]
	v_add_f64 v[90:91], v[92:93], v[88:89]
	v_subbrev_co_u32_e64 v1, s[12:13], 0, v1, s[12:13]
	v_add_f64 v[92:93], v[90:91], -v[92:93]
	v_add_f64 v[88:89], v[88:89], -v[92:93]
	v_cvt_f64_i32_e32 v[92:93], v1
	v_mul_f64 v[94:95], v[92:93], s[34:35]
	v_fma_f64 v[96:97], v[92:93], s[34:35], -v[94:95]
	v_fmac_f64_e32 v[96:97], s[36:37], v[92:93]
	v_add_f64 v[92:93], v[94:95], v[96:97]
	v_add_f64 v[94:95], v[92:93], -v[94:95]
	v_add_f64 v[94:95], v[96:97], -v[94:95]
	v_add_f64 v[96:97], v[92:93], v[90:91]
	v_add_f64 v[98:99], v[96:97], -v[92:93]
	v_add_f64 v[100:101], v[96:97], -v[98:99]
	;; [unrolled: 1-line block ×4, first 2 shown]
	v_add_f64 v[90:91], v[90:91], v[92:93]
	v_add_f64 v[92:93], v[94:95], v[88:89]
	v_add_f64 v[98:99], v[92:93], -v[94:95]
	v_add_f64 v[100:101], v[92:93], -v[98:99]
	v_add_f64 v[90:91], v[92:93], v[90:91]
	v_add_f64 v[94:95], v[94:95], -v[100:101]
	v_add_f64 v[88:89], v[88:89], -v[98:99]
	v_add_f64 v[92:93], v[96:97], v[90:91]
	v_add_f64 v[88:89], v[88:89], v[94:95]
	v_add_f64 v[94:95], v[92:93], -v[96:97]
	v_add_f64 v[90:91], v[90:91], -v[94:95]
	v_add_f64 v[88:89], v[88:89], v[90:91]
	v_add_f64 v[88:89], v[92:93], v[88:89]
	v_cmp_class_f64_e64 s[12:13], v[84:85], s77
	v_min_f64 v[80:81], v[80:81], v[78:79]
	v_cndmask_b32_e64 v1, v89, v85, s[12:13]
	v_cndmask_b32_e64 v10, v88, v84, s[12:13]
	v_div_scale_f64 v[84:85], s[12:13], v[82:83], v[82:83], v[80:81]
	v_rcp_f64_e32 v[88:89], v[84:85]
	v_cndmask_b32_e64 v10, v10, 0, vcc
	v_cndmask_b32_e32 v1, v1, v119, vcc
	v_cmp_ngt_f64_e32 vcc, 0, v[86:87]
	v_cndmask_b32_e32 v1, v112, v1, vcc
	v_cmp_nge_f64_e32 vcc, 0, v[86:87]
	v_cndmask_b32_e32 v78, 0, v10, vcc
	v_cmp_neq_f64_e32 vcc, 0, v[86:87]
	v_fma_f64 v[86:87], -v[84:85], v[88:89], 1.0
	v_fmac_f64_e32 v[88:89], v[88:89], v[86:87]
	v_fma_f64 v[86:87], -v[84:85], v[88:89], 1.0
	v_cndmask_b32_e32 v79, v113, v1, vcc
	v_fmac_f64_e32 v[88:89], v[88:89], v[86:87]
	v_div_scale_f64 v[86:87], vcc, v[80:81], v[82:83], v[80:81]
	v_mul_f64 v[90:91], v[86:87], v[88:89]
	v_fma_f64 v[84:85], -v[84:85], v[90:91], v[86:87]
	v_pk_mov_b32 v[86:87], v[32:33], v[32:33] op_sel:[0,1]
	s_nop 0
	v_div_fmas_f64 v[84:85], v[84:85], v[88:89], v[90:91]
	v_div_fixup_f64 v[80:81], v[84:85], v[82:83], v[80:81]
	v_mul_f64 v[82:83], v[80:81], v[80:81]
	v_pk_mov_b32 v[84:85], v[30:31], v[30:31] op_sel:[0,1]
	v_fmac_f64_e32 v[84:85], s[40:41], v[82:83]
	v_fmac_f64_e32 v[86:87], v[82:83], v[84:85]
	v_pk_mov_b32 v[84:85], v[34:35], v[34:35] op_sel:[0,1]
	v_fmac_f64_e32 v[84:85], v[82:83], v[86:87]
	v_pk_mov_b32 v[86:87], v[36:37], v[36:37] op_sel:[0,1]
	;; [unrolled: 2-line block ×17, first 2 shown]
	v_fmac_f64_e32 v[84:85], v[82:83], v[86:87]
	v_cmp_gt_i32_e32 vcc, 0, v11
	v_mul_f64 v[82:83], v[82:83], v[84:85]
	v_cndmask_b32_e32 v10, v116, v117, vcc
	v_fmac_f64_e32 v[80:81], v[80:81], v[82:83]
	v_bfi_b32 v69, s76, v10, v13
	v_ashrrev_i32_e32 v10, 31, v11
	v_and_b32_e32 v82, 0x400921fb, v10
	v_and_b32_e32 v83, 0x54442d18, v10
	v_add_f64 v[10:11], -v[80:81], s[42:43]
	v_cndmask_b32_e64 v11, v81, v11, s[10:11]
	v_cndmask_b32_e64 v10, v80, v10, s[10:11]
	s_mov_b32 s44, s42
	v_add_f64 v[80:81], -v[10:11], s[44:45]
	v_cndmask_b32_e32 v1, v114, v115, vcc
	v_cndmask_b32_e32 v11, v11, v81, vcc
	;; [unrolled: 1-line block ×3, first 2 shown]
	v_cmp_eq_f64_e32 vcc, 0, v[12:13]
	v_cndmask_b32_e32 v10, v10, v83, vcc
	v_cndmask_b32_e32 v11, v11, v82, vcc
	s_and_b64 vcc, s[64:65], s[62:63]
	v_cndmask_b32_e32 v81, v11, v69, vcc
	v_cndmask_b32_e32 v80, v10, v1, vcc
.LBB198_29:                             ;   in Loop: Header=BB198_4 Depth=1
	s_or_b64 exec, exec, s[60:61]
                                        ; implicit-def: $vgpr82_vgpr83
.LBB198_30:                             ;   in Loop: Header=BB198_4 Depth=1
	s_andn2_saveexec_b64 s[12:13], s[58:59]
	s_cbranch_execz .LBB198_36
; %bb.31:                               ;   in Loop: Header=BB198_4 Depth=1
	v_cmp_ngt_f64_e32 vcc, s[48:49], v[82:83]
                                        ; implicit-def: $vgpr78_vgpr79
                                        ; implicit-def: $vgpr80_vgpr81
	s_and_saveexec_b64 s[58:59], vcc
	s_xor_b64 s[58:59], exec, s[58:59]
	s_cbranch_execz .LBB198_33
; %bb.32:                               ;   in Loop: Header=BB198_4 Depth=1
	v_mul_f64 v[78:79], v[82:83], v[82:83]
	v_add_f64 v[80:81], v[78:79], 1.0
	v_add_f64 v[82:83], v[80:81], -1.0
	v_add_f64 v[84:85], v[82:83], -v[80:81]
	v_add_f64 v[84:85], v[84:85], 1.0
	v_add_f64 v[82:83], v[78:79], -v[82:83]
	v_add_f64 v[82:83], v[82:83], v[84:85]
	v_frexp_mant_f64_e32 v[84:85], v[80:81]
	v_frexp_exp_i32_f64_e32 v1, v[80:81]
	v_cmp_gt_f64_e32 vcc, s[28:29], v[84:85]
	v_subbrev_co_u32_e32 v1, vcc, 0, v1, vcc
	v_sub_u32_e32 v69, 0, v1
	v_ldexp_f64 v[80:81], v[80:81], v69
	v_add_f64 v[84:85], v[80:81], -1.0
	v_add_f64 v[90:91], v[80:81], 1.0
	v_add_f64 v[86:87], v[84:85], 1.0
	v_add_f64 v[92:93], v[90:91], -1.0
	v_ldexp_f64 v[82:83], v[82:83], v69
	v_add_f64 v[86:87], v[80:81], -v[86:87]
	v_add_f64 v[80:81], v[80:81], -v[92:93]
	v_add_f64 v[80:81], v[82:83], v[80:81]
	v_add_f64 v[86:87], v[82:83], v[86:87]
	v_add_f64 v[82:83], v[90:91], v[80:81]
	v_rcp_f64_e32 v[92:93], v[82:83]
	v_add_f64 v[88:89], v[84:85], v[86:87]
	v_add_f64 v[84:85], v[84:85], -v[88:89]
	v_add_f64 v[84:85], v[86:87], v[84:85]
	v_add_f64 v[86:87], v[90:91], -v[82:83]
	v_add_f64 v[80:81], v[80:81], v[86:87]
	v_fma_f64 v[86:87], -v[82:83], v[92:93], 1.0
	v_fmac_f64_e32 v[92:93], v[86:87], v[92:93]
	v_fma_f64 v[86:87], -v[82:83], v[92:93], 1.0
	v_fmac_f64_e32 v[92:93], v[86:87], v[92:93]
	v_mul_f64 v[86:87], v[88:89], v[92:93]
	v_mul_f64 v[90:91], v[82:83], v[86:87]
	v_fma_f64 v[94:95], v[86:87], v[82:83], -v[90:91]
	v_fmac_f64_e32 v[94:95], v[86:87], v[80:81]
	v_add_f64 v[96:97], v[90:91], v[94:95]
	v_add_f64 v[98:99], v[88:89], -v[96:97]
	v_add_f64 v[88:89], v[88:89], -v[98:99]
	;; [unrolled: 1-line block ×4, first 2 shown]
	v_add_f64 v[84:85], v[84:85], v[88:89]
	v_add_f64 v[88:89], v[90:91], -v[94:95]
	v_add_f64 v[84:85], v[88:89], v[84:85]
	v_add_f64 v[88:89], v[98:99], v[84:85]
	v_add_f64 v[90:91], v[98:99], -v[88:89]
	v_add_f64 v[84:85], v[84:85], v[90:91]
	v_mul_f64 v[90:91], v[92:93], v[88:89]
	v_mul_f64 v[94:95], v[82:83], v[90:91]
	v_fma_f64 v[82:83], v[90:91], v[82:83], -v[94:95]
	v_fmac_f64_e32 v[82:83], v[90:91], v[80:81]
	v_add_f64 v[80:81], v[94:95], v[82:83]
	v_add_f64 v[96:97], v[88:89], -v[80:81]
	v_add_f64 v[88:89], v[88:89], -v[96:97]
	v_add_f64 v[94:95], v[80:81], -v[94:95]
	v_add_f64 v[80:81], v[88:89], -v[80:81]
	v_add_f64 v[80:81], v[84:85], v[80:81]
	v_add_f64 v[82:83], v[94:95], -v[82:83]
	v_add_f64 v[80:81], v[82:83], v[80:81]
	v_add_f64 v[82:83], v[86:87], v[90:91]
	v_add_f64 v[80:81], v[96:97], v[80:81]
	v_add_f64 v[84:85], v[82:83], -v[86:87]
	v_mul_f64 v[80:81], v[92:93], v[80:81]
	v_add_f64 v[84:85], v[90:91], -v[84:85]
	v_add_f64 v[80:81], v[84:85], v[80:81]
	v_add_f64 v[84:85], v[82:83], v[80:81]
	v_add_f64 v[82:83], v[84:85], -v[82:83]
	v_add_f64 v[80:81], v[80:81], -v[82:83]
	v_mul_f64 v[82:83], v[84:85], v[84:85]
	v_pk_mov_b32 v[86:87], v[18:19], v[18:19] op_sel:[0,1]
	v_fmac_f64_e32 v[86:87], s[30:31], v[82:83]
	v_pk_mov_b32 v[88:89], v[20:21], v[20:21] op_sel:[0,1]
	v_fmac_f64_e32 v[88:89], v[82:83], v[86:87]
	;; [unrolled: 2-line block ×6, first 2 shown]
	v_cvt_f64_i32_e32 v[86:87], v1
	v_mul_f64 v[90:91], v[86:87], s[34:35]
	v_fma_f64 v[92:93], v[86:87], s[34:35], -v[90:91]
	v_fmac_f64_e32 v[92:93], s[36:37], v[86:87]
	v_add_f64 v[86:87], v[90:91], v[92:93]
	v_add_f64 v[90:91], v[86:87], -v[90:91]
	v_mul_f64 v[82:83], v[84:85], v[82:83]
	v_add_f64 v[90:91], v[92:93], -v[90:91]
	v_ldexp_f64 v[92:93], v[84:85], 1
	v_mul_f64 v[82:83], v[82:83], v[88:89]
	v_add_f64 v[84:85], v[92:93], v[82:83]
	v_add_f64 v[88:89], v[84:85], -v[92:93]
	v_ldexp_f64 v[80:81], v[80:81], 1
	v_add_f64 v[82:83], v[82:83], -v[88:89]
	v_add_f64 v[80:81], v[80:81], v[82:83]
	v_add_f64 v[82:83], v[84:85], v[80:81]
	v_add_f64 v[84:85], v[82:83], -v[84:85]
	v_add_f64 v[80:81], v[80:81], -v[84:85]
	v_add_f64 v[84:85], v[86:87], v[82:83]
	v_add_f64 v[88:89], v[84:85], -v[86:87]
	v_add_f64 v[92:93], v[84:85], -v[88:89]
	;; [unrolled: 1-line block ×4, first 2 shown]
	v_add_f64 v[82:83], v[82:83], v[86:87]
	v_add_f64 v[86:87], v[90:91], v[80:81]
	v_add_f64 v[88:89], v[86:87], -v[90:91]
	v_add_f64 v[82:83], v[86:87], v[82:83]
	v_add_f64 v[92:93], v[86:87], -v[88:89]
	;; [unrolled: 2-line block ×3, first 2 shown]
	v_add_f64 v[80:81], v[80:81], -v[88:89]
	v_add_f64 v[84:85], v[86:87], -v[84:85]
	v_add_f64 v[80:81], v[80:81], v[90:91]
	v_add_f64 v[82:83], v[82:83], -v[84:85]
	v_add_f64 v[80:81], v[80:81], v[82:83]
	v_max_f64 v[82:83], |v[12:13]|, |v[12:13]|
	v_max_f64 v[84:85], |v[10:11]|, |v[10:11]|
	v_add_f64 v[80:81], v[86:87], v[80:81]
	v_max_f64 v[86:87], v[84:85], v[82:83]
	v_min_f64 v[82:83], v[84:85], v[82:83]
	v_div_scale_f64 v[84:85], s[60:61], v[86:87], v[86:87], v[82:83]
	v_rcp_f64_e32 v[88:89], v[84:85]
	v_cmp_eq_f64_e32 vcc, s[38:39], v[78:79]
	v_cndmask_b32_e32 v79, v81, v79, vcc
	v_cndmask_b32_e32 v78, v80, v78, vcc
	v_fma_f64 v[80:81], -v[84:85], v[88:89], 1.0
	v_fmac_f64_e32 v[88:89], v[88:89], v[80:81]
	v_fma_f64 v[80:81], -v[84:85], v[88:89], 1.0
	v_fmac_f64_e32 v[88:89], v[88:89], v[80:81]
	v_div_scale_f64 v[80:81], vcc, v[82:83], v[86:87], v[82:83]
	v_mul_f64 v[90:91], v[80:81], v[88:89]
	v_fma_f64 v[80:81], -v[84:85], v[90:91], v[80:81]
	v_pk_mov_b32 v[84:85], v[30:31], v[30:31] op_sel:[0,1]
	s_nop 0
	v_div_fmas_f64 v[80:81], v[80:81], v[88:89], v[90:91]
	v_div_fixup_f64 v[80:81], v[80:81], v[86:87], v[82:83]
	v_mul_f64 v[82:83], v[80:81], v[80:81]
	v_fmac_f64_e32 v[84:85], s[40:41], v[82:83]
	v_pk_mov_b32 v[86:87], v[32:33], v[32:33] op_sel:[0,1]
	v_fmac_f64_e32 v[86:87], v[82:83], v[84:85]
	v_pk_mov_b32 v[84:85], v[34:35], v[34:35] op_sel:[0,1]
	;; [unrolled: 2-line block ×18, first 2 shown]
	v_fmac_f64_e32 v[84:85], v[82:83], v[86:87]
	v_cmp_gt_i32_e32 vcc, 0, v11
	v_mul_f64 v[82:83], v[82:83], v[84:85]
	v_cmp_class_f64_e64 s[62:63], v[10:11], s77
	v_cndmask_b32_e32 v10, v116, v117, vcc
	v_fmac_f64_e32 v[80:81], v[80:81], v[82:83]
	v_bfi_b32 v69, s76, v10, v13
	v_ashrrev_i32_e32 v10, 31, v11
	v_and_b32_e32 v82, 0x400921fb, v10
	v_and_b32_e32 v83, 0x54442d18, v10
	v_add_f64 v[10:11], -v[80:81], s[42:43]
	v_cndmask_b32_e64 v11, v81, v11, s[10:11]
	v_cndmask_b32_e64 v10, v80, v10, s[10:11]
	s_mov_b32 s44, s42
	v_add_f64 v[80:81], -v[10:11], s[44:45]
	v_cmp_class_f64_e64 s[60:61], v[12:13], s77
	v_cndmask_b32_e32 v1, v114, v115, vcc
	v_cndmask_b32_e32 v11, v11, v81, vcc
	v_cndmask_b32_e32 v10, v10, v80, vcc
	v_cmp_eq_f64_e32 vcc, 0, v[12:13]
	v_cndmask_b32_e32 v10, v10, v83, vcc
	v_cndmask_b32_e32 v11, v11, v82, vcc
	s_and_b64 vcc, s[60:61], s[62:63]
	v_mul_f64 v[78:79], v[78:79], 0.5
	v_cndmask_b32_e32 v81, v11, v69, vcc
	v_cndmask_b32_e32 v80, v10, v1, vcc
                                        ; implicit-def: $vgpr82_vgpr83
.LBB198_33:                             ;   in Loop: Header=BB198_4 Depth=1
	s_andn2_saveexec_b64 s[58:59], s[58:59]
	s_cbranch_execz .LBB198_35
; %bb.34:                               ;   in Loop: Header=BB198_4 Depth=1
	v_max_f64 v[78:79], |v[12:13]|, |v[12:13]|
	v_max_f64 v[80:81], |v[10:11]|, |v[10:11]|
	v_max_f64 v[84:85], v[80:81], v[78:79]
	v_min_f64 v[80:81], v[80:81], v[78:79]
	v_div_scale_f64 v[86:87], s[60:61], v[84:85], v[84:85], v[80:81]
	v_rcp_f64_e32 v[88:89], v[86:87]
	v_mul_f64 v[78:79], v[82:83], 0.5
	v_mul_f64 v[78:79], v[82:83], v[78:79]
	v_cmp_class_f64_e64 s[62:63], v[10:11], s77
	v_fma_f64 v[82:83], -v[86:87], v[88:89], 1.0
	v_fmac_f64_e32 v[88:89], v[88:89], v[82:83]
	v_fma_f64 v[82:83], -v[86:87], v[88:89], 1.0
	v_fmac_f64_e32 v[88:89], v[88:89], v[82:83]
	v_div_scale_f64 v[82:83], vcc, v[80:81], v[84:85], v[80:81]
	v_mul_f64 v[90:91], v[82:83], v[88:89]
	v_fma_f64 v[82:83], -v[86:87], v[90:91], v[82:83]
	v_pk_mov_b32 v[86:87], v[32:33], v[32:33] op_sel:[0,1]
	s_nop 0
	v_div_fmas_f64 v[82:83], v[82:83], v[88:89], v[90:91]
	v_div_fixup_f64 v[80:81], v[82:83], v[84:85], v[80:81]
	v_mul_f64 v[82:83], v[80:81], v[80:81]
	v_pk_mov_b32 v[84:85], v[30:31], v[30:31] op_sel:[0,1]
	v_fmac_f64_e32 v[84:85], s[40:41], v[82:83]
	v_fmac_f64_e32 v[86:87], v[82:83], v[84:85]
	v_pk_mov_b32 v[84:85], v[34:35], v[34:35] op_sel:[0,1]
	v_fmac_f64_e32 v[84:85], v[82:83], v[86:87]
	v_pk_mov_b32 v[86:87], v[36:37], v[36:37] op_sel:[0,1]
	;; [unrolled: 2-line block ×17, first 2 shown]
	v_fmac_f64_e32 v[84:85], v[82:83], v[86:87]
	v_cmp_gt_i32_e32 vcc, 0, v11
	v_mul_f64 v[82:83], v[82:83], v[84:85]
	v_cndmask_b32_e32 v10, v116, v117, vcc
	v_fmac_f64_e32 v[80:81], v[80:81], v[82:83]
	v_bfi_b32 v69, s76, v10, v13
	v_ashrrev_i32_e32 v10, 31, v11
	v_and_b32_e32 v82, 0x400921fb, v10
	v_and_b32_e32 v83, 0x54442d18, v10
	v_add_f64 v[10:11], -v[80:81], s[42:43]
	v_cndmask_b32_e64 v11, v81, v11, s[10:11]
	v_cndmask_b32_e64 v10, v80, v10, s[10:11]
	s_mov_b32 s44, s42
	v_add_f64 v[80:81], -v[10:11], s[44:45]
	v_cmp_class_f64_e64 s[60:61], v[12:13], s77
	v_cndmask_b32_e32 v1, v114, v115, vcc
	v_cndmask_b32_e32 v11, v11, v81, vcc
	;; [unrolled: 1-line block ×3, first 2 shown]
	v_cmp_eq_f64_e32 vcc, 0, v[12:13]
	v_cndmask_b32_e32 v10, v10, v83, vcc
	v_cndmask_b32_e32 v11, v11, v82, vcc
	s_and_b64 vcc, s[60:61], s[62:63]
	v_cndmask_b32_e32 v81, v11, v69, vcc
	v_cndmask_b32_e32 v80, v10, v1, vcc
.LBB198_35:                             ;   in Loop: Header=BB198_4 Depth=1
	s_or_b64 exec, exec, s[58:59]
.LBB198_36:                             ;   in Loop: Header=BB198_4 Depth=1
	s_or_b64 exec, exec, s[12:13]
.LBB198_37:                             ;   in Loop: Header=BB198_4 Depth=1
	s_andn2_saveexec_b64 s[58:59], s[14:15]
	s_cbranch_execz .LBB198_39
; %bb.38:                               ;   in Loop: Header=BB198_4 Depth=1
	v_div_scale_f64 v[78:79], s[12:13], s[50:51], s[50:51], v[10:11]
	v_rcp_f64_e32 v[80:81], v[78:79]
	v_div_scale_f64 v[82:83], vcc, v[10:11], s[50:51], v[10:11]
	s_mov_b32 s44, s42
	v_fma_f64 v[84:85], -v[78:79], v[80:81], 1.0
	v_fmac_f64_e32 v[80:81], v[80:81], v[84:85]
	v_fma_f64 v[84:85], -v[78:79], v[80:81], 1.0
	v_fmac_f64_e32 v[80:81], v[80:81], v[84:85]
	v_mul_f64 v[84:85], v[82:83], v[80:81]
	v_fma_f64 v[78:79], -v[78:79], v[84:85], v[82:83]
	v_div_scale_f64 v[82:83], s[12:13], s[50:51], s[50:51], v[12:13]
	v_rcp_f64_e32 v[86:87], v[82:83]
	v_div_fmas_f64 v[78:79], v[78:79], v[80:81], v[84:85]
	v_div_fixup_f64 v[78:79], v[78:79], s[50:51], v[10:11]
	v_cmp_class_f64_e64 s[14:15], v[78:79], s77
	v_fma_f64 v[80:81], -v[82:83], v[86:87], 1.0
	v_fmac_f64_e32 v[86:87], v[86:87], v[80:81]
	v_fma_f64 v[80:81], -v[82:83], v[86:87], 1.0
	v_fmac_f64_e32 v[86:87], v[86:87], v[80:81]
	v_div_scale_f64 v[80:81], vcc, v[12:13], s[50:51], v[12:13]
	v_mul_f64 v[84:85], v[80:81], v[86:87]
	v_fma_f64 v[80:81], -v[82:83], v[84:85], v[80:81]
	s_nop 1
	v_div_fmas_f64 v[80:81], v[80:81], v[86:87], v[84:85]
	v_div_fixup_f64 v[80:81], v[80:81], s[50:51], v[12:13]
	v_max_f64 v[82:83], |v[78:79]|, |v[80:81]|
	v_frexp_exp_i32_f64_e32 v1, v[82:83]
	v_sub_u32_e32 v69, 0, v1
	v_ldexp_f64 v[84:85], |v[80:81]|, v69
	v_ldexp_f64 v[82:83], |v[78:79]|, v69
	v_mul_f64 v[84:85], v[84:85], v[84:85]
	v_fmac_f64_e32 v[84:85], v[82:83], v[82:83]
	v_rsq_f64_e32 v[82:83], v[84:85]
	v_cmp_eq_f64_e32 vcc, 0, v[84:85]
	v_cmp_o_f64_e64 s[12:13], v[78:79], v[80:81]
	v_cmp_class_f64_e64 s[60:61], v[80:81], s77
	v_mul_f64 v[86:87], v[84:85], v[82:83]
	v_mul_f64 v[82:83], v[82:83], 0.5
	v_fma_f64 v[88:89], -v[82:83], v[86:87], 0.5
	v_fmac_f64_e32 v[86:87], v[86:87], v[88:89]
	v_fmac_f64_e32 v[82:83], v[82:83], v[88:89]
	v_fma_f64 v[88:89], -v[86:87], v[86:87], v[84:85]
	v_fmac_f64_e32 v[86:87], v[88:89], v[82:83]
	v_cndmask_b32_e32 v83, v87, v85, vcc
	v_cndmask_b32_e32 v82, v86, v84, vcc
	v_ldexp_f64 v[82:83], v[82:83], v1
	v_cndmask_b32_e64 v1, 0, v82, s[12:13]
	v_cndmask_b32_e64 v96, v112, v83, s[12:13]
	s_or_b64 vcc, s[60:61], s[14:15]
	v_cndmask_b32_e32 v81, v96, v119, vcc
	v_cndmask_b32_e64 v80, v1, 0, vcc
	v_frexp_mant_f64_e32 v[78:79], v[80:81]
	v_cmp_gt_f64_e64 s[14:15], s[28:29], v[78:79]
	v_cndmask_b32_e64 v69, v118, 2.0, s[14:15]
	v_frexp_exp_i32_f64_e32 v84, v[80:81]
	v_mul_f64 v[78:79], v[78:79], v[68:69]
	v_subbrev_co_u32_e64 v69, s[14:15], 0, v84, s[14:15]
	v_add_f64 v[84:85], v[78:79], 1.0
	v_rcp_f64_e32 v[86:87], v[84:85]
	v_add_f64 v[90:91], v[84:85], -1.0
	v_add_f64 v[88:89], v[78:79], -1.0
	v_add_f64 v[78:79], v[78:79], -v[90:91]
	v_fma_f64 v[90:91], -v[84:85], v[86:87], 1.0
	v_fmac_f64_e32 v[86:87], v[90:91], v[86:87]
	v_fma_f64 v[90:91], -v[84:85], v[86:87], 1.0
	v_fmac_f64_e32 v[86:87], v[90:91], v[86:87]
	v_mul_f64 v[90:91], v[88:89], v[86:87]
	v_mul_f64 v[92:93], v[84:85], v[90:91]
	v_fma_f64 v[84:85], v[90:91], v[84:85], -v[92:93]
	v_fmac_f64_e32 v[84:85], v[90:91], v[78:79]
	v_add_f64 v[78:79], v[92:93], v[84:85]
	v_add_f64 v[94:95], v[88:89], -v[78:79]
	v_add_f64 v[92:93], v[78:79], -v[92:93]
	;; [unrolled: 1-line block ×5, first 2 shown]
	v_add_f64 v[78:79], v[84:85], v[78:79]
	v_add_f64 v[78:79], v[94:95], v[78:79]
	v_mul_f64 v[78:79], v[86:87], v[78:79]
	v_add_f64 v[84:85], v[90:91], v[78:79]
	v_add_f64 v[86:87], v[84:85], -v[90:91]
	v_add_f64 v[78:79], v[78:79], -v[86:87]
	v_mul_f64 v[86:87], v[84:85], v[84:85]
	v_pk_mov_b32 v[88:89], v[18:19], v[18:19] op_sel:[0,1]
	v_fmac_f64_e32 v[88:89], s[30:31], v[86:87]
	v_pk_mov_b32 v[90:91], v[20:21], v[20:21] op_sel:[0,1]
	v_fmac_f64_e32 v[90:91], v[86:87], v[88:89]
	;; [unrolled: 2-line block ×6, first 2 shown]
	v_ldexp_f64 v[88:89], v[84:85], 1
	v_mul_f64 v[84:85], v[84:85], v[86:87]
	v_mul_f64 v[84:85], v[84:85], v[90:91]
	v_add_f64 v[86:87], v[88:89], v[84:85]
	v_add_f64 v[88:89], v[86:87], -v[88:89]
	v_ldexp_f64 v[78:79], v[78:79], 1
	v_add_f64 v[84:85], v[84:85], -v[88:89]
	v_add_f64 v[78:79], v[78:79], v[84:85]
	v_add_f64 v[84:85], v[86:87], v[78:79]
	v_add_f64 v[86:87], v[84:85], -v[86:87]
	v_add_f64 v[78:79], v[78:79], -v[86:87]
	v_cvt_f64_i32_e32 v[86:87], v69
	v_mul_f64 v[88:89], v[86:87], s[34:35]
	v_fma_f64 v[90:91], v[86:87], s[34:35], -v[88:89]
	v_fmac_f64_e32 v[90:91], s[36:37], v[86:87]
	v_add_f64 v[86:87], v[88:89], v[90:91]
	v_add_f64 v[88:89], v[86:87], -v[88:89]
	v_add_f64 v[88:89], v[90:91], -v[88:89]
	v_add_f64 v[90:91], v[86:87], v[84:85]
	v_add_f64 v[92:93], v[90:91], -v[86:87]
	v_add_f64 v[94:95], v[90:91], -v[92:93]
	;; [unrolled: 1-line block ×4, first 2 shown]
	v_add_f64 v[84:85], v[84:85], v[86:87]
	v_add_f64 v[86:87], v[88:89], v[78:79]
	v_add_f64 v[92:93], v[86:87], -v[88:89]
	v_add_f64 v[94:95], v[86:87], -v[92:93]
	v_add_f64 v[84:85], v[86:87], v[84:85]
	v_add_f64 v[88:89], v[88:89], -v[94:95]
	v_add_f64 v[78:79], v[78:79], -v[92:93]
	v_add_f64 v[86:87], v[90:91], v[84:85]
	v_add_f64 v[78:79], v[78:79], v[88:89]
	v_add_f64 v[88:89], v[86:87], -v[90:91]
	v_add_f64 v[84:85], v[84:85], -v[88:89]
	v_and_b32_e32 v83, 0x7fffffff, v83
	v_add_f64 v[78:79], v[78:79], v[84:85]
	v_cmp_eq_f64_e64 s[14:15], s[38:39], v[82:83]
	v_add_f64 v[78:79], v[86:87], v[78:79]
	s_and_b64 s[12:13], s[12:13], s[14:15]
	v_cndmask_b32_e64 v79, v79, v96, s[12:13]
	v_cndmask_b32_e64 v78, v78, v1, s[12:13]
	v_add_f64 v[78:79], v[78:79], 1.0
	v_cndmask_b32_e64 v1, v78, 0, vcc
	v_cndmask_b32_e32 v69, v79, v119, vcc
	v_max_f64 v[78:79], |v[12:13]|, |v[12:13]|
	v_max_f64 v[82:83], |v[10:11]|, |v[10:11]|
	v_max_f64 v[84:85], v[82:83], v[78:79]
	v_min_f64 v[82:83], v[82:83], v[78:79]
	v_div_scale_f64 v[86:87], s[12:13], v[84:85], v[84:85], v[82:83]
	v_rcp_f64_e32 v[88:89], v[86:87]
	v_cmp_ngt_f64_e32 vcc, 0, v[80:81]
	v_cndmask_b32_e32 v69, v112, v69, vcc
	v_cmp_nge_f64_e32 vcc, 0, v[80:81]
	v_cndmask_b32_e32 v78, 0, v1, vcc
	v_cmp_neq_f64_e32 vcc, 0, v[80:81]
	v_fma_f64 v[80:81], -v[86:87], v[88:89], 1.0
	v_fmac_f64_e32 v[88:89], v[88:89], v[80:81]
	v_fma_f64 v[80:81], -v[86:87], v[88:89], 1.0
	v_cndmask_b32_e32 v79, v113, v69, vcc
	v_fmac_f64_e32 v[88:89], v[88:89], v[80:81]
	v_div_scale_f64 v[80:81], vcc, v[82:83], v[84:85], v[82:83]
	v_mul_f64 v[90:91], v[80:81], v[88:89]
	v_fma_f64 v[80:81], -v[86:87], v[90:91], v[80:81]
	v_pk_mov_b32 v[86:87], v[32:33], v[32:33] op_sel:[0,1]
	s_nop 0
	v_div_fmas_f64 v[80:81], v[80:81], v[88:89], v[90:91]
	v_div_fixup_f64 v[80:81], v[80:81], v[84:85], v[82:83]
	v_mul_f64 v[82:83], v[80:81], v[80:81]
	v_pk_mov_b32 v[84:85], v[30:31], v[30:31] op_sel:[0,1]
	v_fmac_f64_e32 v[84:85], s[40:41], v[82:83]
	v_fmac_f64_e32 v[86:87], v[82:83], v[84:85]
	v_pk_mov_b32 v[84:85], v[34:35], v[34:35] op_sel:[0,1]
	v_fmac_f64_e32 v[84:85], v[82:83], v[86:87]
	v_pk_mov_b32 v[86:87], v[36:37], v[36:37] op_sel:[0,1]
	v_fmac_f64_e32 v[86:87], v[82:83], v[84:85]
	v_pk_mov_b32 v[84:85], v[38:39], v[38:39] op_sel:[0,1]
	v_fmac_f64_e32 v[84:85], v[82:83], v[86:87]
	v_pk_mov_b32 v[86:87], v[40:41], v[40:41] op_sel:[0,1]
	v_fmac_f64_e32 v[86:87], v[82:83], v[84:85]
	v_pk_mov_b32 v[84:85], v[42:43], v[42:43] op_sel:[0,1]
	v_fmac_f64_e32 v[84:85], v[82:83], v[86:87]
	v_pk_mov_b32 v[86:87], v[44:45], v[44:45] op_sel:[0,1]
	v_fmac_f64_e32 v[86:87], v[82:83], v[84:85]
	v_pk_mov_b32 v[84:85], v[46:47], v[46:47] op_sel:[0,1]
	v_fmac_f64_e32 v[84:85], v[82:83], v[86:87]
	v_pk_mov_b32 v[86:87], v[48:49], v[48:49] op_sel:[0,1]
	v_fmac_f64_e32 v[86:87], v[82:83], v[84:85]
	v_pk_mov_b32 v[84:85], v[50:51], v[50:51] op_sel:[0,1]
	v_fmac_f64_e32 v[84:85], v[82:83], v[86:87]
	v_pk_mov_b32 v[86:87], v[52:53], v[52:53] op_sel:[0,1]
	v_fmac_f64_e32 v[86:87], v[82:83], v[84:85]
	v_pk_mov_b32 v[84:85], v[54:55], v[54:55] op_sel:[0,1]
	v_fmac_f64_e32 v[84:85], v[82:83], v[86:87]
	v_pk_mov_b32 v[86:87], v[56:57], v[56:57] op_sel:[0,1]
	v_fmac_f64_e32 v[86:87], v[82:83], v[84:85]
	v_pk_mov_b32 v[84:85], v[58:59], v[58:59] op_sel:[0,1]
	v_fmac_f64_e32 v[84:85], v[82:83], v[86:87]
	v_pk_mov_b32 v[86:87], v[60:61], v[60:61] op_sel:[0,1]
	v_fmac_f64_e32 v[86:87], v[82:83], v[84:85]
	v_pk_mov_b32 v[84:85], v[62:63], v[62:63] op_sel:[0,1]
	v_fmac_f64_e32 v[84:85], v[82:83], v[86:87]
	v_pk_mov_b32 v[86:87], v[64:65], v[64:65] op_sel:[0,1]
	v_fmac_f64_e32 v[86:87], v[82:83], v[84:85]
	v_pk_mov_b32 v[84:85], v[66:67], v[66:67] op_sel:[0,1]
	v_fmac_f64_e32 v[84:85], v[82:83], v[86:87]
	v_cmp_gt_i32_e32 vcc, 0, v11
	v_mul_f64 v[82:83], v[82:83], v[84:85]
	v_cmp_class_f64_e64 s[14:15], v[10:11], s77
	v_cndmask_b32_e32 v10, v116, v117, vcc
	v_fmac_f64_e32 v[80:81], v[80:81], v[82:83]
	v_bfi_b32 v69, s76, v10, v13
	v_ashrrev_i32_e32 v10, 31, v11
	v_and_b32_e32 v82, 0x400921fb, v10
	v_and_b32_e32 v83, 0x54442d18, v10
	v_add_f64 v[10:11], -v[80:81], s[42:43]
	v_cndmask_b32_e64 v11, v81, v11, s[10:11]
	v_cndmask_b32_e64 v10, v80, v10, s[10:11]
	v_add_f64 v[80:81], -v[10:11], s[44:45]
	v_cmp_class_f64_e64 s[12:13], v[12:13], s77
	v_cndmask_b32_e32 v1, v114, v115, vcc
	v_cndmask_b32_e32 v11, v11, v81, vcc
	;; [unrolled: 1-line block ×3, first 2 shown]
	v_cmp_eq_f64_e32 vcc, 0, v[12:13]
	v_cndmask_b32_e32 v10, v10, v83, vcc
	v_cndmask_b32_e32 v11, v11, v82, vcc
	s_and_b64 vcc, s[12:13], s[14:15]
	v_cndmask_b32_e32 v81, v11, v69, vcc
	v_cndmask_b32_e32 v80, v10, v1, vcc
.LBB198_39:                             ;   in Loop: Header=BB198_4 Depth=1
	s_or_b64 exec, exec, s[58:59]
.LBB198_40:                             ;   in Loop: Header=BB198_4 Depth=1
	s_andn2_saveexec_b64 s[10:11], s[56:57]
	s_cbranch_execz .LBB198_46
; %bb.41:                               ;   in Loop: Header=BB198_4 Depth=1
	v_cmp_nlt_f64_e64 s[12:13], |v[10:11]|, s[52:53]
	v_cmp_nlt_f64_e64 s[14:15], |v[12:13]|, s[52:53]
	s_or_b64 s[12:13], s[14:15], s[12:13]
                                        ; implicit-def: $vgpr80_vgpr81
	s_and_saveexec_b64 s[14:15], s[12:13]
	s_xor_b64 s[12:13], exec, s[14:15]
; %bb.42:                               ;   in Loop: Header=BB198_4 Depth=1
	v_mul_f64 v[80:81], v[10:11], v[10:11]
	v_fmac_f64_e32 v[80:81], v[12:13], v[12:13]
; %bb.43:                               ;   in Loop: Header=BB198_4 Depth=1
	s_andn2_saveexec_b64 s[12:13], s[12:13]
; %bb.44:                               ;   in Loop: Header=BB198_4 Depth=1
	v_mul_f64 v[10:11], v[10:11], 4.0
	v_mul_f64 v[78:79], v[12:13], 4.0
	v_mul_f64 v[10:11], v[10:11], v[10:11]
	v_fmac_f64_e32 v[10:11], v[78:79], v[78:79]
	v_ldexp_f64 v[80:81], v[10:11], -4
; %bb.45:                               ;   in Loop: Header=BB198_4 Depth=1
	s_or_b64 exec, exec, s[12:13]
	v_frexp_mant_f64_e32 v[10:11], v[80:81]
	v_cmp_gt_f64_e32 vcc, s[28:29], v[10:11]
	v_cndmask_b32_e64 v69, v118, 2.0, vcc
	v_mul_f64 v[10:11], v[10:11], v[68:69]
	v_add_f64 v[78:79], v[10:11], 1.0
	v_rcp_f64_e32 v[82:83], v[78:79]
	v_add_f64 v[86:87], v[78:79], -1.0
	v_add_f64 v[84:85], v[10:11], -1.0
	v_add_f64 v[10:11], v[10:11], -v[86:87]
	v_fma_f64 v[86:87], -v[78:79], v[82:83], 1.0
	v_fmac_f64_e32 v[82:83], v[86:87], v[82:83]
	v_fma_f64 v[86:87], -v[78:79], v[82:83], 1.0
	v_fmac_f64_e32 v[82:83], v[86:87], v[82:83]
	v_mul_f64 v[86:87], v[84:85], v[82:83]
	v_mul_f64 v[88:89], v[78:79], v[86:87]
	v_fma_f64 v[78:79], v[86:87], v[78:79], -v[88:89]
	v_fmac_f64_e32 v[78:79], v[86:87], v[10:11]
	v_add_f64 v[10:11], v[88:89], v[78:79]
	v_add_f64 v[90:91], v[84:85], -v[10:11]
	v_add_f64 v[88:89], v[10:11], -v[88:89]
	;; [unrolled: 1-line block ×5, first 2 shown]
	v_add_f64 v[10:11], v[78:79], v[10:11]
	v_add_f64 v[10:11], v[90:91], v[10:11]
	v_mul_f64 v[10:11], v[82:83], v[10:11]
	v_add_f64 v[78:79], v[86:87], v[10:11]
	v_add_f64 v[82:83], v[78:79], -v[86:87]
	v_add_f64 v[10:11], v[10:11], -v[82:83]
	v_mul_f64 v[82:83], v[78:79], v[78:79]
	v_pk_mov_b32 v[84:85], v[18:19], v[18:19] op_sel:[0,1]
	v_fmac_f64_e32 v[84:85], s[30:31], v[82:83]
	v_pk_mov_b32 v[86:87], v[20:21], v[20:21] op_sel:[0,1]
	v_fmac_f64_e32 v[86:87], v[82:83], v[84:85]
	;; [unrolled: 2-line block ×6, first 2 shown]
	v_ldexp_f64 v[84:85], v[78:79], 1
	v_mul_f64 v[78:79], v[78:79], v[82:83]
	v_mul_f64 v[78:79], v[78:79], v[86:87]
	v_add_f64 v[82:83], v[84:85], v[78:79]
	v_add_f64 v[84:85], v[82:83], -v[84:85]
	v_ldexp_f64 v[10:11], v[10:11], 1
	v_add_f64 v[78:79], v[78:79], -v[84:85]
	v_add_f64 v[10:11], v[10:11], v[78:79]
	v_frexp_exp_i32_f64_e32 v1, v[80:81]
	v_add_f64 v[78:79], v[82:83], v[10:11]
	v_subbrev_co_u32_e32 v1, vcc, 0, v1, vcc
	v_add_f64 v[82:83], v[78:79], -v[82:83]
	v_add_f64 v[10:11], v[10:11], -v[82:83]
	v_cvt_f64_i32_e32 v[82:83], v1
	v_mul_f64 v[84:85], v[82:83], s[34:35]
	v_fma_f64 v[86:87], v[82:83], s[34:35], -v[84:85]
	v_fmac_f64_e32 v[86:87], s[36:37], v[82:83]
	v_add_f64 v[82:83], v[84:85], v[86:87]
	v_add_f64 v[84:85], v[82:83], -v[84:85]
	v_add_f64 v[84:85], v[86:87], -v[84:85]
	v_add_f64 v[86:87], v[82:83], v[78:79]
	v_add_f64 v[88:89], v[86:87], -v[82:83]
	v_add_f64 v[90:91], v[86:87], -v[88:89]
	;; [unrolled: 1-line block ×4, first 2 shown]
	v_add_f64 v[78:79], v[78:79], v[82:83]
	v_add_f64 v[82:83], v[84:85], v[10:11]
	v_add_f64 v[88:89], v[82:83], -v[84:85]
	v_add_f64 v[90:91], v[82:83], -v[88:89]
	v_add_f64 v[78:79], v[82:83], v[78:79]
	v_add_f64 v[84:85], v[84:85], -v[90:91]
	v_add_f64 v[10:11], v[10:11], -v[88:89]
	v_add_f64 v[82:83], v[86:87], v[78:79]
	v_add_f64 v[10:11], v[10:11], v[84:85]
	v_add_f64 v[84:85], v[82:83], -v[86:87]
	v_add_f64 v[78:79], v[78:79], -v[84:85]
	v_add_f64 v[10:11], v[10:11], v[78:79]
	v_add_f64 v[10:11], v[82:83], v[10:11]
	v_cmp_class_f64_e64 vcc, v[80:81], s77
	v_cndmask_b32_e32 v1, v10, v80, vcc
	v_cndmask_b32_e32 v10, v11, v81, vcc
	v_cmp_ngt_f64_e32 vcc, 0, v[80:81]
	v_cndmask_b32_e32 v10, v112, v10, vcc
	v_cmp_nge_f64_e32 vcc, 0, v[80:81]
	v_cndmask_b32_e32 v78, 0, v1, vcc
	v_cmp_neq_f64_e32 vcc, 0, v[80:81]
	v_mov_b32_e32 v80, 0
	v_cndmask_b32_e32 v79, v113, v10, vcc
	v_mov_b32_e32 v81, 0x7ff80000
.LBB198_46:                             ;   in Loop: Header=BB198_4 Depth=1
	s_or_b64 exec, exec, s[10:11]
	v_cmp_o_f64_e32 vcc, v[2:3], v[4:5]
                                        ; implicit-def: $vgpr10_vgpr11
                                        ; implicit-def: $vgpr82_vgpr83
	s_and_saveexec_b64 s[10:11], vcc
	s_xor_b64 s[56:57], exec, s[10:11]
	s_cbranch_execz .LBB198_74
; %bb.47:                               ;   in Loop: Header=BB198_4 Depth=1
	v_and_b32_e32 v69, 0x7fffffff, v3
	v_and_b32_e32 v1, 0x7fffffff, v5
	v_mov_b32_e32 v12, v4
	v_cmp_lt_f64_e64 s[10:11], |v[2:3]|, |v[4:5]|
	v_cndmask_b32_e64 v85, v1, v69, s[10:11]
	v_cndmask_b32_e64 v84, v12, v2, s[10:11]
	v_cmp_nlt_f64_e32 vcc, s[22:23], v[84:85]
                                        ; implicit-def: $vgpr10_vgpr11
                                        ; implicit-def: $vgpr82_vgpr83
	s_and_saveexec_b64 s[12:13], vcc
	s_xor_b64 s[14:15], exec, s[12:13]
	s_cbranch_execz .LBB198_71
; %bb.48:                               ;   in Loop: Header=BB198_4 Depth=1
	v_cndmask_b32_e64 v89, v69, v1, s[10:11]
	v_cndmask_b32_e64 v88, v2, v12, s[10:11]
	v_cmp_neq_f64_e32 vcc, 1.0, v[88:89]
                                        ; implicit-def: $vgpr10_vgpr11
                                        ; implicit-def: $vgpr82_vgpr83
	s_and_saveexec_b64 s[12:13], vcc
	s_xor_b64 s[58:59], exec, s[12:13]
	s_cbranch_execz .LBB198_64
; %bb.49:                               ;   in Loop: Header=BB198_4 Depth=1
	v_max_f64 v[10:11], v[84:85], v[84:85]
	v_max_f64 v[82:83], v[88:89], v[88:89]
	v_min_f64 v[86:87], v[82:83], v[10:11]
	v_max_f64 v[10:11], v[82:83], v[10:11]
	v_cmp_ngt_f64_e32 vcc, s[24:25], v[86:87]
	v_cmp_nlt_f64_e64 s[12:13], s[26:27], v[10:11]
	s_and_b64 s[12:13], s[12:13], vcc
                                        ; implicit-def: $vgpr10_vgpr11
                                        ; implicit-def: $vgpr82_vgpr83
	s_and_saveexec_b64 s[60:61], s[12:13]
	s_xor_b64 s[60:61], exec, s[60:61]
	s_cbranch_execz .LBB198_61
; %bb.50:                               ;   in Loop: Header=BB198_4 Depth=1
	v_cmp_le_f64_e32 vcc, 1.0, v[88:89]
                                        ; implicit-def: $vgpr10_vgpr11
                                        ; implicit-def: $vgpr82_vgpr83
	s_and_saveexec_b64 s[12:13], vcc
	s_xor_b64 s[12:13], exec, s[12:13]
	s_cbranch_execz .LBB198_52
; %bb.51:                               ;   in Loop: Header=BB198_4 Depth=1
	v_add_f64 v[10:11], v[88:89], -1.0
	v_add_f64 v[82:83], v[88:89], 1.0
	v_mul_f64 v[82:83], v[10:11], v[82:83]
	v_fmac_f64_e32 v[82:83], v[84:85], v[84:85]
	v_add_f64 v[10:11], v[82:83], 1.0
	v_add_f64 v[84:85], v[10:11], -1.0
	v_add_f64 v[86:87], v[84:85], -v[10:11]
	v_add_f64 v[86:87], v[86:87], 1.0
	v_add_f64 v[84:85], v[82:83], -v[84:85]
	v_add_f64 v[84:85], v[84:85], v[86:87]
	v_frexp_mant_f64_e32 v[86:87], v[10:11]
	v_frexp_exp_i32_f64_e32 v1, v[10:11]
	v_cmp_gt_f64_e32 vcc, s[28:29], v[86:87]
	v_subbrev_co_u32_e32 v1, vcc, 0, v1, vcc
	v_sub_u32_e32 v12, 0, v1
	v_ldexp_f64 v[10:11], v[10:11], v12
	v_add_f64 v[86:87], v[10:11], -1.0
	v_add_f64 v[92:93], v[10:11], 1.0
	v_add_f64 v[88:89], v[86:87], 1.0
	v_add_f64 v[94:95], v[92:93], -1.0
	v_ldexp_f64 v[84:85], v[84:85], v12
	v_add_f64 v[88:89], v[10:11], -v[88:89]
	v_add_f64 v[10:11], v[10:11], -v[94:95]
	v_add_f64 v[10:11], v[84:85], v[10:11]
	v_add_f64 v[88:89], v[84:85], v[88:89]
	;; [unrolled: 1-line block ×3, first 2 shown]
	v_rcp_f64_e32 v[94:95], v[84:85]
	v_add_f64 v[90:91], v[86:87], v[88:89]
	v_add_f64 v[86:87], v[90:91], -v[86:87]
	v_add_f64 v[86:87], v[88:89], -v[86:87]
	;; [unrolled: 1-line block ×4, first 2 shown]
	v_fma_f64 v[88:89], -v[84:85], v[94:95], 1.0
	v_fmac_f64_e32 v[94:95], v[88:89], v[94:95]
	v_fma_f64 v[88:89], -v[84:85], v[94:95], 1.0
	v_fmac_f64_e32 v[94:95], v[88:89], v[94:95]
	v_mul_f64 v[88:89], v[90:91], v[94:95]
	v_mul_f64 v[92:93], v[84:85], v[88:89]
	v_fma_f64 v[96:97], v[88:89], v[84:85], -v[92:93]
	v_fmac_f64_e32 v[96:97], v[88:89], v[10:11]
	v_add_f64 v[98:99], v[92:93], v[96:97]
	v_add_f64 v[100:101], v[90:91], -v[98:99]
	v_add_f64 v[90:91], v[90:91], -v[100:101]
	;; [unrolled: 1-line block ×4, first 2 shown]
	v_add_f64 v[86:87], v[86:87], v[90:91]
	v_add_f64 v[90:91], v[92:93], -v[96:97]
	v_add_f64 v[86:87], v[90:91], v[86:87]
	v_add_f64 v[90:91], v[100:101], v[86:87]
	v_add_f64 v[92:93], v[100:101], -v[90:91]
	v_add_f64 v[86:87], v[86:87], v[92:93]
	v_mul_f64 v[92:93], v[94:95], v[90:91]
	v_mul_f64 v[96:97], v[84:85], v[92:93]
	v_fma_f64 v[84:85], v[92:93], v[84:85], -v[96:97]
	v_fmac_f64_e32 v[84:85], v[92:93], v[10:11]
	v_add_f64 v[10:11], v[96:97], v[84:85]
	v_add_f64 v[98:99], v[90:91], -v[10:11]
	v_add_f64 v[90:91], v[90:91], -v[98:99]
	;; [unrolled: 1-line block ×4, first 2 shown]
	v_add_f64 v[10:11], v[86:87], v[10:11]
	v_add_f64 v[84:85], v[96:97], -v[84:85]
	v_add_f64 v[10:11], v[84:85], v[10:11]
	v_add_f64 v[84:85], v[88:89], v[92:93]
	;; [unrolled: 1-line block ×3, first 2 shown]
	v_add_f64 v[86:87], v[84:85], -v[88:89]
	v_mul_f64 v[10:11], v[94:95], v[10:11]
	v_add_f64 v[86:87], v[92:93], -v[86:87]
	v_add_f64 v[10:11], v[86:87], v[10:11]
	v_add_f64 v[86:87], v[84:85], v[10:11]
	v_add_f64 v[84:85], v[86:87], -v[84:85]
	v_add_f64 v[10:11], v[10:11], -v[84:85]
	v_mul_f64 v[84:85], v[86:87], v[86:87]
	v_pk_mov_b32 v[88:89], v[18:19], v[18:19] op_sel:[0,1]
	v_fmac_f64_e32 v[88:89], s[30:31], v[84:85]
	v_pk_mov_b32 v[90:91], v[20:21], v[20:21] op_sel:[0,1]
	v_fmac_f64_e32 v[90:91], v[84:85], v[88:89]
	;; [unrolled: 2-line block ×6, first 2 shown]
	v_cvt_f64_i32_e32 v[88:89], v1
	v_mul_f64 v[92:93], v[88:89], s[34:35]
	v_fma_f64 v[94:95], v[88:89], s[34:35], -v[92:93]
	v_fmac_f64_e32 v[94:95], s[36:37], v[88:89]
	v_add_f64 v[88:89], v[92:93], v[94:95]
	v_add_f64 v[92:93], v[88:89], -v[92:93]
	v_mul_f64 v[84:85], v[86:87], v[84:85]
	v_add_f64 v[92:93], v[94:95], -v[92:93]
	v_ldexp_f64 v[94:95], v[86:87], 1
	v_mul_f64 v[84:85], v[84:85], v[90:91]
	v_add_f64 v[86:87], v[94:95], v[84:85]
	v_add_f64 v[90:91], v[86:87], -v[94:95]
	v_ldexp_f64 v[10:11], v[10:11], 1
	v_add_f64 v[84:85], v[84:85], -v[90:91]
	v_add_f64 v[10:11], v[10:11], v[84:85]
	v_add_f64 v[84:85], v[86:87], v[10:11]
	v_add_f64 v[86:87], v[84:85], -v[86:87]
	v_add_f64 v[10:11], v[10:11], -v[86:87]
	v_add_f64 v[86:87], v[88:89], v[84:85]
	v_add_f64 v[90:91], v[86:87], -v[88:89]
	v_add_f64 v[94:95], v[86:87], -v[90:91]
	;; [unrolled: 1-line block ×4, first 2 shown]
	v_add_f64 v[84:85], v[84:85], v[88:89]
	v_add_f64 v[88:89], v[92:93], v[10:11]
	v_add_f64 v[90:91], v[88:89], -v[92:93]
	v_add_f64 v[84:85], v[88:89], v[84:85]
	v_add_f64 v[94:95], v[88:89], -v[90:91]
	v_add_f64 v[88:89], v[86:87], v[84:85]
	v_add_f64 v[92:93], v[92:93], -v[94:95]
	v_add_f64 v[10:11], v[10:11], -v[90:91]
	v_add_f64 v[86:87], v[88:89], -v[86:87]
	v_add_f64 v[10:11], v[10:11], v[92:93]
	v_add_f64 v[84:85], v[84:85], -v[86:87]
	v_add_f64 v[10:11], v[10:11], v[84:85]
	v_max_f64 v[84:85], |v[4:5]|, |v[4:5]|
	v_max_f64 v[86:87], |v[2:3]|, |v[2:3]|
	v_add_f64 v[10:11], v[88:89], v[10:11]
	v_max_f64 v[88:89], v[86:87], v[84:85]
	v_min_f64 v[84:85], v[86:87], v[84:85]
	v_div_scale_f64 v[86:87], s[62:63], v[88:89], v[88:89], v[84:85]
	v_cmp_eq_f64_e32 vcc, s[38:39], v[82:83]
	v_rcp_f64_e32 v[90:91], v[86:87]
	v_cndmask_b32_e32 v11, v11, v83, vcc
	v_cndmask_b32_e32 v10, v10, v82, vcc
	v_mul_f64 v[10:11], v[10:11], 0.5
	v_cmp_ngt_f64_e32 vcc, -1.0, v[82:83]
	v_cndmask_b32_e32 v1, v112, v11, vcc
	v_cmp_nge_f64_e32 vcc, -1.0, v[82:83]
	v_cndmask_b32_e32 v10, 0, v10, vcc
	v_cmp_neq_f64_e32 vcc, -1.0, v[82:83]
	v_fma_f64 v[82:83], -v[86:87], v[90:91], 1.0
	v_fmac_f64_e32 v[90:91], v[90:91], v[82:83]
	v_fma_f64 v[82:83], -v[86:87], v[90:91], 1.0
	v_cndmask_b32_e32 v11, v113, v1, vcc
	v_fmac_f64_e32 v[90:91], v[90:91], v[82:83]
	v_div_scale_f64 v[82:83], vcc, v[84:85], v[88:89], v[84:85]
	v_mul_f64 v[92:93], v[82:83], v[90:91]
	v_fma_f64 v[82:83], -v[86:87], v[92:93], v[82:83]
	v_pk_mov_b32 v[86:87], v[30:31], v[30:31] op_sel:[0,1]
	s_nop 0
	v_div_fmas_f64 v[82:83], v[82:83], v[90:91], v[92:93]
	v_div_fixup_f64 v[82:83], v[82:83], v[88:89], v[84:85]
	v_mul_f64 v[84:85], v[82:83], v[82:83]
	v_fmac_f64_e32 v[86:87], s[40:41], v[84:85]
	v_pk_mov_b32 v[88:89], v[32:33], v[32:33] op_sel:[0,1]
	v_fmac_f64_e32 v[88:89], v[84:85], v[86:87]
	v_pk_mov_b32 v[86:87], v[34:35], v[34:35] op_sel:[0,1]
	v_fmac_f64_e32 v[86:87], v[84:85], v[88:89]
	v_pk_mov_b32 v[88:89], v[36:37], v[36:37] op_sel:[0,1]
	v_fmac_f64_e32 v[88:89], v[84:85], v[86:87]
	v_pk_mov_b32 v[86:87], v[38:39], v[38:39] op_sel:[0,1]
	v_fmac_f64_e32 v[86:87], v[84:85], v[88:89]
	v_pk_mov_b32 v[88:89], v[40:41], v[40:41] op_sel:[0,1]
	v_fmac_f64_e32 v[88:89], v[84:85], v[86:87]
	v_pk_mov_b32 v[86:87], v[42:43], v[42:43] op_sel:[0,1]
	v_fmac_f64_e32 v[86:87], v[84:85], v[88:89]
	v_pk_mov_b32 v[88:89], v[44:45], v[44:45] op_sel:[0,1]
	v_fmac_f64_e32 v[88:89], v[84:85], v[86:87]
	v_pk_mov_b32 v[86:87], v[46:47], v[46:47] op_sel:[0,1]
	v_fmac_f64_e32 v[86:87], v[84:85], v[88:89]
	v_pk_mov_b32 v[88:89], v[48:49], v[48:49] op_sel:[0,1]
	v_fmac_f64_e32 v[88:89], v[84:85], v[86:87]
	v_pk_mov_b32 v[86:87], v[50:51], v[50:51] op_sel:[0,1]
	v_fmac_f64_e32 v[86:87], v[84:85], v[88:89]
	v_pk_mov_b32 v[88:89], v[52:53], v[52:53] op_sel:[0,1]
	v_fmac_f64_e32 v[88:89], v[84:85], v[86:87]
	v_pk_mov_b32 v[86:87], v[54:55], v[54:55] op_sel:[0,1]
	v_fmac_f64_e32 v[86:87], v[84:85], v[88:89]
	v_pk_mov_b32 v[88:89], v[56:57], v[56:57] op_sel:[0,1]
	v_fmac_f64_e32 v[88:89], v[84:85], v[86:87]
	v_pk_mov_b32 v[86:87], v[58:59], v[58:59] op_sel:[0,1]
	v_fmac_f64_e32 v[86:87], v[84:85], v[88:89]
	v_pk_mov_b32 v[88:89], v[60:61], v[60:61] op_sel:[0,1]
	v_fmac_f64_e32 v[88:89], v[84:85], v[86:87]
	v_pk_mov_b32 v[86:87], v[62:63], v[62:63] op_sel:[0,1]
	v_fmac_f64_e32 v[86:87], v[84:85], v[88:89]
	v_pk_mov_b32 v[88:89], v[64:65], v[64:65] op_sel:[0,1]
	v_fmac_f64_e32 v[88:89], v[84:85], v[86:87]
	v_pk_mov_b32 v[86:87], v[66:67], v[66:67] op_sel:[0,1]
	v_fmac_f64_e32 v[86:87], v[84:85], v[88:89]
	v_cmp_gt_i32_e32 vcc, 0, v3
	v_mul_f64 v[84:85], v[84:85], v[86:87]
	v_cmp_class_f64_e64 s[64:65], v[2:3], s77
	v_cndmask_b32_e32 v2, v116, v117, vcc
	v_fmac_f64_e32 v[82:83], v[82:83], v[84:85]
	v_bfi_b32 v12, s76, v2, v5
	v_ashrrev_i32_e32 v2, 31, v3
	v_and_b32_e32 v69, 0x400921fb, v2
	v_and_b32_e32 v84, 0x54442d18, v2
	v_add_f64 v[2:3], -v[82:83], s[42:43]
	v_cndmask_b32_e64 v3, v83, v3, s[10:11]
	v_cndmask_b32_e64 v2, v82, v2, s[10:11]
	s_mov_b32 s44, s42
	v_add_f64 v[82:83], -v[2:3], s[44:45]
	v_cmp_class_f64_e64 s[62:63], v[4:5], s77
	v_cndmask_b32_e32 v1, v114, v115, vcc
	v_cndmask_b32_e32 v3, v3, v83, vcc
	v_cndmask_b32_e32 v2, v2, v82, vcc
	v_cmp_eq_f64_e32 vcc, 0, v[4:5]
	v_cndmask_b32_e32 v2, v2, v84, vcc
	v_cndmask_b32_e32 v3, v3, v69, vcc
	s_and_b64 vcc, s[62:63], s[64:65]
	v_cndmask_b32_e32 v83, v3, v12, vcc
	v_cndmask_b32_e32 v82, v2, v1, vcc
                                        ; implicit-def: $vgpr84_vgpr85
                                        ; implicit-def: $vgpr88_vgpr89
.LBB198_52:                             ;   in Loop: Header=BB198_4 Depth=1
	s_andn2_saveexec_b64 s[62:63], s[12:13]
	s_cbranch_execz .LBB198_60
; %bb.53:                               ;   in Loop: Header=BB198_4 Depth=1
	v_mul_f64 v[86:87], v[84:85], v[84:85]
	v_fmac_f64_e32 v[86:87], v[88:89], v[88:89]
	v_cmp_ge_f64_e32 vcc, s[46:47], v[86:87]
                                        ; implicit-def: $vgpr10_vgpr11
                                        ; implicit-def: $vgpr82_vgpr83
	s_and_saveexec_b64 s[12:13], vcc
	s_xor_b64 s[12:13], exec, s[12:13]
	s_cbranch_execz .LBB198_55
; %bb.54:                               ;   in Loop: Header=BB198_4 Depth=1
	v_frexp_mant_f64_e32 v[10:11], v[86:87]
	v_cmp_gt_f64_e32 vcc, s[28:29], v[10:11]
	v_cndmask_b32_e64 v69, v118, 2.0, vcc
	v_mul_f64 v[10:11], v[10:11], v[68:69]
	v_add_f64 v[82:83], v[10:11], 1.0
	v_rcp_f64_e32 v[84:85], v[82:83]
	v_add_f64 v[90:91], v[82:83], -1.0
	v_add_f64 v[88:89], v[10:11], -1.0
	v_add_f64 v[10:11], v[10:11], -v[90:91]
	v_fma_f64 v[90:91], -v[82:83], v[84:85], 1.0
	v_fmac_f64_e32 v[84:85], v[90:91], v[84:85]
	v_fma_f64 v[90:91], -v[82:83], v[84:85], 1.0
	v_fmac_f64_e32 v[84:85], v[90:91], v[84:85]
	v_mul_f64 v[90:91], v[88:89], v[84:85]
	v_mul_f64 v[92:93], v[82:83], v[90:91]
	v_fma_f64 v[82:83], v[90:91], v[82:83], -v[92:93]
	v_fmac_f64_e32 v[82:83], v[90:91], v[10:11]
	v_add_f64 v[10:11], v[92:93], v[82:83]
	v_add_f64 v[94:95], v[88:89], -v[10:11]
	v_add_f64 v[92:93], v[10:11], -v[92:93]
	;; [unrolled: 1-line block ×5, first 2 shown]
	v_add_f64 v[10:11], v[82:83], v[10:11]
	v_add_f64 v[10:11], v[94:95], v[10:11]
	v_mul_f64 v[10:11], v[84:85], v[10:11]
	v_add_f64 v[82:83], v[90:91], v[10:11]
	v_add_f64 v[84:85], v[82:83], -v[90:91]
	v_add_f64 v[10:11], v[10:11], -v[84:85]
	v_mul_f64 v[84:85], v[82:83], v[82:83]
	v_pk_mov_b32 v[88:89], v[18:19], v[18:19] op_sel:[0,1]
	v_fmac_f64_e32 v[88:89], s[30:31], v[84:85]
	v_pk_mov_b32 v[90:91], v[20:21], v[20:21] op_sel:[0,1]
	v_fmac_f64_e32 v[90:91], v[84:85], v[88:89]
	;; [unrolled: 2-line block ×6, first 2 shown]
	v_ldexp_f64 v[88:89], v[82:83], 1
	v_mul_f64 v[82:83], v[82:83], v[84:85]
	v_mul_f64 v[82:83], v[82:83], v[90:91]
	v_add_f64 v[84:85], v[88:89], v[82:83]
	v_add_f64 v[88:89], v[84:85], -v[88:89]
	v_ldexp_f64 v[10:11], v[10:11], 1
	v_add_f64 v[82:83], v[82:83], -v[88:89]
	v_add_f64 v[10:11], v[10:11], v[82:83]
	v_frexp_exp_i32_f64_e32 v1, v[86:87]
	v_add_f64 v[82:83], v[84:85], v[10:11]
	v_subbrev_co_u32_e32 v1, vcc, 0, v1, vcc
	v_add_f64 v[84:85], v[82:83], -v[84:85]
	v_add_f64 v[10:11], v[10:11], -v[84:85]
	v_cvt_f64_i32_e32 v[84:85], v1
	v_mul_f64 v[88:89], v[84:85], s[34:35]
	v_fma_f64 v[90:91], v[84:85], s[34:35], -v[88:89]
	v_fmac_f64_e32 v[90:91], s[36:37], v[84:85]
	v_add_f64 v[84:85], v[88:89], v[90:91]
	v_add_f64 v[88:89], v[84:85], -v[88:89]
	v_add_f64 v[88:89], v[90:91], -v[88:89]
	v_add_f64 v[90:91], v[84:85], v[82:83]
	v_add_f64 v[92:93], v[90:91], -v[84:85]
	v_add_f64 v[94:95], v[90:91], -v[92:93]
	v_add_f64 v[84:85], v[84:85], -v[94:95]
	v_add_f64 v[82:83], v[82:83], -v[92:93]
	v_add_f64 v[82:83], v[82:83], v[84:85]
	v_add_f64 v[84:85], v[88:89], v[10:11]
	v_add_f64 v[92:93], v[84:85], -v[88:89]
	v_add_f64 v[94:95], v[84:85], -v[92:93]
	v_add_f64 v[82:83], v[84:85], v[82:83]
	v_add_f64 v[88:89], v[88:89], -v[94:95]
	v_add_f64 v[10:11], v[10:11], -v[92:93]
	v_add_f64 v[84:85], v[90:91], v[82:83]
	v_add_f64 v[10:11], v[10:11], v[88:89]
	v_add_f64 v[88:89], v[84:85], -v[90:91]
	v_add_f64 v[82:83], v[82:83], -v[88:89]
	v_add_f64 v[10:11], v[10:11], v[82:83]
	v_add_f64 v[10:11], v[84:85], v[10:11]
	v_max_f64 v[82:83], |v[4:5]|, |v[4:5]|
	v_max_f64 v[84:85], |v[2:3]|, |v[2:3]|
	v_max_f64 v[88:89], v[84:85], v[82:83]
	v_min_f64 v[82:83], v[84:85], v[82:83]
	v_div_scale_f64 v[84:85], s[64:65], v[88:89], v[88:89], v[82:83]
	v_rcp_f64_e32 v[90:91], v[84:85]
	v_cmp_neq_f64_e32 vcc, 0, v[86:87]
	v_mul_f64 v[10:11], v[10:11], 0.5
	v_cndmask_b32_e32 v11, v113, v11, vcc
	v_fma_f64 v[86:87], -v[84:85], v[90:91], 1.0
	v_fmac_f64_e32 v[90:91], v[90:91], v[86:87]
	v_fma_f64 v[86:87], -v[84:85], v[90:91], 1.0
	v_cndmask_b32_e32 v10, 0, v10, vcc
	v_fmac_f64_e32 v[90:91], v[90:91], v[86:87]
	v_div_scale_f64 v[86:87], vcc, v[82:83], v[88:89], v[82:83]
	v_mul_f64 v[92:93], v[86:87], v[90:91]
	v_fma_f64 v[84:85], -v[84:85], v[92:93], v[86:87]
	v_pk_mov_b32 v[86:87], v[30:31], v[30:31] op_sel:[0,1]
	s_nop 0
	v_div_fmas_f64 v[84:85], v[84:85], v[90:91], v[92:93]
	v_div_fixup_f64 v[82:83], v[84:85], v[88:89], v[82:83]
	v_mul_f64 v[84:85], v[82:83], v[82:83]
	v_fmac_f64_e32 v[86:87], s[40:41], v[84:85]
	v_pk_mov_b32 v[88:89], v[32:33], v[32:33] op_sel:[0,1]
	v_fmac_f64_e32 v[88:89], v[84:85], v[86:87]
	v_pk_mov_b32 v[86:87], v[34:35], v[34:35] op_sel:[0,1]
	v_fmac_f64_e32 v[86:87], v[84:85], v[88:89]
	v_pk_mov_b32 v[88:89], v[36:37], v[36:37] op_sel:[0,1]
	v_fmac_f64_e32 v[88:89], v[84:85], v[86:87]
	v_pk_mov_b32 v[86:87], v[38:39], v[38:39] op_sel:[0,1]
	v_fmac_f64_e32 v[86:87], v[84:85], v[88:89]
	v_pk_mov_b32 v[88:89], v[40:41], v[40:41] op_sel:[0,1]
	v_fmac_f64_e32 v[88:89], v[84:85], v[86:87]
	v_pk_mov_b32 v[86:87], v[42:43], v[42:43] op_sel:[0,1]
	v_fmac_f64_e32 v[86:87], v[84:85], v[88:89]
	v_pk_mov_b32 v[88:89], v[44:45], v[44:45] op_sel:[0,1]
	v_fmac_f64_e32 v[88:89], v[84:85], v[86:87]
	v_pk_mov_b32 v[86:87], v[46:47], v[46:47] op_sel:[0,1]
	v_fmac_f64_e32 v[86:87], v[84:85], v[88:89]
	v_pk_mov_b32 v[88:89], v[48:49], v[48:49] op_sel:[0,1]
	v_fmac_f64_e32 v[88:89], v[84:85], v[86:87]
	v_pk_mov_b32 v[86:87], v[50:51], v[50:51] op_sel:[0,1]
	v_fmac_f64_e32 v[86:87], v[84:85], v[88:89]
	v_pk_mov_b32 v[88:89], v[52:53], v[52:53] op_sel:[0,1]
	v_fmac_f64_e32 v[88:89], v[84:85], v[86:87]
	v_pk_mov_b32 v[86:87], v[54:55], v[54:55] op_sel:[0,1]
	v_fmac_f64_e32 v[86:87], v[84:85], v[88:89]
	v_pk_mov_b32 v[88:89], v[56:57], v[56:57] op_sel:[0,1]
	v_fmac_f64_e32 v[88:89], v[84:85], v[86:87]
	v_pk_mov_b32 v[86:87], v[58:59], v[58:59] op_sel:[0,1]
	v_fmac_f64_e32 v[86:87], v[84:85], v[88:89]
	v_pk_mov_b32 v[88:89], v[60:61], v[60:61] op_sel:[0,1]
	v_fmac_f64_e32 v[88:89], v[84:85], v[86:87]
	v_pk_mov_b32 v[86:87], v[62:63], v[62:63] op_sel:[0,1]
	v_fmac_f64_e32 v[86:87], v[84:85], v[88:89]
	v_pk_mov_b32 v[88:89], v[64:65], v[64:65] op_sel:[0,1]
	v_fmac_f64_e32 v[88:89], v[84:85], v[86:87]
	v_pk_mov_b32 v[86:87], v[66:67], v[66:67] op_sel:[0,1]
	v_fmac_f64_e32 v[86:87], v[84:85], v[88:89]
	v_cmp_gt_i32_e32 vcc, 0, v3
	v_mul_f64 v[84:85], v[84:85], v[86:87]
	v_cmp_class_f64_e64 s[66:67], v[2:3], s77
	v_cndmask_b32_e32 v2, v116, v117, vcc
	v_fmac_f64_e32 v[82:83], v[82:83], v[84:85]
	v_bfi_b32 v12, s76, v2, v5
	v_ashrrev_i32_e32 v2, 31, v3
	v_and_b32_e32 v69, 0x400921fb, v2
	v_and_b32_e32 v84, 0x54442d18, v2
	v_add_f64 v[2:3], -v[82:83], s[42:43]
	v_cndmask_b32_e64 v3, v83, v3, s[10:11]
	v_cndmask_b32_e64 v2, v82, v2, s[10:11]
	s_mov_b32 s44, s42
	v_add_f64 v[82:83], -v[2:3], s[44:45]
	v_cmp_class_f64_e64 s[64:65], v[4:5], s77
	v_cndmask_b32_e32 v1, v114, v115, vcc
	v_cndmask_b32_e32 v3, v3, v83, vcc
	;; [unrolled: 1-line block ×3, first 2 shown]
	v_cmp_eq_f64_e32 vcc, 0, v[4:5]
	v_cndmask_b32_e32 v2, v2, v84, vcc
	v_cndmask_b32_e32 v3, v3, v69, vcc
	s_and_b64 vcc, s[64:65], s[66:67]
	v_cndmask_b32_e32 v83, v3, v12, vcc
	v_cndmask_b32_e32 v82, v2, v1, vcc
                                        ; implicit-def: $vgpr88_vgpr89
                                        ; implicit-def: $vgpr84_vgpr85
.LBB198_55:                             ;   in Loop: Header=BB198_4 Depth=1
	s_andn2_saveexec_b64 s[64:65], s[12:13]
	s_cbranch_execz .LBB198_59
; %bb.56:                               ;   in Loop: Header=BB198_4 Depth=1
	v_and_b32_e32 v69, 0x7ffffff8, v89
	v_add_f64 v[10:11], v[88:89], -v[68:69]
	v_and_b32_e32 v97, -8, v11
	v_mov_b32_e32 v96, v68
	v_and_b32_e32 v87, 0x7ffffff8, v85
	v_mov_b32_e32 v86, v68
	v_add_f64 v[100:101], v[10:11], -v[96:97]
	v_add_f64 v[10:11], v[84:85], -v[86:87]
	v_and_b32_e32 v99, -8, v11
	v_mov_b32_e32 v98, v68
	v_add_f64 v[90:91], v[68:69], v[68:69]
	v_add_f64 v[104:105], v[86:87], v[86:87]
	v_add_f64 v[102:103], v[10:11], -v[98:99]
	v_mul_f64 v[82:83], v[86:87], v[86:87]
	v_mul_f64 v[88:89], v[90:91], v[96:97]
	;; [unrolled: 1-line block ×5, first 2 shown]
	v_add_f64 v[96:97], v[96:97], v[96:97]
	v_add_f64 v[98:99], v[98:99], v[98:99]
	v_mul_f64 v[10:11], v[68:69], v[68:69]
	v_mul_f64 v[92:93], v[90:91], v[100:101]
	;; [unrolled: 1-line block ×7, first 2 shown]
	s_mov_b64 s[66:67], 0
.LBB198_57:                             ;   Parent Loop BB198_4 Depth=1
                                        ; =>  This Inner Loop Header: Depth=2
	v_cmp_nlt_f64_e32 vcc, v[10:11], v[82:83]
	v_cndmask_b32_e32 v105, v11, v83, vcc
	v_cndmask_b32_e32 v104, v10, v82, vcc
	v_cmp_nlt_f64_e64 s[12:13], v[104:105], v[88:89]
	v_cndmask_b32_e64 v107, v105, v89, s[12:13]
	v_cndmask_b32_e64 v106, v104, v88, s[12:13]
	v_cndmask_b32_e32 v11, v83, v11, vcc
	v_cndmask_b32_e32 v10, v82, v10, vcc
	s_and_b64 s[68:69], vcc, s[12:13]
	v_cmp_nlt_f64_e32 vcc, v[106:107], v[86:87]
	v_cndmask_b32_e64 v83, v89, v105, s[12:13]
	v_cndmask_b32_e64 v82, v88, v104, s[12:13]
	v_cndmask_b32_e32 v105, v107, v87, vcc
	v_cndmask_b32_e32 v104, v106, v86, vcc
	v_cmp_nlt_f64_e64 s[12:13], v[104:105], v[94:95]
	v_cndmask_b32_e32 v89, v87, v107, vcc
	v_cndmask_b32_e32 v88, v86, v106, vcc
	v_cndmask_b32_e64 v107, v105, v95, s[12:13]
	v_cndmask_b32_e64 v106, v104, v94, s[12:13]
	s_and_b64 s[78:79], vcc, s[12:13]
	v_cmp_nlt_f64_e32 vcc, v[106:107], v[84:85]
	v_cndmask_b32_e64 v87, v95, v105, s[12:13]
	v_cndmask_b32_e64 v86, v94, v104, s[12:13]
	v_cndmask_b32_e32 v105, v107, v85, vcc
	v_cndmask_b32_e32 v104, v106, v84, vcc
	v_cmp_nlt_f64_e64 s[12:13], v[104:105], v[92:93]
	v_cndmask_b32_e32 v95, v85, v107, vcc
	v_cndmask_b32_e32 v94, v84, v106, vcc
	v_cndmask_b32_e64 v107, v105, v93, s[12:13]
	v_cndmask_b32_e64 v106, v104, v92, s[12:13]
	;; [unrolled: 1-line block ×4, first 2 shown]
	s_and_b64 s[12:13], vcc, s[12:13]
	v_cmp_nlt_f64_e32 vcc, v[106:107], v[90:91]
	v_cndmask_b32_e32 v105, v107, v91, vcc
	v_cndmask_b32_e32 v104, v106, v90, vcc
	v_cndmask_b32_e32 v93, v91, v107, vcc
	v_cndmask_b32_e32 v92, v90, v106, vcc
	s_and_b64 s[12:13], s[12:13], vcc
	v_cmp_nlt_f64_e32 vcc, v[104:105], v[96:97]
	v_cndmask_b32_e32 v107, v105, v97, vcc
	v_cndmask_b32_e32 v106, v104, v96, vcc
	v_cndmask_b32_e32 v91, v97, v105, vcc
	v_cndmask_b32_e32 v90, v96, v104, vcc
	s_and_b64 s[12:13], s[12:13], vcc
	;; [unrolled: 6-line block ×4, first 2 shown]
	v_cmp_nlt_f64_e32 vcc, v[106:107], v[102:103]
	s_and_b64 s[12:13], s[12:13], vcc
	s_and_b64 s[12:13], s[12:13], s[78:79]
	s_and_b64 s[12:13], s[12:13], s[68:69]
	v_cndmask_b32_e32 v105, v107, v103, vcc
	v_cndmask_b32_e32 v104, v106, v102, vcc
	s_and_b64 s[12:13], exec, s[12:13]
	v_cndmask_b32_e32 v101, v103, v107, vcc
	v_cndmask_b32_e32 v100, v102, v106, vcc
	s_or_b64 s[66:67], s[12:13], s[66:67]
	v_pk_mov_b32 v[102:103], v[104:105], v[104:105] op_sel:[0,1]
	s_andn2_b64 exec, exec, s[66:67]
	s_cbranch_execnz .LBB198_57
; %bb.58:                               ;   in Loop: Header=BB198_4 Depth=1
	s_or_b64 exec, exec, s[66:67]
	v_add_f64 v[10:11], v[10:11], -1.0
	v_add_f64 v[10:11], v[10:11], v[82:83]
	v_add_f64 v[10:11], v[10:11], v[88:89]
	;; [unrolled: 1-line block ×11, first 2 shown]
	v_add_f64 v[10:11], v[82:83], 1.0
	v_add_f64 v[84:85], v[10:11], -1.0
	v_add_f64 v[86:87], v[84:85], -v[10:11]
	v_add_f64 v[86:87], v[86:87], 1.0
	v_add_f64 v[84:85], v[82:83], -v[84:85]
	v_add_f64 v[84:85], v[84:85], v[86:87]
	v_frexp_mant_f64_e32 v[86:87], v[10:11]
	v_frexp_exp_i32_f64_e32 v1, v[10:11]
	v_cmp_gt_f64_e32 vcc, s[28:29], v[86:87]
	v_subbrev_co_u32_e32 v1, vcc, 0, v1, vcc
	v_sub_u32_e32 v12, 0, v1
	v_ldexp_f64 v[10:11], v[10:11], v12
	v_add_f64 v[86:87], v[10:11], -1.0
	v_add_f64 v[92:93], v[10:11], 1.0
	v_add_f64 v[88:89], v[86:87], 1.0
	v_add_f64 v[94:95], v[92:93], -1.0
	v_ldexp_f64 v[84:85], v[84:85], v12
	v_add_f64 v[88:89], v[10:11], -v[88:89]
	v_add_f64 v[10:11], v[10:11], -v[94:95]
	v_add_f64 v[10:11], v[84:85], v[10:11]
	v_add_f64 v[88:89], v[84:85], v[88:89]
	;; [unrolled: 1-line block ×3, first 2 shown]
	v_rcp_f64_e32 v[94:95], v[84:85]
	v_add_f64 v[90:91], v[86:87], v[88:89]
	v_add_f64 v[86:87], v[90:91], -v[86:87]
	v_add_f64 v[86:87], v[88:89], -v[86:87]
	;; [unrolled: 1-line block ×4, first 2 shown]
	v_fma_f64 v[88:89], -v[84:85], v[94:95], 1.0
	v_fmac_f64_e32 v[94:95], v[88:89], v[94:95]
	v_fma_f64 v[88:89], -v[84:85], v[94:95], 1.0
	v_fmac_f64_e32 v[94:95], v[88:89], v[94:95]
	v_mul_f64 v[88:89], v[90:91], v[94:95]
	v_mul_f64 v[92:93], v[84:85], v[88:89]
	v_fma_f64 v[96:97], v[88:89], v[84:85], -v[92:93]
	v_fmac_f64_e32 v[96:97], v[88:89], v[10:11]
	v_add_f64 v[98:99], v[92:93], v[96:97]
	v_add_f64 v[100:101], v[90:91], -v[98:99]
	v_add_f64 v[90:91], v[90:91], -v[100:101]
	;; [unrolled: 1-line block ×4, first 2 shown]
	v_add_f64 v[86:87], v[86:87], v[90:91]
	v_add_f64 v[90:91], v[92:93], -v[96:97]
	v_add_f64 v[86:87], v[90:91], v[86:87]
	v_add_f64 v[90:91], v[100:101], v[86:87]
	v_add_f64 v[92:93], v[100:101], -v[90:91]
	v_add_f64 v[86:87], v[86:87], v[92:93]
	v_mul_f64 v[92:93], v[94:95], v[90:91]
	v_mul_f64 v[96:97], v[84:85], v[92:93]
	v_fma_f64 v[84:85], v[92:93], v[84:85], -v[96:97]
	v_fmac_f64_e32 v[84:85], v[92:93], v[10:11]
	v_add_f64 v[10:11], v[96:97], v[84:85]
	v_add_f64 v[98:99], v[90:91], -v[10:11]
	v_add_f64 v[90:91], v[90:91], -v[98:99]
	;; [unrolled: 1-line block ×4, first 2 shown]
	v_add_f64 v[10:11], v[86:87], v[10:11]
	v_add_f64 v[84:85], v[96:97], -v[84:85]
	v_add_f64 v[10:11], v[84:85], v[10:11]
	v_add_f64 v[84:85], v[88:89], v[92:93]
	;; [unrolled: 1-line block ×3, first 2 shown]
	v_add_f64 v[86:87], v[84:85], -v[88:89]
	v_mul_f64 v[10:11], v[94:95], v[10:11]
	v_add_f64 v[86:87], v[92:93], -v[86:87]
	v_add_f64 v[10:11], v[86:87], v[10:11]
	v_add_f64 v[86:87], v[84:85], v[10:11]
	v_add_f64 v[84:85], v[86:87], -v[84:85]
	v_add_f64 v[10:11], v[10:11], -v[84:85]
	v_mul_f64 v[84:85], v[86:87], v[86:87]
	v_pk_mov_b32 v[88:89], v[18:19], v[18:19] op_sel:[0,1]
	v_fmac_f64_e32 v[88:89], s[30:31], v[84:85]
	v_pk_mov_b32 v[90:91], v[20:21], v[20:21] op_sel:[0,1]
	v_fmac_f64_e32 v[90:91], v[84:85], v[88:89]
	;; [unrolled: 2-line block ×6, first 2 shown]
	v_cvt_f64_i32_e32 v[88:89], v1
	v_mul_f64 v[92:93], v[88:89], s[34:35]
	v_fma_f64 v[94:95], v[88:89], s[34:35], -v[92:93]
	v_fmac_f64_e32 v[94:95], s[36:37], v[88:89]
	v_add_f64 v[88:89], v[92:93], v[94:95]
	v_add_f64 v[92:93], v[88:89], -v[92:93]
	v_mul_f64 v[84:85], v[86:87], v[84:85]
	v_add_f64 v[92:93], v[94:95], -v[92:93]
	v_ldexp_f64 v[94:95], v[86:87], 1
	v_mul_f64 v[84:85], v[84:85], v[90:91]
	v_add_f64 v[86:87], v[94:95], v[84:85]
	v_add_f64 v[90:91], v[86:87], -v[94:95]
	v_ldexp_f64 v[10:11], v[10:11], 1
	v_add_f64 v[84:85], v[84:85], -v[90:91]
	v_add_f64 v[10:11], v[10:11], v[84:85]
	v_add_f64 v[84:85], v[86:87], v[10:11]
	v_add_f64 v[86:87], v[84:85], -v[86:87]
	v_add_f64 v[10:11], v[10:11], -v[86:87]
	v_add_f64 v[86:87], v[88:89], v[84:85]
	v_add_f64 v[90:91], v[86:87], -v[88:89]
	v_add_f64 v[94:95], v[86:87], -v[90:91]
	;; [unrolled: 1-line block ×4, first 2 shown]
	v_add_f64 v[84:85], v[84:85], v[88:89]
	v_add_f64 v[88:89], v[92:93], v[10:11]
	v_add_f64 v[90:91], v[88:89], -v[92:93]
	v_add_f64 v[84:85], v[88:89], v[84:85]
	v_add_f64 v[94:95], v[88:89], -v[90:91]
	;; [unrolled: 2-line block ×3, first 2 shown]
	v_add_f64 v[10:11], v[10:11], -v[90:91]
	v_add_f64 v[86:87], v[88:89], -v[86:87]
	v_add_f64 v[10:11], v[10:11], v[92:93]
	v_add_f64 v[84:85], v[84:85], -v[86:87]
	v_add_f64 v[10:11], v[10:11], v[84:85]
	v_max_f64 v[84:85], |v[4:5]|, |v[4:5]|
	v_max_f64 v[86:87], |v[2:3]|, |v[2:3]|
	v_add_f64 v[10:11], v[88:89], v[10:11]
	v_max_f64 v[88:89], v[86:87], v[84:85]
	v_min_f64 v[84:85], v[86:87], v[84:85]
	v_div_scale_f64 v[86:87], s[12:13], v[88:89], v[88:89], v[84:85]
	v_cmp_eq_f64_e32 vcc, s[38:39], v[82:83]
	v_rcp_f64_e32 v[90:91], v[86:87]
	v_cndmask_b32_e32 v11, v11, v83, vcc
	v_cndmask_b32_e32 v10, v10, v82, vcc
	v_mul_f64 v[10:11], v[10:11], 0.5
	v_cmp_ngt_f64_e32 vcc, -1.0, v[82:83]
	v_cndmask_b32_e32 v1, v112, v11, vcc
	v_cmp_nge_f64_e32 vcc, -1.0, v[82:83]
	v_cndmask_b32_e32 v10, 0, v10, vcc
	v_cmp_neq_f64_e32 vcc, -1.0, v[82:83]
	v_fma_f64 v[82:83], -v[86:87], v[90:91], 1.0
	v_fmac_f64_e32 v[90:91], v[90:91], v[82:83]
	v_fma_f64 v[82:83], -v[86:87], v[90:91], 1.0
	v_cndmask_b32_e32 v11, v113, v1, vcc
	v_fmac_f64_e32 v[90:91], v[90:91], v[82:83]
	v_div_scale_f64 v[82:83], vcc, v[84:85], v[88:89], v[84:85]
	v_mul_f64 v[92:93], v[82:83], v[90:91]
	v_fma_f64 v[82:83], -v[86:87], v[92:93], v[82:83]
	v_pk_mov_b32 v[86:87], v[30:31], v[30:31] op_sel:[0,1]
	s_nop 0
	v_div_fmas_f64 v[82:83], v[82:83], v[90:91], v[92:93]
	v_div_fixup_f64 v[82:83], v[82:83], v[88:89], v[84:85]
	v_mul_f64 v[84:85], v[82:83], v[82:83]
	v_fmac_f64_e32 v[86:87], s[40:41], v[84:85]
	v_pk_mov_b32 v[88:89], v[32:33], v[32:33] op_sel:[0,1]
	v_fmac_f64_e32 v[88:89], v[84:85], v[86:87]
	v_pk_mov_b32 v[86:87], v[34:35], v[34:35] op_sel:[0,1]
	;; [unrolled: 2-line block ×18, first 2 shown]
	v_fmac_f64_e32 v[86:87], v[84:85], v[88:89]
	v_cmp_gt_i32_e32 vcc, 0, v3
	v_mul_f64 v[84:85], v[84:85], v[86:87]
	v_cmp_class_f64_e64 s[66:67], v[2:3], s77
	v_cndmask_b32_e32 v2, v116, v117, vcc
	v_fmac_f64_e32 v[82:83], v[82:83], v[84:85]
	v_bfi_b32 v12, s76, v2, v5
	v_ashrrev_i32_e32 v2, 31, v3
	v_and_b32_e32 v69, 0x400921fb, v2
	v_and_b32_e32 v84, 0x54442d18, v2
	v_add_f64 v[2:3], -v[82:83], s[42:43]
	v_cndmask_b32_e64 v3, v83, v3, s[10:11]
	v_cndmask_b32_e64 v2, v82, v2, s[10:11]
	s_mov_b32 s44, s42
	v_add_f64 v[82:83], -v[2:3], s[44:45]
	v_cmp_class_f64_e64 s[12:13], v[4:5], s77
	v_cndmask_b32_e32 v1, v114, v115, vcc
	v_cndmask_b32_e32 v3, v3, v83, vcc
	;; [unrolled: 1-line block ×3, first 2 shown]
	v_cmp_eq_f64_e32 vcc, 0, v[4:5]
	v_cndmask_b32_e32 v2, v2, v84, vcc
	v_cndmask_b32_e32 v3, v3, v69, vcc
	s_and_b64 vcc, s[12:13], s[66:67]
	v_cndmask_b32_e32 v83, v3, v12, vcc
	v_cndmask_b32_e32 v82, v2, v1, vcc
.LBB198_59:                             ;   in Loop: Header=BB198_4 Depth=1
	s_or_b64 exec, exec, s[64:65]
.LBB198_60:                             ;   in Loop: Header=BB198_4 Depth=1
	s_or_b64 exec, exec, s[62:63]
.LBB198_61:                             ;   in Loop: Header=BB198_4 Depth=1
	s_andn2_saveexec_b64 s[60:61], s[60:61]
	s_cbranch_execz .LBB198_63
; %bb.62:                               ;   in Loop: Header=BB198_4 Depth=1
	v_max_f64 v[10:11], |v[4:5]|, |v[4:5]|
	v_max_f64 v[82:83], |v[2:3]|, |v[2:3]|
	v_max_f64 v[84:85], v[82:83], v[10:11]
	v_frexp_exp_i32_f64_e32 v1, v[84:85]
	v_sub_u32_e32 v12, 0, v1
	v_ldexp_f64 v[88:89], |v[4:5]|, v12
	v_ldexp_f64 v[86:87], |v[2:3]|, v12
	v_mul_f64 v[88:89], v[88:89], v[88:89]
	v_fmac_f64_e32 v[88:89], v[86:87], v[86:87]
	v_rsq_f64_e32 v[86:87], v[88:89]
	v_cmp_eq_f64_e32 vcc, 0, v[88:89]
	v_cmp_class_f64_e64 s[62:63], v[2:3], s77
	v_cmp_class_f64_e64 s[64:65], v[4:5], s77
	v_mul_f64 v[90:91], v[88:89], v[86:87]
	v_mul_f64 v[86:87], v[86:87], 0.5
	v_fma_f64 v[92:93], -v[86:87], v[90:91], 0.5
	v_fmac_f64_e32 v[90:91], v[90:91], v[92:93]
	v_fmac_f64_e32 v[86:87], v[86:87], v[92:93]
	v_fma_f64 v[92:93], -v[90:91], v[90:91], v[88:89]
	v_fmac_f64_e32 v[90:91], v[92:93], v[86:87]
	v_cndmask_b32_e32 v87, v91, v89, vcc
	v_cndmask_b32_e32 v86, v90, v88, vcc
	v_ldexp_f64 v[86:87], v[86:87], v1
	s_or_b64 vcc, s[64:65], s[62:63]
	v_cndmask_b32_e32 v89, v87, v119, vcc
	v_cndmask_b32_e64 v88, v86, 0, vcc
	v_frexp_mant_f64_e32 v[90:91], v[88:89]
	v_cmp_gt_f64_e64 s[12:13], s[28:29], v[90:91]
	v_cndmask_b32_e64 v69, v118, 2.0, s[12:13]
	v_mul_f64 v[90:91], v[90:91], v[68:69]
	v_add_f64 v[92:93], v[90:91], 1.0
	v_rcp_f64_e32 v[94:95], v[92:93]
	v_add_f64 v[98:99], v[92:93], -1.0
	v_add_f64 v[96:97], v[90:91], -1.0
	v_add_f64 v[90:91], v[90:91], -v[98:99]
	v_fma_f64 v[98:99], -v[92:93], v[94:95], 1.0
	v_fmac_f64_e32 v[94:95], v[98:99], v[94:95]
	v_fma_f64 v[98:99], -v[92:93], v[94:95], 1.0
	v_fmac_f64_e32 v[94:95], v[98:99], v[94:95]
	v_mul_f64 v[98:99], v[96:97], v[94:95]
	v_mul_f64 v[100:101], v[92:93], v[98:99]
	v_fma_f64 v[92:93], v[98:99], v[92:93], -v[100:101]
	v_fmac_f64_e32 v[92:93], v[98:99], v[90:91]
	v_add_f64 v[90:91], v[100:101], v[92:93]
	v_add_f64 v[102:103], v[96:97], -v[90:91]
	v_add_f64 v[100:101], v[90:91], -v[100:101]
	;; [unrolled: 1-line block ×5, first 2 shown]
	v_add_f64 v[90:91], v[92:93], v[90:91]
	v_add_f64 v[90:91], v[102:103], v[90:91]
	v_mul_f64 v[90:91], v[94:95], v[90:91]
	v_add_f64 v[92:93], v[98:99], v[90:91]
	v_add_f64 v[94:95], v[92:93], -v[98:99]
	v_add_f64 v[90:91], v[90:91], -v[94:95]
	v_mul_f64 v[94:95], v[92:93], v[92:93]
	v_pk_mov_b32 v[96:97], v[18:19], v[18:19] op_sel:[0,1]
	v_fmac_f64_e32 v[96:97], s[30:31], v[94:95]
	v_pk_mov_b32 v[98:99], v[20:21], v[20:21] op_sel:[0,1]
	v_fmac_f64_e32 v[98:99], v[94:95], v[96:97]
	;; [unrolled: 2-line block ×6, first 2 shown]
	v_ldexp_f64 v[96:97], v[92:93], 1
	v_mul_f64 v[92:93], v[92:93], v[94:95]
	v_mul_f64 v[92:93], v[92:93], v[98:99]
	v_add_f64 v[94:95], v[96:97], v[92:93]
	v_add_f64 v[96:97], v[94:95], -v[96:97]
	v_ldexp_f64 v[90:91], v[90:91], 1
	v_add_f64 v[92:93], v[92:93], -v[96:97]
	v_add_f64 v[90:91], v[90:91], v[92:93]
	v_frexp_exp_i32_f64_e32 v1, v[88:89]
	v_add_f64 v[92:93], v[94:95], v[90:91]
	v_subbrev_co_u32_e64 v1, s[12:13], 0, v1, s[12:13]
	v_add_f64 v[94:95], v[92:93], -v[94:95]
	v_add_f64 v[90:91], v[90:91], -v[94:95]
	v_cvt_f64_i32_e32 v[94:95], v1
	v_mul_f64 v[96:97], v[94:95], s[34:35]
	v_fma_f64 v[98:99], v[94:95], s[34:35], -v[96:97]
	v_fmac_f64_e32 v[98:99], s[36:37], v[94:95]
	v_add_f64 v[94:95], v[96:97], v[98:99]
	v_add_f64 v[96:97], v[94:95], -v[96:97]
	v_add_f64 v[96:97], v[98:99], -v[96:97]
	v_add_f64 v[98:99], v[94:95], v[92:93]
	v_add_f64 v[100:101], v[98:99], -v[94:95]
	v_add_f64 v[102:103], v[98:99], -v[100:101]
	v_add_f64 v[94:95], v[94:95], -v[102:103]
	v_add_f64 v[92:93], v[92:93], -v[100:101]
	v_add_f64 v[92:93], v[92:93], v[94:95]
	v_add_f64 v[94:95], v[96:97], v[90:91]
	v_add_f64 v[100:101], v[94:95], -v[96:97]
	v_add_f64 v[102:103], v[94:95], -v[100:101]
	v_add_f64 v[92:93], v[94:95], v[92:93]
	v_add_f64 v[96:97], v[96:97], -v[102:103]
	v_add_f64 v[90:91], v[90:91], -v[100:101]
	v_add_f64 v[94:95], v[98:99], v[92:93]
	v_add_f64 v[90:91], v[90:91], v[96:97]
	v_add_f64 v[96:97], v[94:95], -v[98:99]
	v_add_f64 v[92:93], v[92:93], -v[96:97]
	v_add_f64 v[90:91], v[90:91], v[92:93]
	v_add_f64 v[90:91], v[94:95], v[90:91]
	v_cmp_class_f64_e64 s[12:13], v[86:87], s77
	v_min_f64 v[82:83], v[82:83], v[10:11]
	v_cndmask_b32_e64 v1, v91, v87, s[12:13]
	v_cndmask_b32_e64 v2, v90, v86, s[12:13]
	v_div_scale_f64 v[86:87], s[12:13], v[84:85], v[84:85], v[82:83]
	v_rcp_f64_e32 v[90:91], v[86:87]
	v_cndmask_b32_e64 v2, v2, 0, vcc
	v_cndmask_b32_e32 v1, v1, v119, vcc
	v_cmp_ngt_f64_e32 vcc, 0, v[88:89]
	v_cndmask_b32_e32 v1, v112, v1, vcc
	v_cmp_nge_f64_e32 vcc, 0, v[88:89]
	v_cndmask_b32_e32 v10, 0, v2, vcc
	v_cmp_neq_f64_e32 vcc, 0, v[88:89]
	v_fma_f64 v[88:89], -v[86:87], v[90:91], 1.0
	v_fmac_f64_e32 v[90:91], v[90:91], v[88:89]
	v_fma_f64 v[88:89], -v[86:87], v[90:91], 1.0
	v_cndmask_b32_e32 v11, v113, v1, vcc
	v_fmac_f64_e32 v[90:91], v[90:91], v[88:89]
	v_div_scale_f64 v[88:89], vcc, v[82:83], v[84:85], v[82:83]
	v_mul_f64 v[92:93], v[88:89], v[90:91]
	v_fma_f64 v[86:87], -v[86:87], v[92:93], v[88:89]
	v_pk_mov_b32 v[88:89], v[32:33], v[32:33] op_sel:[0,1]
	s_nop 0
	v_div_fmas_f64 v[86:87], v[86:87], v[90:91], v[92:93]
	v_div_fixup_f64 v[82:83], v[86:87], v[84:85], v[82:83]
	v_mul_f64 v[84:85], v[82:83], v[82:83]
	v_pk_mov_b32 v[86:87], v[30:31], v[30:31] op_sel:[0,1]
	v_fmac_f64_e32 v[86:87], s[40:41], v[84:85]
	v_fmac_f64_e32 v[88:89], v[84:85], v[86:87]
	v_pk_mov_b32 v[86:87], v[34:35], v[34:35] op_sel:[0,1]
	v_fmac_f64_e32 v[86:87], v[84:85], v[88:89]
	v_pk_mov_b32 v[88:89], v[36:37], v[36:37] op_sel:[0,1]
	;; [unrolled: 2-line block ×17, first 2 shown]
	v_fmac_f64_e32 v[86:87], v[84:85], v[88:89]
	v_cmp_gt_i32_e32 vcc, 0, v3
	v_mul_f64 v[84:85], v[84:85], v[86:87]
	v_cndmask_b32_e32 v2, v116, v117, vcc
	v_fmac_f64_e32 v[82:83], v[82:83], v[84:85]
	v_bfi_b32 v12, s76, v2, v5
	v_ashrrev_i32_e32 v2, 31, v3
	v_and_b32_e32 v69, 0x400921fb, v2
	v_and_b32_e32 v84, 0x54442d18, v2
	v_add_f64 v[2:3], -v[82:83], s[42:43]
	v_cndmask_b32_e64 v3, v83, v3, s[10:11]
	v_cndmask_b32_e64 v2, v82, v2, s[10:11]
	s_mov_b32 s44, s42
	v_add_f64 v[82:83], -v[2:3], s[44:45]
	v_cndmask_b32_e32 v1, v114, v115, vcc
	v_cndmask_b32_e32 v3, v3, v83, vcc
	;; [unrolled: 1-line block ×3, first 2 shown]
	v_cmp_eq_f64_e32 vcc, 0, v[4:5]
	v_cndmask_b32_e32 v2, v2, v84, vcc
	v_cndmask_b32_e32 v3, v3, v69, vcc
	s_and_b64 vcc, s[64:65], s[62:63]
	v_cndmask_b32_e32 v83, v3, v12, vcc
	v_cndmask_b32_e32 v82, v2, v1, vcc
.LBB198_63:                             ;   in Loop: Header=BB198_4 Depth=1
	s_or_b64 exec, exec, s[60:61]
                                        ; implicit-def: $vgpr84_vgpr85
.LBB198_64:                             ;   in Loop: Header=BB198_4 Depth=1
	s_andn2_saveexec_b64 s[12:13], s[58:59]
	s_cbranch_execz .LBB198_70
; %bb.65:                               ;   in Loop: Header=BB198_4 Depth=1
	v_cmp_ngt_f64_e32 vcc, s[48:49], v[84:85]
                                        ; implicit-def: $vgpr10_vgpr11
                                        ; implicit-def: $vgpr82_vgpr83
	s_and_saveexec_b64 s[58:59], vcc
	s_xor_b64 s[58:59], exec, s[58:59]
	s_cbranch_execz .LBB198_67
; %bb.66:                               ;   in Loop: Header=BB198_4 Depth=1
	v_mul_f64 v[10:11], v[84:85], v[84:85]
	v_add_f64 v[82:83], v[10:11], 1.0
	v_add_f64 v[84:85], v[82:83], -1.0
	v_add_f64 v[86:87], v[84:85], -v[82:83]
	v_add_f64 v[86:87], v[86:87], 1.0
	v_add_f64 v[84:85], v[10:11], -v[84:85]
	v_add_f64 v[84:85], v[84:85], v[86:87]
	v_frexp_mant_f64_e32 v[86:87], v[82:83]
	v_frexp_exp_i32_f64_e32 v1, v[82:83]
	v_cmp_gt_f64_e32 vcc, s[28:29], v[86:87]
	v_subbrev_co_u32_e32 v1, vcc, 0, v1, vcc
	v_sub_u32_e32 v12, 0, v1
	v_ldexp_f64 v[82:83], v[82:83], v12
	v_add_f64 v[86:87], v[82:83], -1.0
	v_add_f64 v[92:93], v[82:83], 1.0
	v_add_f64 v[88:89], v[86:87], 1.0
	v_add_f64 v[94:95], v[92:93], -1.0
	v_ldexp_f64 v[84:85], v[84:85], v12
	v_add_f64 v[88:89], v[82:83], -v[88:89]
	v_add_f64 v[82:83], v[82:83], -v[94:95]
	v_add_f64 v[82:83], v[84:85], v[82:83]
	v_add_f64 v[88:89], v[84:85], v[88:89]
	;; [unrolled: 1-line block ×3, first 2 shown]
	v_rcp_f64_e32 v[94:95], v[84:85]
	v_add_f64 v[90:91], v[86:87], v[88:89]
	v_add_f64 v[86:87], v[86:87], -v[90:91]
	v_add_f64 v[86:87], v[88:89], v[86:87]
	v_add_f64 v[88:89], v[92:93], -v[84:85]
	v_add_f64 v[82:83], v[82:83], v[88:89]
	v_fma_f64 v[88:89], -v[84:85], v[94:95], 1.0
	v_fmac_f64_e32 v[94:95], v[88:89], v[94:95]
	v_fma_f64 v[88:89], -v[84:85], v[94:95], 1.0
	v_fmac_f64_e32 v[94:95], v[88:89], v[94:95]
	v_mul_f64 v[88:89], v[90:91], v[94:95]
	v_mul_f64 v[92:93], v[84:85], v[88:89]
	v_fma_f64 v[96:97], v[88:89], v[84:85], -v[92:93]
	v_fmac_f64_e32 v[96:97], v[88:89], v[82:83]
	v_add_f64 v[98:99], v[92:93], v[96:97]
	v_add_f64 v[100:101], v[90:91], -v[98:99]
	v_add_f64 v[90:91], v[90:91], -v[100:101]
	;; [unrolled: 1-line block ×4, first 2 shown]
	v_add_f64 v[86:87], v[86:87], v[90:91]
	v_add_f64 v[90:91], v[92:93], -v[96:97]
	v_add_f64 v[86:87], v[90:91], v[86:87]
	v_add_f64 v[90:91], v[100:101], v[86:87]
	v_add_f64 v[92:93], v[100:101], -v[90:91]
	v_add_f64 v[86:87], v[86:87], v[92:93]
	v_mul_f64 v[92:93], v[94:95], v[90:91]
	v_mul_f64 v[96:97], v[84:85], v[92:93]
	v_fma_f64 v[84:85], v[92:93], v[84:85], -v[96:97]
	v_fmac_f64_e32 v[84:85], v[92:93], v[82:83]
	v_add_f64 v[82:83], v[96:97], v[84:85]
	v_add_f64 v[98:99], v[90:91], -v[82:83]
	v_add_f64 v[90:91], v[90:91], -v[98:99]
	;; [unrolled: 1-line block ×4, first 2 shown]
	v_add_f64 v[82:83], v[86:87], v[82:83]
	v_add_f64 v[84:85], v[96:97], -v[84:85]
	v_add_f64 v[82:83], v[84:85], v[82:83]
	v_add_f64 v[84:85], v[88:89], v[92:93]
	;; [unrolled: 1-line block ×3, first 2 shown]
	v_add_f64 v[86:87], v[84:85], -v[88:89]
	v_mul_f64 v[82:83], v[94:95], v[82:83]
	v_add_f64 v[86:87], v[92:93], -v[86:87]
	v_add_f64 v[82:83], v[86:87], v[82:83]
	v_add_f64 v[86:87], v[84:85], v[82:83]
	v_add_f64 v[84:85], v[86:87], -v[84:85]
	v_add_f64 v[82:83], v[82:83], -v[84:85]
	v_mul_f64 v[84:85], v[86:87], v[86:87]
	v_pk_mov_b32 v[88:89], v[18:19], v[18:19] op_sel:[0,1]
	v_fmac_f64_e32 v[88:89], s[30:31], v[84:85]
	v_pk_mov_b32 v[90:91], v[20:21], v[20:21] op_sel:[0,1]
	v_fmac_f64_e32 v[90:91], v[84:85], v[88:89]
	;; [unrolled: 2-line block ×6, first 2 shown]
	v_cvt_f64_i32_e32 v[88:89], v1
	v_mul_f64 v[92:93], v[88:89], s[34:35]
	v_fma_f64 v[94:95], v[88:89], s[34:35], -v[92:93]
	v_fmac_f64_e32 v[94:95], s[36:37], v[88:89]
	v_add_f64 v[88:89], v[92:93], v[94:95]
	v_add_f64 v[92:93], v[88:89], -v[92:93]
	v_mul_f64 v[84:85], v[86:87], v[84:85]
	v_add_f64 v[92:93], v[94:95], -v[92:93]
	v_ldexp_f64 v[94:95], v[86:87], 1
	v_mul_f64 v[84:85], v[84:85], v[90:91]
	v_add_f64 v[86:87], v[94:95], v[84:85]
	v_add_f64 v[90:91], v[86:87], -v[94:95]
	v_ldexp_f64 v[82:83], v[82:83], 1
	v_add_f64 v[84:85], v[84:85], -v[90:91]
	v_add_f64 v[82:83], v[82:83], v[84:85]
	v_add_f64 v[84:85], v[86:87], v[82:83]
	v_add_f64 v[86:87], v[84:85], -v[86:87]
	v_add_f64 v[82:83], v[82:83], -v[86:87]
	v_add_f64 v[86:87], v[88:89], v[84:85]
	v_add_f64 v[90:91], v[86:87], -v[88:89]
	v_add_f64 v[94:95], v[86:87], -v[90:91]
	;; [unrolled: 1-line block ×4, first 2 shown]
	v_add_f64 v[84:85], v[84:85], v[88:89]
	v_add_f64 v[88:89], v[92:93], v[82:83]
	v_add_f64 v[90:91], v[88:89], -v[92:93]
	v_add_f64 v[84:85], v[88:89], v[84:85]
	v_add_f64 v[94:95], v[88:89], -v[90:91]
	v_add_f64 v[88:89], v[86:87], v[84:85]
	v_add_f64 v[92:93], v[92:93], -v[94:95]
	v_add_f64 v[82:83], v[82:83], -v[90:91]
	v_add_f64 v[86:87], v[88:89], -v[86:87]
	v_add_f64 v[82:83], v[82:83], v[92:93]
	v_add_f64 v[84:85], v[84:85], -v[86:87]
	v_add_f64 v[82:83], v[82:83], v[84:85]
	v_max_f64 v[84:85], |v[4:5]|, |v[4:5]|
	v_max_f64 v[86:87], |v[2:3]|, |v[2:3]|
	v_add_f64 v[82:83], v[88:89], v[82:83]
	v_max_f64 v[88:89], v[86:87], v[84:85]
	v_min_f64 v[84:85], v[86:87], v[84:85]
	v_div_scale_f64 v[86:87], s[60:61], v[88:89], v[88:89], v[84:85]
	v_rcp_f64_e32 v[90:91], v[86:87]
	v_cmp_eq_f64_e32 vcc, s[38:39], v[10:11]
	v_cndmask_b32_e32 v11, v83, v11, vcc
	v_cndmask_b32_e32 v10, v82, v10, vcc
	v_fma_f64 v[82:83], -v[86:87], v[90:91], 1.0
	v_fmac_f64_e32 v[90:91], v[90:91], v[82:83]
	v_fma_f64 v[82:83], -v[86:87], v[90:91], 1.0
	v_fmac_f64_e32 v[90:91], v[90:91], v[82:83]
	v_div_scale_f64 v[82:83], vcc, v[84:85], v[88:89], v[84:85]
	v_mul_f64 v[92:93], v[82:83], v[90:91]
	v_fma_f64 v[82:83], -v[86:87], v[92:93], v[82:83]
	v_pk_mov_b32 v[86:87], v[30:31], v[30:31] op_sel:[0,1]
	s_nop 0
	v_div_fmas_f64 v[82:83], v[82:83], v[90:91], v[92:93]
	v_div_fixup_f64 v[82:83], v[82:83], v[88:89], v[84:85]
	v_mul_f64 v[84:85], v[82:83], v[82:83]
	v_fmac_f64_e32 v[86:87], s[40:41], v[84:85]
	v_pk_mov_b32 v[88:89], v[32:33], v[32:33] op_sel:[0,1]
	v_fmac_f64_e32 v[88:89], v[84:85], v[86:87]
	v_pk_mov_b32 v[86:87], v[34:35], v[34:35] op_sel:[0,1]
	;; [unrolled: 2-line block ×18, first 2 shown]
	v_fmac_f64_e32 v[86:87], v[84:85], v[88:89]
	v_cmp_gt_i32_e32 vcc, 0, v3
	v_mul_f64 v[84:85], v[84:85], v[86:87]
	v_cmp_class_f64_e64 s[62:63], v[2:3], s77
	v_cndmask_b32_e32 v2, v116, v117, vcc
	v_fmac_f64_e32 v[82:83], v[82:83], v[84:85]
	v_bfi_b32 v12, s76, v2, v5
	v_ashrrev_i32_e32 v2, 31, v3
	v_and_b32_e32 v69, 0x400921fb, v2
	v_and_b32_e32 v84, 0x54442d18, v2
	v_add_f64 v[2:3], -v[82:83], s[42:43]
	v_cndmask_b32_e64 v3, v83, v3, s[10:11]
	v_cndmask_b32_e64 v2, v82, v2, s[10:11]
	s_mov_b32 s44, s42
	v_add_f64 v[82:83], -v[2:3], s[44:45]
	v_cmp_class_f64_e64 s[60:61], v[4:5], s77
	v_cndmask_b32_e32 v1, v114, v115, vcc
	v_cndmask_b32_e32 v3, v3, v83, vcc
	;; [unrolled: 1-line block ×3, first 2 shown]
	v_cmp_eq_f64_e32 vcc, 0, v[4:5]
	v_cndmask_b32_e32 v2, v2, v84, vcc
	v_cndmask_b32_e32 v3, v3, v69, vcc
	s_and_b64 vcc, s[60:61], s[62:63]
	v_mul_f64 v[10:11], v[10:11], 0.5
	v_cndmask_b32_e32 v83, v3, v12, vcc
	v_cndmask_b32_e32 v82, v2, v1, vcc
                                        ; implicit-def: $vgpr84_vgpr85
.LBB198_67:                             ;   in Loop: Header=BB198_4 Depth=1
	s_andn2_saveexec_b64 s[58:59], s[58:59]
	s_cbranch_execz .LBB198_69
; %bb.68:                               ;   in Loop: Header=BB198_4 Depth=1
	v_max_f64 v[10:11], |v[4:5]|, |v[4:5]|
	v_max_f64 v[82:83], |v[2:3]|, |v[2:3]|
	v_max_f64 v[86:87], v[82:83], v[10:11]
	v_min_f64 v[82:83], v[82:83], v[10:11]
	v_div_scale_f64 v[88:89], s[60:61], v[86:87], v[86:87], v[82:83]
	v_rcp_f64_e32 v[90:91], v[88:89]
	v_mul_f64 v[10:11], v[84:85], 0.5
	v_mul_f64 v[10:11], v[84:85], v[10:11]
	v_cmp_class_f64_e64 s[62:63], v[2:3], s77
	v_fma_f64 v[84:85], -v[88:89], v[90:91], 1.0
	v_fmac_f64_e32 v[90:91], v[90:91], v[84:85]
	v_fma_f64 v[84:85], -v[88:89], v[90:91], 1.0
	v_fmac_f64_e32 v[90:91], v[90:91], v[84:85]
	v_div_scale_f64 v[84:85], vcc, v[82:83], v[86:87], v[82:83]
	v_mul_f64 v[92:93], v[84:85], v[90:91]
	v_fma_f64 v[84:85], -v[88:89], v[92:93], v[84:85]
	v_pk_mov_b32 v[88:89], v[32:33], v[32:33] op_sel:[0,1]
	s_nop 0
	v_div_fmas_f64 v[84:85], v[84:85], v[90:91], v[92:93]
	v_div_fixup_f64 v[82:83], v[84:85], v[86:87], v[82:83]
	v_mul_f64 v[84:85], v[82:83], v[82:83]
	v_pk_mov_b32 v[86:87], v[30:31], v[30:31] op_sel:[0,1]
	v_fmac_f64_e32 v[86:87], s[40:41], v[84:85]
	v_fmac_f64_e32 v[88:89], v[84:85], v[86:87]
	v_pk_mov_b32 v[86:87], v[34:35], v[34:35] op_sel:[0,1]
	v_fmac_f64_e32 v[86:87], v[84:85], v[88:89]
	v_pk_mov_b32 v[88:89], v[36:37], v[36:37] op_sel:[0,1]
	;; [unrolled: 2-line block ×17, first 2 shown]
	v_fmac_f64_e32 v[86:87], v[84:85], v[88:89]
	v_cmp_gt_i32_e32 vcc, 0, v3
	v_mul_f64 v[84:85], v[84:85], v[86:87]
	v_cndmask_b32_e32 v2, v116, v117, vcc
	v_fmac_f64_e32 v[82:83], v[82:83], v[84:85]
	v_bfi_b32 v12, s76, v2, v5
	v_ashrrev_i32_e32 v2, 31, v3
	v_and_b32_e32 v69, 0x400921fb, v2
	v_and_b32_e32 v84, 0x54442d18, v2
	v_add_f64 v[2:3], -v[82:83], s[42:43]
	v_cndmask_b32_e64 v3, v83, v3, s[10:11]
	v_cndmask_b32_e64 v2, v82, v2, s[10:11]
	s_mov_b32 s44, s42
	v_add_f64 v[82:83], -v[2:3], s[44:45]
	v_cmp_class_f64_e64 s[60:61], v[4:5], s77
	v_cndmask_b32_e32 v1, v114, v115, vcc
	v_cndmask_b32_e32 v3, v3, v83, vcc
	v_cndmask_b32_e32 v2, v2, v82, vcc
	v_cmp_eq_f64_e32 vcc, 0, v[4:5]
	v_cndmask_b32_e32 v2, v2, v84, vcc
	v_cndmask_b32_e32 v3, v3, v69, vcc
	s_and_b64 vcc, s[60:61], s[62:63]
	v_cndmask_b32_e32 v83, v3, v12, vcc
	v_cndmask_b32_e32 v82, v2, v1, vcc
.LBB198_69:                             ;   in Loop: Header=BB198_4 Depth=1
	s_or_b64 exec, exec, s[58:59]
.LBB198_70:                             ;   in Loop: Header=BB198_4 Depth=1
	s_or_b64 exec, exec, s[12:13]
.LBB198_71:                             ;   in Loop: Header=BB198_4 Depth=1
	s_andn2_saveexec_b64 s[58:59], s[14:15]
	s_cbranch_execz .LBB198_73
; %bb.72:                               ;   in Loop: Header=BB198_4 Depth=1
	v_div_scale_f64 v[10:11], s[12:13], s[50:51], s[50:51], v[2:3]
	v_rcp_f64_e32 v[82:83], v[10:11]
	v_div_scale_f64 v[84:85], vcc, v[2:3], s[50:51], v[2:3]
	s_mov_b32 s44, s42
	v_fma_f64 v[86:87], -v[10:11], v[82:83], 1.0
	v_fmac_f64_e32 v[82:83], v[82:83], v[86:87]
	v_fma_f64 v[86:87], -v[10:11], v[82:83], 1.0
	v_fmac_f64_e32 v[82:83], v[82:83], v[86:87]
	v_mul_f64 v[86:87], v[84:85], v[82:83]
	v_fma_f64 v[10:11], -v[10:11], v[86:87], v[84:85]
	v_div_scale_f64 v[84:85], s[12:13], s[50:51], s[50:51], v[4:5]
	v_rcp_f64_e32 v[88:89], v[84:85]
	v_div_fmas_f64 v[10:11], v[10:11], v[82:83], v[86:87]
	v_div_fixup_f64 v[10:11], v[10:11], s[50:51], v[2:3]
	v_cmp_class_f64_e64 s[14:15], v[10:11], s77
	v_fma_f64 v[82:83], -v[84:85], v[88:89], 1.0
	v_fmac_f64_e32 v[88:89], v[88:89], v[82:83]
	v_fma_f64 v[82:83], -v[84:85], v[88:89], 1.0
	v_fmac_f64_e32 v[88:89], v[88:89], v[82:83]
	v_div_scale_f64 v[82:83], vcc, v[4:5], s[50:51], v[4:5]
	v_mul_f64 v[86:87], v[82:83], v[88:89]
	v_fma_f64 v[82:83], -v[84:85], v[86:87], v[82:83]
	s_nop 1
	v_div_fmas_f64 v[82:83], v[82:83], v[88:89], v[86:87]
	v_div_fixup_f64 v[82:83], v[82:83], s[50:51], v[4:5]
	v_max_f64 v[84:85], |v[10:11]|, |v[82:83]|
	v_frexp_exp_i32_f64_e32 v1, v[84:85]
	v_sub_u32_e32 v12, 0, v1
	v_ldexp_f64 v[86:87], |v[82:83]|, v12
	v_ldexp_f64 v[84:85], |v[10:11]|, v12
	v_mul_f64 v[86:87], v[86:87], v[86:87]
	v_fmac_f64_e32 v[86:87], v[84:85], v[84:85]
	v_rsq_f64_e32 v[84:85], v[86:87]
	v_cmp_eq_f64_e32 vcc, 0, v[86:87]
	v_cmp_o_f64_e64 s[12:13], v[10:11], v[82:83]
	v_cmp_class_f64_e64 s[60:61], v[82:83], s77
	v_mul_f64 v[88:89], v[86:87], v[84:85]
	v_mul_f64 v[84:85], v[84:85], 0.5
	v_fma_f64 v[90:91], -v[84:85], v[88:89], 0.5
	v_fmac_f64_e32 v[88:89], v[88:89], v[90:91]
	v_fmac_f64_e32 v[84:85], v[84:85], v[90:91]
	v_fma_f64 v[90:91], -v[88:89], v[88:89], v[86:87]
	v_fmac_f64_e32 v[88:89], v[90:91], v[84:85]
	v_cndmask_b32_e32 v85, v89, v87, vcc
	v_cndmask_b32_e32 v84, v88, v86, vcc
	v_ldexp_f64 v[84:85], v[84:85], v1
	v_cndmask_b32_e64 v1, 0, v84, s[12:13]
	v_cndmask_b32_e64 v12, v112, v85, s[12:13]
	s_or_b64 vcc, s[60:61], s[14:15]
	v_cndmask_b32_e32 v83, v12, v119, vcc
	v_cndmask_b32_e64 v82, v1, 0, vcc
	v_frexp_mant_f64_e32 v[10:11], v[82:83]
	v_cmp_gt_f64_e64 s[14:15], s[28:29], v[10:11]
	v_cndmask_b32_e64 v69, v118, 2.0, s[14:15]
	v_frexp_exp_i32_f64_e32 v86, v[82:83]
	v_mul_f64 v[10:11], v[10:11], v[68:69]
	v_subbrev_co_u32_e64 v69, s[14:15], 0, v86, s[14:15]
	v_add_f64 v[86:87], v[10:11], 1.0
	v_rcp_f64_e32 v[88:89], v[86:87]
	v_add_f64 v[92:93], v[86:87], -1.0
	v_add_f64 v[90:91], v[10:11], -1.0
	v_add_f64 v[10:11], v[10:11], -v[92:93]
	v_fma_f64 v[92:93], -v[86:87], v[88:89], 1.0
	v_fmac_f64_e32 v[88:89], v[92:93], v[88:89]
	v_fma_f64 v[92:93], -v[86:87], v[88:89], 1.0
	v_fmac_f64_e32 v[88:89], v[92:93], v[88:89]
	v_mul_f64 v[92:93], v[90:91], v[88:89]
	v_mul_f64 v[94:95], v[86:87], v[92:93]
	v_fma_f64 v[86:87], v[92:93], v[86:87], -v[94:95]
	v_fmac_f64_e32 v[86:87], v[92:93], v[10:11]
	v_add_f64 v[10:11], v[94:95], v[86:87]
	v_add_f64 v[96:97], v[90:91], -v[10:11]
	v_add_f64 v[94:95], v[10:11], -v[94:95]
	;; [unrolled: 1-line block ×5, first 2 shown]
	v_add_f64 v[10:11], v[86:87], v[10:11]
	v_add_f64 v[10:11], v[96:97], v[10:11]
	v_mul_f64 v[10:11], v[88:89], v[10:11]
	v_add_f64 v[86:87], v[92:93], v[10:11]
	v_add_f64 v[88:89], v[86:87], -v[92:93]
	v_add_f64 v[10:11], v[10:11], -v[88:89]
	v_mul_f64 v[88:89], v[86:87], v[86:87]
	v_pk_mov_b32 v[90:91], v[18:19], v[18:19] op_sel:[0,1]
	v_fmac_f64_e32 v[90:91], s[30:31], v[88:89]
	v_pk_mov_b32 v[92:93], v[20:21], v[20:21] op_sel:[0,1]
	v_fmac_f64_e32 v[92:93], v[88:89], v[90:91]
	;; [unrolled: 2-line block ×6, first 2 shown]
	v_ldexp_f64 v[90:91], v[86:87], 1
	v_mul_f64 v[86:87], v[86:87], v[88:89]
	v_mul_f64 v[86:87], v[86:87], v[92:93]
	v_add_f64 v[88:89], v[90:91], v[86:87]
	v_add_f64 v[90:91], v[88:89], -v[90:91]
	v_ldexp_f64 v[10:11], v[10:11], 1
	v_add_f64 v[86:87], v[86:87], -v[90:91]
	v_add_f64 v[10:11], v[10:11], v[86:87]
	v_add_f64 v[86:87], v[88:89], v[10:11]
	v_add_f64 v[88:89], v[86:87], -v[88:89]
	v_add_f64 v[10:11], v[10:11], -v[88:89]
	v_cvt_f64_i32_e32 v[88:89], v69
	v_mul_f64 v[90:91], v[88:89], s[34:35]
	v_fma_f64 v[92:93], v[88:89], s[34:35], -v[90:91]
	v_fmac_f64_e32 v[92:93], s[36:37], v[88:89]
	v_add_f64 v[88:89], v[90:91], v[92:93]
	v_add_f64 v[90:91], v[88:89], -v[90:91]
	v_add_f64 v[90:91], v[92:93], -v[90:91]
	v_add_f64 v[92:93], v[88:89], v[86:87]
	v_add_f64 v[94:95], v[92:93], -v[88:89]
	v_add_f64 v[96:97], v[92:93], -v[94:95]
	;; [unrolled: 1-line block ×4, first 2 shown]
	v_add_f64 v[86:87], v[86:87], v[88:89]
	v_add_f64 v[88:89], v[90:91], v[10:11]
	v_add_f64 v[94:95], v[88:89], -v[90:91]
	v_add_f64 v[96:97], v[88:89], -v[94:95]
	v_add_f64 v[86:87], v[88:89], v[86:87]
	v_add_f64 v[90:91], v[90:91], -v[96:97]
	v_add_f64 v[10:11], v[10:11], -v[94:95]
	v_add_f64 v[88:89], v[92:93], v[86:87]
	v_add_f64 v[10:11], v[10:11], v[90:91]
	v_add_f64 v[90:91], v[88:89], -v[92:93]
	v_add_f64 v[86:87], v[86:87], -v[90:91]
	v_and_b32_e32 v85, 0x7fffffff, v85
	v_add_f64 v[10:11], v[10:11], v[86:87]
	v_cmp_eq_f64_e64 s[14:15], s[38:39], v[84:85]
	v_add_f64 v[10:11], v[88:89], v[10:11]
	s_and_b64 s[12:13], s[12:13], s[14:15]
	v_cndmask_b32_e64 v11, v11, v12, s[12:13]
	v_cndmask_b32_e64 v10, v10, v1, s[12:13]
	v_add_f64 v[10:11], v[10:11], 1.0
	v_cndmask_b32_e64 v1, v10, 0, vcc
	v_cndmask_b32_e32 v10, v11, v119, vcc
	v_cmp_ngt_f64_e32 vcc, 0, v[82:83]
	v_cndmask_b32_e32 v12, v112, v10, vcc
	v_max_f64 v[10:11], |v[4:5]|, |v[4:5]|
	v_max_f64 v[84:85], |v[2:3]|, |v[2:3]|
	v_max_f64 v[86:87], v[84:85], v[10:11]
	v_min_f64 v[84:85], v[84:85], v[10:11]
	v_div_scale_f64 v[88:89], s[12:13], v[86:87], v[86:87], v[84:85]
	v_rcp_f64_e32 v[90:91], v[88:89]
	v_cmp_nge_f64_e32 vcc, 0, v[82:83]
	v_cndmask_b32_e32 v10, 0, v1, vcc
	v_cmp_neq_f64_e32 vcc, 0, v[82:83]
	v_fma_f64 v[82:83], -v[88:89], v[90:91], 1.0
	v_fmac_f64_e32 v[90:91], v[90:91], v[82:83]
	v_fma_f64 v[82:83], -v[88:89], v[90:91], 1.0
	v_cndmask_b32_e32 v11, v113, v12, vcc
	v_fmac_f64_e32 v[90:91], v[90:91], v[82:83]
	v_div_scale_f64 v[82:83], vcc, v[84:85], v[86:87], v[84:85]
	v_mul_f64 v[92:93], v[82:83], v[90:91]
	v_fma_f64 v[82:83], -v[88:89], v[92:93], v[82:83]
	v_pk_mov_b32 v[88:89], v[32:33], v[32:33] op_sel:[0,1]
	s_nop 0
	v_div_fmas_f64 v[82:83], v[82:83], v[90:91], v[92:93]
	v_div_fixup_f64 v[82:83], v[82:83], v[86:87], v[84:85]
	v_mul_f64 v[84:85], v[82:83], v[82:83]
	v_pk_mov_b32 v[86:87], v[30:31], v[30:31] op_sel:[0,1]
	v_fmac_f64_e32 v[86:87], s[40:41], v[84:85]
	v_fmac_f64_e32 v[88:89], v[84:85], v[86:87]
	v_pk_mov_b32 v[86:87], v[34:35], v[34:35] op_sel:[0,1]
	v_fmac_f64_e32 v[86:87], v[84:85], v[88:89]
	v_pk_mov_b32 v[88:89], v[36:37], v[36:37] op_sel:[0,1]
	;; [unrolled: 2-line block ×17, first 2 shown]
	v_fmac_f64_e32 v[86:87], v[84:85], v[88:89]
	v_cmp_gt_i32_e32 vcc, 0, v3
	v_mul_f64 v[84:85], v[84:85], v[86:87]
	v_cmp_class_f64_e64 s[14:15], v[2:3], s77
	v_cndmask_b32_e32 v2, v116, v117, vcc
	v_fmac_f64_e32 v[82:83], v[82:83], v[84:85]
	v_bfi_b32 v12, s76, v2, v5
	v_ashrrev_i32_e32 v2, 31, v3
	v_and_b32_e32 v69, 0x400921fb, v2
	v_and_b32_e32 v84, 0x54442d18, v2
	v_add_f64 v[2:3], -v[82:83], s[42:43]
	v_cndmask_b32_e64 v3, v83, v3, s[10:11]
	v_cndmask_b32_e64 v2, v82, v2, s[10:11]
	v_add_f64 v[82:83], -v[2:3], s[44:45]
	v_cmp_class_f64_e64 s[12:13], v[4:5], s77
	v_cndmask_b32_e32 v1, v114, v115, vcc
	v_cndmask_b32_e32 v3, v3, v83, vcc
	;; [unrolled: 1-line block ×3, first 2 shown]
	v_cmp_eq_f64_e32 vcc, 0, v[4:5]
	v_cndmask_b32_e32 v2, v2, v84, vcc
	v_cndmask_b32_e32 v3, v3, v69, vcc
	s_and_b64 vcc, s[12:13], s[14:15]
	v_cndmask_b32_e32 v83, v3, v12, vcc
	v_cndmask_b32_e32 v82, v2, v1, vcc
.LBB198_73:                             ;   in Loop: Header=BB198_4 Depth=1
	s_or_b64 exec, exec, s[58:59]
.LBB198_74:                             ;   in Loop: Header=BB198_4 Depth=1
	s_andn2_saveexec_b64 s[10:11], s[56:57]
	s_cbranch_execz .LBB198_80
; %bb.75:                               ;   in Loop: Header=BB198_4 Depth=1
	v_cmp_nlt_f64_e64 s[12:13], |v[2:3]|, s[52:53]
	v_cmp_nlt_f64_e64 s[14:15], |v[4:5]|, s[52:53]
	s_or_b64 s[12:13], s[14:15], s[12:13]
                                        ; implicit-def: $vgpr82_vgpr83
	s_and_saveexec_b64 s[14:15], s[12:13]
	s_xor_b64 s[12:13], exec, s[14:15]
; %bb.76:                               ;   in Loop: Header=BB198_4 Depth=1
	v_mul_f64 v[82:83], v[2:3], v[2:3]
	v_fmac_f64_e32 v[82:83], v[4:5], v[4:5]
; %bb.77:                               ;   in Loop: Header=BB198_4 Depth=1
	s_andn2_saveexec_b64 s[12:13], s[12:13]
; %bb.78:                               ;   in Loop: Header=BB198_4 Depth=1
	v_mul_f64 v[2:3], v[2:3], 4.0
	v_mul_f64 v[10:11], v[4:5], 4.0
	v_mul_f64 v[2:3], v[2:3], v[2:3]
	v_fmac_f64_e32 v[2:3], v[10:11], v[10:11]
	v_ldexp_f64 v[82:83], v[2:3], -4
; %bb.79:                               ;   in Loop: Header=BB198_4 Depth=1
	s_or_b64 exec, exec, s[12:13]
	v_frexp_mant_f64_e32 v[2:3], v[82:83]
	v_cmp_gt_f64_e32 vcc, s[28:29], v[2:3]
	v_cndmask_b32_e64 v69, v118, 2.0, vcc
	v_mul_f64 v[2:3], v[2:3], v[68:69]
	v_add_f64 v[10:11], v[2:3], 1.0
	v_rcp_f64_e32 v[84:85], v[10:11]
	v_add_f64 v[88:89], v[10:11], -1.0
	v_add_f64 v[86:87], v[2:3], -1.0
	v_add_f64 v[2:3], v[2:3], -v[88:89]
	v_fma_f64 v[88:89], -v[10:11], v[84:85], 1.0
	v_fmac_f64_e32 v[84:85], v[88:89], v[84:85]
	v_fma_f64 v[88:89], -v[10:11], v[84:85], 1.0
	v_fmac_f64_e32 v[84:85], v[88:89], v[84:85]
	v_mul_f64 v[88:89], v[86:87], v[84:85]
	v_mul_f64 v[90:91], v[10:11], v[88:89]
	v_fma_f64 v[10:11], v[88:89], v[10:11], -v[90:91]
	v_fmac_f64_e32 v[10:11], v[88:89], v[2:3]
	v_add_f64 v[2:3], v[90:91], v[10:11]
	v_add_f64 v[92:93], v[86:87], -v[2:3]
	v_add_f64 v[90:91], v[2:3], -v[90:91]
	;; [unrolled: 1-line block ×5, first 2 shown]
	v_add_f64 v[2:3], v[10:11], v[2:3]
	v_add_f64 v[2:3], v[92:93], v[2:3]
	v_mul_f64 v[2:3], v[84:85], v[2:3]
	v_add_f64 v[10:11], v[88:89], v[2:3]
	v_add_f64 v[84:85], v[10:11], -v[88:89]
	v_add_f64 v[2:3], v[2:3], -v[84:85]
	v_mul_f64 v[84:85], v[10:11], v[10:11]
	v_pk_mov_b32 v[86:87], v[18:19], v[18:19] op_sel:[0,1]
	v_fmac_f64_e32 v[86:87], s[30:31], v[84:85]
	v_pk_mov_b32 v[88:89], v[20:21], v[20:21] op_sel:[0,1]
	v_fmac_f64_e32 v[88:89], v[84:85], v[86:87]
	;; [unrolled: 2-line block ×6, first 2 shown]
	v_ldexp_f64 v[86:87], v[10:11], 1
	v_mul_f64 v[10:11], v[10:11], v[84:85]
	v_mul_f64 v[10:11], v[10:11], v[88:89]
	v_add_f64 v[84:85], v[86:87], v[10:11]
	v_add_f64 v[86:87], v[84:85], -v[86:87]
	v_ldexp_f64 v[2:3], v[2:3], 1
	v_add_f64 v[10:11], v[10:11], -v[86:87]
	v_add_f64 v[2:3], v[2:3], v[10:11]
	v_frexp_exp_i32_f64_e32 v1, v[82:83]
	v_add_f64 v[10:11], v[84:85], v[2:3]
	v_subbrev_co_u32_e32 v1, vcc, 0, v1, vcc
	v_add_f64 v[84:85], v[10:11], -v[84:85]
	v_add_f64 v[2:3], v[2:3], -v[84:85]
	v_cvt_f64_i32_e32 v[84:85], v1
	v_mul_f64 v[86:87], v[84:85], s[34:35]
	v_fma_f64 v[88:89], v[84:85], s[34:35], -v[86:87]
	v_fmac_f64_e32 v[88:89], s[36:37], v[84:85]
	v_add_f64 v[84:85], v[86:87], v[88:89]
	v_add_f64 v[86:87], v[84:85], -v[86:87]
	v_add_f64 v[86:87], v[88:89], -v[86:87]
	v_add_f64 v[88:89], v[84:85], v[10:11]
	v_add_f64 v[90:91], v[88:89], -v[84:85]
	v_add_f64 v[92:93], v[88:89], -v[90:91]
	v_add_f64 v[84:85], v[84:85], -v[92:93]
	v_add_f64 v[10:11], v[10:11], -v[90:91]
	v_add_f64 v[10:11], v[10:11], v[84:85]
	v_add_f64 v[84:85], v[86:87], v[2:3]
	v_add_f64 v[90:91], v[84:85], -v[86:87]
	v_add_f64 v[92:93], v[84:85], -v[90:91]
	v_add_f64 v[10:11], v[84:85], v[10:11]
	v_add_f64 v[86:87], v[86:87], -v[92:93]
	v_add_f64 v[2:3], v[2:3], -v[90:91]
	v_add_f64 v[84:85], v[88:89], v[10:11]
	v_add_f64 v[2:3], v[2:3], v[86:87]
	v_add_f64 v[86:87], v[84:85], -v[88:89]
	v_add_f64 v[10:11], v[10:11], -v[86:87]
	v_add_f64 v[2:3], v[2:3], v[10:11]
	v_add_f64 v[2:3], v[84:85], v[2:3]
	v_cmp_class_f64_e64 vcc, v[82:83], s77
	v_cndmask_b32_e32 v1, v2, v82, vcc
	v_cndmask_b32_e32 v2, v3, v83, vcc
	v_cmp_ngt_f64_e32 vcc, 0, v[82:83]
	v_cndmask_b32_e32 v2, v112, v2, vcc
	v_cmp_nge_f64_e32 vcc, 0, v[82:83]
	v_cndmask_b32_e32 v10, 0, v1, vcc
	v_cmp_neq_f64_e32 vcc, 0, v[82:83]
	v_mov_b32_e32 v82, 0
	v_cndmask_b32_e32 v11, v113, v2, vcc
	v_mov_b32_e32 v83, 0x7ff80000
.LBB198_80:                             ;   in Loop: Header=BB198_4 Depth=1
	s_or_b64 exec, exec, s[10:11]
	v_cmp_o_f64_e32 vcc, v[14:15], v[16:17]
                                        ; implicit-def: $vgpr2_vgpr3
                                        ; implicit-def: $vgpr84_vgpr85
	s_and_saveexec_b64 s[10:11], vcc
	s_xor_b64 s[56:57], exec, s[10:11]
	s_cbranch_execz .LBB198_108
; %bb.81:                               ;   in Loop: Header=BB198_4 Depth=1
	v_and_b32_e32 v12, 0x7fffffff, v15
	v_and_b32_e32 v1, 0x7fffffff, v17
	v_mov_b32_e32 v4, v16
	v_cmp_lt_f64_e64 s[10:11], |v[14:15]|, |v[16:17]|
	v_cndmask_b32_e64 v87, v1, v12, s[10:11]
	v_cndmask_b32_e64 v86, v4, v14, s[10:11]
	v_cmp_nlt_f64_e32 vcc, s[22:23], v[86:87]
                                        ; implicit-def: $vgpr2_vgpr3
                                        ; implicit-def: $vgpr84_vgpr85
	s_and_saveexec_b64 s[12:13], vcc
	s_xor_b64 s[14:15], exec, s[12:13]
	s_cbranch_execz .LBB198_105
; %bb.82:                               ;   in Loop: Header=BB198_4 Depth=1
	v_cndmask_b32_e64 v91, v12, v1, s[10:11]
	v_cndmask_b32_e64 v90, v14, v4, s[10:11]
	v_cmp_neq_f64_e32 vcc, 1.0, v[90:91]
                                        ; implicit-def: $vgpr2_vgpr3
                                        ; implicit-def: $vgpr84_vgpr85
	s_and_saveexec_b64 s[12:13], vcc
	s_xor_b64 s[58:59], exec, s[12:13]
	s_cbranch_execz .LBB198_98
; %bb.83:                               ;   in Loop: Header=BB198_4 Depth=1
	v_max_f64 v[2:3], v[86:87], v[86:87]
	v_max_f64 v[84:85], v[90:91], v[90:91]
	v_min_f64 v[88:89], v[84:85], v[2:3]
	v_max_f64 v[2:3], v[84:85], v[2:3]
	v_cmp_ngt_f64_e32 vcc, s[24:25], v[88:89]
	v_cmp_nlt_f64_e64 s[12:13], s[26:27], v[2:3]
	s_and_b64 s[12:13], s[12:13], vcc
                                        ; implicit-def: $vgpr2_vgpr3
                                        ; implicit-def: $vgpr84_vgpr85
	s_and_saveexec_b64 s[60:61], s[12:13]
	s_xor_b64 s[60:61], exec, s[60:61]
	s_cbranch_execz .LBB198_95
; %bb.84:                               ;   in Loop: Header=BB198_4 Depth=1
	v_cmp_le_f64_e32 vcc, 1.0, v[90:91]
                                        ; implicit-def: $vgpr2_vgpr3
                                        ; implicit-def: $vgpr84_vgpr85
	s_and_saveexec_b64 s[12:13], vcc
	s_xor_b64 s[12:13], exec, s[12:13]
	s_cbranch_execz .LBB198_86
; %bb.85:                               ;   in Loop: Header=BB198_4 Depth=1
	v_add_f64 v[2:3], v[90:91], -1.0
	v_add_f64 v[84:85], v[90:91], 1.0
	v_mul_f64 v[84:85], v[2:3], v[84:85]
	v_fmac_f64_e32 v[84:85], v[86:87], v[86:87]
	v_add_f64 v[2:3], v[84:85], 1.0
	v_add_f64 v[86:87], v[2:3], -1.0
	v_add_f64 v[88:89], v[86:87], -v[2:3]
	v_add_f64 v[88:89], v[88:89], 1.0
	v_add_f64 v[86:87], v[84:85], -v[86:87]
	v_add_f64 v[86:87], v[86:87], v[88:89]
	v_frexp_mant_f64_e32 v[88:89], v[2:3]
	v_frexp_exp_i32_f64_e32 v1, v[2:3]
	v_cmp_gt_f64_e32 vcc, s[28:29], v[88:89]
	v_subbrev_co_u32_e32 v1, vcc, 0, v1, vcc
	v_sub_u32_e32 v4, 0, v1
	v_ldexp_f64 v[2:3], v[2:3], v4
	v_add_f64 v[88:89], v[2:3], -1.0
	v_add_f64 v[94:95], v[2:3], 1.0
	v_add_f64 v[90:91], v[88:89], 1.0
	v_add_f64 v[96:97], v[94:95], -1.0
	v_ldexp_f64 v[86:87], v[86:87], v4
	v_add_f64 v[90:91], v[2:3], -v[90:91]
	v_add_f64 v[2:3], v[2:3], -v[96:97]
	v_add_f64 v[2:3], v[86:87], v[2:3]
	v_add_f64 v[90:91], v[86:87], v[90:91]
	;; [unrolled: 1-line block ×3, first 2 shown]
	v_rcp_f64_e32 v[96:97], v[86:87]
	v_add_f64 v[92:93], v[88:89], v[90:91]
	v_add_f64 v[88:89], v[92:93], -v[88:89]
	v_add_f64 v[88:89], v[90:91], -v[88:89]
	;; [unrolled: 1-line block ×4, first 2 shown]
	v_fma_f64 v[90:91], -v[86:87], v[96:97], 1.0
	v_fmac_f64_e32 v[96:97], v[90:91], v[96:97]
	v_fma_f64 v[90:91], -v[86:87], v[96:97], 1.0
	v_fmac_f64_e32 v[96:97], v[90:91], v[96:97]
	v_mul_f64 v[90:91], v[92:93], v[96:97]
	v_mul_f64 v[94:95], v[86:87], v[90:91]
	v_fma_f64 v[98:99], v[90:91], v[86:87], -v[94:95]
	v_fmac_f64_e32 v[98:99], v[90:91], v[2:3]
	v_add_f64 v[100:101], v[94:95], v[98:99]
	v_add_f64 v[102:103], v[92:93], -v[100:101]
	v_add_f64 v[92:93], v[92:93], -v[102:103]
	;; [unrolled: 1-line block ×4, first 2 shown]
	v_add_f64 v[88:89], v[88:89], v[92:93]
	v_add_f64 v[92:93], v[94:95], -v[98:99]
	v_add_f64 v[88:89], v[92:93], v[88:89]
	v_add_f64 v[92:93], v[102:103], v[88:89]
	v_add_f64 v[94:95], v[102:103], -v[92:93]
	v_add_f64 v[88:89], v[88:89], v[94:95]
	v_mul_f64 v[94:95], v[96:97], v[92:93]
	v_mul_f64 v[98:99], v[86:87], v[94:95]
	v_fma_f64 v[86:87], v[94:95], v[86:87], -v[98:99]
	v_fmac_f64_e32 v[86:87], v[94:95], v[2:3]
	v_add_f64 v[2:3], v[98:99], v[86:87]
	v_add_f64 v[100:101], v[92:93], -v[2:3]
	v_add_f64 v[92:93], v[92:93], -v[100:101]
	;; [unrolled: 1-line block ×4, first 2 shown]
	v_add_f64 v[2:3], v[88:89], v[2:3]
	v_add_f64 v[86:87], v[98:99], -v[86:87]
	v_add_f64 v[2:3], v[86:87], v[2:3]
	v_add_f64 v[86:87], v[90:91], v[94:95]
	;; [unrolled: 1-line block ×3, first 2 shown]
	v_add_f64 v[88:89], v[86:87], -v[90:91]
	v_mul_f64 v[2:3], v[96:97], v[2:3]
	v_add_f64 v[88:89], v[94:95], -v[88:89]
	v_add_f64 v[2:3], v[88:89], v[2:3]
	v_add_f64 v[88:89], v[86:87], v[2:3]
	v_add_f64 v[86:87], v[88:89], -v[86:87]
	v_add_f64 v[2:3], v[2:3], -v[86:87]
	v_mul_f64 v[86:87], v[88:89], v[88:89]
	v_pk_mov_b32 v[90:91], v[18:19], v[18:19] op_sel:[0,1]
	v_fmac_f64_e32 v[90:91], s[30:31], v[86:87]
	v_pk_mov_b32 v[92:93], v[20:21], v[20:21] op_sel:[0,1]
	v_fmac_f64_e32 v[92:93], v[86:87], v[90:91]
	;; [unrolled: 2-line block ×6, first 2 shown]
	v_cvt_f64_i32_e32 v[90:91], v1
	v_mul_f64 v[94:95], v[90:91], s[34:35]
	v_fma_f64 v[96:97], v[90:91], s[34:35], -v[94:95]
	v_fmac_f64_e32 v[96:97], s[36:37], v[90:91]
	v_add_f64 v[90:91], v[94:95], v[96:97]
	v_add_f64 v[94:95], v[90:91], -v[94:95]
	v_mul_f64 v[86:87], v[88:89], v[86:87]
	v_add_f64 v[94:95], v[96:97], -v[94:95]
	v_ldexp_f64 v[96:97], v[88:89], 1
	v_mul_f64 v[86:87], v[86:87], v[92:93]
	v_add_f64 v[88:89], v[96:97], v[86:87]
	v_add_f64 v[92:93], v[88:89], -v[96:97]
	v_ldexp_f64 v[2:3], v[2:3], 1
	v_add_f64 v[86:87], v[86:87], -v[92:93]
	v_add_f64 v[2:3], v[2:3], v[86:87]
	v_add_f64 v[86:87], v[88:89], v[2:3]
	v_add_f64 v[88:89], v[86:87], -v[88:89]
	v_add_f64 v[2:3], v[2:3], -v[88:89]
	v_add_f64 v[88:89], v[90:91], v[86:87]
	v_add_f64 v[92:93], v[88:89], -v[90:91]
	v_add_f64 v[96:97], v[88:89], -v[92:93]
	;; [unrolled: 1-line block ×4, first 2 shown]
	v_add_f64 v[86:87], v[86:87], v[90:91]
	v_add_f64 v[90:91], v[94:95], v[2:3]
	v_add_f64 v[92:93], v[90:91], -v[94:95]
	v_add_f64 v[86:87], v[90:91], v[86:87]
	v_add_f64 v[96:97], v[90:91], -v[92:93]
	;; [unrolled: 2-line block ×3, first 2 shown]
	v_add_f64 v[2:3], v[2:3], -v[92:93]
	v_add_f64 v[88:89], v[90:91], -v[88:89]
	v_add_f64 v[2:3], v[2:3], v[94:95]
	v_add_f64 v[86:87], v[86:87], -v[88:89]
	v_add_f64 v[2:3], v[2:3], v[86:87]
	v_max_f64 v[86:87], |v[16:17]|, |v[16:17]|
	v_max_f64 v[88:89], |v[14:15]|, |v[14:15]|
	v_add_f64 v[2:3], v[90:91], v[2:3]
	v_max_f64 v[90:91], v[88:89], v[86:87]
	v_min_f64 v[86:87], v[88:89], v[86:87]
	v_div_scale_f64 v[88:89], s[62:63], v[90:91], v[90:91], v[86:87]
	v_cmp_eq_f64_e32 vcc, s[38:39], v[84:85]
	v_rcp_f64_e32 v[92:93], v[88:89]
	v_cndmask_b32_e32 v3, v3, v85, vcc
	v_cndmask_b32_e32 v2, v2, v84, vcc
	v_mul_f64 v[2:3], v[2:3], 0.5
	v_cmp_ngt_f64_e32 vcc, -1.0, v[84:85]
	v_cndmask_b32_e32 v1, v112, v3, vcc
	v_cmp_nge_f64_e32 vcc, -1.0, v[84:85]
	v_cndmask_b32_e32 v2, 0, v2, vcc
	v_cmp_neq_f64_e32 vcc, -1.0, v[84:85]
	v_fma_f64 v[84:85], -v[88:89], v[92:93], 1.0
	v_fmac_f64_e32 v[92:93], v[92:93], v[84:85]
	v_fma_f64 v[84:85], -v[88:89], v[92:93], 1.0
	v_cndmask_b32_e32 v3, v113, v1, vcc
	v_fmac_f64_e32 v[92:93], v[92:93], v[84:85]
	v_div_scale_f64 v[84:85], vcc, v[86:87], v[90:91], v[86:87]
	v_mul_f64 v[94:95], v[84:85], v[92:93]
	v_fma_f64 v[84:85], -v[88:89], v[94:95], v[84:85]
	v_pk_mov_b32 v[88:89], v[30:31], v[30:31] op_sel:[0,1]
	s_nop 0
	v_div_fmas_f64 v[84:85], v[84:85], v[92:93], v[94:95]
	v_div_fixup_f64 v[84:85], v[84:85], v[90:91], v[86:87]
	v_mul_f64 v[86:87], v[84:85], v[84:85]
	v_fmac_f64_e32 v[88:89], s[40:41], v[86:87]
	v_pk_mov_b32 v[90:91], v[32:33], v[32:33] op_sel:[0,1]
	v_fmac_f64_e32 v[90:91], v[86:87], v[88:89]
	v_pk_mov_b32 v[88:89], v[34:35], v[34:35] op_sel:[0,1]
	;; [unrolled: 2-line block ×18, first 2 shown]
	v_fmac_f64_e32 v[88:89], v[86:87], v[90:91]
	v_mul_f64 v[86:87], v[86:87], v[88:89]
	v_fmac_f64_e32 v[84:85], v[84:85], v[86:87]
	v_cmp_class_f64_e64 s[64:65], v[14:15], s77
	v_cmp_gt_i32_e32 vcc, 0, v15
	v_ashrrev_i32_e32 v12, 31, v15
	v_add_f64 v[14:15], -v[84:85], s[42:43]
	v_cndmask_b32_e64 v15, v85, v15, s[10:11]
	v_cndmask_b32_e64 v14, v84, v14, s[10:11]
	s_mov_b32 s44, s42
	v_add_f64 v[84:85], -v[14:15], s[44:45]
	v_cmp_class_f64_e64 s[62:63], v[16:17], s77
	v_cndmask_b32_e32 v1, v114, v115, vcc
	v_cndmask_b32_e32 v4, v116, v117, vcc
	v_and_b32_e32 v69, 0x400921fb, v12
	v_and_b32_e32 v12, 0x54442d18, v12
	v_cndmask_b32_e32 v15, v15, v85, vcc
	v_cndmask_b32_e32 v14, v14, v84, vcc
	v_cmp_eq_f64_e32 vcc, 0, v[16:17]
	v_bfi_b32 v4, s76, v4, v17
	v_cndmask_b32_e32 v12, v14, v12, vcc
	v_cndmask_b32_e32 v14, v15, v69, vcc
	s_and_b64 vcc, s[62:63], s[64:65]
	v_cndmask_b32_e32 v85, v14, v4, vcc
	v_cndmask_b32_e32 v84, v12, v1, vcc
                                        ; implicit-def: $vgpr86_vgpr87
                                        ; implicit-def: $vgpr90_vgpr91
.LBB198_86:                             ;   in Loop: Header=BB198_4 Depth=1
	s_andn2_saveexec_b64 s[62:63], s[12:13]
	s_cbranch_execz .LBB198_94
; %bb.87:                               ;   in Loop: Header=BB198_4 Depth=1
	v_mul_f64 v[88:89], v[86:87], v[86:87]
	v_fmac_f64_e32 v[88:89], v[90:91], v[90:91]
	v_cmp_ge_f64_e32 vcc, s[46:47], v[88:89]
                                        ; implicit-def: $vgpr2_vgpr3
                                        ; implicit-def: $vgpr84_vgpr85
	s_and_saveexec_b64 s[12:13], vcc
	s_xor_b64 s[12:13], exec, s[12:13]
	s_cbranch_execz .LBB198_89
; %bb.88:                               ;   in Loop: Header=BB198_4 Depth=1
	v_frexp_mant_f64_e32 v[2:3], v[88:89]
	v_cmp_gt_f64_e32 vcc, s[28:29], v[2:3]
	v_cndmask_b32_e64 v69, v118, 2.0, vcc
	v_mul_f64 v[2:3], v[2:3], v[68:69]
	v_add_f64 v[84:85], v[2:3], 1.0
	v_rcp_f64_e32 v[86:87], v[84:85]
	v_add_f64 v[92:93], v[84:85], -1.0
	v_add_f64 v[90:91], v[2:3], -1.0
	v_add_f64 v[2:3], v[2:3], -v[92:93]
	v_fma_f64 v[92:93], -v[84:85], v[86:87], 1.0
	v_fmac_f64_e32 v[86:87], v[92:93], v[86:87]
	v_fma_f64 v[92:93], -v[84:85], v[86:87], 1.0
	v_fmac_f64_e32 v[86:87], v[92:93], v[86:87]
	v_mul_f64 v[92:93], v[90:91], v[86:87]
	v_mul_f64 v[94:95], v[84:85], v[92:93]
	v_fma_f64 v[84:85], v[92:93], v[84:85], -v[94:95]
	v_fmac_f64_e32 v[84:85], v[92:93], v[2:3]
	v_add_f64 v[2:3], v[94:95], v[84:85]
	v_add_f64 v[96:97], v[90:91], -v[2:3]
	v_add_f64 v[94:95], v[2:3], -v[94:95]
	v_add_f64 v[90:91], v[90:91], -v[96:97]
	v_add_f64 v[2:3], v[90:91], -v[2:3]
	v_add_f64 v[84:85], v[94:95], -v[84:85]
	v_add_f64 v[2:3], v[84:85], v[2:3]
	v_add_f64 v[2:3], v[96:97], v[2:3]
	v_mul_f64 v[2:3], v[86:87], v[2:3]
	v_add_f64 v[84:85], v[92:93], v[2:3]
	v_add_f64 v[86:87], v[84:85], -v[92:93]
	v_add_f64 v[2:3], v[2:3], -v[86:87]
	v_mul_f64 v[86:87], v[84:85], v[84:85]
	v_pk_mov_b32 v[90:91], v[18:19], v[18:19] op_sel:[0,1]
	v_fmac_f64_e32 v[90:91], s[30:31], v[86:87]
	v_pk_mov_b32 v[92:93], v[20:21], v[20:21] op_sel:[0,1]
	v_fmac_f64_e32 v[92:93], v[86:87], v[90:91]
	;; [unrolled: 2-line block ×6, first 2 shown]
	v_ldexp_f64 v[90:91], v[84:85], 1
	v_mul_f64 v[84:85], v[84:85], v[86:87]
	v_mul_f64 v[84:85], v[84:85], v[92:93]
	v_add_f64 v[86:87], v[90:91], v[84:85]
	v_add_f64 v[90:91], v[86:87], -v[90:91]
	v_ldexp_f64 v[2:3], v[2:3], 1
	v_add_f64 v[84:85], v[84:85], -v[90:91]
	v_add_f64 v[2:3], v[2:3], v[84:85]
	v_frexp_exp_i32_f64_e32 v1, v[88:89]
	v_add_f64 v[84:85], v[86:87], v[2:3]
	v_subbrev_co_u32_e32 v1, vcc, 0, v1, vcc
	v_add_f64 v[86:87], v[84:85], -v[86:87]
	v_add_f64 v[2:3], v[2:3], -v[86:87]
	v_cvt_f64_i32_e32 v[86:87], v1
	v_mul_f64 v[90:91], v[86:87], s[34:35]
	v_fma_f64 v[92:93], v[86:87], s[34:35], -v[90:91]
	v_fmac_f64_e32 v[92:93], s[36:37], v[86:87]
	v_add_f64 v[86:87], v[90:91], v[92:93]
	v_add_f64 v[90:91], v[86:87], -v[90:91]
	v_add_f64 v[90:91], v[92:93], -v[90:91]
	v_add_f64 v[92:93], v[86:87], v[84:85]
	v_add_f64 v[94:95], v[92:93], -v[86:87]
	v_add_f64 v[96:97], v[92:93], -v[94:95]
	;; [unrolled: 1-line block ×4, first 2 shown]
	v_add_f64 v[84:85], v[84:85], v[86:87]
	v_add_f64 v[86:87], v[90:91], v[2:3]
	v_add_f64 v[94:95], v[86:87], -v[90:91]
	v_add_f64 v[96:97], v[86:87], -v[94:95]
	v_add_f64 v[84:85], v[86:87], v[84:85]
	v_add_f64 v[90:91], v[90:91], -v[96:97]
	v_add_f64 v[2:3], v[2:3], -v[94:95]
	v_add_f64 v[86:87], v[92:93], v[84:85]
	v_add_f64 v[2:3], v[2:3], v[90:91]
	v_add_f64 v[90:91], v[86:87], -v[92:93]
	v_add_f64 v[84:85], v[84:85], -v[90:91]
	v_add_f64 v[2:3], v[2:3], v[84:85]
	v_add_f64 v[2:3], v[86:87], v[2:3]
	v_max_f64 v[84:85], |v[16:17]|, |v[16:17]|
	v_max_f64 v[86:87], |v[14:15]|, |v[14:15]|
	v_max_f64 v[90:91], v[86:87], v[84:85]
	v_min_f64 v[84:85], v[86:87], v[84:85]
	v_div_scale_f64 v[86:87], s[64:65], v[90:91], v[90:91], v[84:85]
	v_rcp_f64_e32 v[92:93], v[86:87]
	v_cmp_neq_f64_e32 vcc, 0, v[88:89]
	v_mul_f64 v[2:3], v[2:3], 0.5
	v_cndmask_b32_e32 v3, v113, v3, vcc
	v_fma_f64 v[88:89], -v[86:87], v[92:93], 1.0
	v_fmac_f64_e32 v[92:93], v[92:93], v[88:89]
	v_fma_f64 v[88:89], -v[86:87], v[92:93], 1.0
	v_cndmask_b32_e32 v2, 0, v2, vcc
	v_fmac_f64_e32 v[92:93], v[92:93], v[88:89]
	v_div_scale_f64 v[88:89], vcc, v[84:85], v[90:91], v[84:85]
	v_mul_f64 v[94:95], v[88:89], v[92:93]
	v_fma_f64 v[86:87], -v[86:87], v[94:95], v[88:89]
	v_pk_mov_b32 v[88:89], v[30:31], v[30:31] op_sel:[0,1]
	s_nop 0
	v_div_fmas_f64 v[86:87], v[86:87], v[92:93], v[94:95]
	v_div_fixup_f64 v[84:85], v[86:87], v[90:91], v[84:85]
	v_mul_f64 v[86:87], v[84:85], v[84:85]
	v_fmac_f64_e32 v[88:89], s[40:41], v[86:87]
	v_pk_mov_b32 v[90:91], v[32:33], v[32:33] op_sel:[0,1]
	v_fmac_f64_e32 v[90:91], v[86:87], v[88:89]
	v_pk_mov_b32 v[88:89], v[34:35], v[34:35] op_sel:[0,1]
	;; [unrolled: 2-line block ×18, first 2 shown]
	v_fmac_f64_e32 v[88:89], v[86:87], v[90:91]
	v_mul_f64 v[86:87], v[86:87], v[88:89]
	v_fmac_f64_e32 v[84:85], v[84:85], v[86:87]
	v_cmp_class_f64_e64 s[66:67], v[14:15], s77
	v_cmp_gt_i32_e32 vcc, 0, v15
	v_ashrrev_i32_e32 v12, 31, v15
	v_add_f64 v[14:15], -v[84:85], s[42:43]
	v_cndmask_b32_e64 v15, v85, v15, s[10:11]
	v_cndmask_b32_e64 v14, v84, v14, s[10:11]
	s_mov_b32 s44, s42
	v_add_f64 v[84:85], -v[14:15], s[44:45]
	v_cmp_class_f64_e64 s[64:65], v[16:17], s77
	v_cndmask_b32_e32 v1, v114, v115, vcc
	v_cndmask_b32_e32 v4, v116, v117, vcc
	v_and_b32_e32 v69, 0x400921fb, v12
	v_and_b32_e32 v12, 0x54442d18, v12
	v_cndmask_b32_e32 v15, v15, v85, vcc
	v_cndmask_b32_e32 v14, v14, v84, vcc
	v_cmp_eq_f64_e32 vcc, 0, v[16:17]
	v_bfi_b32 v4, s76, v4, v17
	v_cndmask_b32_e32 v12, v14, v12, vcc
	v_cndmask_b32_e32 v14, v15, v69, vcc
	s_and_b64 vcc, s[64:65], s[66:67]
	v_cndmask_b32_e32 v85, v14, v4, vcc
	v_cndmask_b32_e32 v84, v12, v1, vcc
                                        ; implicit-def: $vgpr90_vgpr91
                                        ; implicit-def: $vgpr86_vgpr87
.LBB198_89:                             ;   in Loop: Header=BB198_4 Depth=1
	s_andn2_saveexec_b64 s[64:65], s[12:13]
	s_cbranch_execz .LBB198_93
; %bb.90:                               ;   in Loop: Header=BB198_4 Depth=1
	v_and_b32_e32 v69, 0x7ffffff8, v91
	v_add_f64 v[2:3], v[90:91], -v[68:69]
	v_and_b32_e32 v99, -8, v3
	v_mov_b32_e32 v98, v68
	v_and_b32_e32 v89, 0x7ffffff8, v87
	v_mov_b32_e32 v88, v68
	v_add_f64 v[102:103], v[2:3], -v[98:99]
	v_add_f64 v[2:3], v[86:87], -v[88:89]
	v_and_b32_e32 v101, -8, v3
	v_mov_b32_e32 v100, v68
	v_add_f64 v[92:93], v[68:69], v[68:69]
	v_add_f64 v[106:107], v[88:89], v[88:89]
	v_add_f64 v[104:105], v[2:3], -v[100:101]
	v_mul_f64 v[84:85], v[88:89], v[88:89]
	v_mul_f64 v[90:91], v[92:93], v[98:99]
	;; [unrolled: 1-line block ×5, first 2 shown]
	v_add_f64 v[98:99], v[98:99], v[98:99]
	v_add_f64 v[100:101], v[100:101], v[100:101]
	v_mul_f64 v[2:3], v[68:69], v[68:69]
	v_mul_f64 v[94:95], v[92:93], v[102:103]
	;; [unrolled: 1-line block ×7, first 2 shown]
	s_mov_b64 s[66:67], 0
.LBB198_91:                             ;   Parent Loop BB198_4 Depth=1
                                        ; =>  This Inner Loop Header: Depth=2
	v_cmp_nlt_f64_e32 vcc, v[2:3], v[84:85]
	v_cndmask_b32_e32 v107, v3, v85, vcc
	v_cndmask_b32_e32 v106, v2, v84, vcc
	v_cmp_nlt_f64_e64 s[12:13], v[106:107], v[90:91]
	v_cndmask_b32_e64 v109, v107, v91, s[12:13]
	v_cndmask_b32_e64 v108, v106, v90, s[12:13]
	v_cndmask_b32_e32 v3, v85, v3, vcc
	v_cndmask_b32_e32 v2, v84, v2, vcc
	s_and_b64 s[68:69], vcc, s[12:13]
	v_cmp_nlt_f64_e32 vcc, v[108:109], v[88:89]
	v_cndmask_b32_e64 v85, v91, v107, s[12:13]
	v_cndmask_b32_e64 v84, v90, v106, s[12:13]
	v_cndmask_b32_e32 v107, v109, v89, vcc
	v_cndmask_b32_e32 v106, v108, v88, vcc
	v_cmp_nlt_f64_e64 s[12:13], v[106:107], v[96:97]
	v_cndmask_b32_e32 v91, v89, v109, vcc
	v_cndmask_b32_e32 v90, v88, v108, vcc
	v_cndmask_b32_e64 v109, v107, v97, s[12:13]
	v_cndmask_b32_e64 v108, v106, v96, s[12:13]
	s_and_b64 s[78:79], vcc, s[12:13]
	v_cmp_nlt_f64_e32 vcc, v[108:109], v[86:87]
	v_cndmask_b32_e64 v89, v97, v107, s[12:13]
	v_cndmask_b32_e64 v88, v96, v106, s[12:13]
	v_cndmask_b32_e32 v107, v109, v87, vcc
	v_cndmask_b32_e32 v106, v108, v86, vcc
	v_cmp_nlt_f64_e64 s[12:13], v[106:107], v[94:95]
	v_cndmask_b32_e32 v97, v87, v109, vcc
	v_cndmask_b32_e32 v96, v86, v108, vcc
	v_cndmask_b32_e64 v109, v107, v95, s[12:13]
	v_cndmask_b32_e64 v108, v106, v94, s[12:13]
	;; [unrolled: 1-line block ×4, first 2 shown]
	s_and_b64 s[12:13], vcc, s[12:13]
	v_cmp_nlt_f64_e32 vcc, v[108:109], v[92:93]
	v_cndmask_b32_e32 v107, v109, v93, vcc
	v_cndmask_b32_e32 v106, v108, v92, vcc
	v_cndmask_b32_e32 v95, v93, v109, vcc
	v_cndmask_b32_e32 v94, v92, v108, vcc
	s_and_b64 s[12:13], s[12:13], vcc
	v_cmp_nlt_f64_e32 vcc, v[106:107], v[98:99]
	v_cndmask_b32_e32 v109, v107, v99, vcc
	v_cndmask_b32_e32 v108, v106, v98, vcc
	v_cndmask_b32_e32 v93, v99, v107, vcc
	v_cndmask_b32_e32 v92, v98, v106, vcc
	s_and_b64 s[12:13], s[12:13], vcc
	;; [unrolled: 6-line block ×4, first 2 shown]
	v_cmp_nlt_f64_e32 vcc, v[108:109], v[104:105]
	s_and_b64 s[12:13], s[12:13], vcc
	s_and_b64 s[12:13], s[12:13], s[78:79]
	s_and_b64 s[12:13], s[12:13], s[68:69]
	v_cndmask_b32_e32 v107, v109, v105, vcc
	v_cndmask_b32_e32 v106, v108, v104, vcc
	s_and_b64 s[12:13], exec, s[12:13]
	v_cndmask_b32_e32 v103, v105, v109, vcc
	v_cndmask_b32_e32 v102, v104, v108, vcc
	s_or_b64 s[66:67], s[12:13], s[66:67]
	v_pk_mov_b32 v[104:105], v[106:107], v[106:107] op_sel:[0,1]
	s_andn2_b64 exec, exec, s[66:67]
	s_cbranch_execnz .LBB198_91
; %bb.92:                               ;   in Loop: Header=BB198_4 Depth=1
	s_or_b64 exec, exec, s[66:67]
	v_add_f64 v[2:3], v[2:3], -1.0
	v_add_f64 v[2:3], v[2:3], v[84:85]
	v_add_f64 v[2:3], v[2:3], v[90:91]
	;; [unrolled: 1-line block ×11, first 2 shown]
	v_add_f64 v[2:3], v[84:85], 1.0
	v_add_f64 v[86:87], v[2:3], -1.0
	v_add_f64 v[88:89], v[86:87], -v[2:3]
	v_add_f64 v[88:89], v[88:89], 1.0
	v_add_f64 v[86:87], v[84:85], -v[86:87]
	v_add_f64 v[86:87], v[86:87], v[88:89]
	v_frexp_mant_f64_e32 v[88:89], v[2:3]
	v_frexp_exp_i32_f64_e32 v1, v[2:3]
	v_cmp_gt_f64_e32 vcc, s[28:29], v[88:89]
	v_subbrev_co_u32_e32 v1, vcc, 0, v1, vcc
	v_sub_u32_e32 v4, 0, v1
	v_ldexp_f64 v[2:3], v[2:3], v4
	v_add_f64 v[88:89], v[2:3], -1.0
	v_add_f64 v[94:95], v[2:3], 1.0
	v_add_f64 v[90:91], v[88:89], 1.0
	v_add_f64 v[96:97], v[94:95], -1.0
	v_ldexp_f64 v[86:87], v[86:87], v4
	v_add_f64 v[90:91], v[2:3], -v[90:91]
	v_add_f64 v[2:3], v[2:3], -v[96:97]
	v_add_f64 v[2:3], v[86:87], v[2:3]
	v_add_f64 v[90:91], v[86:87], v[90:91]
	;; [unrolled: 1-line block ×3, first 2 shown]
	v_rcp_f64_e32 v[96:97], v[86:87]
	v_add_f64 v[92:93], v[88:89], v[90:91]
	v_add_f64 v[88:89], v[92:93], -v[88:89]
	v_add_f64 v[88:89], v[90:91], -v[88:89]
	;; [unrolled: 1-line block ×4, first 2 shown]
	v_fma_f64 v[90:91], -v[86:87], v[96:97], 1.0
	v_fmac_f64_e32 v[96:97], v[90:91], v[96:97]
	v_fma_f64 v[90:91], -v[86:87], v[96:97], 1.0
	v_fmac_f64_e32 v[96:97], v[90:91], v[96:97]
	v_mul_f64 v[90:91], v[92:93], v[96:97]
	v_mul_f64 v[94:95], v[86:87], v[90:91]
	v_fma_f64 v[98:99], v[90:91], v[86:87], -v[94:95]
	v_fmac_f64_e32 v[98:99], v[90:91], v[2:3]
	v_add_f64 v[100:101], v[94:95], v[98:99]
	v_add_f64 v[102:103], v[92:93], -v[100:101]
	v_add_f64 v[92:93], v[92:93], -v[102:103]
	;; [unrolled: 1-line block ×4, first 2 shown]
	v_add_f64 v[88:89], v[88:89], v[92:93]
	v_add_f64 v[92:93], v[94:95], -v[98:99]
	v_add_f64 v[88:89], v[92:93], v[88:89]
	v_add_f64 v[92:93], v[102:103], v[88:89]
	v_add_f64 v[94:95], v[102:103], -v[92:93]
	v_add_f64 v[88:89], v[88:89], v[94:95]
	v_mul_f64 v[94:95], v[96:97], v[92:93]
	v_mul_f64 v[98:99], v[86:87], v[94:95]
	v_fma_f64 v[86:87], v[94:95], v[86:87], -v[98:99]
	v_fmac_f64_e32 v[86:87], v[94:95], v[2:3]
	v_add_f64 v[2:3], v[98:99], v[86:87]
	v_add_f64 v[100:101], v[92:93], -v[2:3]
	v_add_f64 v[92:93], v[92:93], -v[100:101]
	;; [unrolled: 1-line block ×4, first 2 shown]
	v_add_f64 v[2:3], v[88:89], v[2:3]
	v_add_f64 v[86:87], v[98:99], -v[86:87]
	v_add_f64 v[2:3], v[86:87], v[2:3]
	v_add_f64 v[86:87], v[90:91], v[94:95]
	;; [unrolled: 1-line block ×3, first 2 shown]
	v_add_f64 v[88:89], v[86:87], -v[90:91]
	v_mul_f64 v[2:3], v[96:97], v[2:3]
	v_add_f64 v[88:89], v[94:95], -v[88:89]
	v_add_f64 v[2:3], v[88:89], v[2:3]
	v_add_f64 v[88:89], v[86:87], v[2:3]
	v_add_f64 v[86:87], v[88:89], -v[86:87]
	v_add_f64 v[2:3], v[2:3], -v[86:87]
	v_mul_f64 v[86:87], v[88:89], v[88:89]
	v_pk_mov_b32 v[90:91], v[18:19], v[18:19] op_sel:[0,1]
	v_fmac_f64_e32 v[90:91], s[30:31], v[86:87]
	v_pk_mov_b32 v[92:93], v[20:21], v[20:21] op_sel:[0,1]
	v_fmac_f64_e32 v[92:93], v[86:87], v[90:91]
	;; [unrolled: 2-line block ×6, first 2 shown]
	v_cvt_f64_i32_e32 v[90:91], v1
	v_mul_f64 v[94:95], v[90:91], s[34:35]
	v_fma_f64 v[96:97], v[90:91], s[34:35], -v[94:95]
	v_fmac_f64_e32 v[96:97], s[36:37], v[90:91]
	v_add_f64 v[90:91], v[94:95], v[96:97]
	v_add_f64 v[94:95], v[90:91], -v[94:95]
	v_mul_f64 v[86:87], v[88:89], v[86:87]
	v_add_f64 v[94:95], v[96:97], -v[94:95]
	v_ldexp_f64 v[96:97], v[88:89], 1
	v_mul_f64 v[86:87], v[86:87], v[92:93]
	v_add_f64 v[88:89], v[96:97], v[86:87]
	v_add_f64 v[92:93], v[88:89], -v[96:97]
	v_ldexp_f64 v[2:3], v[2:3], 1
	v_add_f64 v[86:87], v[86:87], -v[92:93]
	v_add_f64 v[2:3], v[2:3], v[86:87]
	v_add_f64 v[86:87], v[88:89], v[2:3]
	v_add_f64 v[88:89], v[86:87], -v[88:89]
	v_add_f64 v[2:3], v[2:3], -v[88:89]
	v_add_f64 v[88:89], v[90:91], v[86:87]
	v_add_f64 v[92:93], v[88:89], -v[90:91]
	v_add_f64 v[96:97], v[88:89], -v[92:93]
	;; [unrolled: 1-line block ×4, first 2 shown]
	v_add_f64 v[86:87], v[86:87], v[90:91]
	v_add_f64 v[90:91], v[94:95], v[2:3]
	v_add_f64 v[92:93], v[90:91], -v[94:95]
	v_add_f64 v[86:87], v[90:91], v[86:87]
	v_add_f64 v[96:97], v[90:91], -v[92:93]
	;; [unrolled: 2-line block ×3, first 2 shown]
	v_add_f64 v[2:3], v[2:3], -v[92:93]
	v_add_f64 v[88:89], v[90:91], -v[88:89]
	v_add_f64 v[2:3], v[2:3], v[94:95]
	v_add_f64 v[86:87], v[86:87], -v[88:89]
	v_add_f64 v[2:3], v[2:3], v[86:87]
	v_max_f64 v[86:87], |v[16:17]|, |v[16:17]|
	v_max_f64 v[88:89], |v[14:15]|, |v[14:15]|
	v_add_f64 v[2:3], v[90:91], v[2:3]
	v_max_f64 v[90:91], v[88:89], v[86:87]
	v_min_f64 v[86:87], v[88:89], v[86:87]
	v_div_scale_f64 v[88:89], s[12:13], v[90:91], v[90:91], v[86:87]
	v_cmp_eq_f64_e32 vcc, s[38:39], v[84:85]
	v_rcp_f64_e32 v[92:93], v[88:89]
	v_cndmask_b32_e32 v3, v3, v85, vcc
	v_cndmask_b32_e32 v2, v2, v84, vcc
	v_mul_f64 v[2:3], v[2:3], 0.5
	v_cmp_ngt_f64_e32 vcc, -1.0, v[84:85]
	v_cndmask_b32_e32 v1, v112, v3, vcc
	v_cmp_nge_f64_e32 vcc, -1.0, v[84:85]
	v_cndmask_b32_e32 v2, 0, v2, vcc
	v_cmp_neq_f64_e32 vcc, -1.0, v[84:85]
	v_fma_f64 v[84:85], -v[88:89], v[92:93], 1.0
	v_fmac_f64_e32 v[92:93], v[92:93], v[84:85]
	v_fma_f64 v[84:85], -v[88:89], v[92:93], 1.0
	v_cndmask_b32_e32 v3, v113, v1, vcc
	v_fmac_f64_e32 v[92:93], v[92:93], v[84:85]
	v_div_scale_f64 v[84:85], vcc, v[86:87], v[90:91], v[86:87]
	v_mul_f64 v[94:95], v[84:85], v[92:93]
	v_fma_f64 v[84:85], -v[88:89], v[94:95], v[84:85]
	v_pk_mov_b32 v[88:89], v[30:31], v[30:31] op_sel:[0,1]
	s_nop 0
	v_div_fmas_f64 v[84:85], v[84:85], v[92:93], v[94:95]
	v_div_fixup_f64 v[84:85], v[84:85], v[90:91], v[86:87]
	v_mul_f64 v[86:87], v[84:85], v[84:85]
	v_fmac_f64_e32 v[88:89], s[40:41], v[86:87]
	v_pk_mov_b32 v[90:91], v[32:33], v[32:33] op_sel:[0,1]
	v_fmac_f64_e32 v[90:91], v[86:87], v[88:89]
	v_pk_mov_b32 v[88:89], v[34:35], v[34:35] op_sel:[0,1]
	;; [unrolled: 2-line block ×18, first 2 shown]
	v_fmac_f64_e32 v[88:89], v[86:87], v[90:91]
	v_mul_f64 v[86:87], v[86:87], v[88:89]
	v_fmac_f64_e32 v[84:85], v[84:85], v[86:87]
	v_cmp_class_f64_e64 s[66:67], v[14:15], s77
	v_cmp_gt_i32_e32 vcc, 0, v15
	v_ashrrev_i32_e32 v12, 31, v15
	v_add_f64 v[14:15], -v[84:85], s[42:43]
	v_cndmask_b32_e64 v15, v85, v15, s[10:11]
	v_cndmask_b32_e64 v14, v84, v14, s[10:11]
	s_mov_b32 s44, s42
	v_add_f64 v[84:85], -v[14:15], s[44:45]
	v_cmp_class_f64_e64 s[12:13], v[16:17], s77
	v_cndmask_b32_e32 v1, v114, v115, vcc
	v_cndmask_b32_e32 v4, v116, v117, vcc
	v_and_b32_e32 v69, 0x400921fb, v12
	v_and_b32_e32 v12, 0x54442d18, v12
	v_cndmask_b32_e32 v15, v15, v85, vcc
	v_cndmask_b32_e32 v14, v14, v84, vcc
	v_cmp_eq_f64_e32 vcc, 0, v[16:17]
	v_bfi_b32 v4, s76, v4, v17
	v_cndmask_b32_e32 v12, v14, v12, vcc
	v_cndmask_b32_e32 v14, v15, v69, vcc
	s_and_b64 vcc, s[12:13], s[66:67]
	v_cndmask_b32_e32 v85, v14, v4, vcc
	v_cndmask_b32_e32 v84, v12, v1, vcc
.LBB198_93:                             ;   in Loop: Header=BB198_4 Depth=1
	s_or_b64 exec, exec, s[64:65]
.LBB198_94:                             ;   in Loop: Header=BB198_4 Depth=1
	s_or_b64 exec, exec, s[62:63]
.LBB198_95:                             ;   in Loop: Header=BB198_4 Depth=1
	s_andn2_saveexec_b64 s[60:61], s[60:61]
	s_cbranch_execz .LBB198_97
; %bb.96:                               ;   in Loop: Header=BB198_4 Depth=1
	v_max_f64 v[2:3], |v[16:17]|, |v[16:17]|
	v_max_f64 v[84:85], |v[14:15]|, |v[14:15]|
	v_max_f64 v[86:87], v[84:85], v[2:3]
	v_frexp_exp_i32_f64_e32 v1, v[86:87]
	v_sub_u32_e32 v4, 0, v1
	v_ldexp_f64 v[90:91], |v[16:17]|, v4
	v_ldexp_f64 v[88:89], |v[14:15]|, v4
	v_mul_f64 v[90:91], v[90:91], v[90:91]
	v_fmac_f64_e32 v[90:91], v[88:89], v[88:89]
	v_rsq_f64_e32 v[88:89], v[90:91]
	v_cmp_eq_f64_e32 vcc, 0, v[90:91]
	v_cmp_class_f64_e64 s[62:63], v[14:15], s77
	v_cmp_class_f64_e64 s[64:65], v[16:17], s77
	v_mul_f64 v[92:93], v[90:91], v[88:89]
	v_mul_f64 v[88:89], v[88:89], 0.5
	v_fma_f64 v[94:95], -v[88:89], v[92:93], 0.5
	v_fmac_f64_e32 v[92:93], v[92:93], v[94:95]
	v_fmac_f64_e32 v[88:89], v[88:89], v[94:95]
	v_fma_f64 v[94:95], -v[92:93], v[92:93], v[90:91]
	v_fmac_f64_e32 v[92:93], v[94:95], v[88:89]
	v_cndmask_b32_e32 v89, v93, v91, vcc
	v_cndmask_b32_e32 v88, v92, v90, vcc
	v_ldexp_f64 v[88:89], v[88:89], v1
	s_or_b64 vcc, s[64:65], s[62:63]
	v_cndmask_b32_e32 v91, v89, v119, vcc
	v_cndmask_b32_e64 v90, v88, 0, vcc
	v_frexp_mant_f64_e32 v[92:93], v[90:91]
	v_cmp_gt_f64_e64 s[12:13], s[28:29], v[92:93]
	v_cndmask_b32_e64 v69, v118, 2.0, s[12:13]
	v_mul_f64 v[92:93], v[92:93], v[68:69]
	v_add_f64 v[94:95], v[92:93], 1.0
	v_rcp_f64_e32 v[96:97], v[94:95]
	v_add_f64 v[100:101], v[94:95], -1.0
	v_add_f64 v[98:99], v[92:93], -1.0
	v_add_f64 v[92:93], v[92:93], -v[100:101]
	v_fma_f64 v[100:101], -v[94:95], v[96:97], 1.0
	v_fmac_f64_e32 v[96:97], v[100:101], v[96:97]
	v_fma_f64 v[100:101], -v[94:95], v[96:97], 1.0
	v_fmac_f64_e32 v[96:97], v[100:101], v[96:97]
	v_mul_f64 v[100:101], v[98:99], v[96:97]
	v_mul_f64 v[102:103], v[94:95], v[100:101]
	v_fma_f64 v[94:95], v[100:101], v[94:95], -v[102:103]
	v_fmac_f64_e32 v[94:95], v[100:101], v[92:93]
	v_add_f64 v[92:93], v[102:103], v[94:95]
	v_add_f64 v[104:105], v[98:99], -v[92:93]
	v_add_f64 v[102:103], v[92:93], -v[102:103]
	;; [unrolled: 1-line block ×5, first 2 shown]
	v_add_f64 v[92:93], v[94:95], v[92:93]
	v_add_f64 v[92:93], v[104:105], v[92:93]
	v_mul_f64 v[92:93], v[96:97], v[92:93]
	v_add_f64 v[94:95], v[100:101], v[92:93]
	v_add_f64 v[96:97], v[94:95], -v[100:101]
	v_add_f64 v[92:93], v[92:93], -v[96:97]
	v_mul_f64 v[96:97], v[94:95], v[94:95]
	v_pk_mov_b32 v[98:99], v[18:19], v[18:19] op_sel:[0,1]
	v_fmac_f64_e32 v[98:99], s[30:31], v[96:97]
	v_pk_mov_b32 v[100:101], v[20:21], v[20:21] op_sel:[0,1]
	v_fmac_f64_e32 v[100:101], v[96:97], v[98:99]
	;; [unrolled: 2-line block ×6, first 2 shown]
	v_ldexp_f64 v[98:99], v[94:95], 1
	v_mul_f64 v[94:95], v[94:95], v[96:97]
	v_mul_f64 v[94:95], v[94:95], v[100:101]
	v_add_f64 v[96:97], v[98:99], v[94:95]
	v_add_f64 v[98:99], v[96:97], -v[98:99]
	v_ldexp_f64 v[92:93], v[92:93], 1
	v_add_f64 v[94:95], v[94:95], -v[98:99]
	v_add_f64 v[92:93], v[92:93], v[94:95]
	v_frexp_exp_i32_f64_e32 v1, v[90:91]
	v_add_f64 v[94:95], v[96:97], v[92:93]
	v_subbrev_co_u32_e64 v1, s[12:13], 0, v1, s[12:13]
	v_add_f64 v[96:97], v[94:95], -v[96:97]
	v_add_f64 v[92:93], v[92:93], -v[96:97]
	v_cvt_f64_i32_e32 v[96:97], v1
	v_mul_f64 v[98:99], v[96:97], s[34:35]
	v_fma_f64 v[100:101], v[96:97], s[34:35], -v[98:99]
	v_fmac_f64_e32 v[100:101], s[36:37], v[96:97]
	v_add_f64 v[96:97], v[98:99], v[100:101]
	v_add_f64 v[98:99], v[96:97], -v[98:99]
	v_add_f64 v[98:99], v[100:101], -v[98:99]
	v_add_f64 v[100:101], v[96:97], v[94:95]
	v_add_f64 v[102:103], v[100:101], -v[96:97]
	v_add_f64 v[104:105], v[100:101], -v[102:103]
	;; [unrolled: 1-line block ×4, first 2 shown]
	v_add_f64 v[94:95], v[94:95], v[96:97]
	v_add_f64 v[96:97], v[98:99], v[92:93]
	v_add_f64 v[102:103], v[96:97], -v[98:99]
	v_add_f64 v[104:105], v[96:97], -v[102:103]
	v_add_f64 v[94:95], v[96:97], v[94:95]
	v_add_f64 v[98:99], v[98:99], -v[104:105]
	v_add_f64 v[92:93], v[92:93], -v[102:103]
	v_add_f64 v[96:97], v[100:101], v[94:95]
	v_add_f64 v[92:93], v[92:93], v[98:99]
	v_add_f64 v[98:99], v[96:97], -v[100:101]
	v_add_f64 v[94:95], v[94:95], -v[98:99]
	v_add_f64 v[92:93], v[92:93], v[94:95]
	v_add_f64 v[92:93], v[96:97], v[92:93]
	v_cmp_class_f64_e64 s[12:13], v[88:89], s77
	v_min_f64 v[84:85], v[84:85], v[2:3]
	v_cndmask_b32_e64 v1, v93, v89, s[12:13]
	v_cndmask_b32_e64 v4, v92, v88, s[12:13]
	v_div_scale_f64 v[88:89], s[12:13], v[86:87], v[86:87], v[84:85]
	v_rcp_f64_e32 v[92:93], v[88:89]
	v_cndmask_b32_e64 v4, v4, 0, vcc
	v_cndmask_b32_e32 v1, v1, v119, vcc
	v_cmp_ngt_f64_e32 vcc, 0, v[90:91]
	v_cndmask_b32_e32 v1, v112, v1, vcc
	v_cmp_nge_f64_e32 vcc, 0, v[90:91]
	v_cndmask_b32_e32 v2, 0, v4, vcc
	v_cmp_neq_f64_e32 vcc, 0, v[90:91]
	v_fma_f64 v[90:91], -v[88:89], v[92:93], 1.0
	v_fmac_f64_e32 v[92:93], v[92:93], v[90:91]
	v_fma_f64 v[90:91], -v[88:89], v[92:93], 1.0
	v_cndmask_b32_e32 v3, v113, v1, vcc
	v_fmac_f64_e32 v[92:93], v[92:93], v[90:91]
	v_div_scale_f64 v[90:91], vcc, v[84:85], v[86:87], v[84:85]
	v_mul_f64 v[94:95], v[90:91], v[92:93]
	v_fma_f64 v[88:89], -v[88:89], v[94:95], v[90:91]
	v_pk_mov_b32 v[90:91], v[32:33], v[32:33] op_sel:[0,1]
	s_nop 0
	v_div_fmas_f64 v[88:89], v[88:89], v[92:93], v[94:95]
	v_div_fixup_f64 v[84:85], v[88:89], v[86:87], v[84:85]
	v_mul_f64 v[86:87], v[84:85], v[84:85]
	v_pk_mov_b32 v[88:89], v[30:31], v[30:31] op_sel:[0,1]
	v_fmac_f64_e32 v[88:89], s[40:41], v[86:87]
	v_fmac_f64_e32 v[90:91], v[86:87], v[88:89]
	v_pk_mov_b32 v[88:89], v[34:35], v[34:35] op_sel:[0,1]
	v_fmac_f64_e32 v[88:89], v[86:87], v[90:91]
	v_pk_mov_b32 v[90:91], v[36:37], v[36:37] op_sel:[0,1]
	;; [unrolled: 2-line block ×17, first 2 shown]
	v_fmac_f64_e32 v[88:89], v[86:87], v[90:91]
	v_mul_f64 v[86:87], v[86:87], v[88:89]
	v_fmac_f64_e32 v[84:85], v[84:85], v[86:87]
	v_cmp_gt_i32_e32 vcc, 0, v15
	v_ashrrev_i32_e32 v12, 31, v15
	v_add_f64 v[14:15], -v[84:85], s[42:43]
	v_cndmask_b32_e64 v15, v85, v15, s[10:11]
	v_cndmask_b32_e64 v14, v84, v14, s[10:11]
	s_mov_b32 s44, s42
	v_add_f64 v[84:85], -v[14:15], s[44:45]
	v_cndmask_b32_e32 v1, v114, v115, vcc
	v_cndmask_b32_e32 v4, v116, v117, vcc
	v_and_b32_e32 v69, 0x400921fb, v12
	v_and_b32_e32 v12, 0x54442d18, v12
	v_cndmask_b32_e32 v15, v15, v85, vcc
	v_cndmask_b32_e32 v14, v14, v84, vcc
	v_cmp_eq_f64_e32 vcc, 0, v[16:17]
	v_bfi_b32 v4, s76, v4, v17
	v_cndmask_b32_e32 v12, v14, v12, vcc
	v_cndmask_b32_e32 v14, v15, v69, vcc
	s_and_b64 vcc, s[64:65], s[62:63]
	v_cndmask_b32_e32 v85, v14, v4, vcc
	v_cndmask_b32_e32 v84, v12, v1, vcc
.LBB198_97:                             ;   in Loop: Header=BB198_4 Depth=1
	s_or_b64 exec, exec, s[60:61]
                                        ; implicit-def: $vgpr86_vgpr87
.LBB198_98:                             ;   in Loop: Header=BB198_4 Depth=1
	s_andn2_saveexec_b64 s[12:13], s[58:59]
	s_cbranch_execz .LBB198_104
; %bb.99:                               ;   in Loop: Header=BB198_4 Depth=1
	v_cmp_ngt_f64_e32 vcc, s[48:49], v[86:87]
                                        ; implicit-def: $vgpr2_vgpr3
                                        ; implicit-def: $vgpr84_vgpr85
	s_and_saveexec_b64 s[58:59], vcc
	s_xor_b64 s[58:59], exec, s[58:59]
	s_cbranch_execz .LBB198_101
; %bb.100:                              ;   in Loop: Header=BB198_4 Depth=1
	v_mul_f64 v[2:3], v[86:87], v[86:87]
	v_add_f64 v[84:85], v[2:3], 1.0
	v_add_f64 v[86:87], v[84:85], -1.0
	v_add_f64 v[88:89], v[86:87], -v[84:85]
	v_add_f64 v[88:89], v[88:89], 1.0
	v_add_f64 v[86:87], v[2:3], -v[86:87]
	v_add_f64 v[86:87], v[86:87], v[88:89]
	v_frexp_mant_f64_e32 v[88:89], v[84:85]
	v_frexp_exp_i32_f64_e32 v1, v[84:85]
	v_cmp_gt_f64_e32 vcc, s[28:29], v[88:89]
	v_subbrev_co_u32_e32 v1, vcc, 0, v1, vcc
	v_sub_u32_e32 v4, 0, v1
	v_ldexp_f64 v[84:85], v[84:85], v4
	v_add_f64 v[88:89], v[84:85], -1.0
	v_add_f64 v[94:95], v[84:85], 1.0
	v_add_f64 v[90:91], v[88:89], 1.0
	v_add_f64 v[96:97], v[94:95], -1.0
	v_ldexp_f64 v[86:87], v[86:87], v4
	v_add_f64 v[90:91], v[84:85], -v[90:91]
	v_add_f64 v[84:85], v[84:85], -v[96:97]
	v_add_f64 v[84:85], v[86:87], v[84:85]
	v_add_f64 v[90:91], v[86:87], v[90:91]
	;; [unrolled: 1-line block ×3, first 2 shown]
	v_rcp_f64_e32 v[96:97], v[86:87]
	v_add_f64 v[92:93], v[88:89], v[90:91]
	v_add_f64 v[88:89], v[88:89], -v[92:93]
	v_add_f64 v[88:89], v[90:91], v[88:89]
	v_add_f64 v[90:91], v[94:95], -v[86:87]
	v_add_f64 v[84:85], v[84:85], v[90:91]
	v_fma_f64 v[90:91], -v[86:87], v[96:97], 1.0
	v_fmac_f64_e32 v[96:97], v[90:91], v[96:97]
	v_fma_f64 v[90:91], -v[86:87], v[96:97], 1.0
	v_fmac_f64_e32 v[96:97], v[90:91], v[96:97]
	v_mul_f64 v[90:91], v[92:93], v[96:97]
	v_mul_f64 v[94:95], v[86:87], v[90:91]
	v_fma_f64 v[98:99], v[90:91], v[86:87], -v[94:95]
	v_fmac_f64_e32 v[98:99], v[90:91], v[84:85]
	v_add_f64 v[100:101], v[94:95], v[98:99]
	v_add_f64 v[102:103], v[92:93], -v[100:101]
	v_add_f64 v[92:93], v[92:93], -v[102:103]
	v_add_f64 v[94:95], v[100:101], -v[94:95]
	v_add_f64 v[92:93], v[92:93], -v[100:101]
	v_add_f64 v[88:89], v[88:89], v[92:93]
	v_add_f64 v[92:93], v[94:95], -v[98:99]
	v_add_f64 v[88:89], v[92:93], v[88:89]
	v_add_f64 v[92:93], v[102:103], v[88:89]
	v_add_f64 v[94:95], v[102:103], -v[92:93]
	v_add_f64 v[88:89], v[88:89], v[94:95]
	v_mul_f64 v[94:95], v[96:97], v[92:93]
	v_mul_f64 v[98:99], v[86:87], v[94:95]
	v_fma_f64 v[86:87], v[94:95], v[86:87], -v[98:99]
	v_fmac_f64_e32 v[86:87], v[94:95], v[84:85]
	v_add_f64 v[84:85], v[98:99], v[86:87]
	v_add_f64 v[100:101], v[92:93], -v[84:85]
	v_add_f64 v[92:93], v[92:93], -v[100:101]
	;; [unrolled: 1-line block ×4, first 2 shown]
	v_add_f64 v[84:85], v[88:89], v[84:85]
	v_add_f64 v[86:87], v[98:99], -v[86:87]
	v_add_f64 v[84:85], v[86:87], v[84:85]
	v_add_f64 v[86:87], v[90:91], v[94:95]
	;; [unrolled: 1-line block ×3, first 2 shown]
	v_add_f64 v[88:89], v[86:87], -v[90:91]
	v_mul_f64 v[84:85], v[96:97], v[84:85]
	v_add_f64 v[88:89], v[94:95], -v[88:89]
	v_add_f64 v[84:85], v[88:89], v[84:85]
	v_add_f64 v[88:89], v[86:87], v[84:85]
	v_add_f64 v[86:87], v[88:89], -v[86:87]
	v_add_f64 v[84:85], v[84:85], -v[86:87]
	v_mul_f64 v[86:87], v[88:89], v[88:89]
	v_pk_mov_b32 v[90:91], v[18:19], v[18:19] op_sel:[0,1]
	v_fmac_f64_e32 v[90:91], s[30:31], v[86:87]
	v_pk_mov_b32 v[92:93], v[20:21], v[20:21] op_sel:[0,1]
	v_fmac_f64_e32 v[92:93], v[86:87], v[90:91]
	;; [unrolled: 2-line block ×6, first 2 shown]
	v_cvt_f64_i32_e32 v[90:91], v1
	v_mul_f64 v[94:95], v[90:91], s[34:35]
	v_fma_f64 v[96:97], v[90:91], s[34:35], -v[94:95]
	v_fmac_f64_e32 v[96:97], s[36:37], v[90:91]
	v_add_f64 v[90:91], v[94:95], v[96:97]
	v_add_f64 v[94:95], v[90:91], -v[94:95]
	v_mul_f64 v[86:87], v[88:89], v[86:87]
	v_add_f64 v[94:95], v[96:97], -v[94:95]
	v_ldexp_f64 v[96:97], v[88:89], 1
	v_mul_f64 v[86:87], v[86:87], v[92:93]
	v_add_f64 v[88:89], v[96:97], v[86:87]
	v_add_f64 v[92:93], v[88:89], -v[96:97]
	v_ldexp_f64 v[84:85], v[84:85], 1
	v_add_f64 v[86:87], v[86:87], -v[92:93]
	v_add_f64 v[84:85], v[84:85], v[86:87]
	v_add_f64 v[86:87], v[88:89], v[84:85]
	v_add_f64 v[88:89], v[86:87], -v[88:89]
	v_add_f64 v[84:85], v[84:85], -v[88:89]
	v_add_f64 v[88:89], v[90:91], v[86:87]
	v_add_f64 v[92:93], v[88:89], -v[90:91]
	v_add_f64 v[96:97], v[88:89], -v[92:93]
	v_add_f64 v[90:91], v[90:91], -v[96:97]
	v_add_f64 v[86:87], v[86:87], -v[92:93]
	v_add_f64 v[86:87], v[86:87], v[90:91]
	v_add_f64 v[90:91], v[94:95], v[84:85]
	v_add_f64 v[92:93], v[90:91], -v[94:95]
	v_add_f64 v[86:87], v[90:91], v[86:87]
	v_add_f64 v[96:97], v[90:91], -v[92:93]
	;; [unrolled: 2-line block ×3, first 2 shown]
	v_add_f64 v[84:85], v[84:85], -v[92:93]
	v_add_f64 v[88:89], v[90:91], -v[88:89]
	v_add_f64 v[84:85], v[84:85], v[94:95]
	v_add_f64 v[86:87], v[86:87], -v[88:89]
	v_add_f64 v[84:85], v[84:85], v[86:87]
	v_max_f64 v[86:87], |v[16:17]|, |v[16:17]|
	v_max_f64 v[88:89], |v[14:15]|, |v[14:15]|
	v_add_f64 v[84:85], v[90:91], v[84:85]
	v_max_f64 v[90:91], v[88:89], v[86:87]
	v_min_f64 v[86:87], v[88:89], v[86:87]
	v_div_scale_f64 v[88:89], s[60:61], v[90:91], v[90:91], v[86:87]
	v_rcp_f64_e32 v[92:93], v[88:89]
	v_cmp_eq_f64_e32 vcc, s[38:39], v[2:3]
	v_cndmask_b32_e32 v3, v85, v3, vcc
	v_cndmask_b32_e32 v2, v84, v2, vcc
	v_fma_f64 v[84:85], -v[88:89], v[92:93], 1.0
	v_fmac_f64_e32 v[92:93], v[92:93], v[84:85]
	v_fma_f64 v[84:85], -v[88:89], v[92:93], 1.0
	v_fmac_f64_e32 v[92:93], v[92:93], v[84:85]
	v_div_scale_f64 v[84:85], vcc, v[86:87], v[90:91], v[86:87]
	v_mul_f64 v[94:95], v[84:85], v[92:93]
	v_fma_f64 v[84:85], -v[88:89], v[94:95], v[84:85]
	v_pk_mov_b32 v[88:89], v[30:31], v[30:31] op_sel:[0,1]
	s_nop 0
	v_div_fmas_f64 v[84:85], v[84:85], v[92:93], v[94:95]
	v_div_fixup_f64 v[84:85], v[84:85], v[90:91], v[86:87]
	v_mul_f64 v[86:87], v[84:85], v[84:85]
	v_fmac_f64_e32 v[88:89], s[40:41], v[86:87]
	v_pk_mov_b32 v[90:91], v[32:33], v[32:33] op_sel:[0,1]
	v_fmac_f64_e32 v[90:91], v[86:87], v[88:89]
	v_pk_mov_b32 v[88:89], v[34:35], v[34:35] op_sel:[0,1]
	;; [unrolled: 2-line block ×18, first 2 shown]
	v_fmac_f64_e32 v[88:89], v[86:87], v[90:91]
	v_mul_f64 v[86:87], v[86:87], v[88:89]
	v_fmac_f64_e32 v[84:85], v[84:85], v[86:87]
	v_cmp_class_f64_e64 s[62:63], v[14:15], s77
	v_cmp_gt_i32_e32 vcc, 0, v15
	v_ashrrev_i32_e32 v12, 31, v15
	v_add_f64 v[14:15], -v[84:85], s[42:43]
	v_cndmask_b32_e64 v15, v85, v15, s[10:11]
	v_cndmask_b32_e64 v14, v84, v14, s[10:11]
	s_mov_b32 s44, s42
	v_add_f64 v[84:85], -v[14:15], s[44:45]
	v_cmp_class_f64_e64 s[60:61], v[16:17], s77
	v_cndmask_b32_e32 v1, v114, v115, vcc
	v_cndmask_b32_e32 v4, v116, v117, vcc
	v_and_b32_e32 v69, 0x400921fb, v12
	v_and_b32_e32 v12, 0x54442d18, v12
	v_cndmask_b32_e32 v15, v15, v85, vcc
	v_cndmask_b32_e32 v14, v14, v84, vcc
	v_cmp_eq_f64_e32 vcc, 0, v[16:17]
	v_bfi_b32 v4, s76, v4, v17
	v_cndmask_b32_e32 v12, v14, v12, vcc
	v_cndmask_b32_e32 v14, v15, v69, vcc
	s_and_b64 vcc, s[60:61], s[62:63]
	v_mul_f64 v[2:3], v[2:3], 0.5
	v_cndmask_b32_e32 v85, v14, v4, vcc
	v_cndmask_b32_e32 v84, v12, v1, vcc
                                        ; implicit-def: $vgpr86_vgpr87
.LBB198_101:                            ;   in Loop: Header=BB198_4 Depth=1
	s_andn2_saveexec_b64 s[58:59], s[58:59]
	s_cbranch_execz .LBB198_103
; %bb.102:                              ;   in Loop: Header=BB198_4 Depth=1
	v_max_f64 v[2:3], |v[16:17]|, |v[16:17]|
	v_max_f64 v[84:85], |v[14:15]|, |v[14:15]|
	v_max_f64 v[88:89], v[84:85], v[2:3]
	v_min_f64 v[84:85], v[84:85], v[2:3]
	v_div_scale_f64 v[90:91], s[60:61], v[88:89], v[88:89], v[84:85]
	v_rcp_f64_e32 v[92:93], v[90:91]
	v_mul_f64 v[2:3], v[86:87], 0.5
	v_mul_f64 v[2:3], v[86:87], v[2:3]
	v_cmp_class_f64_e64 s[62:63], v[14:15], s77
	v_fma_f64 v[86:87], -v[90:91], v[92:93], 1.0
	v_fmac_f64_e32 v[92:93], v[92:93], v[86:87]
	v_fma_f64 v[86:87], -v[90:91], v[92:93], 1.0
	v_fmac_f64_e32 v[92:93], v[92:93], v[86:87]
	v_div_scale_f64 v[86:87], vcc, v[84:85], v[88:89], v[84:85]
	v_mul_f64 v[94:95], v[86:87], v[92:93]
	v_fma_f64 v[86:87], -v[90:91], v[94:95], v[86:87]
	v_pk_mov_b32 v[90:91], v[32:33], v[32:33] op_sel:[0,1]
	s_nop 0
	v_div_fmas_f64 v[86:87], v[86:87], v[92:93], v[94:95]
	v_div_fixup_f64 v[84:85], v[86:87], v[88:89], v[84:85]
	v_mul_f64 v[86:87], v[84:85], v[84:85]
	v_pk_mov_b32 v[88:89], v[30:31], v[30:31] op_sel:[0,1]
	v_fmac_f64_e32 v[88:89], s[40:41], v[86:87]
	v_fmac_f64_e32 v[90:91], v[86:87], v[88:89]
	v_pk_mov_b32 v[88:89], v[34:35], v[34:35] op_sel:[0,1]
	v_fmac_f64_e32 v[88:89], v[86:87], v[90:91]
	v_pk_mov_b32 v[90:91], v[36:37], v[36:37] op_sel:[0,1]
	;; [unrolled: 2-line block ×17, first 2 shown]
	v_fmac_f64_e32 v[88:89], v[86:87], v[90:91]
	v_mul_f64 v[86:87], v[86:87], v[88:89]
	v_fmac_f64_e32 v[84:85], v[84:85], v[86:87]
	v_cmp_gt_i32_e32 vcc, 0, v15
	v_ashrrev_i32_e32 v12, 31, v15
	v_add_f64 v[14:15], -v[84:85], s[42:43]
	v_cndmask_b32_e64 v15, v85, v15, s[10:11]
	v_cndmask_b32_e64 v14, v84, v14, s[10:11]
	s_mov_b32 s44, s42
	v_add_f64 v[84:85], -v[14:15], s[44:45]
	v_cmp_class_f64_e64 s[60:61], v[16:17], s77
	v_cndmask_b32_e32 v1, v114, v115, vcc
	v_cndmask_b32_e32 v4, v116, v117, vcc
	v_and_b32_e32 v69, 0x400921fb, v12
	v_and_b32_e32 v12, 0x54442d18, v12
	v_cndmask_b32_e32 v15, v15, v85, vcc
	v_cndmask_b32_e32 v14, v14, v84, vcc
	v_cmp_eq_f64_e32 vcc, 0, v[16:17]
	v_bfi_b32 v4, s76, v4, v17
	v_cndmask_b32_e32 v12, v14, v12, vcc
	v_cndmask_b32_e32 v14, v15, v69, vcc
	s_and_b64 vcc, s[60:61], s[62:63]
	v_cndmask_b32_e32 v85, v14, v4, vcc
	v_cndmask_b32_e32 v84, v12, v1, vcc
.LBB198_103:                            ;   in Loop: Header=BB198_4 Depth=1
	s_or_b64 exec, exec, s[58:59]
.LBB198_104:                            ;   in Loop: Header=BB198_4 Depth=1
	s_or_b64 exec, exec, s[12:13]
.LBB198_105:                            ;   in Loop: Header=BB198_4 Depth=1
	s_andn2_saveexec_b64 s[58:59], s[14:15]
	s_cbranch_execz .LBB198_107
; %bb.106:                              ;   in Loop: Header=BB198_4 Depth=1
	v_div_scale_f64 v[2:3], s[12:13], s[50:51], s[50:51], v[14:15]
	v_rcp_f64_e32 v[84:85], v[2:3]
	v_div_scale_f64 v[86:87], vcc, v[14:15], s[50:51], v[14:15]
	s_mov_b32 s44, s42
	v_fma_f64 v[88:89], -v[2:3], v[84:85], 1.0
	v_fmac_f64_e32 v[84:85], v[84:85], v[88:89]
	v_fma_f64 v[88:89], -v[2:3], v[84:85], 1.0
	v_fmac_f64_e32 v[84:85], v[84:85], v[88:89]
	v_mul_f64 v[88:89], v[86:87], v[84:85]
	v_fma_f64 v[2:3], -v[2:3], v[88:89], v[86:87]
	v_div_scale_f64 v[86:87], s[12:13], s[50:51], s[50:51], v[16:17]
	v_rcp_f64_e32 v[90:91], v[86:87]
	v_div_fmas_f64 v[2:3], v[2:3], v[84:85], v[88:89]
	v_div_fixup_f64 v[2:3], v[2:3], s[50:51], v[14:15]
	v_cmp_class_f64_e64 s[14:15], v[2:3], s77
	v_fma_f64 v[84:85], -v[86:87], v[90:91], 1.0
	v_fmac_f64_e32 v[90:91], v[90:91], v[84:85]
	v_fma_f64 v[84:85], -v[86:87], v[90:91], 1.0
	v_fmac_f64_e32 v[90:91], v[90:91], v[84:85]
	v_div_scale_f64 v[84:85], vcc, v[16:17], s[50:51], v[16:17]
	v_mul_f64 v[88:89], v[84:85], v[90:91]
	v_fma_f64 v[84:85], -v[86:87], v[88:89], v[84:85]
	s_nop 1
	v_div_fmas_f64 v[84:85], v[84:85], v[90:91], v[88:89]
	v_div_fixup_f64 v[84:85], v[84:85], s[50:51], v[16:17]
	v_max_f64 v[86:87], |v[2:3]|, |v[84:85]|
	v_frexp_exp_i32_f64_e32 v1, v[86:87]
	v_sub_u32_e32 v4, 0, v1
	v_ldexp_f64 v[88:89], |v[84:85]|, v4
	v_ldexp_f64 v[86:87], |v[2:3]|, v4
	v_mul_f64 v[88:89], v[88:89], v[88:89]
	v_fmac_f64_e32 v[88:89], v[86:87], v[86:87]
	v_rsq_f64_e32 v[86:87], v[88:89]
	v_cmp_eq_f64_e32 vcc, 0, v[88:89]
	v_cmp_o_f64_e64 s[12:13], v[2:3], v[84:85]
	v_cmp_class_f64_e64 s[60:61], v[84:85], s77
	v_mul_f64 v[90:91], v[88:89], v[86:87]
	v_mul_f64 v[86:87], v[86:87], 0.5
	v_fma_f64 v[92:93], -v[86:87], v[90:91], 0.5
	v_fmac_f64_e32 v[90:91], v[90:91], v[92:93]
	v_fmac_f64_e32 v[86:87], v[86:87], v[92:93]
	v_fma_f64 v[92:93], -v[90:91], v[90:91], v[88:89]
	v_fmac_f64_e32 v[90:91], v[92:93], v[86:87]
	v_cndmask_b32_e32 v87, v91, v89, vcc
	v_cndmask_b32_e32 v86, v90, v88, vcc
	v_ldexp_f64 v[86:87], v[86:87], v1
	v_cndmask_b32_e64 v1, 0, v86, s[12:13]
	v_cndmask_b32_e64 v4, v112, v87, s[12:13]
	s_or_b64 vcc, s[60:61], s[14:15]
	v_cndmask_b32_e32 v85, v4, v119, vcc
	v_cndmask_b32_e64 v84, v1, 0, vcc
	v_frexp_mant_f64_e32 v[2:3], v[84:85]
	v_cmp_gt_f64_e64 s[14:15], s[28:29], v[2:3]
	v_cndmask_b32_e64 v69, v118, 2.0, s[14:15]
	v_mul_f64 v[2:3], v[2:3], v[68:69]
	v_add_f64 v[88:89], v[2:3], 1.0
	v_rcp_f64_e32 v[90:91], v[88:89]
	v_add_f64 v[94:95], v[88:89], -1.0
	v_add_f64 v[92:93], v[2:3], -1.0
	v_add_f64 v[2:3], v[2:3], -v[94:95]
	v_fma_f64 v[94:95], -v[88:89], v[90:91], 1.0
	v_fmac_f64_e32 v[90:91], v[94:95], v[90:91]
	v_fma_f64 v[94:95], -v[88:89], v[90:91], 1.0
	v_fmac_f64_e32 v[90:91], v[94:95], v[90:91]
	v_mul_f64 v[94:95], v[92:93], v[90:91]
	v_mul_f64 v[96:97], v[88:89], v[94:95]
	v_fma_f64 v[88:89], v[94:95], v[88:89], -v[96:97]
	v_fmac_f64_e32 v[88:89], v[94:95], v[2:3]
	v_add_f64 v[2:3], v[96:97], v[88:89]
	v_add_f64 v[98:99], v[92:93], -v[2:3]
	v_add_f64 v[96:97], v[2:3], -v[96:97]
	;; [unrolled: 1-line block ×5, first 2 shown]
	v_add_f64 v[2:3], v[88:89], v[2:3]
	v_add_f64 v[2:3], v[98:99], v[2:3]
	v_mul_f64 v[2:3], v[90:91], v[2:3]
	v_add_f64 v[88:89], v[94:95], v[2:3]
	v_add_f64 v[90:91], v[88:89], -v[94:95]
	v_add_f64 v[2:3], v[2:3], -v[90:91]
	v_mul_f64 v[90:91], v[88:89], v[88:89]
	v_pk_mov_b32 v[92:93], v[18:19], v[18:19] op_sel:[0,1]
	v_fmac_f64_e32 v[92:93], s[30:31], v[90:91]
	v_pk_mov_b32 v[94:95], v[20:21], v[20:21] op_sel:[0,1]
	v_fmac_f64_e32 v[94:95], v[90:91], v[92:93]
	;; [unrolled: 2-line block ×6, first 2 shown]
	v_ldexp_f64 v[92:93], v[88:89], 1
	v_mul_f64 v[88:89], v[88:89], v[90:91]
	v_mul_f64 v[88:89], v[88:89], v[94:95]
	v_add_f64 v[90:91], v[92:93], v[88:89]
	v_add_f64 v[92:93], v[90:91], -v[92:93]
	v_ldexp_f64 v[2:3], v[2:3], 1
	v_add_f64 v[88:89], v[88:89], -v[92:93]
	v_add_f64 v[2:3], v[2:3], v[88:89]
	v_frexp_exp_i32_f64_e32 v12, v[84:85]
	v_add_f64 v[88:89], v[90:91], v[2:3]
	v_subbrev_co_u32_e64 v12, s[14:15], 0, v12, s[14:15]
	v_add_f64 v[90:91], v[88:89], -v[90:91]
	v_add_f64 v[2:3], v[2:3], -v[90:91]
	v_cvt_f64_i32_e32 v[90:91], v12
	v_mul_f64 v[92:93], v[90:91], s[34:35]
	v_fma_f64 v[94:95], v[90:91], s[34:35], -v[92:93]
	v_fmac_f64_e32 v[94:95], s[36:37], v[90:91]
	v_add_f64 v[90:91], v[92:93], v[94:95]
	v_add_f64 v[92:93], v[90:91], -v[92:93]
	v_add_f64 v[92:93], v[94:95], -v[92:93]
	v_add_f64 v[94:95], v[90:91], v[88:89]
	v_add_f64 v[96:97], v[94:95], -v[90:91]
	v_add_f64 v[98:99], v[94:95], -v[96:97]
	;; [unrolled: 1-line block ×4, first 2 shown]
	v_add_f64 v[88:89], v[88:89], v[90:91]
	v_add_f64 v[90:91], v[92:93], v[2:3]
	v_add_f64 v[96:97], v[90:91], -v[92:93]
	v_add_f64 v[98:99], v[90:91], -v[96:97]
	v_add_f64 v[88:89], v[90:91], v[88:89]
	v_add_f64 v[92:93], v[92:93], -v[98:99]
	v_add_f64 v[2:3], v[2:3], -v[96:97]
	v_add_f64 v[90:91], v[94:95], v[88:89]
	v_add_f64 v[2:3], v[2:3], v[92:93]
	v_add_f64 v[92:93], v[90:91], -v[94:95]
	v_add_f64 v[88:89], v[88:89], -v[92:93]
	v_and_b32_e32 v87, 0x7fffffff, v87
	v_add_f64 v[2:3], v[2:3], v[88:89]
	v_cmp_eq_f64_e64 s[14:15], s[38:39], v[86:87]
	v_add_f64 v[2:3], v[90:91], v[2:3]
	s_and_b64 s[12:13], s[12:13], s[14:15]
	v_cndmask_b32_e64 v3, v3, v4, s[12:13]
	v_cndmask_b32_e64 v2, v2, v1, s[12:13]
	v_add_f64 v[2:3], v[2:3], 1.0
	v_cndmask_b32_e64 v1, v2, 0, vcc
	v_cndmask_b32_e32 v2, v3, v119, vcc
	v_cmp_ngt_f64_e32 vcc, 0, v[84:85]
	v_cndmask_b32_e32 v4, v112, v2, vcc
	v_max_f64 v[2:3], |v[16:17]|, |v[16:17]|
	v_max_f64 v[86:87], |v[14:15]|, |v[14:15]|
	v_max_f64 v[88:89], v[86:87], v[2:3]
	v_min_f64 v[86:87], v[86:87], v[2:3]
	v_div_scale_f64 v[90:91], s[12:13], v[88:89], v[88:89], v[86:87]
	v_rcp_f64_e32 v[92:93], v[90:91]
	v_cmp_nge_f64_e32 vcc, 0, v[84:85]
	v_cndmask_b32_e32 v2, 0, v1, vcc
	v_cmp_neq_f64_e32 vcc, 0, v[84:85]
	v_fma_f64 v[84:85], -v[90:91], v[92:93], 1.0
	v_fmac_f64_e32 v[92:93], v[92:93], v[84:85]
	v_fma_f64 v[84:85], -v[90:91], v[92:93], 1.0
	v_cndmask_b32_e32 v3, v113, v4, vcc
	v_fmac_f64_e32 v[92:93], v[92:93], v[84:85]
	v_div_scale_f64 v[84:85], vcc, v[86:87], v[88:89], v[86:87]
	v_mul_f64 v[94:95], v[84:85], v[92:93]
	v_fma_f64 v[84:85], -v[90:91], v[94:95], v[84:85]
	v_pk_mov_b32 v[90:91], v[32:33], v[32:33] op_sel:[0,1]
	s_nop 0
	v_div_fmas_f64 v[84:85], v[84:85], v[92:93], v[94:95]
	v_div_fixup_f64 v[84:85], v[84:85], v[88:89], v[86:87]
	v_mul_f64 v[86:87], v[84:85], v[84:85]
	v_pk_mov_b32 v[88:89], v[30:31], v[30:31] op_sel:[0,1]
	v_fmac_f64_e32 v[88:89], s[40:41], v[86:87]
	v_fmac_f64_e32 v[90:91], v[86:87], v[88:89]
	v_pk_mov_b32 v[88:89], v[34:35], v[34:35] op_sel:[0,1]
	v_fmac_f64_e32 v[88:89], v[86:87], v[90:91]
	v_pk_mov_b32 v[90:91], v[36:37], v[36:37] op_sel:[0,1]
	;; [unrolled: 2-line block ×17, first 2 shown]
	v_fmac_f64_e32 v[88:89], v[86:87], v[90:91]
	v_mul_f64 v[86:87], v[86:87], v[88:89]
	v_fmac_f64_e32 v[84:85], v[84:85], v[86:87]
	v_cmp_class_f64_e64 s[14:15], v[14:15], s77
	v_cmp_gt_i32_e32 vcc, 0, v15
	v_ashrrev_i32_e32 v12, 31, v15
	v_add_f64 v[14:15], -v[84:85], s[42:43]
	v_cndmask_b32_e64 v15, v85, v15, s[10:11]
	v_cndmask_b32_e64 v14, v84, v14, s[10:11]
	v_add_f64 v[84:85], -v[14:15], s[44:45]
	v_cmp_class_f64_e64 s[12:13], v[16:17], s77
	v_cndmask_b32_e32 v1, v114, v115, vcc
	v_cndmask_b32_e32 v4, v116, v117, vcc
	v_and_b32_e32 v69, 0x400921fb, v12
	v_and_b32_e32 v12, 0x54442d18, v12
	v_cndmask_b32_e32 v15, v15, v85, vcc
	v_cndmask_b32_e32 v14, v14, v84, vcc
	v_cmp_eq_f64_e32 vcc, 0, v[16:17]
	v_bfi_b32 v4, s76, v4, v17
	v_cndmask_b32_e32 v12, v14, v12, vcc
	v_cndmask_b32_e32 v14, v15, v69, vcc
	s_and_b64 vcc, s[12:13], s[14:15]
	v_cndmask_b32_e32 v85, v14, v4, vcc
	v_cndmask_b32_e32 v84, v12, v1, vcc
.LBB198_107:                            ;   in Loop: Header=BB198_4 Depth=1
	s_or_b64 exec, exec, s[58:59]
.LBB198_108:                            ;   in Loop: Header=BB198_4 Depth=1
	s_andn2_saveexec_b64 s[10:11], s[56:57]
	s_cbranch_execz .LBB198_114
; %bb.109:                              ;   in Loop: Header=BB198_4 Depth=1
	v_cmp_nlt_f64_e64 s[12:13], |v[14:15]|, s[52:53]
	v_cmp_nlt_f64_e64 s[14:15], |v[16:17]|, s[52:53]
	s_or_b64 s[12:13], s[14:15], s[12:13]
                                        ; implicit-def: $vgpr84_vgpr85
	s_and_saveexec_b64 s[14:15], s[12:13]
	s_xor_b64 s[12:13], exec, s[14:15]
; %bb.110:                              ;   in Loop: Header=BB198_4 Depth=1
	v_mul_f64 v[84:85], v[14:15], v[14:15]
	v_fmac_f64_e32 v[84:85], v[16:17], v[16:17]
; %bb.111:                              ;   in Loop: Header=BB198_4 Depth=1
	s_andn2_saveexec_b64 s[12:13], s[12:13]
; %bb.112:                              ;   in Loop: Header=BB198_4 Depth=1
	v_mul_f64 v[2:3], v[14:15], 4.0
	v_mul_f64 v[14:15], v[16:17], 4.0
	v_mul_f64 v[2:3], v[2:3], v[2:3]
	v_fmac_f64_e32 v[2:3], v[14:15], v[14:15]
	v_ldexp_f64 v[84:85], v[2:3], -4
; %bb.113:                              ;   in Loop: Header=BB198_4 Depth=1
	s_or_b64 exec, exec, s[12:13]
	v_frexp_mant_f64_e32 v[2:3], v[84:85]
	v_cmp_gt_f64_e32 vcc, s[28:29], v[2:3]
	v_cndmask_b32_e64 v69, v118, 2.0, vcc
	v_mul_f64 v[2:3], v[2:3], v[68:69]
	v_add_f64 v[14:15], v[2:3], 1.0
	v_rcp_f64_e32 v[86:87], v[14:15]
	v_add_f64 v[90:91], v[14:15], -1.0
	v_add_f64 v[88:89], v[2:3], -1.0
	v_add_f64 v[2:3], v[2:3], -v[90:91]
	v_fma_f64 v[90:91], -v[14:15], v[86:87], 1.0
	v_fmac_f64_e32 v[86:87], v[90:91], v[86:87]
	v_fma_f64 v[90:91], -v[14:15], v[86:87], 1.0
	v_fmac_f64_e32 v[86:87], v[90:91], v[86:87]
	v_mul_f64 v[90:91], v[88:89], v[86:87]
	v_mul_f64 v[92:93], v[14:15], v[90:91]
	v_fma_f64 v[14:15], v[90:91], v[14:15], -v[92:93]
	v_fmac_f64_e32 v[14:15], v[90:91], v[2:3]
	v_add_f64 v[2:3], v[92:93], v[14:15]
	v_add_f64 v[94:95], v[88:89], -v[2:3]
	v_add_f64 v[92:93], v[2:3], -v[92:93]
	;; [unrolled: 1-line block ×5, first 2 shown]
	v_add_f64 v[2:3], v[14:15], v[2:3]
	v_add_f64 v[2:3], v[94:95], v[2:3]
	v_mul_f64 v[2:3], v[86:87], v[2:3]
	v_add_f64 v[14:15], v[90:91], v[2:3]
	v_add_f64 v[86:87], v[14:15], -v[90:91]
	v_add_f64 v[2:3], v[2:3], -v[86:87]
	v_mul_f64 v[86:87], v[14:15], v[14:15]
	v_pk_mov_b32 v[88:89], v[18:19], v[18:19] op_sel:[0,1]
	v_fmac_f64_e32 v[88:89], s[30:31], v[86:87]
	v_pk_mov_b32 v[90:91], v[20:21], v[20:21] op_sel:[0,1]
	v_fmac_f64_e32 v[90:91], v[86:87], v[88:89]
	v_pk_mov_b32 v[88:89], v[22:23], v[22:23] op_sel:[0,1]
	v_fmac_f64_e32 v[88:89], v[86:87], v[90:91]
	v_pk_mov_b32 v[90:91], v[24:25], v[24:25] op_sel:[0,1]
	v_fmac_f64_e32 v[90:91], v[86:87], v[88:89]
	v_pk_mov_b32 v[88:89], v[26:27], v[26:27] op_sel:[0,1]
	v_fmac_f64_e32 v[88:89], v[86:87], v[90:91]
	v_pk_mov_b32 v[90:91], v[28:29], v[28:29] op_sel:[0,1]
	v_fmac_f64_e32 v[90:91], v[86:87], v[88:89]
	v_ldexp_f64 v[88:89], v[14:15], 1
	v_mul_f64 v[14:15], v[14:15], v[86:87]
	v_mul_f64 v[14:15], v[14:15], v[90:91]
	v_add_f64 v[86:87], v[88:89], v[14:15]
	v_add_f64 v[88:89], v[86:87], -v[88:89]
	v_ldexp_f64 v[2:3], v[2:3], 1
	v_add_f64 v[14:15], v[14:15], -v[88:89]
	v_add_f64 v[2:3], v[2:3], v[14:15]
	v_frexp_exp_i32_f64_e32 v1, v[84:85]
	v_add_f64 v[14:15], v[86:87], v[2:3]
	v_subbrev_co_u32_e32 v1, vcc, 0, v1, vcc
	v_add_f64 v[86:87], v[14:15], -v[86:87]
	v_add_f64 v[2:3], v[2:3], -v[86:87]
	v_cvt_f64_i32_e32 v[86:87], v1
	v_mul_f64 v[88:89], v[86:87], s[34:35]
	v_fma_f64 v[90:91], v[86:87], s[34:35], -v[88:89]
	v_fmac_f64_e32 v[90:91], s[36:37], v[86:87]
	v_add_f64 v[86:87], v[88:89], v[90:91]
	v_add_f64 v[88:89], v[86:87], -v[88:89]
	v_add_f64 v[88:89], v[90:91], -v[88:89]
	v_add_f64 v[90:91], v[86:87], v[14:15]
	v_add_f64 v[92:93], v[90:91], -v[86:87]
	v_add_f64 v[94:95], v[90:91], -v[92:93]
	v_add_f64 v[86:87], v[86:87], -v[94:95]
	v_add_f64 v[14:15], v[14:15], -v[92:93]
	v_add_f64 v[14:15], v[14:15], v[86:87]
	v_add_f64 v[86:87], v[88:89], v[2:3]
	v_add_f64 v[92:93], v[86:87], -v[88:89]
	v_add_f64 v[94:95], v[86:87], -v[92:93]
	v_add_f64 v[14:15], v[86:87], v[14:15]
	v_add_f64 v[88:89], v[88:89], -v[94:95]
	v_add_f64 v[2:3], v[2:3], -v[92:93]
	v_add_f64 v[86:87], v[90:91], v[14:15]
	v_add_f64 v[2:3], v[2:3], v[88:89]
	v_add_f64 v[88:89], v[86:87], -v[90:91]
	v_add_f64 v[14:15], v[14:15], -v[88:89]
	v_add_f64 v[2:3], v[2:3], v[14:15]
	v_add_f64 v[2:3], v[86:87], v[2:3]
	v_cmp_class_f64_e64 vcc, v[84:85], s77
	v_cndmask_b32_e32 v1, v2, v84, vcc
	v_cndmask_b32_e32 v2, v3, v85, vcc
	v_cmp_ngt_f64_e32 vcc, 0, v[84:85]
	v_cndmask_b32_e32 v3, v112, v2, vcc
	v_cmp_nge_f64_e32 vcc, 0, v[84:85]
	v_cndmask_b32_e32 v2, 0, v1, vcc
	v_cmp_neq_f64_e32 vcc, 0, v[84:85]
	v_mov_b32_e32 v84, 0
	v_cndmask_b32_e32 v3, v113, v3, vcc
	v_mov_b32_e32 v85, 0x7ff80000
.LBB198_114:                            ;   in Loop: Header=BB198_4 Depth=1
	s_or_b64 exec, exec, s[10:11]
	v_cmp_o_f64_e32 vcc, v[6:7], v[8:9]
                                        ; implicit-def: $vgpr14_vgpr15
                                        ; implicit-def: $vgpr86_vgpr87
	s_and_saveexec_b64 s[10:11], vcc
	s_xor_b64 s[56:57], exec, s[10:11]
	s_cbranch_execnz .LBB198_120
; %bb.115:                              ;   in Loop: Header=BB198_4 Depth=1
	s_andn2_saveexec_b64 s[10:11], s[56:57]
	s_cbranch_execnz .LBB198_147
.LBB198_116:                            ;   in Loop: Header=BB198_4 Depth=1
	s_or_b64 exec, exec, s[10:11]
	s_and_saveexec_b64 s[10:11], s[0:1]
	s_xor_b64 s[0:1], exec, s[10:11]
	s_cbranch_execnz .LBB198_152
.LBB198_117:                            ;   in Loop: Header=BB198_4 Depth=1
	s_or_b64 exec, exec, s[0:1]
	s_and_saveexec_b64 s[0:1], s[2:3]
	s_cbranch_execnz .LBB198_153
.LBB198_118:                            ;   in Loop: Header=BB198_4 Depth=1
	s_or_b64 exec, exec, s[0:1]
	s_and_saveexec_b64 s[0:1], s[6:7]
	s_cbranch_execnz .LBB198_154
.LBB198_119:                            ;   in Loop: Header=BB198_4 Depth=1
	s_or_b64 exec, exec, s[0:1]
	s_and_saveexec_b64 s[0:1], s[8:9]
	s_cbranch_execz .LBB198_3
	s_branch .LBB198_155
.LBB198_120:                            ;   in Loop: Header=BB198_4 Depth=1
	v_and_b32_e32 v12, 0x7fffffff, v7
	v_and_b32_e32 v1, 0x7fffffff, v9
	v_mov_b32_e32 v4, v8
	v_cmp_lt_f64_e64 s[10:11], |v[6:7]|, |v[8:9]|
	v_cndmask_b32_e64 v89, v1, v12, s[10:11]
	v_cndmask_b32_e64 v88, v4, v6, s[10:11]
	v_cmp_nlt_f64_e32 vcc, s[22:23], v[88:89]
                                        ; implicit-def: $vgpr14_vgpr15
                                        ; implicit-def: $vgpr86_vgpr87
	s_and_saveexec_b64 s[12:13], vcc
	s_xor_b64 s[14:15], exec, s[12:13]
	s_cbranch_execz .LBB198_144
; %bb.121:                              ;   in Loop: Header=BB198_4 Depth=1
	v_cndmask_b32_e64 v93, v12, v1, s[10:11]
	v_cndmask_b32_e64 v92, v6, v4, s[10:11]
	v_cmp_neq_f64_e32 vcc, 1.0, v[92:93]
                                        ; implicit-def: $vgpr14_vgpr15
                                        ; implicit-def: $vgpr86_vgpr87
	s_and_saveexec_b64 s[12:13], vcc
	s_xor_b64 s[58:59], exec, s[12:13]
	s_cbranch_execz .LBB198_137
; %bb.122:                              ;   in Loop: Header=BB198_4 Depth=1
	v_max_f64 v[14:15], v[88:89], v[88:89]
	v_max_f64 v[86:87], v[92:93], v[92:93]
	v_min_f64 v[90:91], v[86:87], v[14:15]
	v_max_f64 v[14:15], v[86:87], v[14:15]
	v_cmp_ngt_f64_e32 vcc, s[24:25], v[90:91]
	v_cmp_nlt_f64_e64 s[12:13], s[26:27], v[14:15]
	s_and_b64 s[12:13], s[12:13], vcc
                                        ; implicit-def: $vgpr14_vgpr15
                                        ; implicit-def: $vgpr86_vgpr87
	s_and_saveexec_b64 s[60:61], s[12:13]
	s_xor_b64 s[60:61], exec, s[60:61]
	s_cbranch_execz .LBB198_134
; %bb.123:                              ;   in Loop: Header=BB198_4 Depth=1
	v_cmp_le_f64_e32 vcc, 1.0, v[92:93]
                                        ; implicit-def: $vgpr14_vgpr15
                                        ; implicit-def: $vgpr86_vgpr87
	s_and_saveexec_b64 s[12:13], vcc
	s_xor_b64 s[12:13], exec, s[12:13]
	s_cbranch_execz .LBB198_125
; %bb.124:                              ;   in Loop: Header=BB198_4 Depth=1
	v_add_f64 v[14:15], v[92:93], -1.0
	v_add_f64 v[86:87], v[92:93], 1.0
	v_mul_f64 v[86:87], v[14:15], v[86:87]
	v_fmac_f64_e32 v[86:87], v[88:89], v[88:89]
	v_add_f64 v[14:15], v[86:87], 1.0
	v_add_f64 v[88:89], v[14:15], -1.0
	v_add_f64 v[90:91], v[88:89], -v[14:15]
	v_add_f64 v[90:91], v[90:91], 1.0
	v_add_f64 v[88:89], v[86:87], -v[88:89]
	v_add_f64 v[88:89], v[88:89], v[90:91]
	v_frexp_mant_f64_e32 v[90:91], v[14:15]
	v_frexp_exp_i32_f64_e32 v1, v[14:15]
	v_cmp_gt_f64_e32 vcc, s[28:29], v[90:91]
	v_subbrev_co_u32_e32 v1, vcc, 0, v1, vcc
	v_sub_u32_e32 v4, 0, v1
	v_ldexp_f64 v[14:15], v[14:15], v4
	v_add_f64 v[90:91], v[14:15], -1.0
	v_add_f64 v[96:97], v[14:15], 1.0
	v_add_f64 v[92:93], v[90:91], 1.0
	v_add_f64 v[98:99], v[96:97], -1.0
	v_ldexp_f64 v[88:89], v[88:89], v4
	v_add_f64 v[92:93], v[14:15], -v[92:93]
	v_add_f64 v[14:15], v[14:15], -v[98:99]
	v_add_f64 v[14:15], v[88:89], v[14:15]
	v_add_f64 v[92:93], v[88:89], v[92:93]
	;; [unrolled: 1-line block ×3, first 2 shown]
	v_rcp_f64_e32 v[98:99], v[88:89]
	v_add_f64 v[94:95], v[90:91], v[92:93]
	v_add_f64 v[90:91], v[94:95], -v[90:91]
	v_add_f64 v[90:91], v[92:93], -v[90:91]
	;; [unrolled: 1-line block ×4, first 2 shown]
	v_fma_f64 v[92:93], -v[88:89], v[98:99], 1.0
	v_fmac_f64_e32 v[98:99], v[92:93], v[98:99]
	v_fma_f64 v[92:93], -v[88:89], v[98:99], 1.0
	v_fmac_f64_e32 v[98:99], v[92:93], v[98:99]
	v_mul_f64 v[92:93], v[94:95], v[98:99]
	v_mul_f64 v[96:97], v[88:89], v[92:93]
	v_fma_f64 v[100:101], v[92:93], v[88:89], -v[96:97]
	v_fmac_f64_e32 v[100:101], v[92:93], v[14:15]
	v_add_f64 v[102:103], v[96:97], v[100:101]
	v_add_f64 v[104:105], v[94:95], -v[102:103]
	v_add_f64 v[94:95], v[94:95], -v[104:105]
	;; [unrolled: 1-line block ×4, first 2 shown]
	v_add_f64 v[90:91], v[90:91], v[94:95]
	v_add_f64 v[94:95], v[96:97], -v[100:101]
	v_add_f64 v[90:91], v[94:95], v[90:91]
	v_add_f64 v[94:95], v[104:105], v[90:91]
	v_add_f64 v[96:97], v[104:105], -v[94:95]
	v_add_f64 v[90:91], v[90:91], v[96:97]
	v_mul_f64 v[96:97], v[98:99], v[94:95]
	v_mul_f64 v[100:101], v[88:89], v[96:97]
	v_fma_f64 v[88:89], v[96:97], v[88:89], -v[100:101]
	v_fmac_f64_e32 v[88:89], v[96:97], v[14:15]
	v_add_f64 v[14:15], v[100:101], v[88:89]
	v_add_f64 v[102:103], v[94:95], -v[14:15]
	v_add_f64 v[94:95], v[94:95], -v[102:103]
	;; [unrolled: 1-line block ×4, first 2 shown]
	v_add_f64 v[14:15], v[90:91], v[14:15]
	v_add_f64 v[88:89], v[100:101], -v[88:89]
	v_add_f64 v[14:15], v[88:89], v[14:15]
	v_add_f64 v[88:89], v[92:93], v[96:97]
	;; [unrolled: 1-line block ×3, first 2 shown]
	v_add_f64 v[90:91], v[88:89], -v[92:93]
	v_mul_f64 v[14:15], v[98:99], v[14:15]
	v_add_f64 v[90:91], v[96:97], -v[90:91]
	v_add_f64 v[14:15], v[90:91], v[14:15]
	v_add_f64 v[90:91], v[88:89], v[14:15]
	v_add_f64 v[88:89], v[90:91], -v[88:89]
	v_add_f64 v[14:15], v[14:15], -v[88:89]
	v_mul_f64 v[88:89], v[90:91], v[90:91]
	v_pk_mov_b32 v[92:93], v[18:19], v[18:19] op_sel:[0,1]
	v_fmac_f64_e32 v[92:93], s[30:31], v[88:89]
	v_pk_mov_b32 v[94:95], v[20:21], v[20:21] op_sel:[0,1]
	v_fmac_f64_e32 v[94:95], v[88:89], v[92:93]
	;; [unrolled: 2-line block ×6, first 2 shown]
	v_cvt_f64_i32_e32 v[92:93], v1
	v_mul_f64 v[96:97], v[92:93], s[34:35]
	v_fma_f64 v[98:99], v[92:93], s[34:35], -v[96:97]
	v_fmac_f64_e32 v[98:99], s[36:37], v[92:93]
	v_add_f64 v[92:93], v[96:97], v[98:99]
	v_add_f64 v[96:97], v[92:93], -v[96:97]
	v_mul_f64 v[88:89], v[90:91], v[88:89]
	v_add_f64 v[96:97], v[98:99], -v[96:97]
	v_ldexp_f64 v[98:99], v[90:91], 1
	v_mul_f64 v[88:89], v[88:89], v[94:95]
	v_add_f64 v[90:91], v[98:99], v[88:89]
	v_add_f64 v[94:95], v[90:91], -v[98:99]
	v_ldexp_f64 v[14:15], v[14:15], 1
	v_add_f64 v[88:89], v[88:89], -v[94:95]
	v_add_f64 v[14:15], v[14:15], v[88:89]
	v_add_f64 v[88:89], v[90:91], v[14:15]
	v_add_f64 v[90:91], v[88:89], -v[90:91]
	v_add_f64 v[14:15], v[14:15], -v[90:91]
	v_add_f64 v[90:91], v[92:93], v[88:89]
	v_add_f64 v[94:95], v[90:91], -v[92:93]
	v_add_f64 v[98:99], v[90:91], -v[94:95]
	v_add_f64 v[92:93], v[92:93], -v[98:99]
	v_add_f64 v[88:89], v[88:89], -v[94:95]
	v_add_f64 v[88:89], v[88:89], v[92:93]
	v_add_f64 v[92:93], v[96:97], v[14:15]
	v_add_f64 v[94:95], v[92:93], -v[96:97]
	v_add_f64 v[88:89], v[92:93], v[88:89]
	v_add_f64 v[98:99], v[92:93], -v[94:95]
	;; [unrolled: 2-line block ×3, first 2 shown]
	v_add_f64 v[14:15], v[14:15], -v[94:95]
	v_add_f64 v[90:91], v[92:93], -v[90:91]
	v_add_f64 v[14:15], v[14:15], v[96:97]
	v_add_f64 v[88:89], v[88:89], -v[90:91]
	v_add_f64 v[14:15], v[14:15], v[88:89]
	v_max_f64 v[88:89], |v[8:9]|, |v[8:9]|
	v_max_f64 v[90:91], |v[6:7]|, |v[6:7]|
	v_add_f64 v[14:15], v[92:93], v[14:15]
	v_max_f64 v[92:93], v[90:91], v[88:89]
	v_min_f64 v[88:89], v[90:91], v[88:89]
	v_div_scale_f64 v[90:91], s[62:63], v[92:93], v[92:93], v[88:89]
	v_cmp_eq_f64_e32 vcc, s[38:39], v[86:87]
	v_rcp_f64_e32 v[94:95], v[90:91]
	v_cndmask_b32_e32 v15, v15, v87, vcc
	v_cndmask_b32_e32 v14, v14, v86, vcc
	v_mul_f64 v[14:15], v[14:15], 0.5
	v_cmp_ngt_f64_e32 vcc, -1.0, v[86:87]
	v_cndmask_b32_e32 v1, v112, v15, vcc
	v_cmp_nge_f64_e32 vcc, -1.0, v[86:87]
	v_cndmask_b32_e32 v14, 0, v14, vcc
	v_cmp_neq_f64_e32 vcc, -1.0, v[86:87]
	v_fma_f64 v[86:87], -v[90:91], v[94:95], 1.0
	v_fmac_f64_e32 v[94:95], v[94:95], v[86:87]
	v_fma_f64 v[86:87], -v[90:91], v[94:95], 1.0
	v_cndmask_b32_e32 v15, v113, v1, vcc
	v_fmac_f64_e32 v[94:95], v[94:95], v[86:87]
	v_div_scale_f64 v[86:87], vcc, v[88:89], v[92:93], v[88:89]
	v_mul_f64 v[96:97], v[86:87], v[94:95]
	v_fma_f64 v[86:87], -v[90:91], v[96:97], v[86:87]
	v_pk_mov_b32 v[90:91], v[30:31], v[30:31] op_sel:[0,1]
	s_nop 0
	v_div_fmas_f64 v[86:87], v[86:87], v[94:95], v[96:97]
	v_div_fixup_f64 v[86:87], v[86:87], v[92:93], v[88:89]
	v_mul_f64 v[88:89], v[86:87], v[86:87]
	v_fmac_f64_e32 v[90:91], s[40:41], v[88:89]
	v_pk_mov_b32 v[92:93], v[32:33], v[32:33] op_sel:[0,1]
	v_fmac_f64_e32 v[92:93], v[88:89], v[90:91]
	v_pk_mov_b32 v[90:91], v[34:35], v[34:35] op_sel:[0,1]
	;; [unrolled: 2-line block ×18, first 2 shown]
	v_fmac_f64_e32 v[90:91], v[88:89], v[92:93]
	v_mul_f64 v[88:89], v[88:89], v[90:91]
	v_fmac_f64_e32 v[86:87], v[86:87], v[88:89]
	v_cmp_class_f64_e64 s[64:65], v[6:7], s77
	v_ashrrev_i32_e32 v6, 31, v7
	v_cmp_gt_i32_e32 vcc, 0, v7
	v_and_b32_e32 v12, 0x400921fb, v6
	v_and_b32_e32 v16, 0x54442d18, v6
	v_add_f64 v[6:7], -v[86:87], s[42:43]
	v_cndmask_b32_e64 v7, v87, v7, s[10:11]
	v_cndmask_b32_e64 v6, v86, v6, s[10:11]
	s_mov_b32 s44, s42
	v_add_f64 v[86:87], -v[6:7], s[44:45]
	v_cmp_class_f64_e64 s[62:63], v[8:9], s77
	v_cndmask_b32_e32 v1, v114, v115, vcc
	v_cndmask_b32_e32 v4, v116, v117, vcc
	;; [unrolled: 1-line block ×4, first 2 shown]
	v_cmp_eq_f64_e32 vcc, 0, v[8:9]
	v_bfi_b32 v4, s76, v4, v9
	v_cndmask_b32_e32 v6, v6, v16, vcc
	v_cndmask_b32_e32 v7, v7, v12, vcc
	s_and_b64 vcc, s[62:63], s[64:65]
	v_cndmask_b32_e32 v87, v7, v4, vcc
	v_cndmask_b32_e32 v86, v6, v1, vcc
                                        ; implicit-def: $vgpr88_vgpr89
                                        ; implicit-def: $vgpr92_vgpr93
.LBB198_125:                            ;   in Loop: Header=BB198_4 Depth=1
	s_andn2_saveexec_b64 s[62:63], s[12:13]
	s_cbranch_execz .LBB198_133
; %bb.126:                              ;   in Loop: Header=BB198_4 Depth=1
	v_mul_f64 v[90:91], v[88:89], v[88:89]
	v_fmac_f64_e32 v[90:91], v[92:93], v[92:93]
	v_cmp_ge_f64_e32 vcc, s[46:47], v[90:91]
                                        ; implicit-def: $vgpr14_vgpr15
                                        ; implicit-def: $vgpr86_vgpr87
	s_and_saveexec_b64 s[12:13], vcc
	s_xor_b64 s[12:13], exec, s[12:13]
	s_cbranch_execz .LBB198_128
; %bb.127:                              ;   in Loop: Header=BB198_4 Depth=1
	v_frexp_mant_f64_e32 v[14:15], v[90:91]
	v_cmp_gt_f64_e32 vcc, s[28:29], v[14:15]
	v_cndmask_b32_e64 v69, v118, 2.0, vcc
	v_mul_f64 v[14:15], v[14:15], v[68:69]
	v_add_f64 v[86:87], v[14:15], 1.0
	v_rcp_f64_e32 v[88:89], v[86:87]
	v_add_f64 v[94:95], v[86:87], -1.0
	v_add_f64 v[92:93], v[14:15], -1.0
	v_add_f64 v[14:15], v[14:15], -v[94:95]
	v_fma_f64 v[94:95], -v[86:87], v[88:89], 1.0
	v_fmac_f64_e32 v[88:89], v[94:95], v[88:89]
	v_fma_f64 v[94:95], -v[86:87], v[88:89], 1.0
	v_fmac_f64_e32 v[88:89], v[94:95], v[88:89]
	v_mul_f64 v[94:95], v[92:93], v[88:89]
	v_mul_f64 v[96:97], v[86:87], v[94:95]
	v_fma_f64 v[86:87], v[94:95], v[86:87], -v[96:97]
	v_fmac_f64_e32 v[86:87], v[94:95], v[14:15]
	v_add_f64 v[14:15], v[96:97], v[86:87]
	v_add_f64 v[98:99], v[92:93], -v[14:15]
	v_add_f64 v[96:97], v[14:15], -v[96:97]
	;; [unrolled: 1-line block ×5, first 2 shown]
	v_add_f64 v[14:15], v[86:87], v[14:15]
	v_add_f64 v[14:15], v[98:99], v[14:15]
	v_mul_f64 v[14:15], v[88:89], v[14:15]
	v_add_f64 v[86:87], v[94:95], v[14:15]
	v_add_f64 v[88:89], v[86:87], -v[94:95]
	v_add_f64 v[14:15], v[14:15], -v[88:89]
	v_mul_f64 v[88:89], v[86:87], v[86:87]
	v_pk_mov_b32 v[92:93], v[18:19], v[18:19] op_sel:[0,1]
	v_fmac_f64_e32 v[92:93], s[30:31], v[88:89]
	v_pk_mov_b32 v[94:95], v[20:21], v[20:21] op_sel:[0,1]
	v_fmac_f64_e32 v[94:95], v[88:89], v[92:93]
	;; [unrolled: 2-line block ×6, first 2 shown]
	v_ldexp_f64 v[92:93], v[86:87], 1
	v_mul_f64 v[86:87], v[86:87], v[88:89]
	v_mul_f64 v[86:87], v[86:87], v[94:95]
	v_add_f64 v[88:89], v[92:93], v[86:87]
	v_add_f64 v[92:93], v[88:89], -v[92:93]
	v_ldexp_f64 v[14:15], v[14:15], 1
	v_add_f64 v[86:87], v[86:87], -v[92:93]
	v_add_f64 v[14:15], v[14:15], v[86:87]
	v_frexp_exp_i32_f64_e32 v1, v[90:91]
	v_add_f64 v[86:87], v[88:89], v[14:15]
	v_subbrev_co_u32_e32 v1, vcc, 0, v1, vcc
	v_add_f64 v[88:89], v[86:87], -v[88:89]
	v_add_f64 v[14:15], v[14:15], -v[88:89]
	v_cvt_f64_i32_e32 v[88:89], v1
	v_mul_f64 v[92:93], v[88:89], s[34:35]
	v_fma_f64 v[94:95], v[88:89], s[34:35], -v[92:93]
	v_fmac_f64_e32 v[94:95], s[36:37], v[88:89]
	v_add_f64 v[88:89], v[92:93], v[94:95]
	v_add_f64 v[92:93], v[88:89], -v[92:93]
	v_add_f64 v[92:93], v[94:95], -v[92:93]
	v_add_f64 v[94:95], v[88:89], v[86:87]
	v_add_f64 v[96:97], v[94:95], -v[88:89]
	v_add_f64 v[98:99], v[94:95], -v[96:97]
	;; [unrolled: 1-line block ×4, first 2 shown]
	v_add_f64 v[86:87], v[86:87], v[88:89]
	v_add_f64 v[88:89], v[92:93], v[14:15]
	v_add_f64 v[96:97], v[88:89], -v[92:93]
	v_add_f64 v[98:99], v[88:89], -v[96:97]
	v_add_f64 v[86:87], v[88:89], v[86:87]
	v_add_f64 v[92:93], v[92:93], -v[98:99]
	v_add_f64 v[14:15], v[14:15], -v[96:97]
	v_add_f64 v[88:89], v[94:95], v[86:87]
	v_add_f64 v[14:15], v[14:15], v[92:93]
	v_add_f64 v[92:93], v[88:89], -v[94:95]
	v_add_f64 v[86:87], v[86:87], -v[92:93]
	v_add_f64 v[14:15], v[14:15], v[86:87]
	v_add_f64 v[14:15], v[88:89], v[14:15]
	v_max_f64 v[86:87], |v[8:9]|, |v[8:9]|
	v_max_f64 v[88:89], |v[6:7]|, |v[6:7]|
	v_max_f64 v[92:93], v[88:89], v[86:87]
	v_min_f64 v[86:87], v[88:89], v[86:87]
	v_div_scale_f64 v[88:89], s[64:65], v[92:93], v[92:93], v[86:87]
	v_rcp_f64_e32 v[94:95], v[88:89]
	v_cmp_neq_f64_e32 vcc, 0, v[90:91]
	v_mul_f64 v[14:15], v[14:15], 0.5
	v_cndmask_b32_e32 v15, v113, v15, vcc
	v_fma_f64 v[90:91], -v[88:89], v[94:95], 1.0
	v_fmac_f64_e32 v[94:95], v[94:95], v[90:91]
	v_fma_f64 v[90:91], -v[88:89], v[94:95], 1.0
	v_cndmask_b32_e32 v14, 0, v14, vcc
	v_fmac_f64_e32 v[94:95], v[94:95], v[90:91]
	v_div_scale_f64 v[90:91], vcc, v[86:87], v[92:93], v[86:87]
	v_mul_f64 v[96:97], v[90:91], v[94:95]
	v_fma_f64 v[88:89], -v[88:89], v[96:97], v[90:91]
	v_pk_mov_b32 v[90:91], v[30:31], v[30:31] op_sel:[0,1]
	s_nop 0
	v_div_fmas_f64 v[88:89], v[88:89], v[94:95], v[96:97]
	v_div_fixup_f64 v[86:87], v[88:89], v[92:93], v[86:87]
	v_mul_f64 v[88:89], v[86:87], v[86:87]
	v_fmac_f64_e32 v[90:91], s[40:41], v[88:89]
	v_pk_mov_b32 v[92:93], v[32:33], v[32:33] op_sel:[0,1]
	v_fmac_f64_e32 v[92:93], v[88:89], v[90:91]
	v_pk_mov_b32 v[90:91], v[34:35], v[34:35] op_sel:[0,1]
	;; [unrolled: 2-line block ×18, first 2 shown]
	v_fmac_f64_e32 v[90:91], v[88:89], v[92:93]
	v_mul_f64 v[88:89], v[88:89], v[90:91]
	v_fmac_f64_e32 v[86:87], v[86:87], v[88:89]
	v_cmp_class_f64_e64 s[66:67], v[6:7], s77
	v_ashrrev_i32_e32 v6, 31, v7
	v_cmp_gt_i32_e32 vcc, 0, v7
	v_and_b32_e32 v12, 0x400921fb, v6
	v_and_b32_e32 v16, 0x54442d18, v6
	v_add_f64 v[6:7], -v[86:87], s[42:43]
	v_cndmask_b32_e64 v7, v87, v7, s[10:11]
	v_cndmask_b32_e64 v6, v86, v6, s[10:11]
	s_mov_b32 s44, s42
	v_add_f64 v[86:87], -v[6:7], s[44:45]
	v_cmp_class_f64_e64 s[64:65], v[8:9], s77
	v_cndmask_b32_e32 v1, v114, v115, vcc
	v_cndmask_b32_e32 v4, v116, v117, vcc
	;; [unrolled: 1-line block ×4, first 2 shown]
	v_cmp_eq_f64_e32 vcc, 0, v[8:9]
	v_bfi_b32 v4, s76, v4, v9
	v_cndmask_b32_e32 v6, v6, v16, vcc
	v_cndmask_b32_e32 v7, v7, v12, vcc
	s_and_b64 vcc, s[64:65], s[66:67]
	v_cndmask_b32_e32 v87, v7, v4, vcc
	v_cndmask_b32_e32 v86, v6, v1, vcc
                                        ; implicit-def: $vgpr92_vgpr93
                                        ; implicit-def: $vgpr88_vgpr89
.LBB198_128:                            ;   in Loop: Header=BB198_4 Depth=1
	s_andn2_saveexec_b64 s[64:65], s[12:13]
	s_cbranch_execz .LBB198_132
; %bb.129:                              ;   in Loop: Header=BB198_4 Depth=1
	v_and_b32_e32 v69, 0x7ffffff8, v93
	v_add_f64 v[14:15], v[92:93], -v[68:69]
	v_and_b32_e32 v101, -8, v15
	v_mov_b32_e32 v100, v68
	v_and_b32_e32 v91, 0x7ffffff8, v89
	v_mov_b32_e32 v90, v68
	v_add_f64 v[104:105], v[14:15], -v[100:101]
	v_add_f64 v[14:15], v[88:89], -v[90:91]
	v_and_b32_e32 v103, -8, v15
	v_mov_b32_e32 v102, v68
	v_add_f64 v[94:95], v[68:69], v[68:69]
	v_add_f64 v[108:109], v[90:91], v[90:91]
	v_add_f64 v[106:107], v[14:15], -v[102:103]
	v_mul_f64 v[86:87], v[90:91], v[90:91]
	v_mul_f64 v[92:93], v[94:95], v[100:101]
	;; [unrolled: 1-line block ×5, first 2 shown]
	v_add_f64 v[100:101], v[100:101], v[100:101]
	v_add_f64 v[102:103], v[102:103], v[102:103]
	v_mul_f64 v[14:15], v[68:69], v[68:69]
	v_mul_f64 v[96:97], v[94:95], v[104:105]
	;; [unrolled: 1-line block ×7, first 2 shown]
	s_mov_b64 s[66:67], 0
.LBB198_130:                            ;   Parent Loop BB198_4 Depth=1
                                        ; =>  This Inner Loop Header: Depth=2
	v_cmp_nlt_f64_e32 vcc, v[14:15], v[86:87]
	v_cndmask_b32_e32 v109, v15, v87, vcc
	v_cndmask_b32_e32 v108, v14, v86, vcc
	v_cmp_nlt_f64_e64 s[12:13], v[108:109], v[92:93]
	v_cndmask_b32_e64 v121, v109, v93, s[12:13]
	v_cndmask_b32_e64 v120, v108, v92, s[12:13]
	v_cndmask_b32_e32 v15, v87, v15, vcc
	v_cndmask_b32_e32 v14, v86, v14, vcc
	s_and_b64 s[68:69], vcc, s[12:13]
	v_cmp_nlt_f64_e32 vcc, v[120:121], v[90:91]
	v_cndmask_b32_e64 v87, v93, v109, s[12:13]
	v_cndmask_b32_e64 v86, v92, v108, s[12:13]
	v_cndmask_b32_e32 v109, v121, v91, vcc
	v_cndmask_b32_e32 v108, v120, v90, vcc
	v_cmp_nlt_f64_e64 s[12:13], v[108:109], v[98:99]
	v_cndmask_b32_e32 v93, v91, v121, vcc
	v_cndmask_b32_e32 v92, v90, v120, vcc
	v_cndmask_b32_e64 v121, v109, v99, s[12:13]
	v_cndmask_b32_e64 v120, v108, v98, s[12:13]
	s_and_b64 s[78:79], vcc, s[12:13]
	v_cmp_nlt_f64_e32 vcc, v[120:121], v[88:89]
	v_cndmask_b32_e64 v91, v99, v109, s[12:13]
	v_cndmask_b32_e64 v90, v98, v108, s[12:13]
	v_cndmask_b32_e32 v109, v121, v89, vcc
	v_cndmask_b32_e32 v108, v120, v88, vcc
	v_cmp_nlt_f64_e64 s[12:13], v[108:109], v[96:97]
	v_cndmask_b32_e32 v99, v89, v121, vcc
	v_cndmask_b32_e32 v98, v88, v120, vcc
	v_cndmask_b32_e64 v121, v109, v97, s[12:13]
	v_cndmask_b32_e64 v120, v108, v96, s[12:13]
	;; [unrolled: 1-line block ×4, first 2 shown]
	s_and_b64 s[12:13], vcc, s[12:13]
	v_cmp_nlt_f64_e32 vcc, v[120:121], v[94:95]
	v_cndmask_b32_e32 v109, v121, v95, vcc
	v_cndmask_b32_e32 v108, v120, v94, vcc
	v_cndmask_b32_e32 v97, v95, v121, vcc
	v_cndmask_b32_e32 v96, v94, v120, vcc
	s_and_b64 s[12:13], s[12:13], vcc
	v_cmp_nlt_f64_e32 vcc, v[108:109], v[100:101]
	v_cndmask_b32_e32 v121, v109, v101, vcc
	v_cndmask_b32_e32 v120, v108, v100, vcc
	v_cndmask_b32_e32 v95, v101, v109, vcc
	v_cndmask_b32_e32 v94, v100, v108, vcc
	s_and_b64 s[12:13], s[12:13], vcc
	;; [unrolled: 6-line block ×4, first 2 shown]
	v_cmp_nlt_f64_e32 vcc, v[120:121], v[106:107]
	s_and_b64 s[12:13], s[12:13], vcc
	s_and_b64 s[12:13], s[12:13], s[78:79]
	s_and_b64 s[12:13], s[12:13], s[68:69]
	v_cndmask_b32_e32 v109, v121, v107, vcc
	v_cndmask_b32_e32 v108, v120, v106, vcc
	s_and_b64 s[12:13], exec, s[12:13]
	v_cndmask_b32_e32 v105, v107, v121, vcc
	v_cndmask_b32_e32 v104, v106, v120, vcc
	s_or_b64 s[66:67], s[12:13], s[66:67]
	v_pk_mov_b32 v[106:107], v[108:109], v[108:109] op_sel:[0,1]
	s_andn2_b64 exec, exec, s[66:67]
	s_cbranch_execnz .LBB198_130
; %bb.131:                              ;   in Loop: Header=BB198_4 Depth=1
	s_or_b64 exec, exec, s[66:67]
	v_add_f64 v[14:15], v[14:15], -1.0
	v_add_f64 v[14:15], v[14:15], v[86:87]
	v_add_f64 v[14:15], v[14:15], v[92:93]
	;; [unrolled: 1-line block ×11, first 2 shown]
	v_add_f64 v[14:15], v[86:87], 1.0
	v_add_f64 v[88:89], v[14:15], -1.0
	v_add_f64 v[90:91], v[88:89], -v[14:15]
	v_add_f64 v[90:91], v[90:91], 1.0
	v_add_f64 v[88:89], v[86:87], -v[88:89]
	v_add_f64 v[88:89], v[88:89], v[90:91]
	v_frexp_mant_f64_e32 v[90:91], v[14:15]
	v_frexp_exp_i32_f64_e32 v1, v[14:15]
	v_cmp_gt_f64_e32 vcc, s[28:29], v[90:91]
	v_subbrev_co_u32_e32 v1, vcc, 0, v1, vcc
	v_sub_u32_e32 v4, 0, v1
	v_ldexp_f64 v[14:15], v[14:15], v4
	v_add_f64 v[90:91], v[14:15], -1.0
	v_add_f64 v[96:97], v[14:15], 1.0
	v_add_f64 v[92:93], v[90:91], 1.0
	v_add_f64 v[98:99], v[96:97], -1.0
	v_ldexp_f64 v[88:89], v[88:89], v4
	v_add_f64 v[92:93], v[14:15], -v[92:93]
	v_add_f64 v[14:15], v[14:15], -v[98:99]
	v_add_f64 v[14:15], v[88:89], v[14:15]
	v_add_f64 v[92:93], v[88:89], v[92:93]
	v_add_f64 v[88:89], v[96:97], v[14:15]
	v_rcp_f64_e32 v[98:99], v[88:89]
	v_add_f64 v[94:95], v[90:91], v[92:93]
	v_add_f64 v[90:91], v[94:95], -v[90:91]
	v_add_f64 v[90:91], v[92:93], -v[90:91]
	;; [unrolled: 1-line block ×4, first 2 shown]
	v_fma_f64 v[92:93], -v[88:89], v[98:99], 1.0
	v_fmac_f64_e32 v[98:99], v[92:93], v[98:99]
	v_fma_f64 v[92:93], -v[88:89], v[98:99], 1.0
	v_fmac_f64_e32 v[98:99], v[92:93], v[98:99]
	v_mul_f64 v[92:93], v[94:95], v[98:99]
	v_mul_f64 v[96:97], v[88:89], v[92:93]
	v_fma_f64 v[100:101], v[92:93], v[88:89], -v[96:97]
	v_fmac_f64_e32 v[100:101], v[92:93], v[14:15]
	v_add_f64 v[102:103], v[96:97], v[100:101]
	v_add_f64 v[104:105], v[94:95], -v[102:103]
	v_add_f64 v[94:95], v[94:95], -v[104:105]
	;; [unrolled: 1-line block ×4, first 2 shown]
	v_add_f64 v[90:91], v[90:91], v[94:95]
	v_add_f64 v[94:95], v[96:97], -v[100:101]
	v_add_f64 v[90:91], v[94:95], v[90:91]
	v_add_f64 v[94:95], v[104:105], v[90:91]
	v_add_f64 v[96:97], v[104:105], -v[94:95]
	v_add_f64 v[90:91], v[90:91], v[96:97]
	v_mul_f64 v[96:97], v[98:99], v[94:95]
	v_mul_f64 v[100:101], v[88:89], v[96:97]
	v_fma_f64 v[88:89], v[96:97], v[88:89], -v[100:101]
	v_fmac_f64_e32 v[88:89], v[96:97], v[14:15]
	v_add_f64 v[14:15], v[100:101], v[88:89]
	v_add_f64 v[102:103], v[94:95], -v[14:15]
	v_add_f64 v[94:95], v[94:95], -v[102:103]
	;; [unrolled: 1-line block ×4, first 2 shown]
	v_add_f64 v[14:15], v[90:91], v[14:15]
	v_add_f64 v[88:89], v[100:101], -v[88:89]
	v_add_f64 v[14:15], v[88:89], v[14:15]
	v_add_f64 v[88:89], v[92:93], v[96:97]
	;; [unrolled: 1-line block ×3, first 2 shown]
	v_add_f64 v[90:91], v[88:89], -v[92:93]
	v_mul_f64 v[14:15], v[98:99], v[14:15]
	v_add_f64 v[90:91], v[96:97], -v[90:91]
	v_add_f64 v[14:15], v[90:91], v[14:15]
	v_add_f64 v[90:91], v[88:89], v[14:15]
	v_add_f64 v[88:89], v[90:91], -v[88:89]
	v_add_f64 v[14:15], v[14:15], -v[88:89]
	v_mul_f64 v[88:89], v[90:91], v[90:91]
	v_pk_mov_b32 v[92:93], v[18:19], v[18:19] op_sel:[0,1]
	v_fmac_f64_e32 v[92:93], s[30:31], v[88:89]
	v_pk_mov_b32 v[94:95], v[20:21], v[20:21] op_sel:[0,1]
	v_fmac_f64_e32 v[94:95], v[88:89], v[92:93]
	v_pk_mov_b32 v[92:93], v[22:23], v[22:23] op_sel:[0,1]
	v_fmac_f64_e32 v[92:93], v[88:89], v[94:95]
	v_pk_mov_b32 v[94:95], v[24:25], v[24:25] op_sel:[0,1]
	v_fmac_f64_e32 v[94:95], v[88:89], v[92:93]
	v_pk_mov_b32 v[92:93], v[26:27], v[26:27] op_sel:[0,1]
	v_fmac_f64_e32 v[92:93], v[88:89], v[94:95]
	v_pk_mov_b32 v[94:95], v[28:29], v[28:29] op_sel:[0,1]
	v_fmac_f64_e32 v[94:95], v[88:89], v[92:93]
	v_cvt_f64_i32_e32 v[92:93], v1
	v_mul_f64 v[96:97], v[92:93], s[34:35]
	v_fma_f64 v[98:99], v[92:93], s[34:35], -v[96:97]
	v_fmac_f64_e32 v[98:99], s[36:37], v[92:93]
	v_add_f64 v[92:93], v[96:97], v[98:99]
	v_add_f64 v[96:97], v[92:93], -v[96:97]
	v_mul_f64 v[88:89], v[90:91], v[88:89]
	v_add_f64 v[96:97], v[98:99], -v[96:97]
	v_ldexp_f64 v[98:99], v[90:91], 1
	v_mul_f64 v[88:89], v[88:89], v[94:95]
	v_add_f64 v[90:91], v[98:99], v[88:89]
	v_add_f64 v[94:95], v[90:91], -v[98:99]
	v_ldexp_f64 v[14:15], v[14:15], 1
	v_add_f64 v[88:89], v[88:89], -v[94:95]
	v_add_f64 v[14:15], v[14:15], v[88:89]
	v_add_f64 v[88:89], v[90:91], v[14:15]
	v_add_f64 v[90:91], v[88:89], -v[90:91]
	v_add_f64 v[14:15], v[14:15], -v[90:91]
	v_add_f64 v[90:91], v[92:93], v[88:89]
	v_add_f64 v[94:95], v[90:91], -v[92:93]
	v_add_f64 v[98:99], v[90:91], -v[94:95]
	v_add_f64 v[92:93], v[92:93], -v[98:99]
	v_add_f64 v[88:89], v[88:89], -v[94:95]
	v_add_f64 v[88:89], v[88:89], v[92:93]
	v_add_f64 v[92:93], v[96:97], v[14:15]
	v_add_f64 v[94:95], v[92:93], -v[96:97]
	v_add_f64 v[88:89], v[92:93], v[88:89]
	v_add_f64 v[98:99], v[92:93], -v[94:95]
	v_add_f64 v[92:93], v[90:91], v[88:89]
	v_add_f64 v[96:97], v[96:97], -v[98:99]
	v_add_f64 v[14:15], v[14:15], -v[94:95]
	v_add_f64 v[90:91], v[92:93], -v[90:91]
	v_add_f64 v[14:15], v[14:15], v[96:97]
	v_add_f64 v[88:89], v[88:89], -v[90:91]
	v_add_f64 v[14:15], v[14:15], v[88:89]
	v_max_f64 v[88:89], |v[8:9]|, |v[8:9]|
	v_max_f64 v[90:91], |v[6:7]|, |v[6:7]|
	v_add_f64 v[14:15], v[92:93], v[14:15]
	v_max_f64 v[92:93], v[90:91], v[88:89]
	v_min_f64 v[88:89], v[90:91], v[88:89]
	v_div_scale_f64 v[90:91], s[12:13], v[92:93], v[92:93], v[88:89]
	v_cmp_eq_f64_e32 vcc, s[38:39], v[86:87]
	v_rcp_f64_e32 v[94:95], v[90:91]
	v_cndmask_b32_e32 v15, v15, v87, vcc
	v_cndmask_b32_e32 v14, v14, v86, vcc
	v_mul_f64 v[14:15], v[14:15], 0.5
	v_cmp_ngt_f64_e32 vcc, -1.0, v[86:87]
	v_cndmask_b32_e32 v1, v112, v15, vcc
	v_cmp_nge_f64_e32 vcc, -1.0, v[86:87]
	v_cndmask_b32_e32 v14, 0, v14, vcc
	v_cmp_neq_f64_e32 vcc, -1.0, v[86:87]
	v_fma_f64 v[86:87], -v[90:91], v[94:95], 1.0
	v_fmac_f64_e32 v[94:95], v[94:95], v[86:87]
	v_fma_f64 v[86:87], -v[90:91], v[94:95], 1.0
	v_cndmask_b32_e32 v15, v113, v1, vcc
	v_fmac_f64_e32 v[94:95], v[94:95], v[86:87]
	v_div_scale_f64 v[86:87], vcc, v[88:89], v[92:93], v[88:89]
	v_mul_f64 v[96:97], v[86:87], v[94:95]
	v_fma_f64 v[86:87], -v[90:91], v[96:97], v[86:87]
	v_pk_mov_b32 v[90:91], v[30:31], v[30:31] op_sel:[0,1]
	s_nop 0
	v_div_fmas_f64 v[86:87], v[86:87], v[94:95], v[96:97]
	v_div_fixup_f64 v[86:87], v[86:87], v[92:93], v[88:89]
	v_mul_f64 v[88:89], v[86:87], v[86:87]
	v_fmac_f64_e32 v[90:91], s[40:41], v[88:89]
	v_pk_mov_b32 v[92:93], v[32:33], v[32:33] op_sel:[0,1]
	v_fmac_f64_e32 v[92:93], v[88:89], v[90:91]
	v_pk_mov_b32 v[90:91], v[34:35], v[34:35] op_sel:[0,1]
	;; [unrolled: 2-line block ×18, first 2 shown]
	v_fmac_f64_e32 v[90:91], v[88:89], v[92:93]
	v_mul_f64 v[88:89], v[88:89], v[90:91]
	v_fmac_f64_e32 v[86:87], v[86:87], v[88:89]
	v_cmp_class_f64_e64 s[66:67], v[6:7], s77
	v_ashrrev_i32_e32 v6, 31, v7
	v_cmp_gt_i32_e32 vcc, 0, v7
	v_and_b32_e32 v12, 0x400921fb, v6
	v_and_b32_e32 v16, 0x54442d18, v6
	v_add_f64 v[6:7], -v[86:87], s[42:43]
	v_cndmask_b32_e64 v7, v87, v7, s[10:11]
	v_cndmask_b32_e64 v6, v86, v6, s[10:11]
	s_mov_b32 s44, s42
	v_add_f64 v[86:87], -v[6:7], s[44:45]
	v_cmp_class_f64_e64 s[12:13], v[8:9], s77
	v_cndmask_b32_e32 v1, v114, v115, vcc
	v_cndmask_b32_e32 v4, v116, v117, vcc
	;; [unrolled: 1-line block ×4, first 2 shown]
	v_cmp_eq_f64_e32 vcc, 0, v[8:9]
	v_bfi_b32 v4, s76, v4, v9
	v_cndmask_b32_e32 v6, v6, v16, vcc
	v_cndmask_b32_e32 v7, v7, v12, vcc
	s_and_b64 vcc, s[12:13], s[66:67]
	v_cndmask_b32_e32 v87, v7, v4, vcc
	v_cndmask_b32_e32 v86, v6, v1, vcc
.LBB198_132:                            ;   in Loop: Header=BB198_4 Depth=1
	s_or_b64 exec, exec, s[64:65]
.LBB198_133:                            ;   in Loop: Header=BB198_4 Depth=1
	s_or_b64 exec, exec, s[62:63]
.LBB198_134:                            ;   in Loop: Header=BB198_4 Depth=1
	s_andn2_saveexec_b64 s[60:61], s[60:61]
	s_cbranch_execz .LBB198_136
; %bb.135:                              ;   in Loop: Header=BB198_4 Depth=1
	v_max_f64 v[14:15], |v[8:9]|, |v[8:9]|
	v_max_f64 v[86:87], |v[6:7]|, |v[6:7]|
	v_max_f64 v[88:89], v[86:87], v[14:15]
	v_frexp_exp_i32_f64_e32 v1, v[88:89]
	v_sub_u32_e32 v4, 0, v1
	v_ldexp_f64 v[92:93], |v[8:9]|, v4
	v_ldexp_f64 v[90:91], |v[6:7]|, v4
	v_mul_f64 v[92:93], v[92:93], v[92:93]
	v_fmac_f64_e32 v[92:93], v[90:91], v[90:91]
	v_rsq_f64_e32 v[90:91], v[92:93]
	v_cmp_eq_f64_e32 vcc, 0, v[92:93]
	v_cmp_class_f64_e64 s[62:63], v[6:7], s77
	v_cmp_class_f64_e64 s[64:65], v[8:9], s77
	v_mul_f64 v[94:95], v[92:93], v[90:91]
	v_mul_f64 v[90:91], v[90:91], 0.5
	v_fma_f64 v[96:97], -v[90:91], v[94:95], 0.5
	v_fmac_f64_e32 v[94:95], v[94:95], v[96:97]
	v_fmac_f64_e32 v[90:91], v[90:91], v[96:97]
	v_fma_f64 v[96:97], -v[94:95], v[94:95], v[92:93]
	v_fmac_f64_e32 v[94:95], v[96:97], v[90:91]
	v_cndmask_b32_e32 v91, v95, v93, vcc
	v_cndmask_b32_e32 v90, v94, v92, vcc
	v_ldexp_f64 v[90:91], v[90:91], v1
	s_or_b64 vcc, s[64:65], s[62:63]
	v_cndmask_b32_e32 v93, v91, v119, vcc
	v_cndmask_b32_e64 v92, v90, 0, vcc
	v_frexp_mant_f64_e32 v[94:95], v[92:93]
	v_cmp_gt_f64_e64 s[12:13], s[28:29], v[94:95]
	v_cndmask_b32_e64 v69, v118, 2.0, s[12:13]
	v_mul_f64 v[94:95], v[94:95], v[68:69]
	v_add_f64 v[96:97], v[94:95], 1.0
	v_rcp_f64_e32 v[98:99], v[96:97]
	v_add_f64 v[102:103], v[96:97], -1.0
	v_add_f64 v[100:101], v[94:95], -1.0
	v_add_f64 v[94:95], v[94:95], -v[102:103]
	v_fma_f64 v[102:103], -v[96:97], v[98:99], 1.0
	v_fmac_f64_e32 v[98:99], v[102:103], v[98:99]
	v_fma_f64 v[102:103], -v[96:97], v[98:99], 1.0
	v_fmac_f64_e32 v[98:99], v[102:103], v[98:99]
	v_mul_f64 v[102:103], v[100:101], v[98:99]
	v_mul_f64 v[104:105], v[96:97], v[102:103]
	v_fma_f64 v[96:97], v[102:103], v[96:97], -v[104:105]
	v_fmac_f64_e32 v[96:97], v[102:103], v[94:95]
	v_add_f64 v[94:95], v[104:105], v[96:97]
	v_add_f64 v[106:107], v[100:101], -v[94:95]
	v_add_f64 v[104:105], v[94:95], -v[104:105]
	;; [unrolled: 1-line block ×5, first 2 shown]
	v_add_f64 v[94:95], v[96:97], v[94:95]
	v_add_f64 v[94:95], v[106:107], v[94:95]
	v_mul_f64 v[94:95], v[98:99], v[94:95]
	v_add_f64 v[96:97], v[102:103], v[94:95]
	v_add_f64 v[98:99], v[96:97], -v[102:103]
	v_add_f64 v[94:95], v[94:95], -v[98:99]
	v_mul_f64 v[98:99], v[96:97], v[96:97]
	v_pk_mov_b32 v[100:101], v[18:19], v[18:19] op_sel:[0,1]
	v_fmac_f64_e32 v[100:101], s[30:31], v[98:99]
	v_pk_mov_b32 v[102:103], v[20:21], v[20:21] op_sel:[0,1]
	v_fmac_f64_e32 v[102:103], v[98:99], v[100:101]
	;; [unrolled: 2-line block ×6, first 2 shown]
	v_ldexp_f64 v[100:101], v[96:97], 1
	v_mul_f64 v[96:97], v[96:97], v[98:99]
	v_mul_f64 v[96:97], v[96:97], v[102:103]
	v_add_f64 v[98:99], v[100:101], v[96:97]
	v_add_f64 v[100:101], v[98:99], -v[100:101]
	v_ldexp_f64 v[94:95], v[94:95], 1
	v_add_f64 v[96:97], v[96:97], -v[100:101]
	v_add_f64 v[94:95], v[94:95], v[96:97]
	v_frexp_exp_i32_f64_e32 v1, v[92:93]
	v_add_f64 v[96:97], v[98:99], v[94:95]
	v_subbrev_co_u32_e64 v1, s[12:13], 0, v1, s[12:13]
	v_add_f64 v[98:99], v[96:97], -v[98:99]
	v_add_f64 v[94:95], v[94:95], -v[98:99]
	v_cvt_f64_i32_e32 v[98:99], v1
	v_mul_f64 v[100:101], v[98:99], s[34:35]
	v_fma_f64 v[102:103], v[98:99], s[34:35], -v[100:101]
	v_fmac_f64_e32 v[102:103], s[36:37], v[98:99]
	v_add_f64 v[98:99], v[100:101], v[102:103]
	v_add_f64 v[100:101], v[98:99], -v[100:101]
	v_add_f64 v[100:101], v[102:103], -v[100:101]
	v_add_f64 v[102:103], v[98:99], v[96:97]
	v_add_f64 v[104:105], v[102:103], -v[98:99]
	v_add_f64 v[106:107], v[102:103], -v[104:105]
	;; [unrolled: 1-line block ×4, first 2 shown]
	v_add_f64 v[96:97], v[96:97], v[98:99]
	v_add_f64 v[98:99], v[100:101], v[94:95]
	v_add_f64 v[104:105], v[98:99], -v[100:101]
	v_add_f64 v[106:107], v[98:99], -v[104:105]
	v_add_f64 v[96:97], v[98:99], v[96:97]
	v_add_f64 v[100:101], v[100:101], -v[106:107]
	v_add_f64 v[94:95], v[94:95], -v[104:105]
	v_add_f64 v[98:99], v[102:103], v[96:97]
	v_add_f64 v[94:95], v[94:95], v[100:101]
	v_add_f64 v[100:101], v[98:99], -v[102:103]
	v_add_f64 v[96:97], v[96:97], -v[100:101]
	v_add_f64 v[94:95], v[94:95], v[96:97]
	v_add_f64 v[94:95], v[98:99], v[94:95]
	v_cmp_class_f64_e64 s[12:13], v[90:91], s77
	v_min_f64 v[86:87], v[86:87], v[14:15]
	v_cndmask_b32_e64 v1, v95, v91, s[12:13]
	v_cndmask_b32_e64 v4, v94, v90, s[12:13]
	v_div_scale_f64 v[90:91], s[12:13], v[88:89], v[88:89], v[86:87]
	v_rcp_f64_e32 v[94:95], v[90:91]
	v_cndmask_b32_e64 v4, v4, 0, vcc
	v_cndmask_b32_e32 v1, v1, v119, vcc
	v_cmp_ngt_f64_e32 vcc, 0, v[92:93]
	v_cndmask_b32_e32 v1, v112, v1, vcc
	v_cmp_nge_f64_e32 vcc, 0, v[92:93]
	v_cndmask_b32_e32 v14, 0, v4, vcc
	v_cmp_neq_f64_e32 vcc, 0, v[92:93]
	v_fma_f64 v[92:93], -v[90:91], v[94:95], 1.0
	v_fmac_f64_e32 v[94:95], v[94:95], v[92:93]
	v_fma_f64 v[92:93], -v[90:91], v[94:95], 1.0
	v_cndmask_b32_e32 v15, v113, v1, vcc
	v_fmac_f64_e32 v[94:95], v[94:95], v[92:93]
	v_div_scale_f64 v[92:93], vcc, v[86:87], v[88:89], v[86:87]
	v_mul_f64 v[96:97], v[92:93], v[94:95]
	v_fma_f64 v[90:91], -v[90:91], v[96:97], v[92:93]
	v_pk_mov_b32 v[92:93], v[32:33], v[32:33] op_sel:[0,1]
	s_nop 0
	v_div_fmas_f64 v[90:91], v[90:91], v[94:95], v[96:97]
	v_div_fixup_f64 v[86:87], v[90:91], v[88:89], v[86:87]
	v_mul_f64 v[88:89], v[86:87], v[86:87]
	v_pk_mov_b32 v[90:91], v[30:31], v[30:31] op_sel:[0,1]
	v_fmac_f64_e32 v[90:91], s[40:41], v[88:89]
	v_fmac_f64_e32 v[92:93], v[88:89], v[90:91]
	v_pk_mov_b32 v[90:91], v[34:35], v[34:35] op_sel:[0,1]
	v_fmac_f64_e32 v[90:91], v[88:89], v[92:93]
	v_pk_mov_b32 v[92:93], v[36:37], v[36:37] op_sel:[0,1]
	;; [unrolled: 2-line block ×17, first 2 shown]
	v_fmac_f64_e32 v[90:91], v[88:89], v[92:93]
	v_mul_f64 v[88:89], v[88:89], v[90:91]
	v_fmac_f64_e32 v[86:87], v[86:87], v[88:89]
	v_ashrrev_i32_e32 v6, 31, v7
	v_cmp_gt_i32_e32 vcc, 0, v7
	v_and_b32_e32 v12, 0x400921fb, v6
	v_and_b32_e32 v16, 0x54442d18, v6
	v_add_f64 v[6:7], -v[86:87], s[42:43]
	v_cndmask_b32_e64 v7, v87, v7, s[10:11]
	v_cndmask_b32_e64 v6, v86, v6, s[10:11]
	s_mov_b32 s44, s42
	v_add_f64 v[86:87], -v[6:7], s[44:45]
	v_cndmask_b32_e32 v1, v114, v115, vcc
	v_cndmask_b32_e32 v4, v116, v117, vcc
	;; [unrolled: 1-line block ×4, first 2 shown]
	v_cmp_eq_f64_e32 vcc, 0, v[8:9]
	v_bfi_b32 v4, s76, v4, v9
	v_cndmask_b32_e32 v6, v6, v16, vcc
	v_cndmask_b32_e32 v7, v7, v12, vcc
	s_and_b64 vcc, s[64:65], s[62:63]
	v_cndmask_b32_e32 v87, v7, v4, vcc
	v_cndmask_b32_e32 v86, v6, v1, vcc
.LBB198_136:                            ;   in Loop: Header=BB198_4 Depth=1
	s_or_b64 exec, exec, s[60:61]
                                        ; implicit-def: $vgpr88_vgpr89
.LBB198_137:                            ;   in Loop: Header=BB198_4 Depth=1
	s_andn2_saveexec_b64 s[12:13], s[58:59]
	s_cbranch_execz .LBB198_143
; %bb.138:                              ;   in Loop: Header=BB198_4 Depth=1
	v_cmp_ngt_f64_e32 vcc, s[48:49], v[88:89]
                                        ; implicit-def: $vgpr14_vgpr15
                                        ; implicit-def: $vgpr86_vgpr87
	s_and_saveexec_b64 s[58:59], vcc
	s_xor_b64 s[58:59], exec, s[58:59]
	s_cbranch_execz .LBB198_140
; %bb.139:                              ;   in Loop: Header=BB198_4 Depth=1
	v_mul_f64 v[14:15], v[88:89], v[88:89]
	v_add_f64 v[86:87], v[14:15], 1.0
	v_add_f64 v[88:89], v[86:87], -1.0
	v_add_f64 v[90:91], v[88:89], -v[86:87]
	v_add_f64 v[90:91], v[90:91], 1.0
	v_add_f64 v[88:89], v[14:15], -v[88:89]
	v_add_f64 v[88:89], v[88:89], v[90:91]
	v_frexp_mant_f64_e32 v[90:91], v[86:87]
	v_frexp_exp_i32_f64_e32 v1, v[86:87]
	v_cmp_gt_f64_e32 vcc, s[28:29], v[90:91]
	v_subbrev_co_u32_e32 v1, vcc, 0, v1, vcc
	v_sub_u32_e32 v4, 0, v1
	v_ldexp_f64 v[86:87], v[86:87], v4
	v_add_f64 v[90:91], v[86:87], -1.0
	v_add_f64 v[96:97], v[86:87], 1.0
	v_add_f64 v[92:93], v[90:91], 1.0
	v_add_f64 v[98:99], v[96:97], -1.0
	v_ldexp_f64 v[88:89], v[88:89], v4
	v_add_f64 v[92:93], v[86:87], -v[92:93]
	v_add_f64 v[86:87], v[86:87], -v[98:99]
	v_add_f64 v[86:87], v[88:89], v[86:87]
	v_add_f64 v[92:93], v[88:89], v[92:93]
	v_add_f64 v[88:89], v[96:97], v[86:87]
	v_rcp_f64_e32 v[98:99], v[88:89]
	v_add_f64 v[94:95], v[90:91], v[92:93]
	v_add_f64 v[90:91], v[90:91], -v[94:95]
	v_add_f64 v[90:91], v[92:93], v[90:91]
	v_add_f64 v[92:93], v[96:97], -v[88:89]
	v_add_f64 v[86:87], v[86:87], v[92:93]
	v_fma_f64 v[92:93], -v[88:89], v[98:99], 1.0
	v_fmac_f64_e32 v[98:99], v[92:93], v[98:99]
	v_fma_f64 v[92:93], -v[88:89], v[98:99], 1.0
	v_fmac_f64_e32 v[98:99], v[92:93], v[98:99]
	v_mul_f64 v[92:93], v[94:95], v[98:99]
	v_mul_f64 v[96:97], v[88:89], v[92:93]
	v_fma_f64 v[100:101], v[92:93], v[88:89], -v[96:97]
	v_fmac_f64_e32 v[100:101], v[92:93], v[86:87]
	v_add_f64 v[102:103], v[96:97], v[100:101]
	v_add_f64 v[104:105], v[94:95], -v[102:103]
	v_add_f64 v[94:95], v[94:95], -v[104:105]
	;; [unrolled: 1-line block ×4, first 2 shown]
	v_add_f64 v[90:91], v[90:91], v[94:95]
	v_add_f64 v[94:95], v[96:97], -v[100:101]
	v_add_f64 v[90:91], v[94:95], v[90:91]
	v_add_f64 v[94:95], v[104:105], v[90:91]
	v_add_f64 v[96:97], v[104:105], -v[94:95]
	v_add_f64 v[90:91], v[90:91], v[96:97]
	v_mul_f64 v[96:97], v[98:99], v[94:95]
	v_mul_f64 v[100:101], v[88:89], v[96:97]
	v_fma_f64 v[88:89], v[96:97], v[88:89], -v[100:101]
	v_fmac_f64_e32 v[88:89], v[96:97], v[86:87]
	v_add_f64 v[86:87], v[100:101], v[88:89]
	v_add_f64 v[102:103], v[94:95], -v[86:87]
	v_add_f64 v[94:95], v[94:95], -v[102:103]
	v_add_f64 v[100:101], v[86:87], -v[100:101]
	v_add_f64 v[86:87], v[94:95], -v[86:87]
	v_add_f64 v[86:87], v[90:91], v[86:87]
	v_add_f64 v[88:89], v[100:101], -v[88:89]
	v_add_f64 v[86:87], v[88:89], v[86:87]
	v_add_f64 v[88:89], v[92:93], v[96:97]
	;; [unrolled: 1-line block ×3, first 2 shown]
	v_add_f64 v[90:91], v[88:89], -v[92:93]
	v_mul_f64 v[86:87], v[98:99], v[86:87]
	v_add_f64 v[90:91], v[96:97], -v[90:91]
	v_add_f64 v[86:87], v[90:91], v[86:87]
	v_add_f64 v[90:91], v[88:89], v[86:87]
	v_add_f64 v[88:89], v[90:91], -v[88:89]
	v_add_f64 v[86:87], v[86:87], -v[88:89]
	v_mul_f64 v[88:89], v[90:91], v[90:91]
	v_pk_mov_b32 v[92:93], v[18:19], v[18:19] op_sel:[0,1]
	v_fmac_f64_e32 v[92:93], s[30:31], v[88:89]
	v_pk_mov_b32 v[94:95], v[20:21], v[20:21] op_sel:[0,1]
	v_fmac_f64_e32 v[94:95], v[88:89], v[92:93]
	;; [unrolled: 2-line block ×6, first 2 shown]
	v_cvt_f64_i32_e32 v[92:93], v1
	v_mul_f64 v[96:97], v[92:93], s[34:35]
	v_fma_f64 v[98:99], v[92:93], s[34:35], -v[96:97]
	v_fmac_f64_e32 v[98:99], s[36:37], v[92:93]
	v_add_f64 v[92:93], v[96:97], v[98:99]
	v_add_f64 v[96:97], v[92:93], -v[96:97]
	v_mul_f64 v[88:89], v[90:91], v[88:89]
	v_add_f64 v[96:97], v[98:99], -v[96:97]
	v_ldexp_f64 v[98:99], v[90:91], 1
	v_mul_f64 v[88:89], v[88:89], v[94:95]
	v_add_f64 v[90:91], v[98:99], v[88:89]
	v_add_f64 v[94:95], v[90:91], -v[98:99]
	v_ldexp_f64 v[86:87], v[86:87], 1
	v_add_f64 v[88:89], v[88:89], -v[94:95]
	v_add_f64 v[86:87], v[86:87], v[88:89]
	v_add_f64 v[88:89], v[90:91], v[86:87]
	v_add_f64 v[90:91], v[88:89], -v[90:91]
	v_add_f64 v[86:87], v[86:87], -v[90:91]
	v_add_f64 v[90:91], v[92:93], v[88:89]
	v_add_f64 v[94:95], v[90:91], -v[92:93]
	v_add_f64 v[98:99], v[90:91], -v[94:95]
	;; [unrolled: 1-line block ×4, first 2 shown]
	v_add_f64 v[88:89], v[88:89], v[92:93]
	v_add_f64 v[92:93], v[96:97], v[86:87]
	v_add_f64 v[94:95], v[92:93], -v[96:97]
	v_add_f64 v[88:89], v[92:93], v[88:89]
	v_add_f64 v[98:99], v[92:93], -v[94:95]
	;; [unrolled: 2-line block ×3, first 2 shown]
	v_add_f64 v[86:87], v[86:87], -v[94:95]
	v_add_f64 v[90:91], v[92:93], -v[90:91]
	v_add_f64 v[86:87], v[86:87], v[96:97]
	v_add_f64 v[88:89], v[88:89], -v[90:91]
	v_add_f64 v[86:87], v[86:87], v[88:89]
	v_max_f64 v[88:89], |v[8:9]|, |v[8:9]|
	v_max_f64 v[90:91], |v[6:7]|, |v[6:7]|
	v_add_f64 v[86:87], v[92:93], v[86:87]
	v_max_f64 v[92:93], v[90:91], v[88:89]
	v_min_f64 v[88:89], v[90:91], v[88:89]
	v_div_scale_f64 v[90:91], s[60:61], v[92:93], v[92:93], v[88:89]
	v_rcp_f64_e32 v[94:95], v[90:91]
	v_cmp_eq_f64_e32 vcc, s[38:39], v[14:15]
	v_cndmask_b32_e32 v15, v87, v15, vcc
	v_cndmask_b32_e32 v14, v86, v14, vcc
	v_fma_f64 v[86:87], -v[90:91], v[94:95], 1.0
	v_fmac_f64_e32 v[94:95], v[94:95], v[86:87]
	v_fma_f64 v[86:87], -v[90:91], v[94:95], 1.0
	v_fmac_f64_e32 v[94:95], v[94:95], v[86:87]
	v_div_scale_f64 v[86:87], vcc, v[88:89], v[92:93], v[88:89]
	v_mul_f64 v[96:97], v[86:87], v[94:95]
	v_fma_f64 v[86:87], -v[90:91], v[96:97], v[86:87]
	v_pk_mov_b32 v[90:91], v[30:31], v[30:31] op_sel:[0,1]
	s_nop 0
	v_div_fmas_f64 v[86:87], v[86:87], v[94:95], v[96:97]
	v_div_fixup_f64 v[86:87], v[86:87], v[92:93], v[88:89]
	v_mul_f64 v[88:89], v[86:87], v[86:87]
	v_fmac_f64_e32 v[90:91], s[40:41], v[88:89]
	v_pk_mov_b32 v[92:93], v[32:33], v[32:33] op_sel:[0,1]
	v_fmac_f64_e32 v[92:93], v[88:89], v[90:91]
	v_pk_mov_b32 v[90:91], v[34:35], v[34:35] op_sel:[0,1]
	;; [unrolled: 2-line block ×18, first 2 shown]
	v_fmac_f64_e32 v[90:91], v[88:89], v[92:93]
	v_mul_f64 v[88:89], v[88:89], v[90:91]
	v_fmac_f64_e32 v[86:87], v[86:87], v[88:89]
	v_cmp_class_f64_e64 s[62:63], v[6:7], s77
	v_ashrrev_i32_e32 v6, 31, v7
	v_cmp_gt_i32_e32 vcc, 0, v7
	v_and_b32_e32 v12, 0x400921fb, v6
	v_and_b32_e32 v16, 0x54442d18, v6
	v_add_f64 v[6:7], -v[86:87], s[42:43]
	v_cndmask_b32_e64 v7, v87, v7, s[10:11]
	v_cndmask_b32_e64 v6, v86, v6, s[10:11]
	s_mov_b32 s44, s42
	v_add_f64 v[86:87], -v[6:7], s[44:45]
	v_cmp_class_f64_e64 s[60:61], v[8:9], s77
	v_cndmask_b32_e32 v1, v114, v115, vcc
	v_cndmask_b32_e32 v4, v116, v117, vcc
	;; [unrolled: 1-line block ×4, first 2 shown]
	v_cmp_eq_f64_e32 vcc, 0, v[8:9]
	v_bfi_b32 v4, s76, v4, v9
	v_cndmask_b32_e32 v6, v6, v16, vcc
	v_cndmask_b32_e32 v7, v7, v12, vcc
	s_and_b64 vcc, s[60:61], s[62:63]
	v_mul_f64 v[14:15], v[14:15], 0.5
	v_cndmask_b32_e32 v87, v7, v4, vcc
	v_cndmask_b32_e32 v86, v6, v1, vcc
                                        ; implicit-def: $vgpr88_vgpr89
.LBB198_140:                            ;   in Loop: Header=BB198_4 Depth=1
	s_andn2_saveexec_b64 s[58:59], s[58:59]
	s_cbranch_execz .LBB198_142
; %bb.141:                              ;   in Loop: Header=BB198_4 Depth=1
	v_max_f64 v[14:15], |v[8:9]|, |v[8:9]|
	v_max_f64 v[86:87], |v[6:7]|, |v[6:7]|
	v_max_f64 v[90:91], v[86:87], v[14:15]
	v_min_f64 v[86:87], v[86:87], v[14:15]
	v_div_scale_f64 v[92:93], s[60:61], v[90:91], v[90:91], v[86:87]
	v_rcp_f64_e32 v[94:95], v[92:93]
	v_mul_f64 v[14:15], v[88:89], 0.5
	v_mul_f64 v[14:15], v[88:89], v[14:15]
	v_cmp_class_f64_e64 s[62:63], v[6:7], s77
	v_fma_f64 v[88:89], -v[92:93], v[94:95], 1.0
	v_fmac_f64_e32 v[94:95], v[94:95], v[88:89]
	v_fma_f64 v[88:89], -v[92:93], v[94:95], 1.0
	v_fmac_f64_e32 v[94:95], v[94:95], v[88:89]
	v_div_scale_f64 v[88:89], vcc, v[86:87], v[90:91], v[86:87]
	v_mul_f64 v[96:97], v[88:89], v[94:95]
	v_fma_f64 v[88:89], -v[92:93], v[96:97], v[88:89]
	v_pk_mov_b32 v[92:93], v[32:33], v[32:33] op_sel:[0,1]
	s_nop 0
	v_div_fmas_f64 v[88:89], v[88:89], v[94:95], v[96:97]
	v_div_fixup_f64 v[86:87], v[88:89], v[90:91], v[86:87]
	v_mul_f64 v[88:89], v[86:87], v[86:87]
	v_pk_mov_b32 v[90:91], v[30:31], v[30:31] op_sel:[0,1]
	v_fmac_f64_e32 v[90:91], s[40:41], v[88:89]
	v_fmac_f64_e32 v[92:93], v[88:89], v[90:91]
	v_pk_mov_b32 v[90:91], v[34:35], v[34:35] op_sel:[0,1]
	v_fmac_f64_e32 v[90:91], v[88:89], v[92:93]
	v_pk_mov_b32 v[92:93], v[36:37], v[36:37] op_sel:[0,1]
	;; [unrolled: 2-line block ×17, first 2 shown]
	v_fmac_f64_e32 v[90:91], v[88:89], v[92:93]
	v_mul_f64 v[88:89], v[88:89], v[90:91]
	v_fmac_f64_e32 v[86:87], v[86:87], v[88:89]
	v_ashrrev_i32_e32 v6, 31, v7
	v_cmp_gt_i32_e32 vcc, 0, v7
	v_and_b32_e32 v12, 0x400921fb, v6
	v_and_b32_e32 v16, 0x54442d18, v6
	v_add_f64 v[6:7], -v[86:87], s[42:43]
	v_cndmask_b32_e64 v7, v87, v7, s[10:11]
	v_cndmask_b32_e64 v6, v86, v6, s[10:11]
	s_mov_b32 s44, s42
	v_add_f64 v[86:87], -v[6:7], s[44:45]
	v_cmp_class_f64_e64 s[60:61], v[8:9], s77
	v_cndmask_b32_e32 v1, v114, v115, vcc
	v_cndmask_b32_e32 v4, v116, v117, vcc
	v_cndmask_b32_e32 v7, v7, v87, vcc
	v_cndmask_b32_e32 v6, v6, v86, vcc
	v_cmp_eq_f64_e32 vcc, 0, v[8:9]
	v_bfi_b32 v4, s76, v4, v9
	v_cndmask_b32_e32 v6, v6, v16, vcc
	v_cndmask_b32_e32 v7, v7, v12, vcc
	s_and_b64 vcc, s[60:61], s[62:63]
	v_cndmask_b32_e32 v87, v7, v4, vcc
	v_cndmask_b32_e32 v86, v6, v1, vcc
.LBB198_142:                            ;   in Loop: Header=BB198_4 Depth=1
	s_or_b64 exec, exec, s[58:59]
.LBB198_143:                            ;   in Loop: Header=BB198_4 Depth=1
	s_or_b64 exec, exec, s[12:13]
.LBB198_144:                            ;   in Loop: Header=BB198_4 Depth=1
	s_andn2_saveexec_b64 s[58:59], s[14:15]
	s_cbranch_execz .LBB198_146
; %bb.145:                              ;   in Loop: Header=BB198_4 Depth=1
	v_div_scale_f64 v[14:15], s[12:13], s[50:51], s[50:51], v[6:7]
	v_rcp_f64_e32 v[86:87], v[14:15]
	v_div_scale_f64 v[88:89], vcc, v[6:7], s[50:51], v[6:7]
	s_mov_b32 s44, s42
	v_fma_f64 v[90:91], -v[14:15], v[86:87], 1.0
	v_fmac_f64_e32 v[86:87], v[86:87], v[90:91]
	v_fma_f64 v[90:91], -v[14:15], v[86:87], 1.0
	v_fmac_f64_e32 v[86:87], v[86:87], v[90:91]
	v_mul_f64 v[90:91], v[88:89], v[86:87]
	v_fma_f64 v[14:15], -v[14:15], v[90:91], v[88:89]
	v_div_scale_f64 v[88:89], s[12:13], s[50:51], s[50:51], v[8:9]
	v_rcp_f64_e32 v[92:93], v[88:89]
	v_div_fmas_f64 v[14:15], v[14:15], v[86:87], v[90:91]
	v_div_fixup_f64 v[14:15], v[14:15], s[50:51], v[6:7]
	v_cmp_class_f64_e64 s[14:15], v[14:15], s77
	v_fma_f64 v[86:87], -v[88:89], v[92:93], 1.0
	v_fmac_f64_e32 v[92:93], v[92:93], v[86:87]
	v_fma_f64 v[86:87], -v[88:89], v[92:93], 1.0
	v_fmac_f64_e32 v[92:93], v[92:93], v[86:87]
	v_div_scale_f64 v[86:87], vcc, v[8:9], s[50:51], v[8:9]
	v_mul_f64 v[90:91], v[86:87], v[92:93]
	v_fma_f64 v[86:87], -v[88:89], v[90:91], v[86:87]
	s_nop 1
	v_div_fmas_f64 v[86:87], v[86:87], v[92:93], v[90:91]
	v_div_fixup_f64 v[86:87], v[86:87], s[50:51], v[8:9]
	v_max_f64 v[88:89], |v[14:15]|, |v[86:87]|
	v_frexp_exp_i32_f64_e32 v1, v[88:89]
	v_sub_u32_e32 v4, 0, v1
	v_ldexp_f64 v[90:91], |v[86:87]|, v4
	v_ldexp_f64 v[88:89], |v[14:15]|, v4
	v_mul_f64 v[90:91], v[90:91], v[90:91]
	v_fmac_f64_e32 v[90:91], v[88:89], v[88:89]
	v_rsq_f64_e32 v[88:89], v[90:91]
	v_cmp_eq_f64_e32 vcc, 0, v[90:91]
	v_cmp_o_f64_e64 s[12:13], v[14:15], v[86:87]
	v_cmp_class_f64_e64 s[60:61], v[86:87], s77
	v_mul_f64 v[92:93], v[90:91], v[88:89]
	v_mul_f64 v[88:89], v[88:89], 0.5
	v_fma_f64 v[94:95], -v[88:89], v[92:93], 0.5
	v_fmac_f64_e32 v[92:93], v[92:93], v[94:95]
	v_fmac_f64_e32 v[88:89], v[88:89], v[94:95]
	v_fma_f64 v[94:95], -v[92:93], v[92:93], v[90:91]
	v_fmac_f64_e32 v[92:93], v[94:95], v[88:89]
	v_cndmask_b32_e32 v89, v93, v91, vcc
	v_cndmask_b32_e32 v88, v92, v90, vcc
	v_ldexp_f64 v[88:89], v[88:89], v1
	v_cndmask_b32_e64 v1, 0, v88, s[12:13]
	v_cndmask_b32_e64 v4, v112, v89, s[12:13]
	s_or_b64 vcc, s[60:61], s[14:15]
	v_cndmask_b32_e32 v87, v4, v119, vcc
	v_cndmask_b32_e64 v86, v1, 0, vcc
	v_frexp_mant_f64_e32 v[14:15], v[86:87]
	v_cmp_gt_f64_e64 s[14:15], s[28:29], v[14:15]
	v_cndmask_b32_e64 v69, v118, 2.0, s[14:15]
	v_mul_f64 v[14:15], v[14:15], v[68:69]
	v_add_f64 v[90:91], v[14:15], 1.0
	v_rcp_f64_e32 v[92:93], v[90:91]
	v_add_f64 v[96:97], v[90:91], -1.0
	v_add_f64 v[94:95], v[14:15], -1.0
	v_add_f64 v[14:15], v[14:15], -v[96:97]
	v_fma_f64 v[96:97], -v[90:91], v[92:93], 1.0
	v_fmac_f64_e32 v[92:93], v[96:97], v[92:93]
	v_fma_f64 v[96:97], -v[90:91], v[92:93], 1.0
	v_fmac_f64_e32 v[92:93], v[96:97], v[92:93]
	v_mul_f64 v[96:97], v[94:95], v[92:93]
	v_mul_f64 v[98:99], v[90:91], v[96:97]
	v_fma_f64 v[90:91], v[96:97], v[90:91], -v[98:99]
	v_fmac_f64_e32 v[90:91], v[96:97], v[14:15]
	v_add_f64 v[14:15], v[98:99], v[90:91]
	v_add_f64 v[100:101], v[94:95], -v[14:15]
	v_add_f64 v[98:99], v[14:15], -v[98:99]
	;; [unrolled: 1-line block ×5, first 2 shown]
	v_add_f64 v[14:15], v[90:91], v[14:15]
	v_add_f64 v[14:15], v[100:101], v[14:15]
	v_mul_f64 v[14:15], v[92:93], v[14:15]
	v_add_f64 v[90:91], v[96:97], v[14:15]
	v_add_f64 v[92:93], v[90:91], -v[96:97]
	v_add_f64 v[14:15], v[14:15], -v[92:93]
	v_mul_f64 v[92:93], v[90:91], v[90:91]
	v_pk_mov_b32 v[94:95], v[18:19], v[18:19] op_sel:[0,1]
	v_fmac_f64_e32 v[94:95], s[30:31], v[92:93]
	v_pk_mov_b32 v[96:97], v[20:21], v[20:21] op_sel:[0,1]
	v_fmac_f64_e32 v[96:97], v[92:93], v[94:95]
	;; [unrolled: 2-line block ×6, first 2 shown]
	v_ldexp_f64 v[94:95], v[90:91], 1
	v_mul_f64 v[90:91], v[90:91], v[92:93]
	v_mul_f64 v[90:91], v[90:91], v[96:97]
	v_add_f64 v[92:93], v[94:95], v[90:91]
	v_add_f64 v[94:95], v[92:93], -v[94:95]
	v_ldexp_f64 v[14:15], v[14:15], 1
	v_add_f64 v[90:91], v[90:91], -v[94:95]
	v_add_f64 v[14:15], v[14:15], v[90:91]
	v_frexp_exp_i32_f64_e32 v12, v[86:87]
	v_add_f64 v[90:91], v[92:93], v[14:15]
	v_subbrev_co_u32_e64 v12, s[14:15], 0, v12, s[14:15]
	v_add_f64 v[92:93], v[90:91], -v[92:93]
	v_add_f64 v[14:15], v[14:15], -v[92:93]
	v_cvt_f64_i32_e32 v[92:93], v12
	v_mul_f64 v[94:95], v[92:93], s[34:35]
	v_fma_f64 v[96:97], v[92:93], s[34:35], -v[94:95]
	v_fmac_f64_e32 v[96:97], s[36:37], v[92:93]
	v_add_f64 v[92:93], v[94:95], v[96:97]
	v_add_f64 v[94:95], v[92:93], -v[94:95]
	v_add_f64 v[94:95], v[96:97], -v[94:95]
	v_add_f64 v[96:97], v[92:93], v[90:91]
	v_add_f64 v[98:99], v[96:97], -v[92:93]
	v_add_f64 v[100:101], v[96:97], -v[98:99]
	;; [unrolled: 1-line block ×4, first 2 shown]
	v_add_f64 v[90:91], v[90:91], v[92:93]
	v_add_f64 v[92:93], v[94:95], v[14:15]
	v_add_f64 v[98:99], v[92:93], -v[94:95]
	v_add_f64 v[100:101], v[92:93], -v[98:99]
	v_add_f64 v[90:91], v[92:93], v[90:91]
	v_add_f64 v[94:95], v[94:95], -v[100:101]
	v_add_f64 v[14:15], v[14:15], -v[98:99]
	v_add_f64 v[92:93], v[96:97], v[90:91]
	v_add_f64 v[14:15], v[14:15], v[94:95]
	v_add_f64 v[94:95], v[92:93], -v[96:97]
	v_add_f64 v[90:91], v[90:91], -v[94:95]
	v_and_b32_e32 v89, 0x7fffffff, v89
	v_add_f64 v[14:15], v[14:15], v[90:91]
	v_cmp_eq_f64_e64 s[14:15], s[38:39], v[88:89]
	v_add_f64 v[14:15], v[92:93], v[14:15]
	s_and_b64 s[12:13], s[12:13], s[14:15]
	v_cndmask_b32_e64 v15, v15, v4, s[12:13]
	v_cndmask_b32_e64 v14, v14, v1, s[12:13]
	v_add_f64 v[14:15], v[14:15], 1.0
	v_cndmask_b32_e64 v1, v14, 0, vcc
	v_cndmask_b32_e32 v4, v15, v119, vcc
	v_max_f64 v[14:15], |v[8:9]|, |v[8:9]|
	v_max_f64 v[88:89], |v[6:7]|, |v[6:7]|
	v_max_f64 v[90:91], v[88:89], v[14:15]
	v_min_f64 v[88:89], v[88:89], v[14:15]
	v_div_scale_f64 v[92:93], s[12:13], v[90:91], v[90:91], v[88:89]
	v_rcp_f64_e32 v[94:95], v[92:93]
	v_cmp_ngt_f64_e32 vcc, 0, v[86:87]
	v_cndmask_b32_e32 v4, v112, v4, vcc
	v_cmp_nge_f64_e32 vcc, 0, v[86:87]
	v_cndmask_b32_e32 v14, 0, v1, vcc
	v_cmp_neq_f64_e32 vcc, 0, v[86:87]
	v_fma_f64 v[86:87], -v[92:93], v[94:95], 1.0
	v_fmac_f64_e32 v[94:95], v[94:95], v[86:87]
	v_fma_f64 v[86:87], -v[92:93], v[94:95], 1.0
	v_cndmask_b32_e32 v15, v113, v4, vcc
	v_fmac_f64_e32 v[94:95], v[94:95], v[86:87]
	v_div_scale_f64 v[86:87], vcc, v[88:89], v[90:91], v[88:89]
	v_mul_f64 v[96:97], v[86:87], v[94:95]
	v_fma_f64 v[86:87], -v[92:93], v[96:97], v[86:87]
	v_pk_mov_b32 v[92:93], v[32:33], v[32:33] op_sel:[0,1]
	s_nop 0
	v_div_fmas_f64 v[86:87], v[86:87], v[94:95], v[96:97]
	v_div_fixup_f64 v[86:87], v[86:87], v[90:91], v[88:89]
	v_mul_f64 v[88:89], v[86:87], v[86:87]
	v_pk_mov_b32 v[90:91], v[30:31], v[30:31] op_sel:[0,1]
	v_fmac_f64_e32 v[90:91], s[40:41], v[88:89]
	v_fmac_f64_e32 v[92:93], v[88:89], v[90:91]
	v_pk_mov_b32 v[90:91], v[34:35], v[34:35] op_sel:[0,1]
	v_fmac_f64_e32 v[90:91], v[88:89], v[92:93]
	v_pk_mov_b32 v[92:93], v[36:37], v[36:37] op_sel:[0,1]
	;; [unrolled: 2-line block ×17, first 2 shown]
	v_fmac_f64_e32 v[90:91], v[88:89], v[92:93]
	v_mul_f64 v[88:89], v[88:89], v[90:91]
	v_fmac_f64_e32 v[86:87], v[86:87], v[88:89]
	v_cmp_class_f64_e64 s[14:15], v[6:7], s77
	v_ashrrev_i32_e32 v6, 31, v7
	v_cmp_gt_i32_e32 vcc, 0, v7
	v_and_b32_e32 v12, 0x400921fb, v6
	v_and_b32_e32 v16, 0x54442d18, v6
	v_add_f64 v[6:7], -v[86:87], s[42:43]
	v_cndmask_b32_e64 v7, v87, v7, s[10:11]
	v_cndmask_b32_e64 v6, v86, v6, s[10:11]
	v_add_f64 v[86:87], -v[6:7], s[44:45]
	v_cmp_class_f64_e64 s[12:13], v[8:9], s77
	v_cndmask_b32_e32 v1, v114, v115, vcc
	v_cndmask_b32_e32 v4, v116, v117, vcc
	;; [unrolled: 1-line block ×4, first 2 shown]
	v_cmp_eq_f64_e32 vcc, 0, v[8:9]
	v_bfi_b32 v4, s76, v4, v9
	v_cndmask_b32_e32 v6, v6, v16, vcc
	v_cndmask_b32_e32 v7, v7, v12, vcc
	s_and_b64 vcc, s[12:13], s[14:15]
	v_cndmask_b32_e32 v87, v7, v4, vcc
	v_cndmask_b32_e32 v86, v6, v1, vcc
.LBB198_146:                            ;   in Loop: Header=BB198_4 Depth=1
	s_or_b64 exec, exec, s[58:59]
	s_andn2_saveexec_b64 s[10:11], s[56:57]
	s_cbranch_execz .LBB198_116
.LBB198_147:                            ;   in Loop: Header=BB198_4 Depth=1
	v_cmp_nlt_f64_e64 s[12:13], |v[6:7]|, s[52:53]
	v_cmp_nlt_f64_e64 s[14:15], |v[8:9]|, s[52:53]
	s_or_b64 s[12:13], s[14:15], s[12:13]
                                        ; implicit-def: $vgpr86_vgpr87
	s_and_saveexec_b64 s[14:15], s[12:13]
	s_xor_b64 s[12:13], exec, s[14:15]
; %bb.148:                              ;   in Loop: Header=BB198_4 Depth=1
	v_mul_f64 v[86:87], v[6:7], v[6:7]
	v_fmac_f64_e32 v[86:87], v[8:9], v[8:9]
; %bb.149:                              ;   in Loop: Header=BB198_4 Depth=1
	s_andn2_saveexec_b64 s[12:13], s[12:13]
; %bb.150:                              ;   in Loop: Header=BB198_4 Depth=1
	v_mul_f64 v[6:7], v[6:7], 4.0
	v_mul_f64 v[14:15], v[8:9], 4.0
	v_mul_f64 v[6:7], v[6:7], v[6:7]
	v_fmac_f64_e32 v[6:7], v[14:15], v[14:15]
	v_ldexp_f64 v[86:87], v[6:7], -4
; %bb.151:                              ;   in Loop: Header=BB198_4 Depth=1
	s_or_b64 exec, exec, s[12:13]
	v_frexp_mant_f64_e32 v[6:7], v[86:87]
	v_cmp_gt_f64_e32 vcc, s[28:29], v[6:7]
	v_cndmask_b32_e64 v69, v118, 2.0, vcc
	v_mul_f64 v[6:7], v[6:7], v[68:69]
	v_add_f64 v[14:15], v[6:7], 1.0
	v_rcp_f64_e32 v[88:89], v[14:15]
	v_add_f64 v[92:93], v[14:15], -1.0
	v_add_f64 v[90:91], v[6:7], -1.0
	v_add_f64 v[6:7], v[6:7], -v[92:93]
	v_fma_f64 v[92:93], -v[14:15], v[88:89], 1.0
	v_fmac_f64_e32 v[88:89], v[92:93], v[88:89]
	v_fma_f64 v[92:93], -v[14:15], v[88:89], 1.0
	v_fmac_f64_e32 v[88:89], v[92:93], v[88:89]
	v_mul_f64 v[92:93], v[90:91], v[88:89]
	v_mul_f64 v[94:95], v[14:15], v[92:93]
	v_fma_f64 v[14:15], v[92:93], v[14:15], -v[94:95]
	v_fmac_f64_e32 v[14:15], v[92:93], v[6:7]
	v_add_f64 v[6:7], v[94:95], v[14:15]
	v_add_f64 v[96:97], v[90:91], -v[6:7]
	v_add_f64 v[94:95], v[6:7], -v[94:95]
	;; [unrolled: 1-line block ×5, first 2 shown]
	v_add_f64 v[6:7], v[14:15], v[6:7]
	v_add_f64 v[6:7], v[96:97], v[6:7]
	v_mul_f64 v[6:7], v[88:89], v[6:7]
	v_add_f64 v[14:15], v[92:93], v[6:7]
	v_add_f64 v[88:89], v[14:15], -v[92:93]
	v_add_f64 v[6:7], v[6:7], -v[88:89]
	v_mul_f64 v[88:89], v[14:15], v[14:15]
	v_pk_mov_b32 v[90:91], v[18:19], v[18:19] op_sel:[0,1]
	v_fmac_f64_e32 v[90:91], s[30:31], v[88:89]
	v_pk_mov_b32 v[92:93], v[20:21], v[20:21] op_sel:[0,1]
	v_fmac_f64_e32 v[92:93], v[88:89], v[90:91]
	;; [unrolled: 2-line block ×6, first 2 shown]
	v_ldexp_f64 v[90:91], v[14:15], 1
	v_mul_f64 v[14:15], v[14:15], v[88:89]
	v_mul_f64 v[14:15], v[14:15], v[92:93]
	v_add_f64 v[88:89], v[90:91], v[14:15]
	v_add_f64 v[90:91], v[88:89], -v[90:91]
	v_ldexp_f64 v[6:7], v[6:7], 1
	v_add_f64 v[14:15], v[14:15], -v[90:91]
	v_add_f64 v[6:7], v[6:7], v[14:15]
	v_frexp_exp_i32_f64_e32 v1, v[86:87]
	v_add_f64 v[14:15], v[88:89], v[6:7]
	v_subbrev_co_u32_e32 v1, vcc, 0, v1, vcc
	v_add_f64 v[88:89], v[14:15], -v[88:89]
	v_add_f64 v[6:7], v[6:7], -v[88:89]
	v_cvt_f64_i32_e32 v[88:89], v1
	v_mul_f64 v[90:91], v[88:89], s[34:35]
	v_fma_f64 v[92:93], v[88:89], s[34:35], -v[90:91]
	v_fmac_f64_e32 v[92:93], s[36:37], v[88:89]
	v_add_f64 v[88:89], v[90:91], v[92:93]
	v_add_f64 v[90:91], v[88:89], -v[90:91]
	v_add_f64 v[90:91], v[92:93], -v[90:91]
	v_add_f64 v[92:93], v[88:89], v[14:15]
	v_add_f64 v[94:95], v[92:93], -v[88:89]
	v_add_f64 v[96:97], v[92:93], -v[94:95]
	;; [unrolled: 1-line block ×4, first 2 shown]
	v_add_f64 v[14:15], v[14:15], v[88:89]
	v_add_f64 v[88:89], v[90:91], v[6:7]
	v_add_f64 v[94:95], v[88:89], -v[90:91]
	v_add_f64 v[96:97], v[88:89], -v[94:95]
	v_add_f64 v[14:15], v[88:89], v[14:15]
	v_add_f64 v[90:91], v[90:91], -v[96:97]
	v_add_f64 v[6:7], v[6:7], -v[94:95]
	v_add_f64 v[88:89], v[92:93], v[14:15]
	v_add_f64 v[6:7], v[6:7], v[90:91]
	v_add_f64 v[90:91], v[88:89], -v[92:93]
	v_add_f64 v[14:15], v[14:15], -v[90:91]
	v_add_f64 v[6:7], v[6:7], v[14:15]
	v_add_f64 v[6:7], v[88:89], v[6:7]
	v_cmp_class_f64_e64 vcc, v[86:87], s77
	v_cndmask_b32_e32 v1, v6, v86, vcc
	v_cndmask_b32_e32 v4, v7, v87, vcc
	v_cmp_ngt_f64_e32 vcc, 0, v[86:87]
	v_cndmask_b32_e32 v4, v112, v4, vcc
	v_cmp_nge_f64_e32 vcc, 0, v[86:87]
	v_cndmask_b32_e32 v14, 0, v1, vcc
	v_cmp_neq_f64_e32 vcc, 0, v[86:87]
	v_mov_b32_e32 v86, 0
	v_cndmask_b32_e32 v15, v113, v4, vcc
	v_mov_b32_e32 v87, 0x7ff80000
	s_or_b64 exec, exec, s[10:11]
	s_and_saveexec_b64 s[10:11], s[0:1]
	s_xor_b64 s[0:1], exec, s[10:11]
	s_cbranch_execz .LBB198_117
.LBB198_152:                            ;   in Loop: Header=BB198_4 Depth=1
	v_bfi_b32 v81, s76, v81, v13
	v_fma_f64 v[6:7], 0, v[80:81], v[78:79]
	v_mul_f64 v[88:89], v[6:7], s[54:55]
	v_fmac_f64_e32 v[80:81], 0x80000000, v[78:79]
	v_mov_b32_e32 v1, s70
	v_add_co_u32_e32 v6, vcc, s33, v70
	v_mul_f64 v[90:91], v[80:81], s[54:55]
	v_addc_co_u32_e32 v7, vcc, v1, v71, vcc
	global_store_dwordx4 v[6:7], v[88:91], off
	s_or_b64 exec, exec, s[0:1]
	s_and_saveexec_b64 s[0:1], s[2:3]
	s_cbranch_execz .LBB198_118
.LBB198_153:                            ;   in Loop: Header=BB198_4 Depth=1
	v_bfi_b32 v83, s76, v83, v5
	v_fma_f64 v[4:5], 0, v[82:83], v[10:11]
	v_fmac_f64_e32 v[82:83], 0x80000000, v[10:11]
	v_mov_b32_e32 v1, s70
	v_add_co_u32_e32 v10, vcc, s33, v72
	v_mul_f64 v[4:5], v[4:5], s[54:55]
	v_mul_f64 v[6:7], v[82:83], s[54:55]
	v_addc_co_u32_e32 v11, vcc, v1, v73, vcc
	global_store_dwordx4 v[10:11], v[4:7], off
	s_or_b64 exec, exec, s[0:1]
	s_and_saveexec_b64 s[0:1], s[6:7]
	s_cbranch_execz .LBB198_119
.LBB198_154:                            ;   in Loop: Header=BB198_4 Depth=1
	v_bfi_b32 v85, s76, v85, v17
	v_fma_f64 v[4:5], 0, v[84:85], v[2:3]
	v_fmac_f64_e32 v[84:85], 0x80000000, v[2:3]
	v_mov_b32_e32 v1, s70
	v_add_co_u32_e32 v2, vcc, s33, v74
	v_mul_f64 v[4:5], v[4:5], s[54:55]
	v_mul_f64 v[6:7], v[84:85], s[54:55]
	v_addc_co_u32_e32 v3, vcc, v1, v75, vcc
	global_store_dwordx4 v[2:3], v[4:7], off
	s_or_b64 exec, exec, s[0:1]
	s_and_saveexec_b64 s[0:1], s[8:9]
	s_cbranch_execz .LBB198_3
.LBB198_155:                            ;   in Loop: Header=BB198_4 Depth=1
	v_bfi_b32 v87, s76, v87, v9
	v_fma_f64 v[2:3], 0, v[86:87], v[14:15]
	v_fmac_f64_e32 v[86:87], 0x80000000, v[14:15]
	v_mov_b32_e32 v1, s70
	v_add_co_u32_e32 v6, vcc, s33, v76
	v_mul_f64 v[2:3], v[2:3], s[54:55]
	v_mul_f64 v[4:5], v[86:87], s[54:55]
	v_addc_co_u32_e32 v7, vcc, v1, v77, vcc
	global_store_dwordx4 v[6:7], v[2:5], off
	s_branch .LBB198_3
.LBB198_156:
	s_cbranch_execz .LBB198_158
	s_branch .LBB198_297
.LBB198_157:
.LBB198_158:
	v_mov_b32_e32 v18, 0
	v_lshlrev_b32_e32 v2, 2, v0
	v_mov_b32_e32 v3, v18
	s_mov_b32 s60, 0
	v_cmp_gt_i64_e32 vcc, s[16:17], v[2:3]
	s_and_saveexec_b64 s[0:1], vcc
	s_cbranch_execz .LBB198_297
; %bb.159:
	s_load_dword s0, s[4:5], 0xd3c
	s_mov_b32 s8, 0x85ebc8a0
	s_mov_b32 s10, 0x4ad4b81f
	;; [unrolled: 1-line block ×15, first 2 shown]
	s_mov_b64 s[6:7], 0
	v_mov_b32_e32 v104, s70
	s_brev_b32 s61, -2
	s_waitcnt lgkmcnt(0)
	s_and_b32 s62, s0, 0xffff
	s_mov_b32 s9, 0x7fd1ccf3
	s_mov_b32 s11, 0x358dee7a
	;; [unrolled: 1-line block ×9, first 2 shown]
	s_movk_i32 s63, 0x204
	s_mov_b32 s29, 0x3ff921fb
	s_mov_b32 s31, 0x400921fb
	;; [unrolled: 1-line block ×5, first 2 shown]
	s_brev_b32 s41, 4
	s_mov_b32 s43, 0x3ff71547
	s_mov_b64 s[44:45], 0xffff
	v_mov_b32_e32 v20, 0x6b47b09a
	v_mov_b32_e32 v21, 0x3fc38538
	;; [unrolled: 1-line block ×59, first 2 shown]
	s_branch .LBB198_162
.LBB198_160:                            ;   in Loop: Header=BB198_162 Depth=1
	s_or_b64 exec, exec, s[2:3]
	v_frexp_mant_f64_e32 v[2:3], v[80:81]
	v_cmp_gt_f64_e32 vcc, s[14:15], v[2:3]
	v_cndmask_b32_e64 v19, v111, 2.0, vcc
	v_mul_f64 v[2:3], v[2:3], v[18:19]
	v_add_f64 v[14:15], v[2:3], 1.0
	v_rcp_f64_e32 v[82:83], v[14:15]
	v_add_f64 v[86:87], v[14:15], -1.0
	v_add_f64 v[84:85], v[2:3], -1.0
	v_add_f64 v[2:3], v[2:3], -v[86:87]
	v_fma_f64 v[86:87], -v[14:15], v[82:83], 1.0
	v_fmac_f64_e32 v[82:83], v[86:87], v[82:83]
	v_fma_f64 v[86:87], -v[14:15], v[82:83], 1.0
	v_fmac_f64_e32 v[82:83], v[86:87], v[82:83]
	v_mul_f64 v[86:87], v[84:85], v[82:83]
	v_mul_f64 v[88:89], v[14:15], v[86:87]
	v_fma_f64 v[14:15], v[86:87], v[14:15], -v[88:89]
	v_fmac_f64_e32 v[14:15], v[86:87], v[2:3]
	v_add_f64 v[2:3], v[88:89], v[14:15]
	v_add_f64 v[90:91], v[84:85], -v[2:3]
	v_add_f64 v[88:89], v[2:3], -v[88:89]
	;; [unrolled: 1-line block ×5, first 2 shown]
	v_add_f64 v[2:3], v[14:15], v[2:3]
	v_add_f64 v[2:3], v[90:91], v[2:3]
	v_mul_f64 v[2:3], v[82:83], v[2:3]
	v_add_f64 v[14:15], v[86:87], v[2:3]
	v_add_f64 v[82:83], v[14:15], -v[86:87]
	v_add_f64 v[2:3], v[2:3], -v[82:83]
	v_mul_f64 v[82:83], v[14:15], v[14:15]
	v_pk_mov_b32 v[84:85], v[20:21], v[20:21] op_sel:[0,1]
	v_fmac_f64_e32 v[84:85], s[18:19], v[82:83]
	v_pk_mov_b32 v[86:87], v[22:23], v[22:23] op_sel:[0,1]
	v_fmac_f64_e32 v[86:87], v[82:83], v[84:85]
	;; [unrolled: 2-line block ×6, first 2 shown]
	v_ldexp_f64 v[84:85], v[14:15], 1
	v_mul_f64 v[14:15], v[14:15], v[82:83]
	v_mul_f64 v[14:15], v[14:15], v[86:87]
	v_add_f64 v[82:83], v[84:85], v[14:15]
	v_add_f64 v[84:85], v[82:83], -v[84:85]
	v_ldexp_f64 v[2:3], v[2:3], 1
	v_add_f64 v[14:15], v[14:15], -v[84:85]
	v_add_f64 v[2:3], v[2:3], v[14:15]
	v_frexp_exp_i32_f64_e32 v4, v[80:81]
	v_add_f64 v[14:15], v[82:83], v[2:3]
	v_subbrev_co_u32_e32 v4, vcc, 0, v4, vcc
	v_add_f64 v[82:83], v[14:15], -v[82:83]
	v_add_f64 v[2:3], v[2:3], -v[82:83]
	v_cvt_f64_i32_e32 v[82:83], v4
	v_mul_f64 v[84:85], v[82:83], s[20:21]
	v_fma_f64 v[86:87], v[82:83], s[20:21], -v[84:85]
	v_fmac_f64_e32 v[86:87], s[22:23], v[82:83]
	v_add_f64 v[82:83], v[84:85], v[86:87]
	v_add_f64 v[84:85], v[82:83], -v[84:85]
	v_add_f64 v[84:85], v[86:87], -v[84:85]
	v_add_f64 v[86:87], v[82:83], v[14:15]
	v_add_f64 v[88:89], v[86:87], -v[82:83]
	v_add_f64 v[90:91], v[86:87], -v[88:89]
	;; [unrolled: 1-line block ×4, first 2 shown]
	v_add_f64 v[14:15], v[14:15], v[82:83]
	v_add_f64 v[82:83], v[84:85], v[2:3]
	v_add_f64 v[88:89], v[82:83], -v[84:85]
	v_add_f64 v[90:91], v[82:83], -v[88:89]
	v_add_f64 v[14:15], v[82:83], v[14:15]
	v_add_f64 v[84:85], v[84:85], -v[90:91]
	v_add_f64 v[2:3], v[2:3], -v[88:89]
	v_add_f64 v[82:83], v[86:87], v[14:15]
	v_add_f64 v[2:3], v[2:3], v[84:85]
	v_add_f64 v[84:85], v[82:83], -v[86:87]
	v_add_f64 v[14:15], v[14:15], -v[84:85]
	v_add_f64 v[2:3], v[2:3], v[14:15]
	v_add_f64 v[2:3], v[82:83], v[2:3]
	v_cmp_class_f64_e64 vcc, v[80:81], s63
	v_cndmask_b32_e32 v2, v2, v80, vcc
	v_cndmask_b32_e32 v3, v3, v81, vcc
	v_cmp_ngt_f64_e32 vcc, 0, v[80:81]
	v_cndmask_b32_e32 v3, v105, v3, vcc
	v_cmp_nge_f64_e32 vcc, 0, v[80:81]
	v_cndmask_b32_e32 v14, 0, v2, vcc
	v_cmp_neq_f64_e32 vcc, 0, v[80:81]
	v_mov_b32_e32 v80, 0
	v_cndmask_b32_e32 v15, v106, v3, vcc
	v_mov_b32_e32 v81, 0x7ff80000
.LBB198_161:                            ;   in Loop: Header=BB198_162 Depth=1
	s_or_b64 exec, exec, s[0:1]
	v_bfi_b32 v79, s61, v79, v17
	v_fma_f64 v[2:3], 0, v[78:79], v[10:11]
	v_bfi_b32 v77, s61, v77, v13
	v_mul_f64 v[82:83], v[2:3], s[42:43]
	v_fma_f64 v[2:3], 0, v[76:77], v[6:7]
	v_bfi_b32 v75, s61, v75, v9
	v_fmac_f64_e32 v[78:79], 0x80000000, v[10:11]
	v_mul_f64 v[10:11], v[2:3], s[42:43]
	v_fma_f64 v[2:3], 0, v[74:75], v[72:73]
	v_fmac_f64_e32 v[74:75], 0x80000000, v[72:73]
	v_fmac_f64_e32 v[76:77], 0x80000000, v[6:7]
	v_mul_f64 v[6:7], v[2:3], s[42:43]
	v_mul_f64 v[8:9], v[74:75], s[42:43]
	;; [unrolled: 1-line block ×4, first 2 shown]
	global_store_dwordx4 v[70:71], v[6:9], off
	global_store_dwordx4 v[70:71], v[10:13], off offset:16
	global_store_dwordx4 v[70:71], v[82:85], off offset:32
	v_mov_b32_e32 v6, s60
	v_add_co_u32_e32 v0, vcc, s62, v0
	v_addc_co_u32_e32 v1, vcc, v1, v6, vcc
	v_lshlrev_b64 v[6:7], 2, v[0:1]
	v_cmp_le_i64_e32 vcc, s[16:17], v[6:7]
	v_cmp_lt_u64_e64 s[0:1], s[44:45], v[6:7]
	v_bfi_b32 v81, s61, v81, v5
	s_or_b64 s[0:1], vcc, s[0:1]
	v_fma_f64 v[2:3], 0, v[80:81], v[14:15]
	v_fmac_f64_e32 v[80:81], 0x80000000, v[14:15]
	s_and_b64 s[0:1], exec, s[0:1]
	v_mul_f64 v[2:3], v[2:3], s[42:43]
	v_mul_f64 v[4:5], v[80:81], s[42:43]
	s_or_b64 s[6:7], s[0:1], s[6:7]
	global_store_dwordx4 v[70:71], v[2:5], off offset:48
	s_andn2_b64 exec, exec, s[6:7]
	s_cbranch_execz .LBB198_297
.LBB198_162:                            ; =>This Loop Header: Depth=1
                                        ;     Child Loop BB198_173 Depth 2
                                        ;     Child Loop BB198_207 Depth 2
	;; [unrolled: 1-line block ×4, first 2 shown]
	v_lshlrev_b64 v[2:3], 6, v[0:1]
	v_add_co_u32_e32 v70, vcc, s33, v2
	v_addc_co_u32_e32 v71, vcc, v104, v3, vcc
	global_load_dwordx4 v[10:13], v[70:71], off offset:16
	global_load_dwordx4 v[6:9], v[70:71], off
	global_load_dwordx4 v[2:5], v[70:71], off offset:48
	global_load_dwordx4 v[14:17], v[70:71], off offset:32
                                        ; implicit-def: $vgpr72_vgpr73
                                        ; implicit-def: $vgpr74_vgpr75
	s_waitcnt vmcnt(2)
	v_cmp_o_f64_e32 vcc, v[6:7], v[8:9]
	s_and_saveexec_b64 s[0:1], vcc
	s_xor_b64 s[46:47], exec, s[0:1]
	s_cbranch_execz .LBB198_190
; %bb.163:                              ;   in Loop: Header=BB198_162 Depth=1
	v_and_b32_e32 v79, 0x7fffffff, v7
	v_and_b32_e32 v19, 0x7fffffff, v9
	v_mov_b32_e32 v78, v8
	v_cmp_lt_f64_e64 s[0:1], |v[6:7]|, |v[8:9]|
	v_cndmask_b32_e64 v77, v19, v79, s[0:1]
	v_cndmask_b32_e64 v76, v78, v6, s[0:1]
	v_cmp_nlt_f64_e32 vcc, s[8:9], v[76:77]
                                        ; implicit-def: $vgpr72_vgpr73
                                        ; implicit-def: $vgpr74_vgpr75
	s_and_saveexec_b64 s[2:3], vcc
	s_xor_b64 s[4:5], exec, s[2:3]
	s_cbranch_execz .LBB198_187
; %bb.164:                              ;   in Loop: Header=BB198_162 Depth=1
	v_cndmask_b32_e64 v81, v79, v19, s[0:1]
	v_cndmask_b32_e64 v80, v6, v78, s[0:1]
	v_cmp_neq_f64_e32 vcc, 1.0, v[80:81]
                                        ; implicit-def: $vgpr72_vgpr73
                                        ; implicit-def: $vgpr74_vgpr75
	s_and_saveexec_b64 s[2:3], vcc
	s_xor_b64 s[48:49], exec, s[2:3]
	s_cbranch_execz .LBB198_180
; %bb.165:                              ;   in Loop: Header=BB198_162 Depth=1
	v_max_f64 v[72:73], v[76:77], v[76:77]
	v_max_f64 v[74:75], v[80:81], v[80:81]
	v_min_f64 v[78:79], v[74:75], v[72:73]
	v_max_f64 v[72:73], v[74:75], v[72:73]
	v_cmp_ngt_f64_e32 vcc, s[10:11], v[78:79]
	v_cmp_nlt_f64_e64 s[2:3], s[12:13], v[72:73]
	s_and_b64 s[2:3], s[2:3], vcc
                                        ; implicit-def: $vgpr72_vgpr73
                                        ; implicit-def: $vgpr74_vgpr75
	s_and_saveexec_b64 s[50:51], s[2:3]
	s_xor_b64 s[50:51], exec, s[50:51]
	s_cbranch_execz .LBB198_177
; %bb.166:                              ;   in Loop: Header=BB198_162 Depth=1
	v_cmp_le_f64_e32 vcc, 1.0, v[80:81]
                                        ; implicit-def: $vgpr72_vgpr73
                                        ; implicit-def: $vgpr74_vgpr75
	s_and_saveexec_b64 s[2:3], vcc
	s_xor_b64 s[2:3], exec, s[2:3]
	s_cbranch_execz .LBB198_168
; %bb.167:                              ;   in Loop: Header=BB198_162 Depth=1
	v_add_f64 v[72:73], v[80:81], -1.0
	v_add_f64 v[74:75], v[80:81], 1.0
	v_mul_f64 v[74:75], v[72:73], v[74:75]
	v_fmac_f64_e32 v[74:75], v[76:77], v[76:77]
	v_add_f64 v[72:73], v[74:75], 1.0
	v_add_f64 v[76:77], v[72:73], -1.0
	v_add_f64 v[78:79], v[76:77], -v[72:73]
	v_add_f64 v[78:79], v[78:79], 1.0
	v_add_f64 v[76:77], v[74:75], -v[76:77]
	v_add_f64 v[76:77], v[76:77], v[78:79]
	v_frexp_mant_f64_e32 v[78:79], v[72:73]
	v_frexp_exp_i32_f64_e32 v19, v[72:73]
	v_cmp_gt_f64_e32 vcc, s[14:15], v[78:79]
	v_subbrev_co_u32_e32 v19, vcc, 0, v19, vcc
	v_sub_u32_e32 v78, 0, v19
	v_ldexp_f64 v[72:73], v[72:73], v78
	v_ldexp_f64 v[76:77], v[76:77], v78
	v_add_f64 v[78:79], v[72:73], -1.0
	v_add_f64 v[84:85], v[72:73], 1.0
	v_add_f64 v[80:81], v[78:79], 1.0
	v_add_f64 v[86:87], v[84:85], -1.0
	v_add_f64 v[80:81], v[72:73], -v[80:81]
	v_add_f64 v[72:73], v[72:73], -v[86:87]
	v_add_f64 v[72:73], v[76:77], v[72:73]
	v_add_f64 v[80:81], v[76:77], v[80:81]
	v_add_f64 v[76:77], v[84:85], v[72:73]
	v_rcp_f64_e32 v[86:87], v[76:77]
	v_add_f64 v[82:83], v[78:79], v[80:81]
	v_add_f64 v[78:79], v[82:83], -v[78:79]
	v_add_f64 v[78:79], v[80:81], -v[78:79]
	;; [unrolled: 1-line block ×4, first 2 shown]
	v_fma_f64 v[80:81], -v[76:77], v[86:87], 1.0
	v_fmac_f64_e32 v[86:87], v[80:81], v[86:87]
	v_fma_f64 v[80:81], -v[76:77], v[86:87], 1.0
	v_fmac_f64_e32 v[86:87], v[80:81], v[86:87]
	v_mul_f64 v[80:81], v[82:83], v[86:87]
	v_mul_f64 v[84:85], v[76:77], v[80:81]
	v_fma_f64 v[88:89], v[80:81], v[76:77], -v[84:85]
	v_fmac_f64_e32 v[88:89], v[80:81], v[72:73]
	v_add_f64 v[90:91], v[84:85], v[88:89]
	v_add_f64 v[92:93], v[82:83], -v[90:91]
	v_add_f64 v[82:83], v[82:83], -v[92:93]
	;; [unrolled: 1-line block ×4, first 2 shown]
	v_add_f64 v[78:79], v[78:79], v[82:83]
	v_add_f64 v[82:83], v[84:85], -v[88:89]
	v_add_f64 v[78:79], v[82:83], v[78:79]
	v_add_f64 v[82:83], v[92:93], v[78:79]
	v_add_f64 v[84:85], v[92:93], -v[82:83]
	v_add_f64 v[78:79], v[78:79], v[84:85]
	v_mul_f64 v[84:85], v[86:87], v[82:83]
	v_mul_f64 v[88:89], v[76:77], v[84:85]
	v_fma_f64 v[76:77], v[84:85], v[76:77], -v[88:89]
	v_fmac_f64_e32 v[76:77], v[84:85], v[72:73]
	v_add_f64 v[72:73], v[88:89], v[76:77]
	v_add_f64 v[90:91], v[82:83], -v[72:73]
	v_add_f64 v[82:83], v[82:83], -v[90:91]
	;; [unrolled: 1-line block ×4, first 2 shown]
	v_add_f64 v[72:73], v[78:79], v[72:73]
	v_add_f64 v[76:77], v[88:89], -v[76:77]
	v_add_f64 v[72:73], v[76:77], v[72:73]
	v_add_f64 v[76:77], v[80:81], v[84:85]
	;; [unrolled: 1-line block ×3, first 2 shown]
	v_add_f64 v[78:79], v[76:77], -v[80:81]
	v_mul_f64 v[72:73], v[86:87], v[72:73]
	v_add_f64 v[78:79], v[84:85], -v[78:79]
	v_add_f64 v[72:73], v[78:79], v[72:73]
	v_add_f64 v[78:79], v[76:77], v[72:73]
	v_add_f64 v[76:77], v[78:79], -v[76:77]
	v_add_f64 v[72:73], v[72:73], -v[76:77]
	v_mul_f64 v[76:77], v[78:79], v[78:79]
	v_pk_mov_b32 v[80:81], v[20:21], v[20:21] op_sel:[0,1]
	v_fmac_f64_e32 v[80:81], s[18:19], v[76:77]
	v_pk_mov_b32 v[82:83], v[22:23], v[22:23] op_sel:[0,1]
	v_fmac_f64_e32 v[82:83], v[76:77], v[80:81]
	;; [unrolled: 2-line block ×6, first 2 shown]
	v_cvt_f64_i32_e32 v[80:81], v19
	v_mul_f64 v[84:85], v[80:81], s[20:21]
	v_fma_f64 v[86:87], v[80:81], s[20:21], -v[84:85]
	v_fmac_f64_e32 v[86:87], s[22:23], v[80:81]
	v_add_f64 v[80:81], v[84:85], v[86:87]
	v_add_f64 v[84:85], v[80:81], -v[84:85]
	v_mul_f64 v[76:77], v[78:79], v[76:77]
	v_add_f64 v[84:85], v[86:87], -v[84:85]
	v_ldexp_f64 v[86:87], v[78:79], 1
	v_mul_f64 v[76:77], v[76:77], v[82:83]
	v_add_f64 v[78:79], v[86:87], v[76:77]
	v_add_f64 v[82:83], v[78:79], -v[86:87]
	v_ldexp_f64 v[72:73], v[72:73], 1
	v_add_f64 v[76:77], v[76:77], -v[82:83]
	v_add_f64 v[72:73], v[72:73], v[76:77]
	v_add_f64 v[76:77], v[78:79], v[72:73]
	v_add_f64 v[78:79], v[76:77], -v[78:79]
	v_add_f64 v[72:73], v[72:73], -v[78:79]
	v_add_f64 v[78:79], v[80:81], v[76:77]
	v_add_f64 v[82:83], v[78:79], -v[80:81]
	v_add_f64 v[86:87], v[78:79], -v[82:83]
	;; [unrolled: 1-line block ×4, first 2 shown]
	v_add_f64 v[76:77], v[76:77], v[80:81]
	v_add_f64 v[80:81], v[84:85], v[72:73]
	v_add_f64 v[82:83], v[80:81], -v[84:85]
	v_add_f64 v[76:77], v[80:81], v[76:77]
	v_add_f64 v[86:87], v[80:81], -v[82:83]
	;; [unrolled: 2-line block ×3, first 2 shown]
	v_add_f64 v[72:73], v[72:73], -v[82:83]
	v_add_f64 v[78:79], v[80:81], -v[78:79]
	v_add_f64 v[72:73], v[72:73], v[84:85]
	v_add_f64 v[76:77], v[76:77], -v[78:79]
	v_add_f64 v[72:73], v[72:73], v[76:77]
	v_max_f64 v[76:77], |v[8:9]|, |v[8:9]|
	v_max_f64 v[78:79], |v[6:7]|, |v[6:7]|
	v_add_f64 v[72:73], v[80:81], v[72:73]
	v_max_f64 v[80:81], v[78:79], v[76:77]
	v_min_f64 v[76:77], v[78:79], v[76:77]
	v_div_scale_f64 v[78:79], s[52:53], v[80:81], v[80:81], v[76:77]
	v_cmp_eq_f64_e32 vcc, s[24:25], v[74:75]
	v_rcp_f64_e32 v[82:83], v[78:79]
	v_cndmask_b32_e32 v73, v73, v75, vcc
	v_cndmask_b32_e32 v72, v72, v74, vcc
	v_mul_f64 v[72:73], v[72:73], 0.5
	v_cmp_ngt_f64_e32 vcc, -1.0, v[74:75]
	v_cndmask_b32_e32 v19, v105, v73, vcc
	v_cmp_nge_f64_e32 vcc, -1.0, v[74:75]
	v_cndmask_b32_e32 v72, 0, v72, vcc
	v_cmp_neq_f64_e32 vcc, -1.0, v[74:75]
	v_fma_f64 v[74:75], -v[78:79], v[82:83], 1.0
	v_fmac_f64_e32 v[82:83], v[82:83], v[74:75]
	v_fma_f64 v[74:75], -v[78:79], v[82:83], 1.0
	v_cndmask_b32_e32 v73, v106, v19, vcc
	v_fmac_f64_e32 v[82:83], v[82:83], v[74:75]
	v_div_scale_f64 v[74:75], vcc, v[76:77], v[80:81], v[76:77]
	v_mul_f64 v[84:85], v[74:75], v[82:83]
	v_fma_f64 v[74:75], -v[78:79], v[84:85], v[74:75]
	v_pk_mov_b32 v[78:79], v[32:33], v[32:33] op_sel:[0,1]
	s_nop 0
	v_div_fmas_f64 v[74:75], v[74:75], v[82:83], v[84:85]
	v_div_fixup_f64 v[74:75], v[74:75], v[80:81], v[76:77]
	v_mul_f64 v[76:77], v[74:75], v[74:75]
	v_fmac_f64_e32 v[78:79], s[26:27], v[76:77]
	v_pk_mov_b32 v[80:81], v[34:35], v[34:35] op_sel:[0,1]
	v_fmac_f64_e32 v[80:81], v[76:77], v[78:79]
	v_pk_mov_b32 v[78:79], v[36:37], v[36:37] op_sel:[0,1]
	;; [unrolled: 2-line block ×18, first 2 shown]
	v_fmac_f64_e32 v[78:79], v[76:77], v[80:81]
	v_cmp_gt_i32_e32 vcc, 0, v7
	v_mul_f64 v[76:77], v[76:77], v[78:79]
	v_cmp_class_f64_e64 s[54:55], v[6:7], s63
	v_cndmask_b32_e32 v6, v109, v110, vcc
	v_fmac_f64_e32 v[74:75], v[74:75], v[76:77]
	v_bfi_b32 v76, s61, v6, v9
	v_ashrrev_i32_e32 v6, 31, v7
	v_and_b32_e32 v77, 0x400921fb, v6
	v_and_b32_e32 v78, 0x54442d18, v6
	v_add_f64 v[6:7], -v[74:75], s[28:29]
	v_cndmask_b32_e64 v7, v75, v7, s[0:1]
	v_cndmask_b32_e64 v6, v74, v6, s[0:1]
	s_mov_b32 s30, s28
	v_add_f64 v[74:75], -v[6:7], s[30:31]
	v_cmp_class_f64_e64 s[52:53], v[8:9], s63
	v_cndmask_b32_e32 v19, v107, v108, vcc
	v_cndmask_b32_e32 v7, v7, v75, vcc
	;; [unrolled: 1-line block ×3, first 2 shown]
	v_cmp_eq_f64_e32 vcc, 0, v[8:9]
	v_cndmask_b32_e32 v6, v6, v78, vcc
	v_cndmask_b32_e32 v7, v7, v77, vcc
	s_and_b64 vcc, s[54:55], s[52:53]
	v_cndmask_b32_e32 v75, v7, v76, vcc
	v_cndmask_b32_e32 v74, v6, v19, vcc
                                        ; implicit-def: $vgpr76_vgpr77
                                        ; implicit-def: $vgpr80_vgpr81
.LBB198_168:                            ;   in Loop: Header=BB198_162 Depth=1
	s_andn2_saveexec_b64 s[52:53], s[2:3]
	s_cbranch_execz .LBB198_176
; %bb.169:                              ;   in Loop: Header=BB198_162 Depth=1
	v_mul_f64 v[78:79], v[76:77], v[76:77]
	v_fmac_f64_e32 v[78:79], v[80:81], v[80:81]
	v_cmp_ge_f64_e32 vcc, s[34:35], v[78:79]
                                        ; implicit-def: $vgpr72_vgpr73
                                        ; implicit-def: $vgpr74_vgpr75
	s_and_saveexec_b64 s[2:3], vcc
	s_xor_b64 s[2:3], exec, s[2:3]
	s_cbranch_execz .LBB198_171
; %bb.170:                              ;   in Loop: Header=BB198_162 Depth=1
	v_frexp_mant_f64_e32 v[72:73], v[78:79]
	v_cmp_gt_f64_e32 vcc, s[14:15], v[72:73]
	v_cndmask_b32_e64 v19, v111, 2.0, vcc
	v_frexp_exp_i32_f64_e32 v74, v[78:79]
	v_mul_f64 v[72:73], v[72:73], v[18:19]
	v_subbrev_co_u32_e32 v19, vcc, 0, v74, vcc
	v_add_f64 v[74:75], v[72:73], 1.0
	v_rcp_f64_e32 v[76:77], v[74:75]
	v_add_f64 v[82:83], v[74:75], -1.0
	v_add_f64 v[80:81], v[72:73], -1.0
	v_add_f64 v[72:73], v[72:73], -v[82:83]
	v_fma_f64 v[82:83], -v[74:75], v[76:77], 1.0
	v_fmac_f64_e32 v[76:77], v[82:83], v[76:77]
	v_fma_f64 v[82:83], -v[74:75], v[76:77], 1.0
	v_fmac_f64_e32 v[76:77], v[82:83], v[76:77]
	v_mul_f64 v[82:83], v[80:81], v[76:77]
	v_mul_f64 v[84:85], v[74:75], v[82:83]
	v_fma_f64 v[74:75], v[82:83], v[74:75], -v[84:85]
	v_fmac_f64_e32 v[74:75], v[82:83], v[72:73]
	v_add_f64 v[72:73], v[84:85], v[74:75]
	v_add_f64 v[86:87], v[80:81], -v[72:73]
	v_add_f64 v[84:85], v[72:73], -v[84:85]
	;; [unrolled: 1-line block ×5, first 2 shown]
	v_add_f64 v[72:73], v[74:75], v[72:73]
	v_add_f64 v[72:73], v[86:87], v[72:73]
	v_mul_f64 v[72:73], v[76:77], v[72:73]
	v_add_f64 v[74:75], v[82:83], v[72:73]
	v_add_f64 v[76:77], v[74:75], -v[82:83]
	v_add_f64 v[72:73], v[72:73], -v[76:77]
	v_mul_f64 v[76:77], v[74:75], v[74:75]
	v_pk_mov_b32 v[80:81], v[20:21], v[20:21] op_sel:[0,1]
	v_fmac_f64_e32 v[80:81], s[18:19], v[76:77]
	v_pk_mov_b32 v[82:83], v[22:23], v[22:23] op_sel:[0,1]
	v_fmac_f64_e32 v[82:83], v[76:77], v[80:81]
	;; [unrolled: 2-line block ×6, first 2 shown]
	v_ldexp_f64 v[80:81], v[74:75], 1
	v_mul_f64 v[74:75], v[74:75], v[76:77]
	v_mul_f64 v[74:75], v[74:75], v[82:83]
	v_add_f64 v[76:77], v[80:81], v[74:75]
	v_add_f64 v[80:81], v[76:77], -v[80:81]
	v_ldexp_f64 v[72:73], v[72:73], 1
	v_add_f64 v[74:75], v[74:75], -v[80:81]
	v_add_f64 v[72:73], v[72:73], v[74:75]
	v_add_f64 v[74:75], v[76:77], v[72:73]
	v_add_f64 v[76:77], v[74:75], -v[76:77]
	v_add_f64 v[72:73], v[72:73], -v[76:77]
	v_cvt_f64_i32_e32 v[76:77], v19
	v_mul_f64 v[80:81], v[76:77], s[20:21]
	v_fma_f64 v[82:83], v[76:77], s[20:21], -v[80:81]
	v_fmac_f64_e32 v[82:83], s[22:23], v[76:77]
	v_add_f64 v[76:77], v[80:81], v[82:83]
	v_add_f64 v[80:81], v[76:77], -v[80:81]
	v_add_f64 v[80:81], v[82:83], -v[80:81]
	v_add_f64 v[82:83], v[76:77], v[74:75]
	v_add_f64 v[84:85], v[82:83], -v[76:77]
	v_add_f64 v[86:87], v[82:83], -v[84:85]
	;; [unrolled: 1-line block ×4, first 2 shown]
	v_add_f64 v[74:75], v[74:75], v[76:77]
	v_add_f64 v[76:77], v[80:81], v[72:73]
	v_add_f64 v[84:85], v[76:77], -v[80:81]
	v_add_f64 v[86:87], v[76:77], -v[84:85]
	v_add_f64 v[74:75], v[76:77], v[74:75]
	v_add_f64 v[80:81], v[80:81], -v[86:87]
	v_add_f64 v[72:73], v[72:73], -v[84:85]
	v_add_f64 v[76:77], v[82:83], v[74:75]
	v_add_f64 v[72:73], v[72:73], v[80:81]
	v_add_f64 v[80:81], v[76:77], -v[82:83]
	v_add_f64 v[74:75], v[74:75], -v[80:81]
	v_add_f64 v[72:73], v[72:73], v[74:75]
	v_add_f64 v[72:73], v[76:77], v[72:73]
	v_max_f64 v[74:75], |v[8:9]|, |v[8:9]|
	v_max_f64 v[76:77], |v[6:7]|, |v[6:7]|
	v_max_f64 v[80:81], v[76:77], v[74:75]
	v_min_f64 v[74:75], v[76:77], v[74:75]
	v_div_scale_f64 v[76:77], s[54:55], v[80:81], v[80:81], v[74:75]
	v_rcp_f64_e32 v[82:83], v[76:77]
	v_cmp_neq_f64_e32 vcc, 0, v[78:79]
	v_mul_f64 v[72:73], v[72:73], 0.5
	v_cndmask_b32_e32 v73, v106, v73, vcc
	v_fma_f64 v[78:79], -v[76:77], v[82:83], 1.0
	v_fmac_f64_e32 v[82:83], v[82:83], v[78:79]
	v_fma_f64 v[78:79], -v[76:77], v[82:83], 1.0
	v_cndmask_b32_e32 v72, 0, v72, vcc
	v_fmac_f64_e32 v[82:83], v[82:83], v[78:79]
	v_div_scale_f64 v[78:79], vcc, v[74:75], v[80:81], v[74:75]
	v_mul_f64 v[84:85], v[78:79], v[82:83]
	v_fma_f64 v[76:77], -v[76:77], v[84:85], v[78:79]
	v_pk_mov_b32 v[78:79], v[32:33], v[32:33] op_sel:[0,1]
	s_nop 0
	v_div_fmas_f64 v[76:77], v[76:77], v[82:83], v[84:85]
	v_div_fixup_f64 v[74:75], v[76:77], v[80:81], v[74:75]
	v_mul_f64 v[76:77], v[74:75], v[74:75]
	v_fmac_f64_e32 v[78:79], s[26:27], v[76:77]
	v_pk_mov_b32 v[80:81], v[34:35], v[34:35] op_sel:[0,1]
	v_fmac_f64_e32 v[80:81], v[76:77], v[78:79]
	v_pk_mov_b32 v[78:79], v[36:37], v[36:37] op_sel:[0,1]
	;; [unrolled: 2-line block ×18, first 2 shown]
	v_fmac_f64_e32 v[78:79], v[76:77], v[80:81]
	v_cmp_gt_i32_e32 vcc, 0, v7
	v_mul_f64 v[76:77], v[76:77], v[78:79]
	v_cmp_class_f64_e64 s[56:57], v[6:7], s63
	v_cndmask_b32_e32 v6, v109, v110, vcc
	v_fmac_f64_e32 v[74:75], v[74:75], v[76:77]
	v_bfi_b32 v76, s61, v6, v9
	v_ashrrev_i32_e32 v6, 31, v7
	v_and_b32_e32 v77, 0x400921fb, v6
	v_and_b32_e32 v78, 0x54442d18, v6
	v_add_f64 v[6:7], -v[74:75], s[28:29]
	v_cndmask_b32_e64 v7, v75, v7, s[0:1]
	v_cndmask_b32_e64 v6, v74, v6, s[0:1]
	s_mov_b32 s30, s28
	v_add_f64 v[74:75], -v[6:7], s[30:31]
	v_cmp_class_f64_e64 s[54:55], v[8:9], s63
	v_cndmask_b32_e32 v19, v107, v108, vcc
	v_cndmask_b32_e32 v7, v7, v75, vcc
	;; [unrolled: 1-line block ×3, first 2 shown]
	v_cmp_eq_f64_e32 vcc, 0, v[8:9]
	v_cndmask_b32_e32 v6, v6, v78, vcc
	v_cndmask_b32_e32 v7, v7, v77, vcc
	s_and_b64 vcc, s[56:57], s[54:55]
	v_cndmask_b32_e32 v75, v7, v76, vcc
	v_cndmask_b32_e32 v74, v6, v19, vcc
                                        ; implicit-def: $vgpr80_vgpr81
                                        ; implicit-def: $vgpr76_vgpr77
.LBB198_171:                            ;   in Loop: Header=BB198_162 Depth=1
	s_andn2_saveexec_b64 s[54:55], s[2:3]
	s_cbranch_execz .LBB198_175
; %bb.172:                              ;   in Loop: Header=BB198_162 Depth=1
	v_and_b32_e32 v19, 0x7ffffff8, v81
	v_add_f64 v[72:73], v[80:81], -v[18:19]
	v_and_b32_e32 v89, -8, v73
	v_mov_b32_e32 v88, v18
	v_and_b32_e32 v79, 0x7ffffff8, v77
	v_mov_b32_e32 v78, v18
	v_add_f64 v[92:93], v[72:73], -v[88:89]
	v_add_f64 v[72:73], v[76:77], -v[78:79]
	v_and_b32_e32 v91, -8, v73
	v_mov_b32_e32 v90, v18
	v_add_f64 v[82:83], v[18:19], v[18:19]
	v_add_f64 v[96:97], v[78:79], v[78:79]
	v_add_f64 v[94:95], v[72:73], -v[90:91]
	v_mul_f64 v[74:75], v[78:79], v[78:79]
	v_mul_f64 v[80:81], v[82:83], v[88:89]
	;; [unrolled: 1-line block ×5, first 2 shown]
	v_add_f64 v[88:89], v[88:89], v[88:89]
	v_add_f64 v[90:91], v[90:91], v[90:91]
	v_mul_f64 v[72:73], v[18:19], v[18:19]
	v_mul_f64 v[84:85], v[82:83], v[92:93]
	v_mul_f64 v[82:83], v[96:97], v[94:95]
	v_mul_f64 v[88:89], v[88:89], v[92:93]
	v_mul_f64 v[90:91], v[90:91], v[94:95]
	v_mul_f64 v[92:93], v[92:93], v[92:93]
	v_mul_f64 v[94:95], v[94:95], v[94:95]
	s_mov_b64 s[56:57], 0
.LBB198_173:                            ;   Parent Loop BB198_162 Depth=1
                                        ; =>  This Inner Loop Header: Depth=2
	v_cmp_nlt_f64_e32 vcc, v[72:73], v[74:75]
	v_cndmask_b32_e32 v97, v73, v75, vcc
	v_cndmask_b32_e32 v96, v72, v74, vcc
	v_cmp_nlt_f64_e64 s[2:3], v[96:97], v[80:81]
	v_cndmask_b32_e64 v99, v97, v81, s[2:3]
	v_cndmask_b32_e64 v98, v96, v80, s[2:3]
	v_cndmask_b32_e32 v73, v75, v73, vcc
	v_cndmask_b32_e32 v72, v74, v72, vcc
	s_and_b64 s[58:59], vcc, s[2:3]
	v_cmp_nlt_f64_e32 vcc, v[98:99], v[78:79]
	v_cndmask_b32_e64 v75, v81, v97, s[2:3]
	v_cndmask_b32_e64 v74, v80, v96, s[2:3]
	v_cndmask_b32_e32 v97, v99, v79, vcc
	v_cndmask_b32_e32 v96, v98, v78, vcc
	v_cmp_nlt_f64_e64 s[2:3], v[96:97], v[86:87]
	v_cndmask_b32_e32 v81, v79, v99, vcc
	v_cndmask_b32_e32 v80, v78, v98, vcc
	v_cndmask_b32_e64 v99, v97, v87, s[2:3]
	v_cndmask_b32_e64 v98, v96, v86, s[2:3]
	s_and_b64 s[64:65], vcc, s[2:3]
	v_cmp_nlt_f64_e32 vcc, v[98:99], v[76:77]
	v_cndmask_b32_e64 v79, v87, v97, s[2:3]
	v_cndmask_b32_e64 v78, v86, v96, s[2:3]
	v_cndmask_b32_e32 v97, v99, v77, vcc
	v_cndmask_b32_e32 v96, v98, v76, vcc
	v_cmp_nlt_f64_e64 s[2:3], v[96:97], v[84:85]
	v_cndmask_b32_e32 v87, v77, v99, vcc
	v_cndmask_b32_e32 v86, v76, v98, vcc
	v_cndmask_b32_e64 v99, v97, v85, s[2:3]
	v_cndmask_b32_e64 v98, v96, v84, s[2:3]
	v_cndmask_b32_e64 v77, v85, v97, s[2:3]
	v_cndmask_b32_e64 v76, v84, v96, s[2:3]
	s_and_b64 s[2:3], vcc, s[2:3]
	v_cmp_nlt_f64_e32 vcc, v[98:99], v[82:83]
	v_cndmask_b32_e32 v97, v99, v83, vcc
	v_cndmask_b32_e32 v96, v98, v82, vcc
	v_cndmask_b32_e32 v85, v83, v99, vcc
	v_cndmask_b32_e32 v84, v82, v98, vcc
	s_and_b64 s[2:3], s[2:3], vcc
	v_cmp_nlt_f64_e32 vcc, v[96:97], v[88:89]
	v_cndmask_b32_e32 v99, v97, v89, vcc
	v_cndmask_b32_e32 v98, v96, v88, vcc
	v_cndmask_b32_e32 v83, v89, v97, vcc
	v_cndmask_b32_e32 v82, v88, v96, vcc
	s_and_b64 s[2:3], s[2:3], vcc
	;; [unrolled: 6-line block ×4, first 2 shown]
	v_cmp_nlt_f64_e32 vcc, v[98:99], v[94:95]
	s_and_b64 s[2:3], s[2:3], vcc
	s_and_b64 s[2:3], s[2:3], s[64:65]
	s_and_b64 s[2:3], s[2:3], s[58:59]
	v_cndmask_b32_e32 v97, v99, v95, vcc
	v_cndmask_b32_e32 v96, v98, v94, vcc
	s_and_b64 s[2:3], exec, s[2:3]
	v_cndmask_b32_e32 v93, v95, v99, vcc
	v_cndmask_b32_e32 v92, v94, v98, vcc
	s_or_b64 s[56:57], s[2:3], s[56:57]
	v_pk_mov_b32 v[94:95], v[96:97], v[96:97] op_sel:[0,1]
	s_andn2_b64 exec, exec, s[56:57]
	s_cbranch_execnz .LBB198_173
; %bb.174:                              ;   in Loop: Header=BB198_162 Depth=1
	s_or_b64 exec, exec, s[56:57]
	v_add_f64 v[72:73], v[72:73], -1.0
	v_add_f64 v[72:73], v[72:73], v[74:75]
	v_add_f64 v[72:73], v[72:73], v[80:81]
	;; [unrolled: 1-line block ×11, first 2 shown]
	v_add_f64 v[72:73], v[74:75], 1.0
	v_add_f64 v[76:77], v[72:73], -1.0
	v_add_f64 v[78:79], v[76:77], -v[72:73]
	v_add_f64 v[78:79], v[78:79], 1.0
	v_add_f64 v[76:77], v[74:75], -v[76:77]
	v_add_f64 v[76:77], v[76:77], v[78:79]
	v_frexp_mant_f64_e32 v[78:79], v[72:73]
	v_frexp_exp_i32_f64_e32 v19, v[72:73]
	v_cmp_gt_f64_e32 vcc, s[14:15], v[78:79]
	v_subbrev_co_u32_e32 v19, vcc, 0, v19, vcc
	v_sub_u32_e32 v78, 0, v19
	v_ldexp_f64 v[72:73], v[72:73], v78
	v_ldexp_f64 v[76:77], v[76:77], v78
	v_add_f64 v[78:79], v[72:73], -1.0
	v_add_f64 v[84:85], v[72:73], 1.0
	v_add_f64 v[80:81], v[78:79], 1.0
	v_add_f64 v[86:87], v[84:85], -1.0
	v_add_f64 v[80:81], v[72:73], -v[80:81]
	v_add_f64 v[72:73], v[72:73], -v[86:87]
	v_add_f64 v[72:73], v[76:77], v[72:73]
	v_add_f64 v[80:81], v[76:77], v[80:81]
	;; [unrolled: 1-line block ×3, first 2 shown]
	v_rcp_f64_e32 v[86:87], v[76:77]
	v_add_f64 v[82:83], v[78:79], v[80:81]
	v_add_f64 v[78:79], v[82:83], -v[78:79]
	v_add_f64 v[78:79], v[80:81], -v[78:79]
	v_add_f64 v[80:81], v[76:77], -v[84:85]
	v_add_f64 v[72:73], v[72:73], -v[80:81]
	v_fma_f64 v[80:81], -v[76:77], v[86:87], 1.0
	v_fmac_f64_e32 v[86:87], v[80:81], v[86:87]
	v_fma_f64 v[80:81], -v[76:77], v[86:87], 1.0
	v_fmac_f64_e32 v[86:87], v[80:81], v[86:87]
	v_mul_f64 v[80:81], v[82:83], v[86:87]
	v_mul_f64 v[84:85], v[76:77], v[80:81]
	v_fma_f64 v[88:89], v[80:81], v[76:77], -v[84:85]
	v_fmac_f64_e32 v[88:89], v[80:81], v[72:73]
	v_add_f64 v[90:91], v[84:85], v[88:89]
	v_add_f64 v[92:93], v[82:83], -v[90:91]
	v_add_f64 v[82:83], v[82:83], -v[92:93]
	;; [unrolled: 1-line block ×4, first 2 shown]
	v_add_f64 v[78:79], v[78:79], v[82:83]
	v_add_f64 v[82:83], v[84:85], -v[88:89]
	v_add_f64 v[78:79], v[82:83], v[78:79]
	v_add_f64 v[82:83], v[92:93], v[78:79]
	v_add_f64 v[84:85], v[92:93], -v[82:83]
	v_add_f64 v[78:79], v[78:79], v[84:85]
	v_mul_f64 v[84:85], v[86:87], v[82:83]
	v_mul_f64 v[88:89], v[76:77], v[84:85]
	v_fma_f64 v[76:77], v[84:85], v[76:77], -v[88:89]
	v_fmac_f64_e32 v[76:77], v[84:85], v[72:73]
	v_add_f64 v[72:73], v[88:89], v[76:77]
	v_add_f64 v[90:91], v[82:83], -v[72:73]
	v_add_f64 v[82:83], v[82:83], -v[90:91]
	v_add_f64 v[88:89], v[72:73], -v[88:89]
	v_add_f64 v[72:73], v[82:83], -v[72:73]
	v_add_f64 v[72:73], v[78:79], v[72:73]
	v_add_f64 v[76:77], v[88:89], -v[76:77]
	v_add_f64 v[72:73], v[76:77], v[72:73]
	v_add_f64 v[76:77], v[80:81], v[84:85]
	;; [unrolled: 1-line block ×3, first 2 shown]
	v_add_f64 v[78:79], v[76:77], -v[80:81]
	v_mul_f64 v[72:73], v[86:87], v[72:73]
	v_add_f64 v[78:79], v[84:85], -v[78:79]
	v_add_f64 v[72:73], v[78:79], v[72:73]
	v_add_f64 v[78:79], v[76:77], v[72:73]
	v_add_f64 v[76:77], v[78:79], -v[76:77]
	v_add_f64 v[72:73], v[72:73], -v[76:77]
	v_mul_f64 v[76:77], v[78:79], v[78:79]
	v_pk_mov_b32 v[80:81], v[20:21], v[20:21] op_sel:[0,1]
	v_fmac_f64_e32 v[80:81], s[18:19], v[76:77]
	v_pk_mov_b32 v[82:83], v[22:23], v[22:23] op_sel:[0,1]
	v_fmac_f64_e32 v[82:83], v[76:77], v[80:81]
	;; [unrolled: 2-line block ×6, first 2 shown]
	v_cvt_f64_i32_e32 v[80:81], v19
	v_mul_f64 v[84:85], v[80:81], s[20:21]
	v_fma_f64 v[86:87], v[80:81], s[20:21], -v[84:85]
	v_fmac_f64_e32 v[86:87], s[22:23], v[80:81]
	v_add_f64 v[80:81], v[84:85], v[86:87]
	v_add_f64 v[84:85], v[80:81], -v[84:85]
	v_mul_f64 v[76:77], v[78:79], v[76:77]
	v_add_f64 v[84:85], v[86:87], -v[84:85]
	v_ldexp_f64 v[86:87], v[78:79], 1
	v_mul_f64 v[76:77], v[76:77], v[82:83]
	v_add_f64 v[78:79], v[86:87], v[76:77]
	v_add_f64 v[82:83], v[78:79], -v[86:87]
	v_ldexp_f64 v[72:73], v[72:73], 1
	v_add_f64 v[76:77], v[76:77], -v[82:83]
	v_add_f64 v[72:73], v[72:73], v[76:77]
	v_add_f64 v[76:77], v[78:79], v[72:73]
	v_add_f64 v[78:79], v[76:77], -v[78:79]
	v_add_f64 v[72:73], v[72:73], -v[78:79]
	v_add_f64 v[78:79], v[80:81], v[76:77]
	v_add_f64 v[82:83], v[78:79], -v[80:81]
	v_add_f64 v[86:87], v[78:79], -v[82:83]
	;; [unrolled: 1-line block ×4, first 2 shown]
	v_add_f64 v[76:77], v[76:77], v[80:81]
	v_add_f64 v[80:81], v[84:85], v[72:73]
	v_add_f64 v[82:83], v[80:81], -v[84:85]
	v_add_f64 v[76:77], v[80:81], v[76:77]
	v_add_f64 v[86:87], v[80:81], -v[82:83]
	;; [unrolled: 2-line block ×3, first 2 shown]
	v_add_f64 v[72:73], v[72:73], -v[82:83]
	v_add_f64 v[78:79], v[80:81], -v[78:79]
	v_add_f64 v[72:73], v[72:73], v[84:85]
	v_add_f64 v[76:77], v[76:77], -v[78:79]
	v_add_f64 v[72:73], v[72:73], v[76:77]
	v_max_f64 v[76:77], |v[8:9]|, |v[8:9]|
	v_max_f64 v[78:79], |v[6:7]|, |v[6:7]|
	v_add_f64 v[72:73], v[80:81], v[72:73]
	v_max_f64 v[80:81], v[78:79], v[76:77]
	v_min_f64 v[76:77], v[78:79], v[76:77]
	v_div_scale_f64 v[78:79], s[2:3], v[80:81], v[80:81], v[76:77]
	v_cmp_eq_f64_e32 vcc, s[24:25], v[74:75]
	v_rcp_f64_e32 v[82:83], v[78:79]
	v_cndmask_b32_e32 v73, v73, v75, vcc
	v_cndmask_b32_e32 v72, v72, v74, vcc
	v_mul_f64 v[72:73], v[72:73], 0.5
	v_cmp_ngt_f64_e32 vcc, -1.0, v[74:75]
	v_cndmask_b32_e32 v19, v105, v73, vcc
	v_cmp_nge_f64_e32 vcc, -1.0, v[74:75]
	v_cndmask_b32_e32 v72, 0, v72, vcc
	v_cmp_neq_f64_e32 vcc, -1.0, v[74:75]
	v_fma_f64 v[74:75], -v[78:79], v[82:83], 1.0
	v_fmac_f64_e32 v[82:83], v[82:83], v[74:75]
	v_fma_f64 v[74:75], -v[78:79], v[82:83], 1.0
	v_cndmask_b32_e32 v73, v106, v19, vcc
	v_fmac_f64_e32 v[82:83], v[82:83], v[74:75]
	v_div_scale_f64 v[74:75], vcc, v[76:77], v[80:81], v[76:77]
	v_mul_f64 v[84:85], v[74:75], v[82:83]
	v_fma_f64 v[74:75], -v[78:79], v[84:85], v[74:75]
	v_pk_mov_b32 v[78:79], v[32:33], v[32:33] op_sel:[0,1]
	s_nop 0
	v_div_fmas_f64 v[74:75], v[74:75], v[82:83], v[84:85]
	v_div_fixup_f64 v[74:75], v[74:75], v[80:81], v[76:77]
	v_mul_f64 v[76:77], v[74:75], v[74:75]
	v_fmac_f64_e32 v[78:79], s[26:27], v[76:77]
	v_pk_mov_b32 v[80:81], v[34:35], v[34:35] op_sel:[0,1]
	v_fmac_f64_e32 v[80:81], v[76:77], v[78:79]
	v_pk_mov_b32 v[78:79], v[36:37], v[36:37] op_sel:[0,1]
	;; [unrolled: 2-line block ×18, first 2 shown]
	v_fmac_f64_e32 v[78:79], v[76:77], v[80:81]
	v_cmp_gt_i32_e32 vcc, 0, v7
	v_mul_f64 v[76:77], v[76:77], v[78:79]
	v_cmp_class_f64_e64 s[56:57], v[6:7], s63
	v_cndmask_b32_e32 v6, v109, v110, vcc
	v_fmac_f64_e32 v[74:75], v[74:75], v[76:77]
	v_bfi_b32 v76, s61, v6, v9
	v_ashrrev_i32_e32 v6, 31, v7
	v_and_b32_e32 v77, 0x400921fb, v6
	v_and_b32_e32 v78, 0x54442d18, v6
	v_add_f64 v[6:7], -v[74:75], s[28:29]
	v_cndmask_b32_e64 v7, v75, v7, s[0:1]
	v_cndmask_b32_e64 v6, v74, v6, s[0:1]
	s_mov_b32 s30, s28
	v_add_f64 v[74:75], -v[6:7], s[30:31]
	v_cmp_class_f64_e64 s[2:3], v[8:9], s63
	v_cndmask_b32_e32 v19, v107, v108, vcc
	v_cndmask_b32_e32 v7, v7, v75, vcc
	;; [unrolled: 1-line block ×3, first 2 shown]
	v_cmp_eq_f64_e32 vcc, 0, v[8:9]
	v_cndmask_b32_e32 v6, v6, v78, vcc
	v_cndmask_b32_e32 v7, v7, v77, vcc
	s_and_b64 vcc, s[56:57], s[2:3]
	v_cndmask_b32_e32 v75, v7, v76, vcc
	v_cndmask_b32_e32 v74, v6, v19, vcc
.LBB198_175:                            ;   in Loop: Header=BB198_162 Depth=1
	s_or_b64 exec, exec, s[54:55]
.LBB198_176:                            ;   in Loop: Header=BB198_162 Depth=1
	s_or_b64 exec, exec, s[52:53]
.LBB198_177:                            ;   in Loop: Header=BB198_162 Depth=1
	s_andn2_saveexec_b64 s[50:51], s[50:51]
	s_cbranch_execz .LBB198_179
; %bb.178:                              ;   in Loop: Header=BB198_162 Depth=1
	v_max_f64 v[72:73], |v[8:9]|, |v[8:9]|
	v_max_f64 v[74:75], |v[6:7]|, |v[6:7]|
	v_max_f64 v[76:77], v[74:75], v[72:73]
	v_frexp_exp_i32_f64_e32 v19, v[76:77]
	v_sub_u32_e32 v80, 0, v19
	v_ldexp_f64 v[78:79], |v[6:7]|, v80
	v_ldexp_f64 v[80:81], |v[8:9]|, v80
	v_mul_f64 v[80:81], v[80:81], v[80:81]
	v_fmac_f64_e32 v[80:81], v[78:79], v[78:79]
	v_rsq_f64_e32 v[78:79], v[80:81]
	v_cmp_eq_f64_e32 vcc, 0, v[80:81]
	v_cmp_class_f64_e64 s[52:53], v[6:7], s63
	v_cmp_class_f64_e64 s[54:55], v[8:9], s63
	v_mul_f64 v[82:83], v[80:81], v[78:79]
	v_mul_f64 v[78:79], v[78:79], 0.5
	v_fma_f64 v[84:85], -v[78:79], v[82:83], 0.5
	v_fmac_f64_e32 v[82:83], v[82:83], v[84:85]
	v_fmac_f64_e32 v[78:79], v[78:79], v[84:85]
	v_fma_f64 v[84:85], -v[82:83], v[82:83], v[80:81]
	v_fmac_f64_e32 v[82:83], v[84:85], v[78:79]
	v_cndmask_b32_e32 v79, v83, v81, vcc
	v_cndmask_b32_e32 v78, v82, v80, vcc
	v_ldexp_f64 v[78:79], v[78:79], v19
	s_or_b64 vcc, s[52:53], s[54:55]
	v_cndmask_b32_e32 v81, v79, v112, vcc
	v_cndmask_b32_e64 v80, v78, 0, vcc
	v_frexp_mant_f64_e32 v[82:83], v[80:81]
	v_cmp_gt_f64_e64 s[2:3], s[14:15], v[82:83]
	v_cndmask_b32_e64 v19, v111, 2.0, s[2:3]
	v_mul_f64 v[82:83], v[82:83], v[18:19]
	v_add_f64 v[84:85], v[82:83], 1.0
	v_rcp_f64_e32 v[86:87], v[84:85]
	v_add_f64 v[90:91], v[84:85], -1.0
	v_add_f64 v[88:89], v[82:83], -1.0
	v_add_f64 v[82:83], v[82:83], -v[90:91]
	v_fma_f64 v[90:91], -v[84:85], v[86:87], 1.0
	v_fmac_f64_e32 v[86:87], v[90:91], v[86:87]
	v_fma_f64 v[90:91], -v[84:85], v[86:87], 1.0
	v_fmac_f64_e32 v[86:87], v[90:91], v[86:87]
	v_mul_f64 v[90:91], v[88:89], v[86:87]
	v_mul_f64 v[92:93], v[84:85], v[90:91]
	v_fma_f64 v[84:85], v[90:91], v[84:85], -v[92:93]
	v_fmac_f64_e32 v[84:85], v[90:91], v[82:83]
	v_add_f64 v[82:83], v[92:93], v[84:85]
	v_add_f64 v[94:95], v[88:89], -v[82:83]
	v_add_f64 v[92:93], v[82:83], -v[92:93]
	;; [unrolled: 1-line block ×5, first 2 shown]
	v_add_f64 v[82:83], v[84:85], v[82:83]
	v_add_f64 v[82:83], v[94:95], v[82:83]
	v_mul_f64 v[82:83], v[86:87], v[82:83]
	v_add_f64 v[84:85], v[90:91], v[82:83]
	v_add_f64 v[86:87], v[84:85], -v[90:91]
	v_add_f64 v[82:83], v[82:83], -v[86:87]
	v_mul_f64 v[86:87], v[84:85], v[84:85]
	v_pk_mov_b32 v[88:89], v[20:21], v[20:21] op_sel:[0,1]
	v_fmac_f64_e32 v[88:89], s[18:19], v[86:87]
	v_pk_mov_b32 v[90:91], v[22:23], v[22:23] op_sel:[0,1]
	v_fmac_f64_e32 v[90:91], v[86:87], v[88:89]
	;; [unrolled: 2-line block ×6, first 2 shown]
	v_ldexp_f64 v[88:89], v[84:85], 1
	v_mul_f64 v[84:85], v[84:85], v[86:87]
	v_mul_f64 v[84:85], v[84:85], v[90:91]
	v_add_f64 v[86:87], v[88:89], v[84:85]
	v_add_f64 v[88:89], v[86:87], -v[88:89]
	v_ldexp_f64 v[82:83], v[82:83], 1
	v_add_f64 v[84:85], v[84:85], -v[88:89]
	v_add_f64 v[82:83], v[82:83], v[84:85]
	v_frexp_exp_i32_f64_e32 v6, v[80:81]
	v_add_f64 v[84:85], v[86:87], v[82:83]
	v_subbrev_co_u32_e64 v6, s[2:3], 0, v6, s[2:3]
	v_add_f64 v[86:87], v[84:85], -v[86:87]
	v_add_f64 v[82:83], v[82:83], -v[86:87]
	v_cvt_f64_i32_e32 v[86:87], v6
	v_mul_f64 v[88:89], v[86:87], s[20:21]
	v_fma_f64 v[90:91], v[86:87], s[20:21], -v[88:89]
	v_fmac_f64_e32 v[90:91], s[22:23], v[86:87]
	v_add_f64 v[86:87], v[88:89], v[90:91]
	v_add_f64 v[88:89], v[86:87], -v[88:89]
	v_add_f64 v[88:89], v[90:91], -v[88:89]
	v_add_f64 v[90:91], v[86:87], v[84:85]
	v_add_f64 v[92:93], v[90:91], -v[86:87]
	v_add_f64 v[94:95], v[90:91], -v[92:93]
	;; [unrolled: 1-line block ×4, first 2 shown]
	v_add_f64 v[84:85], v[84:85], v[86:87]
	v_add_f64 v[86:87], v[88:89], v[82:83]
	v_add_f64 v[92:93], v[86:87], -v[88:89]
	v_add_f64 v[94:95], v[86:87], -v[92:93]
	v_add_f64 v[84:85], v[86:87], v[84:85]
	v_add_f64 v[88:89], v[88:89], -v[94:95]
	v_add_f64 v[82:83], v[82:83], -v[92:93]
	v_add_f64 v[86:87], v[90:91], v[84:85]
	v_add_f64 v[82:83], v[82:83], v[88:89]
	v_add_f64 v[88:89], v[86:87], -v[90:91]
	v_add_f64 v[84:85], v[84:85], -v[88:89]
	v_add_f64 v[82:83], v[82:83], v[84:85]
	v_add_f64 v[82:83], v[86:87], v[82:83]
	v_cmp_class_f64_e64 s[2:3], v[78:79], s63
	v_min_f64 v[74:75], v[74:75], v[72:73]
	v_cndmask_b32_e64 v6, v83, v79, s[2:3]
	v_cndmask_b32_e64 v19, v82, v78, s[2:3]
	v_div_scale_f64 v[78:79], s[2:3], v[76:77], v[76:77], v[74:75]
	v_rcp_f64_e32 v[82:83], v[78:79]
	v_cndmask_b32_e64 v19, v19, 0, vcc
	v_cndmask_b32_e32 v6, v6, v112, vcc
	v_cmp_ngt_f64_e32 vcc, 0, v[80:81]
	v_cndmask_b32_e32 v6, v105, v6, vcc
	v_cmp_nge_f64_e32 vcc, 0, v[80:81]
	v_cndmask_b32_e32 v72, 0, v19, vcc
	v_cmp_neq_f64_e32 vcc, 0, v[80:81]
	v_fma_f64 v[80:81], -v[78:79], v[82:83], 1.0
	v_fmac_f64_e32 v[82:83], v[82:83], v[80:81]
	v_fma_f64 v[80:81], -v[78:79], v[82:83], 1.0
	v_cndmask_b32_e32 v73, v106, v6, vcc
	v_fmac_f64_e32 v[82:83], v[82:83], v[80:81]
	v_div_scale_f64 v[80:81], vcc, v[74:75], v[76:77], v[74:75]
	v_mul_f64 v[84:85], v[80:81], v[82:83]
	v_fma_f64 v[78:79], -v[78:79], v[84:85], v[80:81]
	v_pk_mov_b32 v[80:81], v[34:35], v[34:35] op_sel:[0,1]
	s_nop 0
	v_div_fmas_f64 v[78:79], v[78:79], v[82:83], v[84:85]
	v_div_fixup_f64 v[74:75], v[78:79], v[76:77], v[74:75]
	v_mul_f64 v[76:77], v[74:75], v[74:75]
	v_pk_mov_b32 v[78:79], v[32:33], v[32:33] op_sel:[0,1]
	v_fmac_f64_e32 v[78:79], s[26:27], v[76:77]
	v_fmac_f64_e32 v[80:81], v[76:77], v[78:79]
	v_pk_mov_b32 v[78:79], v[36:37], v[36:37] op_sel:[0,1]
	v_fmac_f64_e32 v[78:79], v[76:77], v[80:81]
	v_pk_mov_b32 v[80:81], v[38:39], v[38:39] op_sel:[0,1]
	;; [unrolled: 2-line block ×17, first 2 shown]
	v_fmac_f64_e32 v[78:79], v[76:77], v[80:81]
	v_cmp_gt_i32_e32 vcc, 0, v7
	v_mul_f64 v[76:77], v[76:77], v[78:79]
	v_cndmask_b32_e32 v6, v109, v110, vcc
	v_fmac_f64_e32 v[74:75], v[74:75], v[76:77]
	v_bfi_b32 v76, s61, v6, v9
	v_ashrrev_i32_e32 v6, 31, v7
	v_and_b32_e32 v77, 0x400921fb, v6
	v_and_b32_e32 v78, 0x54442d18, v6
	v_add_f64 v[6:7], -v[74:75], s[28:29]
	v_cndmask_b32_e64 v7, v75, v7, s[0:1]
	v_cndmask_b32_e64 v6, v74, v6, s[0:1]
	s_mov_b32 s30, s28
	v_add_f64 v[74:75], -v[6:7], s[30:31]
	v_cndmask_b32_e32 v19, v107, v108, vcc
	v_cndmask_b32_e32 v7, v7, v75, vcc
	v_cndmask_b32_e32 v6, v6, v74, vcc
	v_cmp_eq_f64_e32 vcc, 0, v[8:9]
	v_cndmask_b32_e32 v6, v6, v78, vcc
	v_cndmask_b32_e32 v7, v7, v77, vcc
	s_and_b64 vcc, s[52:53], s[54:55]
	v_cndmask_b32_e32 v75, v7, v76, vcc
	v_cndmask_b32_e32 v74, v6, v19, vcc
.LBB198_179:                            ;   in Loop: Header=BB198_162 Depth=1
	s_or_b64 exec, exec, s[50:51]
                                        ; implicit-def: $vgpr76_vgpr77
.LBB198_180:                            ;   in Loop: Header=BB198_162 Depth=1
	s_andn2_saveexec_b64 s[2:3], s[48:49]
	s_cbranch_execz .LBB198_186
; %bb.181:                              ;   in Loop: Header=BB198_162 Depth=1
	v_cmp_ngt_f64_e32 vcc, s[36:37], v[76:77]
                                        ; implicit-def: $vgpr72_vgpr73
                                        ; implicit-def: $vgpr74_vgpr75
	s_and_saveexec_b64 s[48:49], vcc
	s_xor_b64 s[48:49], exec, s[48:49]
	s_cbranch_execz .LBB198_183
; %bb.182:                              ;   in Loop: Header=BB198_162 Depth=1
	v_mul_f64 v[72:73], v[76:77], v[76:77]
	v_add_f64 v[74:75], v[72:73], 1.0
	v_add_f64 v[76:77], v[74:75], -1.0
	v_add_f64 v[78:79], v[76:77], -v[74:75]
	v_add_f64 v[78:79], v[78:79], 1.0
	v_add_f64 v[76:77], v[72:73], -v[76:77]
	v_add_f64 v[76:77], v[76:77], v[78:79]
	v_frexp_mant_f64_e32 v[78:79], v[74:75]
	v_frexp_exp_i32_f64_e32 v19, v[74:75]
	v_cmp_gt_f64_e32 vcc, s[14:15], v[78:79]
	v_subbrev_co_u32_e32 v19, vcc, 0, v19, vcc
	v_sub_u32_e32 v78, 0, v19
	v_ldexp_f64 v[74:75], v[74:75], v78
	v_ldexp_f64 v[76:77], v[76:77], v78
	v_add_f64 v[78:79], v[74:75], -1.0
	v_add_f64 v[84:85], v[74:75], 1.0
	v_add_f64 v[80:81], v[78:79], 1.0
	v_add_f64 v[86:87], v[84:85], -1.0
	v_add_f64 v[80:81], v[74:75], -v[80:81]
	v_add_f64 v[74:75], v[74:75], -v[86:87]
	v_add_f64 v[74:75], v[76:77], v[74:75]
	v_add_f64 v[80:81], v[76:77], v[80:81]
	;; [unrolled: 1-line block ×3, first 2 shown]
	v_rcp_f64_e32 v[86:87], v[76:77]
	v_add_f64 v[82:83], v[78:79], v[80:81]
	v_add_f64 v[78:79], v[78:79], -v[82:83]
	v_add_f64 v[78:79], v[80:81], v[78:79]
	v_add_f64 v[80:81], v[84:85], -v[76:77]
	v_add_f64 v[74:75], v[74:75], v[80:81]
	v_fma_f64 v[80:81], -v[76:77], v[86:87], 1.0
	v_fmac_f64_e32 v[86:87], v[80:81], v[86:87]
	v_fma_f64 v[80:81], -v[76:77], v[86:87], 1.0
	v_fmac_f64_e32 v[86:87], v[80:81], v[86:87]
	v_mul_f64 v[80:81], v[82:83], v[86:87]
	v_mul_f64 v[84:85], v[76:77], v[80:81]
	v_fma_f64 v[88:89], v[80:81], v[76:77], -v[84:85]
	v_fmac_f64_e32 v[88:89], v[80:81], v[74:75]
	v_add_f64 v[90:91], v[84:85], v[88:89]
	v_add_f64 v[92:93], v[82:83], -v[90:91]
	v_add_f64 v[82:83], v[82:83], -v[92:93]
	;; [unrolled: 1-line block ×4, first 2 shown]
	v_add_f64 v[78:79], v[78:79], v[82:83]
	v_add_f64 v[82:83], v[84:85], -v[88:89]
	v_add_f64 v[78:79], v[82:83], v[78:79]
	v_add_f64 v[82:83], v[92:93], v[78:79]
	v_add_f64 v[84:85], v[92:93], -v[82:83]
	v_add_f64 v[78:79], v[78:79], v[84:85]
	v_mul_f64 v[84:85], v[86:87], v[82:83]
	v_mul_f64 v[88:89], v[76:77], v[84:85]
	v_fma_f64 v[76:77], v[84:85], v[76:77], -v[88:89]
	v_fmac_f64_e32 v[76:77], v[84:85], v[74:75]
	v_add_f64 v[74:75], v[88:89], v[76:77]
	v_add_f64 v[90:91], v[82:83], -v[74:75]
	v_add_f64 v[82:83], v[82:83], -v[90:91]
	v_add_f64 v[88:89], v[74:75], -v[88:89]
	v_add_f64 v[74:75], v[82:83], -v[74:75]
	v_add_f64 v[74:75], v[78:79], v[74:75]
	v_add_f64 v[76:77], v[88:89], -v[76:77]
	v_add_f64 v[74:75], v[76:77], v[74:75]
	v_add_f64 v[76:77], v[80:81], v[84:85]
	;; [unrolled: 1-line block ×3, first 2 shown]
	v_add_f64 v[78:79], v[76:77], -v[80:81]
	v_mul_f64 v[74:75], v[86:87], v[74:75]
	v_add_f64 v[78:79], v[84:85], -v[78:79]
	v_add_f64 v[74:75], v[78:79], v[74:75]
	v_add_f64 v[78:79], v[76:77], v[74:75]
	v_add_f64 v[76:77], v[78:79], -v[76:77]
	v_add_f64 v[74:75], v[74:75], -v[76:77]
	v_mul_f64 v[76:77], v[78:79], v[78:79]
	v_pk_mov_b32 v[80:81], v[20:21], v[20:21] op_sel:[0,1]
	v_fmac_f64_e32 v[80:81], s[18:19], v[76:77]
	v_pk_mov_b32 v[82:83], v[22:23], v[22:23] op_sel:[0,1]
	v_fmac_f64_e32 v[82:83], v[76:77], v[80:81]
	;; [unrolled: 2-line block ×6, first 2 shown]
	v_cvt_f64_i32_e32 v[80:81], v19
	v_mul_f64 v[84:85], v[80:81], s[20:21]
	v_fma_f64 v[86:87], v[80:81], s[20:21], -v[84:85]
	v_fmac_f64_e32 v[86:87], s[22:23], v[80:81]
	v_add_f64 v[80:81], v[84:85], v[86:87]
	v_add_f64 v[84:85], v[80:81], -v[84:85]
	v_mul_f64 v[76:77], v[78:79], v[76:77]
	v_add_f64 v[84:85], v[86:87], -v[84:85]
	v_ldexp_f64 v[86:87], v[78:79], 1
	v_mul_f64 v[76:77], v[76:77], v[82:83]
	v_add_f64 v[78:79], v[86:87], v[76:77]
	v_add_f64 v[82:83], v[78:79], -v[86:87]
	v_ldexp_f64 v[74:75], v[74:75], 1
	v_add_f64 v[76:77], v[76:77], -v[82:83]
	v_add_f64 v[74:75], v[74:75], v[76:77]
	v_add_f64 v[76:77], v[78:79], v[74:75]
	v_add_f64 v[78:79], v[76:77], -v[78:79]
	v_add_f64 v[74:75], v[74:75], -v[78:79]
	v_add_f64 v[78:79], v[80:81], v[76:77]
	v_add_f64 v[82:83], v[78:79], -v[80:81]
	v_add_f64 v[86:87], v[78:79], -v[82:83]
	;; [unrolled: 1-line block ×4, first 2 shown]
	v_add_f64 v[76:77], v[76:77], v[80:81]
	v_add_f64 v[80:81], v[84:85], v[74:75]
	v_add_f64 v[82:83], v[80:81], -v[84:85]
	v_add_f64 v[76:77], v[80:81], v[76:77]
	v_add_f64 v[86:87], v[80:81], -v[82:83]
	v_add_f64 v[80:81], v[78:79], v[76:77]
	v_add_f64 v[84:85], v[84:85], -v[86:87]
	v_add_f64 v[74:75], v[74:75], -v[82:83]
	v_add_f64 v[78:79], v[80:81], -v[78:79]
	v_add_f64 v[74:75], v[74:75], v[84:85]
	v_add_f64 v[76:77], v[76:77], -v[78:79]
	v_add_f64 v[74:75], v[74:75], v[76:77]
	v_max_f64 v[76:77], |v[8:9]|, |v[8:9]|
	v_max_f64 v[78:79], |v[6:7]|, |v[6:7]|
	v_add_f64 v[74:75], v[80:81], v[74:75]
	v_max_f64 v[80:81], v[78:79], v[76:77]
	v_min_f64 v[76:77], v[78:79], v[76:77]
	v_div_scale_f64 v[78:79], s[50:51], v[80:81], v[80:81], v[76:77]
	v_rcp_f64_e32 v[82:83], v[78:79]
	v_cmp_eq_f64_e32 vcc, s[24:25], v[72:73]
	v_cndmask_b32_e32 v73, v75, v73, vcc
	v_cndmask_b32_e32 v72, v74, v72, vcc
	v_fma_f64 v[74:75], -v[78:79], v[82:83], 1.0
	v_fmac_f64_e32 v[82:83], v[82:83], v[74:75]
	v_fma_f64 v[74:75], -v[78:79], v[82:83], 1.0
	v_fmac_f64_e32 v[82:83], v[82:83], v[74:75]
	v_div_scale_f64 v[74:75], vcc, v[76:77], v[80:81], v[76:77]
	v_mul_f64 v[84:85], v[74:75], v[82:83]
	v_fma_f64 v[74:75], -v[78:79], v[84:85], v[74:75]
	v_pk_mov_b32 v[78:79], v[32:33], v[32:33] op_sel:[0,1]
	s_nop 0
	v_div_fmas_f64 v[74:75], v[74:75], v[82:83], v[84:85]
	v_div_fixup_f64 v[74:75], v[74:75], v[80:81], v[76:77]
	v_mul_f64 v[76:77], v[74:75], v[74:75]
	v_fmac_f64_e32 v[78:79], s[26:27], v[76:77]
	v_pk_mov_b32 v[80:81], v[34:35], v[34:35] op_sel:[0,1]
	v_fmac_f64_e32 v[80:81], v[76:77], v[78:79]
	v_pk_mov_b32 v[78:79], v[36:37], v[36:37] op_sel:[0,1]
	;; [unrolled: 2-line block ×18, first 2 shown]
	v_fmac_f64_e32 v[78:79], v[76:77], v[80:81]
	v_cmp_gt_i32_e32 vcc, 0, v7
	v_mul_f64 v[76:77], v[76:77], v[78:79]
	v_cmp_class_f64_e64 s[52:53], v[6:7], s63
	v_cndmask_b32_e32 v6, v109, v110, vcc
	v_fmac_f64_e32 v[74:75], v[74:75], v[76:77]
	v_bfi_b32 v76, s61, v6, v9
	v_ashrrev_i32_e32 v6, 31, v7
	v_and_b32_e32 v77, 0x400921fb, v6
	v_and_b32_e32 v78, 0x54442d18, v6
	v_add_f64 v[6:7], -v[74:75], s[28:29]
	v_cndmask_b32_e64 v7, v75, v7, s[0:1]
	v_cndmask_b32_e64 v6, v74, v6, s[0:1]
	s_mov_b32 s30, s28
	v_add_f64 v[74:75], -v[6:7], s[30:31]
	v_cmp_class_f64_e64 s[50:51], v[8:9], s63
	v_cndmask_b32_e32 v19, v107, v108, vcc
	v_cndmask_b32_e32 v7, v7, v75, vcc
	;; [unrolled: 1-line block ×3, first 2 shown]
	v_cmp_eq_f64_e32 vcc, 0, v[8:9]
	v_cndmask_b32_e32 v6, v6, v78, vcc
	v_cndmask_b32_e32 v7, v7, v77, vcc
	s_and_b64 vcc, s[52:53], s[50:51]
	v_mul_f64 v[72:73], v[72:73], 0.5
	v_cndmask_b32_e32 v75, v7, v76, vcc
	v_cndmask_b32_e32 v74, v6, v19, vcc
                                        ; implicit-def: $vgpr76_vgpr77
.LBB198_183:                            ;   in Loop: Header=BB198_162 Depth=1
	s_andn2_saveexec_b64 s[48:49], s[48:49]
	s_cbranch_execz .LBB198_185
; %bb.184:                              ;   in Loop: Header=BB198_162 Depth=1
	v_max_f64 v[72:73], |v[8:9]|, |v[8:9]|
	v_max_f64 v[74:75], |v[6:7]|, |v[6:7]|
	v_max_f64 v[78:79], v[74:75], v[72:73]
	v_min_f64 v[74:75], v[74:75], v[72:73]
	v_div_scale_f64 v[80:81], s[50:51], v[78:79], v[78:79], v[74:75]
	v_rcp_f64_e32 v[82:83], v[80:81]
	v_mul_f64 v[72:73], v[76:77], 0.5
	v_mul_f64 v[72:73], v[76:77], v[72:73]
	v_cmp_class_f64_e64 s[52:53], v[6:7], s63
	v_fma_f64 v[76:77], -v[80:81], v[82:83], 1.0
	v_fmac_f64_e32 v[82:83], v[82:83], v[76:77]
	v_fma_f64 v[76:77], -v[80:81], v[82:83], 1.0
	v_fmac_f64_e32 v[82:83], v[82:83], v[76:77]
	v_div_scale_f64 v[76:77], vcc, v[74:75], v[78:79], v[74:75]
	v_mul_f64 v[84:85], v[76:77], v[82:83]
	v_fma_f64 v[76:77], -v[80:81], v[84:85], v[76:77]
	v_pk_mov_b32 v[80:81], v[34:35], v[34:35] op_sel:[0,1]
	s_nop 0
	v_div_fmas_f64 v[76:77], v[76:77], v[82:83], v[84:85]
	v_div_fixup_f64 v[74:75], v[76:77], v[78:79], v[74:75]
	v_mul_f64 v[76:77], v[74:75], v[74:75]
	v_pk_mov_b32 v[78:79], v[32:33], v[32:33] op_sel:[0,1]
	v_fmac_f64_e32 v[78:79], s[26:27], v[76:77]
	v_fmac_f64_e32 v[80:81], v[76:77], v[78:79]
	v_pk_mov_b32 v[78:79], v[36:37], v[36:37] op_sel:[0,1]
	v_fmac_f64_e32 v[78:79], v[76:77], v[80:81]
	v_pk_mov_b32 v[80:81], v[38:39], v[38:39] op_sel:[0,1]
	;; [unrolled: 2-line block ×17, first 2 shown]
	v_fmac_f64_e32 v[78:79], v[76:77], v[80:81]
	v_cmp_gt_i32_e32 vcc, 0, v7
	v_mul_f64 v[76:77], v[76:77], v[78:79]
	v_cndmask_b32_e32 v6, v109, v110, vcc
	v_fmac_f64_e32 v[74:75], v[74:75], v[76:77]
	v_bfi_b32 v76, s61, v6, v9
	v_ashrrev_i32_e32 v6, 31, v7
	v_and_b32_e32 v77, 0x400921fb, v6
	v_and_b32_e32 v78, 0x54442d18, v6
	v_add_f64 v[6:7], -v[74:75], s[28:29]
	v_cndmask_b32_e64 v7, v75, v7, s[0:1]
	v_cndmask_b32_e64 v6, v74, v6, s[0:1]
	s_mov_b32 s30, s28
	v_add_f64 v[74:75], -v[6:7], s[30:31]
	v_cmp_class_f64_e64 s[50:51], v[8:9], s63
	v_cndmask_b32_e32 v19, v107, v108, vcc
	v_cndmask_b32_e32 v7, v7, v75, vcc
	;; [unrolled: 1-line block ×3, first 2 shown]
	v_cmp_eq_f64_e32 vcc, 0, v[8:9]
	v_cndmask_b32_e32 v6, v6, v78, vcc
	v_cndmask_b32_e32 v7, v7, v77, vcc
	s_and_b64 vcc, s[52:53], s[50:51]
	v_cndmask_b32_e32 v75, v7, v76, vcc
	v_cndmask_b32_e32 v74, v6, v19, vcc
.LBB198_185:                            ;   in Loop: Header=BB198_162 Depth=1
	s_or_b64 exec, exec, s[48:49]
.LBB198_186:                            ;   in Loop: Header=BB198_162 Depth=1
	s_or_b64 exec, exec, s[2:3]
.LBB198_187:                            ;   in Loop: Header=BB198_162 Depth=1
	s_andn2_saveexec_b64 s[48:49], s[4:5]
	s_cbranch_execz .LBB198_189
; %bb.188:                              ;   in Loop: Header=BB198_162 Depth=1
	v_div_scale_f64 v[72:73], s[2:3], s[38:39], s[38:39], v[6:7]
	v_rcp_f64_e32 v[74:75], v[72:73]
	v_div_scale_f64 v[76:77], vcc, v[6:7], s[38:39], v[6:7]
	s_mov_b32 s30, s28
	v_fma_f64 v[78:79], -v[72:73], v[74:75], 1.0
	v_fmac_f64_e32 v[74:75], v[74:75], v[78:79]
	v_fma_f64 v[78:79], -v[72:73], v[74:75], 1.0
	v_fmac_f64_e32 v[74:75], v[74:75], v[78:79]
	v_mul_f64 v[78:79], v[76:77], v[74:75]
	v_fma_f64 v[72:73], -v[72:73], v[78:79], v[76:77]
	v_div_scale_f64 v[76:77], s[2:3], s[38:39], s[38:39], v[8:9]
	v_rcp_f64_e32 v[80:81], v[76:77]
	v_div_fmas_f64 v[72:73], v[72:73], v[74:75], v[78:79]
	v_div_fixup_f64 v[72:73], v[72:73], s[38:39], v[6:7]
	v_cmp_class_f64_e64 s[4:5], v[72:73], s63
	v_fma_f64 v[74:75], -v[76:77], v[80:81], 1.0
	v_fmac_f64_e32 v[80:81], v[80:81], v[74:75]
	v_fma_f64 v[74:75], -v[76:77], v[80:81], 1.0
	v_fmac_f64_e32 v[80:81], v[80:81], v[74:75]
	v_div_scale_f64 v[74:75], vcc, v[8:9], s[38:39], v[8:9]
	v_mul_f64 v[78:79], v[74:75], v[80:81]
	v_fma_f64 v[74:75], -v[76:77], v[78:79], v[74:75]
	s_nop 1
	v_div_fmas_f64 v[74:75], v[74:75], v[80:81], v[78:79]
	v_div_fixup_f64 v[74:75], v[74:75], s[38:39], v[8:9]
	v_max_f64 v[76:77], |v[72:73]|, |v[74:75]|
	v_frexp_exp_i32_f64_e32 v19, v[76:77]
	v_sub_u32_e32 v78, 0, v19
	v_ldexp_f64 v[76:77], |v[72:73]|, v78
	v_ldexp_f64 v[78:79], |v[74:75]|, v78
	v_mul_f64 v[78:79], v[78:79], v[78:79]
	v_fmac_f64_e32 v[78:79], v[76:77], v[76:77]
	v_rsq_f64_e32 v[76:77], v[78:79]
	v_cmp_eq_f64_e32 vcc, 0, v[78:79]
	v_cmp_o_f64_e64 s[2:3], v[72:73], v[74:75]
	v_cmp_class_f64_e64 s[50:51], v[74:75], s63
	v_mul_f64 v[80:81], v[78:79], v[76:77]
	v_mul_f64 v[76:77], v[76:77], 0.5
	v_fma_f64 v[82:83], -v[76:77], v[80:81], 0.5
	v_fmac_f64_e32 v[80:81], v[80:81], v[82:83]
	v_fmac_f64_e32 v[76:77], v[76:77], v[82:83]
	v_fma_f64 v[82:83], -v[80:81], v[80:81], v[78:79]
	v_fmac_f64_e32 v[80:81], v[82:83], v[76:77]
	v_cndmask_b32_e32 v77, v81, v79, vcc
	v_cndmask_b32_e32 v76, v80, v78, vcc
	v_ldexp_f64 v[76:77], v[76:77], v19
	v_cndmask_b32_e64 v90, 0, v76, s[2:3]
	v_cndmask_b32_e64 v91, v105, v77, s[2:3]
	s_or_b64 vcc, s[4:5], s[50:51]
	v_cndmask_b32_e32 v75, v91, v112, vcc
	v_cndmask_b32_e64 v74, v90, 0, vcc
	v_frexp_mant_f64_e32 v[72:73], v[74:75]
	v_cmp_gt_f64_e64 s[4:5], s[14:15], v[72:73]
	v_cndmask_b32_e64 v19, v111, 2.0, s[4:5]
	v_frexp_exp_i32_f64_e32 v78, v[74:75]
	v_mul_f64 v[72:73], v[72:73], v[18:19]
	v_subbrev_co_u32_e64 v19, s[4:5], 0, v78, s[4:5]
	v_add_f64 v[78:79], v[72:73], 1.0
	v_rcp_f64_e32 v[80:81], v[78:79]
	v_add_f64 v[84:85], v[78:79], -1.0
	v_add_f64 v[82:83], v[72:73], -1.0
	v_add_f64 v[72:73], v[72:73], -v[84:85]
	v_fma_f64 v[84:85], -v[78:79], v[80:81], 1.0
	v_fmac_f64_e32 v[80:81], v[84:85], v[80:81]
	v_fma_f64 v[84:85], -v[78:79], v[80:81], 1.0
	v_fmac_f64_e32 v[80:81], v[84:85], v[80:81]
	v_mul_f64 v[84:85], v[82:83], v[80:81]
	v_mul_f64 v[86:87], v[78:79], v[84:85]
	v_fma_f64 v[78:79], v[84:85], v[78:79], -v[86:87]
	v_fmac_f64_e32 v[78:79], v[84:85], v[72:73]
	v_add_f64 v[72:73], v[86:87], v[78:79]
	v_add_f64 v[88:89], v[82:83], -v[72:73]
	v_add_f64 v[86:87], v[72:73], -v[86:87]
	;; [unrolled: 1-line block ×5, first 2 shown]
	v_add_f64 v[72:73], v[78:79], v[72:73]
	v_add_f64 v[72:73], v[88:89], v[72:73]
	v_mul_f64 v[72:73], v[80:81], v[72:73]
	v_add_f64 v[78:79], v[84:85], v[72:73]
	v_add_f64 v[80:81], v[78:79], -v[84:85]
	v_add_f64 v[72:73], v[72:73], -v[80:81]
	v_mul_f64 v[80:81], v[78:79], v[78:79]
	v_pk_mov_b32 v[82:83], v[20:21], v[20:21] op_sel:[0,1]
	v_fmac_f64_e32 v[82:83], s[18:19], v[80:81]
	v_pk_mov_b32 v[84:85], v[22:23], v[22:23] op_sel:[0,1]
	v_fmac_f64_e32 v[84:85], v[80:81], v[82:83]
	;; [unrolled: 2-line block ×6, first 2 shown]
	v_ldexp_f64 v[82:83], v[78:79], 1
	v_mul_f64 v[78:79], v[78:79], v[80:81]
	v_mul_f64 v[78:79], v[78:79], v[84:85]
	v_add_f64 v[80:81], v[82:83], v[78:79]
	v_add_f64 v[82:83], v[80:81], -v[82:83]
	v_ldexp_f64 v[72:73], v[72:73], 1
	v_add_f64 v[78:79], v[78:79], -v[82:83]
	v_add_f64 v[72:73], v[72:73], v[78:79]
	v_add_f64 v[78:79], v[80:81], v[72:73]
	v_add_f64 v[80:81], v[78:79], -v[80:81]
	v_add_f64 v[72:73], v[72:73], -v[80:81]
	v_cvt_f64_i32_e32 v[80:81], v19
	v_mul_f64 v[82:83], v[80:81], s[20:21]
	v_fma_f64 v[84:85], v[80:81], s[20:21], -v[82:83]
	v_fmac_f64_e32 v[84:85], s[22:23], v[80:81]
	v_add_f64 v[80:81], v[82:83], v[84:85]
	v_add_f64 v[82:83], v[80:81], -v[82:83]
	v_add_f64 v[82:83], v[84:85], -v[82:83]
	v_add_f64 v[84:85], v[80:81], v[78:79]
	v_add_f64 v[86:87], v[84:85], -v[80:81]
	v_add_f64 v[88:89], v[84:85], -v[86:87]
	;; [unrolled: 1-line block ×4, first 2 shown]
	v_add_f64 v[78:79], v[78:79], v[80:81]
	v_add_f64 v[80:81], v[82:83], v[72:73]
	v_add_f64 v[86:87], v[80:81], -v[82:83]
	v_add_f64 v[88:89], v[80:81], -v[86:87]
	v_add_f64 v[78:79], v[80:81], v[78:79]
	v_add_f64 v[82:83], v[82:83], -v[88:89]
	v_add_f64 v[72:73], v[72:73], -v[86:87]
	v_add_f64 v[80:81], v[84:85], v[78:79]
	v_add_f64 v[72:73], v[72:73], v[82:83]
	v_add_f64 v[82:83], v[80:81], -v[84:85]
	v_add_f64 v[78:79], v[78:79], -v[82:83]
	v_and_b32_e32 v77, 0x7fffffff, v77
	v_add_f64 v[72:73], v[72:73], v[78:79]
	v_cmp_eq_f64_e64 s[4:5], s[24:25], v[76:77]
	v_add_f64 v[72:73], v[80:81], v[72:73]
	s_and_b64 s[2:3], s[2:3], s[4:5]
	v_cndmask_b32_e64 v73, v73, v91, s[2:3]
	v_cndmask_b32_e64 v72, v72, v90, s[2:3]
	v_add_f64 v[72:73], v[72:73], 1.0
	v_cndmask_b32_e64 v19, v72, 0, vcc
	v_cndmask_b32_e32 v72, v73, v112, vcc
	v_cmp_ngt_f64_e32 vcc, 0, v[74:75]
	v_cndmask_b32_e32 v84, v105, v72, vcc
	v_max_f64 v[72:73], |v[8:9]|, |v[8:9]|
	v_max_f64 v[76:77], |v[6:7]|, |v[6:7]|
	v_max_f64 v[78:79], v[76:77], v[72:73]
	v_min_f64 v[76:77], v[76:77], v[72:73]
	v_div_scale_f64 v[80:81], s[2:3], v[78:79], v[78:79], v[76:77]
	v_rcp_f64_e32 v[82:83], v[80:81]
	v_cmp_nge_f64_e32 vcc, 0, v[74:75]
	v_cndmask_b32_e32 v72, 0, v19, vcc
	v_cmp_neq_f64_e32 vcc, 0, v[74:75]
	v_fma_f64 v[74:75], -v[80:81], v[82:83], 1.0
	v_fmac_f64_e32 v[82:83], v[82:83], v[74:75]
	v_fma_f64 v[74:75], -v[80:81], v[82:83], 1.0
	v_cndmask_b32_e32 v73, v106, v84, vcc
	v_fmac_f64_e32 v[82:83], v[82:83], v[74:75]
	v_div_scale_f64 v[74:75], vcc, v[76:77], v[78:79], v[76:77]
	v_mul_f64 v[84:85], v[74:75], v[82:83]
	v_fma_f64 v[74:75], -v[80:81], v[84:85], v[74:75]
	v_pk_mov_b32 v[80:81], v[34:35], v[34:35] op_sel:[0,1]
	s_nop 0
	v_div_fmas_f64 v[74:75], v[74:75], v[82:83], v[84:85]
	v_div_fixup_f64 v[74:75], v[74:75], v[78:79], v[76:77]
	v_mul_f64 v[76:77], v[74:75], v[74:75]
	v_pk_mov_b32 v[78:79], v[32:33], v[32:33] op_sel:[0,1]
	v_fmac_f64_e32 v[78:79], s[26:27], v[76:77]
	v_fmac_f64_e32 v[80:81], v[76:77], v[78:79]
	v_pk_mov_b32 v[78:79], v[36:37], v[36:37] op_sel:[0,1]
	v_fmac_f64_e32 v[78:79], v[76:77], v[80:81]
	v_pk_mov_b32 v[80:81], v[38:39], v[38:39] op_sel:[0,1]
	;; [unrolled: 2-line block ×17, first 2 shown]
	v_fmac_f64_e32 v[78:79], v[76:77], v[80:81]
	v_cmp_gt_i32_e32 vcc, 0, v7
	v_mul_f64 v[76:77], v[76:77], v[78:79]
	v_cmp_class_f64_e64 s[4:5], v[6:7], s63
	v_cndmask_b32_e32 v6, v109, v110, vcc
	v_fmac_f64_e32 v[74:75], v[74:75], v[76:77]
	v_bfi_b32 v76, s61, v6, v9
	v_ashrrev_i32_e32 v6, 31, v7
	v_and_b32_e32 v77, 0x400921fb, v6
	v_and_b32_e32 v78, 0x54442d18, v6
	v_add_f64 v[6:7], -v[74:75], s[28:29]
	v_cndmask_b32_e64 v7, v75, v7, s[0:1]
	v_cndmask_b32_e64 v6, v74, v6, s[0:1]
	v_add_f64 v[74:75], -v[6:7], s[30:31]
	v_cmp_class_f64_e64 s[2:3], v[8:9], s63
	v_cndmask_b32_e32 v19, v107, v108, vcc
	v_cndmask_b32_e32 v7, v7, v75, vcc
	;; [unrolled: 1-line block ×3, first 2 shown]
	v_cmp_eq_f64_e32 vcc, 0, v[8:9]
	v_cndmask_b32_e32 v6, v6, v78, vcc
	v_cndmask_b32_e32 v7, v7, v77, vcc
	s_and_b64 vcc, s[4:5], s[2:3]
	v_cndmask_b32_e32 v75, v7, v76, vcc
	v_cndmask_b32_e32 v74, v6, v19, vcc
.LBB198_189:                            ;   in Loop: Header=BB198_162 Depth=1
	s_or_b64 exec, exec, s[48:49]
.LBB198_190:                            ;   in Loop: Header=BB198_162 Depth=1
	s_andn2_saveexec_b64 s[0:1], s[46:47]
	s_cbranch_execz .LBB198_196
; %bb.191:                              ;   in Loop: Header=BB198_162 Depth=1
	v_cmp_nlt_f64_e64 s[2:3], |v[6:7]|, s[40:41]
	v_cmp_nlt_f64_e64 s[4:5], |v[8:9]|, s[40:41]
	s_or_b64 s[2:3], s[2:3], s[4:5]
                                        ; implicit-def: $vgpr74_vgpr75
	s_and_saveexec_b64 s[4:5], s[2:3]
	s_xor_b64 s[2:3], exec, s[4:5]
; %bb.192:                              ;   in Loop: Header=BB198_162 Depth=1
	v_mul_f64 v[74:75], v[8:9], v[8:9]
	v_fmac_f64_e32 v[74:75], v[6:7], v[6:7]
; %bb.193:                              ;   in Loop: Header=BB198_162 Depth=1
	s_andn2_saveexec_b64 s[2:3], s[2:3]
; %bb.194:                              ;   in Loop: Header=BB198_162 Depth=1
	v_mul_f64 v[72:73], v[8:9], 4.0
	v_mul_f64 v[6:7], v[6:7], 4.0
	v_mul_f64 v[72:73], v[72:73], v[72:73]
	v_fmac_f64_e32 v[72:73], v[6:7], v[6:7]
	v_ldexp_f64 v[74:75], v[72:73], -4
; %bb.195:                              ;   in Loop: Header=BB198_162 Depth=1
	s_or_b64 exec, exec, s[2:3]
	v_frexp_mant_f64_e32 v[6:7], v[74:75]
	v_cmp_gt_f64_e32 vcc, s[14:15], v[6:7]
	v_cndmask_b32_e64 v19, v111, 2.0, vcc
	v_mul_f64 v[6:7], v[6:7], v[18:19]
	v_add_f64 v[72:73], v[6:7], 1.0
	v_rcp_f64_e32 v[76:77], v[72:73]
	v_add_f64 v[80:81], v[72:73], -1.0
	v_add_f64 v[78:79], v[6:7], -1.0
	v_add_f64 v[6:7], v[6:7], -v[80:81]
	v_fma_f64 v[80:81], -v[72:73], v[76:77], 1.0
	v_fmac_f64_e32 v[76:77], v[80:81], v[76:77]
	v_fma_f64 v[80:81], -v[72:73], v[76:77], 1.0
	v_fmac_f64_e32 v[76:77], v[80:81], v[76:77]
	v_mul_f64 v[80:81], v[78:79], v[76:77]
	v_mul_f64 v[82:83], v[72:73], v[80:81]
	v_fma_f64 v[72:73], v[80:81], v[72:73], -v[82:83]
	v_fmac_f64_e32 v[72:73], v[80:81], v[6:7]
	v_add_f64 v[6:7], v[82:83], v[72:73]
	v_add_f64 v[84:85], v[78:79], -v[6:7]
	v_add_f64 v[82:83], v[6:7], -v[82:83]
	v_add_f64 v[78:79], v[78:79], -v[84:85]
	v_add_f64 v[6:7], v[78:79], -v[6:7]
	v_add_f64 v[72:73], v[82:83], -v[72:73]
	v_add_f64 v[6:7], v[72:73], v[6:7]
	v_add_f64 v[6:7], v[84:85], v[6:7]
	v_mul_f64 v[6:7], v[76:77], v[6:7]
	v_add_f64 v[72:73], v[80:81], v[6:7]
	v_add_f64 v[76:77], v[72:73], -v[80:81]
	v_add_f64 v[6:7], v[6:7], -v[76:77]
	v_mul_f64 v[76:77], v[72:73], v[72:73]
	v_pk_mov_b32 v[78:79], v[20:21], v[20:21] op_sel:[0,1]
	v_fmac_f64_e32 v[78:79], s[18:19], v[76:77]
	v_pk_mov_b32 v[80:81], v[22:23], v[22:23] op_sel:[0,1]
	v_fmac_f64_e32 v[80:81], v[76:77], v[78:79]
	;; [unrolled: 2-line block ×6, first 2 shown]
	v_ldexp_f64 v[78:79], v[72:73], 1
	v_mul_f64 v[72:73], v[72:73], v[76:77]
	v_mul_f64 v[72:73], v[72:73], v[80:81]
	v_add_f64 v[76:77], v[78:79], v[72:73]
	v_add_f64 v[78:79], v[76:77], -v[78:79]
	v_ldexp_f64 v[6:7], v[6:7], 1
	v_add_f64 v[72:73], v[72:73], -v[78:79]
	v_add_f64 v[6:7], v[6:7], v[72:73]
	v_frexp_exp_i32_f64_e32 v8, v[74:75]
	v_add_f64 v[72:73], v[76:77], v[6:7]
	v_subbrev_co_u32_e32 v8, vcc, 0, v8, vcc
	v_add_f64 v[76:77], v[72:73], -v[76:77]
	v_add_f64 v[6:7], v[6:7], -v[76:77]
	v_cvt_f64_i32_e32 v[76:77], v8
	v_mul_f64 v[78:79], v[76:77], s[20:21]
	v_fma_f64 v[80:81], v[76:77], s[20:21], -v[78:79]
	v_fmac_f64_e32 v[80:81], s[22:23], v[76:77]
	v_add_f64 v[76:77], v[78:79], v[80:81]
	v_add_f64 v[78:79], v[76:77], -v[78:79]
	v_add_f64 v[78:79], v[80:81], -v[78:79]
	v_add_f64 v[80:81], v[76:77], v[72:73]
	v_add_f64 v[82:83], v[80:81], -v[76:77]
	v_add_f64 v[84:85], v[80:81], -v[82:83]
	;; [unrolled: 1-line block ×4, first 2 shown]
	v_add_f64 v[72:73], v[72:73], v[76:77]
	v_add_f64 v[76:77], v[78:79], v[6:7]
	v_add_f64 v[82:83], v[76:77], -v[78:79]
	v_add_f64 v[84:85], v[76:77], -v[82:83]
	v_add_f64 v[72:73], v[76:77], v[72:73]
	v_add_f64 v[78:79], v[78:79], -v[84:85]
	v_add_f64 v[6:7], v[6:7], -v[82:83]
	v_add_f64 v[76:77], v[80:81], v[72:73]
	v_add_f64 v[6:7], v[6:7], v[78:79]
	v_add_f64 v[78:79], v[76:77], -v[80:81]
	v_add_f64 v[72:73], v[72:73], -v[78:79]
	v_add_f64 v[6:7], v[6:7], v[72:73]
	v_add_f64 v[6:7], v[76:77], v[6:7]
	v_cmp_class_f64_e64 vcc, v[74:75], s63
	v_cndmask_b32_e32 v6, v6, v74, vcc
	v_cndmask_b32_e32 v7, v7, v75, vcc
	v_cmp_ngt_f64_e32 vcc, 0, v[74:75]
	v_cndmask_b32_e32 v7, v105, v7, vcc
	v_cmp_nge_f64_e32 vcc, 0, v[74:75]
	v_cndmask_b32_e32 v72, 0, v6, vcc
	v_cmp_neq_f64_e32 vcc, 0, v[74:75]
	v_mov_b32_e32 v74, 0
	v_cndmask_b32_e32 v73, v106, v7, vcc
	v_mov_b32_e32 v75, 0x7ff80000
.LBB198_196:                            ;   in Loop: Header=BB198_162 Depth=1
	s_or_b64 exec, exec, s[0:1]
	v_cmp_o_f64_e32 vcc, v[10:11], v[12:13]
                                        ; implicit-def: $vgpr6_vgpr7
                                        ; implicit-def: $vgpr76_vgpr77
	s_and_saveexec_b64 s[0:1], vcc
	s_xor_b64 s[46:47], exec, s[0:1]
	s_cbranch_execz .LBB198_224
; %bb.197:                              ;   in Loop: Header=BB198_162 Depth=1
	v_and_b32_e32 v80, 0x7fffffff, v11
	v_and_b32_e32 v19, 0x7fffffff, v13
	v_mov_b32_e32 v8, v12
	v_cmp_lt_f64_e64 s[0:1], |v[10:11]|, |v[12:13]|
	v_cndmask_b32_e64 v79, v19, v80, s[0:1]
	v_cndmask_b32_e64 v78, v8, v10, s[0:1]
	v_cmp_nlt_f64_e32 vcc, s[8:9], v[78:79]
                                        ; implicit-def: $vgpr6_vgpr7
                                        ; implicit-def: $vgpr76_vgpr77
	s_and_saveexec_b64 s[2:3], vcc
	s_xor_b64 s[4:5], exec, s[2:3]
	s_cbranch_execz .LBB198_221
; %bb.198:                              ;   in Loop: Header=BB198_162 Depth=1
	v_cndmask_b32_e64 v83, v80, v19, s[0:1]
	v_cndmask_b32_e64 v82, v10, v8, s[0:1]
	v_cmp_neq_f64_e32 vcc, 1.0, v[82:83]
                                        ; implicit-def: $vgpr6_vgpr7
                                        ; implicit-def: $vgpr76_vgpr77
	s_and_saveexec_b64 s[2:3], vcc
	s_xor_b64 s[48:49], exec, s[2:3]
	s_cbranch_execz .LBB198_214
; %bb.199:                              ;   in Loop: Header=BB198_162 Depth=1
	v_max_f64 v[6:7], v[78:79], v[78:79]
	v_max_f64 v[76:77], v[82:83], v[82:83]
	v_min_f64 v[80:81], v[76:77], v[6:7]
	v_max_f64 v[6:7], v[76:77], v[6:7]
	v_cmp_ngt_f64_e32 vcc, s[10:11], v[80:81]
	v_cmp_nlt_f64_e64 s[2:3], s[12:13], v[6:7]
	s_and_b64 s[2:3], s[2:3], vcc
                                        ; implicit-def: $vgpr6_vgpr7
                                        ; implicit-def: $vgpr76_vgpr77
	s_and_saveexec_b64 s[50:51], s[2:3]
	s_xor_b64 s[50:51], exec, s[50:51]
	s_cbranch_execz .LBB198_211
; %bb.200:                              ;   in Loop: Header=BB198_162 Depth=1
	v_cmp_le_f64_e32 vcc, 1.0, v[82:83]
                                        ; implicit-def: $vgpr6_vgpr7
                                        ; implicit-def: $vgpr76_vgpr77
	s_and_saveexec_b64 s[2:3], vcc
	s_xor_b64 s[2:3], exec, s[2:3]
	s_cbranch_execz .LBB198_202
; %bb.201:                              ;   in Loop: Header=BB198_162 Depth=1
	v_add_f64 v[6:7], v[82:83], -1.0
	v_add_f64 v[76:77], v[82:83], 1.0
	v_mul_f64 v[76:77], v[6:7], v[76:77]
	v_fmac_f64_e32 v[76:77], v[78:79], v[78:79]
	v_add_f64 v[6:7], v[76:77], 1.0
	v_add_f64 v[78:79], v[6:7], -1.0
	v_add_f64 v[80:81], v[78:79], -v[6:7]
	v_add_f64 v[80:81], v[80:81], 1.0
	v_add_f64 v[78:79], v[76:77], -v[78:79]
	v_add_f64 v[78:79], v[78:79], v[80:81]
	v_frexp_mant_f64_e32 v[80:81], v[6:7]
	v_frexp_exp_i32_f64_e32 v8, v[6:7]
	v_cmp_gt_f64_e32 vcc, s[14:15], v[80:81]
	v_subbrev_co_u32_e32 v8, vcc, 0, v8, vcc
	v_sub_u32_e32 v19, 0, v8
	v_ldexp_f64 v[6:7], v[6:7], v19
	v_add_f64 v[80:81], v[6:7], -1.0
	v_add_f64 v[86:87], v[6:7], 1.0
	v_add_f64 v[82:83], v[80:81], 1.0
	v_add_f64 v[88:89], v[86:87], -1.0
	v_ldexp_f64 v[78:79], v[78:79], v19
	v_add_f64 v[82:83], v[6:7], -v[82:83]
	v_add_f64 v[6:7], v[6:7], -v[88:89]
	v_add_f64 v[6:7], v[78:79], v[6:7]
	v_add_f64 v[82:83], v[78:79], v[82:83]
	;; [unrolled: 1-line block ×3, first 2 shown]
	v_rcp_f64_e32 v[88:89], v[78:79]
	v_add_f64 v[84:85], v[80:81], v[82:83]
	v_add_f64 v[80:81], v[84:85], -v[80:81]
	v_add_f64 v[80:81], v[82:83], -v[80:81]
	;; [unrolled: 1-line block ×4, first 2 shown]
	v_fma_f64 v[82:83], -v[78:79], v[88:89], 1.0
	v_fmac_f64_e32 v[88:89], v[82:83], v[88:89]
	v_fma_f64 v[82:83], -v[78:79], v[88:89], 1.0
	v_fmac_f64_e32 v[88:89], v[82:83], v[88:89]
	v_mul_f64 v[82:83], v[84:85], v[88:89]
	v_mul_f64 v[86:87], v[78:79], v[82:83]
	v_fma_f64 v[90:91], v[82:83], v[78:79], -v[86:87]
	v_fmac_f64_e32 v[90:91], v[82:83], v[6:7]
	v_add_f64 v[92:93], v[86:87], v[90:91]
	v_add_f64 v[94:95], v[84:85], -v[92:93]
	v_add_f64 v[84:85], v[84:85], -v[94:95]
	;; [unrolled: 1-line block ×4, first 2 shown]
	v_add_f64 v[80:81], v[80:81], v[84:85]
	v_add_f64 v[84:85], v[86:87], -v[90:91]
	v_add_f64 v[80:81], v[84:85], v[80:81]
	v_add_f64 v[84:85], v[94:95], v[80:81]
	v_add_f64 v[86:87], v[94:95], -v[84:85]
	v_add_f64 v[80:81], v[80:81], v[86:87]
	v_mul_f64 v[86:87], v[88:89], v[84:85]
	v_mul_f64 v[90:91], v[78:79], v[86:87]
	v_fma_f64 v[78:79], v[86:87], v[78:79], -v[90:91]
	v_fmac_f64_e32 v[78:79], v[86:87], v[6:7]
	v_add_f64 v[6:7], v[90:91], v[78:79]
	v_add_f64 v[92:93], v[84:85], -v[6:7]
	v_add_f64 v[84:85], v[84:85], -v[92:93]
	;; [unrolled: 1-line block ×4, first 2 shown]
	v_add_f64 v[6:7], v[80:81], v[6:7]
	v_add_f64 v[78:79], v[90:91], -v[78:79]
	v_add_f64 v[6:7], v[78:79], v[6:7]
	v_add_f64 v[78:79], v[82:83], v[86:87]
	v_add_f64 v[6:7], v[92:93], v[6:7]
	v_add_f64 v[80:81], v[78:79], -v[82:83]
	v_mul_f64 v[6:7], v[88:89], v[6:7]
	v_add_f64 v[80:81], v[86:87], -v[80:81]
	v_add_f64 v[6:7], v[80:81], v[6:7]
	v_add_f64 v[80:81], v[78:79], v[6:7]
	v_add_f64 v[78:79], v[80:81], -v[78:79]
	v_add_f64 v[6:7], v[6:7], -v[78:79]
	v_mul_f64 v[78:79], v[80:81], v[80:81]
	v_pk_mov_b32 v[82:83], v[20:21], v[20:21] op_sel:[0,1]
	v_fmac_f64_e32 v[82:83], s[18:19], v[78:79]
	v_pk_mov_b32 v[84:85], v[22:23], v[22:23] op_sel:[0,1]
	v_fmac_f64_e32 v[84:85], v[78:79], v[82:83]
	;; [unrolled: 2-line block ×6, first 2 shown]
	v_cvt_f64_i32_e32 v[82:83], v8
	v_mul_f64 v[86:87], v[82:83], s[20:21]
	v_fma_f64 v[88:89], v[82:83], s[20:21], -v[86:87]
	v_fmac_f64_e32 v[88:89], s[22:23], v[82:83]
	v_add_f64 v[82:83], v[86:87], v[88:89]
	v_add_f64 v[86:87], v[82:83], -v[86:87]
	v_mul_f64 v[78:79], v[80:81], v[78:79]
	v_add_f64 v[86:87], v[88:89], -v[86:87]
	v_ldexp_f64 v[88:89], v[80:81], 1
	v_mul_f64 v[78:79], v[78:79], v[84:85]
	v_add_f64 v[80:81], v[88:89], v[78:79]
	v_add_f64 v[84:85], v[80:81], -v[88:89]
	v_ldexp_f64 v[6:7], v[6:7], 1
	v_add_f64 v[78:79], v[78:79], -v[84:85]
	v_add_f64 v[6:7], v[6:7], v[78:79]
	v_add_f64 v[78:79], v[80:81], v[6:7]
	v_add_f64 v[80:81], v[78:79], -v[80:81]
	v_add_f64 v[6:7], v[6:7], -v[80:81]
	v_add_f64 v[80:81], v[82:83], v[78:79]
	v_add_f64 v[84:85], v[80:81], -v[82:83]
	v_add_f64 v[88:89], v[80:81], -v[84:85]
	;; [unrolled: 1-line block ×4, first 2 shown]
	v_add_f64 v[78:79], v[78:79], v[82:83]
	v_add_f64 v[82:83], v[86:87], v[6:7]
	v_add_f64 v[84:85], v[82:83], -v[86:87]
	v_add_f64 v[78:79], v[82:83], v[78:79]
	v_add_f64 v[88:89], v[82:83], -v[84:85]
	;; [unrolled: 2-line block ×3, first 2 shown]
	v_add_f64 v[6:7], v[6:7], -v[84:85]
	v_add_f64 v[80:81], v[82:83], -v[80:81]
	v_add_f64 v[6:7], v[6:7], v[86:87]
	v_add_f64 v[78:79], v[78:79], -v[80:81]
	v_add_f64 v[6:7], v[6:7], v[78:79]
	v_max_f64 v[78:79], |v[12:13]|, |v[12:13]|
	v_max_f64 v[80:81], |v[10:11]|, |v[10:11]|
	v_add_f64 v[6:7], v[82:83], v[6:7]
	v_max_f64 v[82:83], v[80:81], v[78:79]
	v_min_f64 v[78:79], v[80:81], v[78:79]
	v_div_scale_f64 v[80:81], s[52:53], v[82:83], v[82:83], v[78:79]
	v_cmp_eq_f64_e32 vcc, s[24:25], v[76:77]
	v_rcp_f64_e32 v[84:85], v[80:81]
	v_cndmask_b32_e32 v7, v7, v77, vcc
	v_cndmask_b32_e32 v6, v6, v76, vcc
	v_mul_f64 v[6:7], v[6:7], 0.5
	v_cmp_ngt_f64_e32 vcc, -1.0, v[76:77]
	v_cndmask_b32_e32 v7, v105, v7, vcc
	v_cmp_nge_f64_e32 vcc, -1.0, v[76:77]
	v_cndmask_b32_e32 v6, 0, v6, vcc
	v_cmp_neq_f64_e32 vcc, -1.0, v[76:77]
	v_fma_f64 v[76:77], -v[80:81], v[84:85], 1.0
	v_fmac_f64_e32 v[84:85], v[84:85], v[76:77]
	v_fma_f64 v[76:77], -v[80:81], v[84:85], 1.0
	v_cndmask_b32_e32 v7, v106, v7, vcc
	v_fmac_f64_e32 v[84:85], v[84:85], v[76:77]
	v_div_scale_f64 v[76:77], vcc, v[78:79], v[82:83], v[78:79]
	v_mul_f64 v[86:87], v[76:77], v[84:85]
	v_fma_f64 v[76:77], -v[80:81], v[86:87], v[76:77]
	v_pk_mov_b32 v[80:81], v[32:33], v[32:33] op_sel:[0,1]
	s_nop 0
	v_div_fmas_f64 v[76:77], v[76:77], v[84:85], v[86:87]
	v_div_fixup_f64 v[76:77], v[76:77], v[82:83], v[78:79]
	v_mul_f64 v[78:79], v[76:77], v[76:77]
	v_fmac_f64_e32 v[80:81], s[26:27], v[78:79]
	v_pk_mov_b32 v[82:83], v[34:35], v[34:35] op_sel:[0,1]
	v_fmac_f64_e32 v[82:83], v[78:79], v[80:81]
	v_pk_mov_b32 v[80:81], v[36:37], v[36:37] op_sel:[0,1]
	;; [unrolled: 2-line block ×18, first 2 shown]
	v_fmac_f64_e32 v[80:81], v[78:79], v[82:83]
	v_cmp_gt_i32_e32 vcc, 0, v11
	v_mul_f64 v[78:79], v[78:79], v[80:81]
	v_cmp_class_f64_e64 s[54:55], v[10:11], s63
	v_cndmask_b32_e32 v10, v109, v110, vcc
	v_fmac_f64_e32 v[76:77], v[76:77], v[78:79]
	v_bfi_b32 v19, s61, v10, v13
	v_ashrrev_i32_e32 v10, 31, v11
	v_and_b32_e32 v78, 0x400921fb, v10
	v_and_b32_e32 v79, 0x54442d18, v10
	v_add_f64 v[10:11], -v[76:77], s[28:29]
	v_cndmask_b32_e64 v11, v77, v11, s[0:1]
	v_cndmask_b32_e64 v10, v76, v10, s[0:1]
	s_mov_b32 s30, s28
	v_add_f64 v[76:77], -v[10:11], s[30:31]
	v_cmp_class_f64_e64 s[52:53], v[12:13], s63
	v_cndmask_b32_e32 v8, v107, v108, vcc
	v_cndmask_b32_e32 v11, v11, v77, vcc
	v_cndmask_b32_e32 v10, v10, v76, vcc
	v_cmp_eq_f64_e32 vcc, 0, v[12:13]
	v_cndmask_b32_e32 v10, v10, v79, vcc
	v_cndmask_b32_e32 v11, v11, v78, vcc
	s_and_b64 vcc, s[54:55], s[52:53]
	v_cndmask_b32_e32 v77, v11, v19, vcc
	v_cndmask_b32_e32 v76, v10, v8, vcc
                                        ; implicit-def: $vgpr78_vgpr79
                                        ; implicit-def: $vgpr82_vgpr83
.LBB198_202:                            ;   in Loop: Header=BB198_162 Depth=1
	s_andn2_saveexec_b64 s[52:53], s[2:3]
	s_cbranch_execz .LBB198_210
; %bb.203:                              ;   in Loop: Header=BB198_162 Depth=1
	v_mul_f64 v[80:81], v[78:79], v[78:79]
	v_fmac_f64_e32 v[80:81], v[82:83], v[82:83]
	v_cmp_ge_f64_e32 vcc, s[34:35], v[80:81]
                                        ; implicit-def: $vgpr6_vgpr7
                                        ; implicit-def: $vgpr76_vgpr77
	s_and_saveexec_b64 s[2:3], vcc
	s_xor_b64 s[2:3], exec, s[2:3]
	s_cbranch_execz .LBB198_205
; %bb.204:                              ;   in Loop: Header=BB198_162 Depth=1
	v_frexp_mant_f64_e32 v[6:7], v[80:81]
	v_cmp_gt_f64_e32 vcc, s[14:15], v[6:7]
	v_cndmask_b32_e64 v19, v111, 2.0, vcc
	v_mul_f64 v[6:7], v[6:7], v[18:19]
	v_add_f64 v[76:77], v[6:7], 1.0
	v_rcp_f64_e32 v[78:79], v[76:77]
	v_add_f64 v[84:85], v[76:77], -1.0
	v_add_f64 v[82:83], v[6:7], -1.0
	v_add_f64 v[6:7], v[6:7], -v[84:85]
	v_fma_f64 v[84:85], -v[76:77], v[78:79], 1.0
	v_fmac_f64_e32 v[78:79], v[84:85], v[78:79]
	v_fma_f64 v[84:85], -v[76:77], v[78:79], 1.0
	v_fmac_f64_e32 v[78:79], v[84:85], v[78:79]
	v_mul_f64 v[84:85], v[82:83], v[78:79]
	v_mul_f64 v[86:87], v[76:77], v[84:85]
	v_fma_f64 v[76:77], v[84:85], v[76:77], -v[86:87]
	v_fmac_f64_e32 v[76:77], v[84:85], v[6:7]
	v_add_f64 v[6:7], v[86:87], v[76:77]
	v_add_f64 v[88:89], v[82:83], -v[6:7]
	v_add_f64 v[86:87], v[6:7], -v[86:87]
	;; [unrolled: 1-line block ×5, first 2 shown]
	v_add_f64 v[6:7], v[76:77], v[6:7]
	v_add_f64 v[6:7], v[88:89], v[6:7]
	v_mul_f64 v[6:7], v[78:79], v[6:7]
	v_add_f64 v[76:77], v[84:85], v[6:7]
	v_add_f64 v[78:79], v[76:77], -v[84:85]
	v_add_f64 v[6:7], v[6:7], -v[78:79]
	v_mul_f64 v[78:79], v[76:77], v[76:77]
	v_pk_mov_b32 v[82:83], v[20:21], v[20:21] op_sel:[0,1]
	v_fmac_f64_e32 v[82:83], s[18:19], v[78:79]
	v_pk_mov_b32 v[84:85], v[22:23], v[22:23] op_sel:[0,1]
	v_fmac_f64_e32 v[84:85], v[78:79], v[82:83]
	;; [unrolled: 2-line block ×6, first 2 shown]
	v_ldexp_f64 v[82:83], v[76:77], 1
	v_mul_f64 v[76:77], v[76:77], v[78:79]
	v_mul_f64 v[76:77], v[76:77], v[84:85]
	v_add_f64 v[78:79], v[82:83], v[76:77]
	v_add_f64 v[82:83], v[78:79], -v[82:83]
	v_ldexp_f64 v[6:7], v[6:7], 1
	v_add_f64 v[76:77], v[76:77], -v[82:83]
	v_add_f64 v[6:7], v[6:7], v[76:77]
	v_frexp_exp_i32_f64_e32 v8, v[80:81]
	v_add_f64 v[76:77], v[78:79], v[6:7]
	v_subbrev_co_u32_e32 v8, vcc, 0, v8, vcc
	v_add_f64 v[78:79], v[76:77], -v[78:79]
	v_add_f64 v[6:7], v[6:7], -v[78:79]
	v_cvt_f64_i32_e32 v[78:79], v8
	v_mul_f64 v[82:83], v[78:79], s[20:21]
	v_fma_f64 v[84:85], v[78:79], s[20:21], -v[82:83]
	v_fmac_f64_e32 v[84:85], s[22:23], v[78:79]
	v_add_f64 v[78:79], v[82:83], v[84:85]
	v_add_f64 v[82:83], v[78:79], -v[82:83]
	v_add_f64 v[82:83], v[84:85], -v[82:83]
	v_add_f64 v[84:85], v[78:79], v[76:77]
	v_add_f64 v[86:87], v[84:85], -v[78:79]
	v_add_f64 v[88:89], v[84:85], -v[86:87]
	v_add_f64 v[78:79], v[78:79], -v[88:89]
	v_add_f64 v[76:77], v[76:77], -v[86:87]
	v_add_f64 v[76:77], v[76:77], v[78:79]
	v_add_f64 v[78:79], v[82:83], v[6:7]
	v_add_f64 v[86:87], v[78:79], -v[82:83]
	v_add_f64 v[88:89], v[78:79], -v[86:87]
	v_add_f64 v[76:77], v[78:79], v[76:77]
	v_add_f64 v[82:83], v[82:83], -v[88:89]
	v_add_f64 v[6:7], v[6:7], -v[86:87]
	v_add_f64 v[78:79], v[84:85], v[76:77]
	v_add_f64 v[6:7], v[6:7], v[82:83]
	v_add_f64 v[82:83], v[78:79], -v[84:85]
	v_add_f64 v[76:77], v[76:77], -v[82:83]
	v_add_f64 v[6:7], v[6:7], v[76:77]
	v_add_f64 v[6:7], v[78:79], v[6:7]
	v_max_f64 v[76:77], |v[12:13]|, |v[12:13]|
	v_max_f64 v[78:79], |v[10:11]|, |v[10:11]|
	v_max_f64 v[82:83], v[78:79], v[76:77]
	v_min_f64 v[76:77], v[78:79], v[76:77]
	v_div_scale_f64 v[78:79], s[54:55], v[82:83], v[82:83], v[76:77]
	v_rcp_f64_e32 v[84:85], v[78:79]
	v_cmp_neq_f64_e32 vcc, 0, v[80:81]
	v_mul_f64 v[6:7], v[6:7], 0.5
	v_cndmask_b32_e32 v7, v106, v7, vcc
	v_fma_f64 v[80:81], -v[78:79], v[84:85], 1.0
	v_fmac_f64_e32 v[84:85], v[84:85], v[80:81]
	v_fma_f64 v[80:81], -v[78:79], v[84:85], 1.0
	v_cndmask_b32_e32 v6, 0, v6, vcc
	v_fmac_f64_e32 v[84:85], v[84:85], v[80:81]
	v_div_scale_f64 v[80:81], vcc, v[76:77], v[82:83], v[76:77]
	v_mul_f64 v[86:87], v[80:81], v[84:85]
	v_fma_f64 v[78:79], -v[78:79], v[86:87], v[80:81]
	v_pk_mov_b32 v[80:81], v[32:33], v[32:33] op_sel:[0,1]
	s_nop 0
	v_div_fmas_f64 v[78:79], v[78:79], v[84:85], v[86:87]
	v_div_fixup_f64 v[76:77], v[78:79], v[82:83], v[76:77]
	v_mul_f64 v[78:79], v[76:77], v[76:77]
	v_fmac_f64_e32 v[80:81], s[26:27], v[78:79]
	v_pk_mov_b32 v[82:83], v[34:35], v[34:35] op_sel:[0,1]
	v_fmac_f64_e32 v[82:83], v[78:79], v[80:81]
	v_pk_mov_b32 v[80:81], v[36:37], v[36:37] op_sel:[0,1]
	v_fmac_f64_e32 v[80:81], v[78:79], v[82:83]
	v_pk_mov_b32 v[82:83], v[38:39], v[38:39] op_sel:[0,1]
	v_fmac_f64_e32 v[82:83], v[78:79], v[80:81]
	v_pk_mov_b32 v[80:81], v[40:41], v[40:41] op_sel:[0,1]
	v_fmac_f64_e32 v[80:81], v[78:79], v[82:83]
	v_pk_mov_b32 v[82:83], v[42:43], v[42:43] op_sel:[0,1]
	v_fmac_f64_e32 v[82:83], v[78:79], v[80:81]
	v_pk_mov_b32 v[80:81], v[44:45], v[44:45] op_sel:[0,1]
	v_fmac_f64_e32 v[80:81], v[78:79], v[82:83]
	v_pk_mov_b32 v[82:83], v[46:47], v[46:47] op_sel:[0,1]
	v_fmac_f64_e32 v[82:83], v[78:79], v[80:81]
	v_pk_mov_b32 v[80:81], v[48:49], v[48:49] op_sel:[0,1]
	v_fmac_f64_e32 v[80:81], v[78:79], v[82:83]
	v_pk_mov_b32 v[82:83], v[50:51], v[50:51] op_sel:[0,1]
	v_fmac_f64_e32 v[82:83], v[78:79], v[80:81]
	v_pk_mov_b32 v[80:81], v[52:53], v[52:53] op_sel:[0,1]
	v_fmac_f64_e32 v[80:81], v[78:79], v[82:83]
	v_pk_mov_b32 v[82:83], v[54:55], v[54:55] op_sel:[0,1]
	v_fmac_f64_e32 v[82:83], v[78:79], v[80:81]
	v_pk_mov_b32 v[80:81], v[56:57], v[56:57] op_sel:[0,1]
	v_fmac_f64_e32 v[80:81], v[78:79], v[82:83]
	v_pk_mov_b32 v[82:83], v[58:59], v[58:59] op_sel:[0,1]
	v_fmac_f64_e32 v[82:83], v[78:79], v[80:81]
	v_pk_mov_b32 v[80:81], v[60:61], v[60:61] op_sel:[0,1]
	v_fmac_f64_e32 v[80:81], v[78:79], v[82:83]
	v_pk_mov_b32 v[82:83], v[62:63], v[62:63] op_sel:[0,1]
	v_fmac_f64_e32 v[82:83], v[78:79], v[80:81]
	v_pk_mov_b32 v[80:81], v[64:65], v[64:65] op_sel:[0,1]
	v_fmac_f64_e32 v[80:81], v[78:79], v[82:83]
	v_pk_mov_b32 v[82:83], v[66:67], v[66:67] op_sel:[0,1]
	v_fmac_f64_e32 v[82:83], v[78:79], v[80:81]
	v_pk_mov_b32 v[80:81], v[68:69], v[68:69] op_sel:[0,1]
	v_fmac_f64_e32 v[80:81], v[78:79], v[82:83]
	v_cmp_gt_i32_e32 vcc, 0, v11
	v_mul_f64 v[78:79], v[78:79], v[80:81]
	v_cmp_class_f64_e64 s[56:57], v[10:11], s63
	v_cndmask_b32_e32 v10, v109, v110, vcc
	v_fmac_f64_e32 v[76:77], v[76:77], v[78:79]
	v_bfi_b32 v19, s61, v10, v13
	v_ashrrev_i32_e32 v10, 31, v11
	v_and_b32_e32 v78, 0x400921fb, v10
	v_and_b32_e32 v79, 0x54442d18, v10
	v_add_f64 v[10:11], -v[76:77], s[28:29]
	v_cndmask_b32_e64 v11, v77, v11, s[0:1]
	v_cndmask_b32_e64 v10, v76, v10, s[0:1]
	s_mov_b32 s30, s28
	v_add_f64 v[76:77], -v[10:11], s[30:31]
	v_cmp_class_f64_e64 s[54:55], v[12:13], s63
	v_cndmask_b32_e32 v8, v107, v108, vcc
	v_cndmask_b32_e32 v11, v11, v77, vcc
	;; [unrolled: 1-line block ×3, first 2 shown]
	v_cmp_eq_f64_e32 vcc, 0, v[12:13]
	v_cndmask_b32_e32 v10, v10, v79, vcc
	v_cndmask_b32_e32 v11, v11, v78, vcc
	s_and_b64 vcc, s[56:57], s[54:55]
	v_cndmask_b32_e32 v77, v11, v19, vcc
	v_cndmask_b32_e32 v76, v10, v8, vcc
                                        ; implicit-def: $vgpr82_vgpr83
                                        ; implicit-def: $vgpr78_vgpr79
.LBB198_205:                            ;   in Loop: Header=BB198_162 Depth=1
	s_andn2_saveexec_b64 s[54:55], s[2:3]
	s_cbranch_execz .LBB198_209
; %bb.206:                              ;   in Loop: Header=BB198_162 Depth=1
	v_and_b32_e32 v19, 0x7ffffff8, v83
	v_add_f64 v[6:7], v[82:83], -v[18:19]
	v_and_b32_e32 v91, -8, v7
	v_mov_b32_e32 v90, v18
	v_and_b32_e32 v81, 0x7ffffff8, v79
	v_mov_b32_e32 v80, v18
	v_add_f64 v[94:95], v[6:7], -v[90:91]
	v_add_f64 v[6:7], v[78:79], -v[80:81]
	v_and_b32_e32 v93, -8, v7
	v_mov_b32_e32 v92, v18
	v_add_f64 v[84:85], v[18:19], v[18:19]
	v_add_f64 v[98:99], v[80:81], v[80:81]
	v_add_f64 v[96:97], v[6:7], -v[92:93]
	v_mul_f64 v[76:77], v[80:81], v[80:81]
	v_mul_f64 v[82:83], v[84:85], v[90:91]
	;; [unrolled: 1-line block ×5, first 2 shown]
	v_add_f64 v[90:91], v[90:91], v[90:91]
	v_add_f64 v[92:93], v[92:93], v[92:93]
	v_mul_f64 v[6:7], v[18:19], v[18:19]
	v_mul_f64 v[86:87], v[84:85], v[94:95]
	;; [unrolled: 1-line block ×7, first 2 shown]
	s_mov_b64 s[56:57], 0
.LBB198_207:                            ;   Parent Loop BB198_162 Depth=1
                                        ; =>  This Inner Loop Header: Depth=2
	v_cmp_nlt_f64_e32 vcc, v[6:7], v[76:77]
	v_cndmask_b32_e32 v99, v7, v77, vcc
	v_cndmask_b32_e32 v98, v6, v76, vcc
	v_cmp_nlt_f64_e64 s[2:3], v[98:99], v[82:83]
	v_cndmask_b32_e64 v101, v99, v83, s[2:3]
	v_cndmask_b32_e64 v100, v98, v82, s[2:3]
	v_cndmask_b32_e32 v7, v77, v7, vcc
	v_cndmask_b32_e32 v6, v76, v6, vcc
	s_and_b64 s[58:59], vcc, s[2:3]
	v_cmp_nlt_f64_e32 vcc, v[100:101], v[80:81]
	v_cndmask_b32_e64 v77, v83, v99, s[2:3]
	v_cndmask_b32_e64 v76, v82, v98, s[2:3]
	v_cndmask_b32_e32 v99, v101, v81, vcc
	v_cndmask_b32_e32 v98, v100, v80, vcc
	v_cmp_nlt_f64_e64 s[2:3], v[98:99], v[88:89]
	v_cndmask_b32_e32 v83, v81, v101, vcc
	v_cndmask_b32_e32 v82, v80, v100, vcc
	v_cndmask_b32_e64 v101, v99, v89, s[2:3]
	v_cndmask_b32_e64 v100, v98, v88, s[2:3]
	s_and_b64 s[64:65], vcc, s[2:3]
	v_cmp_nlt_f64_e32 vcc, v[100:101], v[78:79]
	v_cndmask_b32_e64 v81, v89, v99, s[2:3]
	v_cndmask_b32_e64 v80, v88, v98, s[2:3]
	v_cndmask_b32_e32 v99, v101, v79, vcc
	v_cndmask_b32_e32 v98, v100, v78, vcc
	v_cmp_nlt_f64_e64 s[2:3], v[98:99], v[86:87]
	v_cndmask_b32_e32 v89, v79, v101, vcc
	v_cndmask_b32_e32 v88, v78, v100, vcc
	v_cndmask_b32_e64 v101, v99, v87, s[2:3]
	v_cndmask_b32_e64 v100, v98, v86, s[2:3]
	;; [unrolled: 1-line block ×4, first 2 shown]
	s_and_b64 s[2:3], vcc, s[2:3]
	v_cmp_nlt_f64_e32 vcc, v[100:101], v[84:85]
	v_cndmask_b32_e32 v99, v101, v85, vcc
	v_cndmask_b32_e32 v98, v100, v84, vcc
	v_cndmask_b32_e32 v87, v85, v101, vcc
	v_cndmask_b32_e32 v86, v84, v100, vcc
	s_and_b64 s[2:3], s[2:3], vcc
	v_cmp_nlt_f64_e32 vcc, v[98:99], v[90:91]
	v_cndmask_b32_e32 v101, v99, v91, vcc
	v_cndmask_b32_e32 v100, v98, v90, vcc
	v_cndmask_b32_e32 v85, v91, v99, vcc
	v_cndmask_b32_e32 v84, v90, v98, vcc
	s_and_b64 s[2:3], s[2:3], vcc
	;; [unrolled: 6-line block ×4, first 2 shown]
	v_cmp_nlt_f64_e32 vcc, v[100:101], v[96:97]
	s_and_b64 s[2:3], s[2:3], vcc
	s_and_b64 s[2:3], s[2:3], s[64:65]
	s_and_b64 s[2:3], s[2:3], s[58:59]
	v_cndmask_b32_e32 v99, v101, v97, vcc
	v_cndmask_b32_e32 v98, v100, v96, vcc
	s_and_b64 s[2:3], exec, s[2:3]
	v_cndmask_b32_e32 v95, v97, v101, vcc
	v_cndmask_b32_e32 v94, v96, v100, vcc
	s_or_b64 s[56:57], s[2:3], s[56:57]
	v_pk_mov_b32 v[96:97], v[98:99], v[98:99] op_sel:[0,1]
	s_andn2_b64 exec, exec, s[56:57]
	s_cbranch_execnz .LBB198_207
; %bb.208:                              ;   in Loop: Header=BB198_162 Depth=1
	s_or_b64 exec, exec, s[56:57]
	v_add_f64 v[6:7], v[6:7], -1.0
	v_add_f64 v[6:7], v[6:7], v[76:77]
	v_add_f64 v[6:7], v[6:7], v[82:83]
	;; [unrolled: 1-line block ×11, first 2 shown]
	v_add_f64 v[6:7], v[76:77], 1.0
	v_add_f64 v[78:79], v[6:7], -1.0
	v_add_f64 v[80:81], v[78:79], -v[6:7]
	v_add_f64 v[80:81], v[80:81], 1.0
	v_add_f64 v[78:79], v[76:77], -v[78:79]
	v_add_f64 v[78:79], v[78:79], v[80:81]
	v_frexp_mant_f64_e32 v[80:81], v[6:7]
	v_frexp_exp_i32_f64_e32 v8, v[6:7]
	v_cmp_gt_f64_e32 vcc, s[14:15], v[80:81]
	v_subbrev_co_u32_e32 v8, vcc, 0, v8, vcc
	v_sub_u32_e32 v19, 0, v8
	v_ldexp_f64 v[6:7], v[6:7], v19
	v_add_f64 v[80:81], v[6:7], -1.0
	v_add_f64 v[86:87], v[6:7], 1.0
	v_add_f64 v[82:83], v[80:81], 1.0
	v_add_f64 v[88:89], v[86:87], -1.0
	v_ldexp_f64 v[78:79], v[78:79], v19
	v_add_f64 v[82:83], v[6:7], -v[82:83]
	v_add_f64 v[6:7], v[6:7], -v[88:89]
	v_add_f64 v[6:7], v[78:79], v[6:7]
	v_add_f64 v[82:83], v[78:79], v[82:83]
	v_add_f64 v[78:79], v[86:87], v[6:7]
	v_rcp_f64_e32 v[88:89], v[78:79]
	v_add_f64 v[84:85], v[80:81], v[82:83]
	v_add_f64 v[80:81], v[84:85], -v[80:81]
	v_add_f64 v[80:81], v[82:83], -v[80:81]
	;; [unrolled: 1-line block ×4, first 2 shown]
	v_fma_f64 v[82:83], -v[78:79], v[88:89], 1.0
	v_fmac_f64_e32 v[88:89], v[82:83], v[88:89]
	v_fma_f64 v[82:83], -v[78:79], v[88:89], 1.0
	v_fmac_f64_e32 v[88:89], v[82:83], v[88:89]
	v_mul_f64 v[82:83], v[84:85], v[88:89]
	v_mul_f64 v[86:87], v[78:79], v[82:83]
	v_fma_f64 v[90:91], v[82:83], v[78:79], -v[86:87]
	v_fmac_f64_e32 v[90:91], v[82:83], v[6:7]
	v_add_f64 v[92:93], v[86:87], v[90:91]
	v_add_f64 v[94:95], v[84:85], -v[92:93]
	v_add_f64 v[84:85], v[84:85], -v[94:95]
	;; [unrolled: 1-line block ×4, first 2 shown]
	v_add_f64 v[80:81], v[80:81], v[84:85]
	v_add_f64 v[84:85], v[86:87], -v[90:91]
	v_add_f64 v[80:81], v[84:85], v[80:81]
	v_add_f64 v[84:85], v[94:95], v[80:81]
	v_add_f64 v[86:87], v[94:95], -v[84:85]
	v_add_f64 v[80:81], v[80:81], v[86:87]
	v_mul_f64 v[86:87], v[88:89], v[84:85]
	v_mul_f64 v[90:91], v[78:79], v[86:87]
	v_fma_f64 v[78:79], v[86:87], v[78:79], -v[90:91]
	v_fmac_f64_e32 v[78:79], v[86:87], v[6:7]
	v_add_f64 v[6:7], v[90:91], v[78:79]
	v_add_f64 v[92:93], v[84:85], -v[6:7]
	v_add_f64 v[84:85], v[84:85], -v[92:93]
	;; [unrolled: 1-line block ×4, first 2 shown]
	v_add_f64 v[6:7], v[80:81], v[6:7]
	v_add_f64 v[78:79], v[90:91], -v[78:79]
	v_add_f64 v[6:7], v[78:79], v[6:7]
	v_add_f64 v[78:79], v[82:83], v[86:87]
	v_add_f64 v[6:7], v[92:93], v[6:7]
	v_add_f64 v[80:81], v[78:79], -v[82:83]
	v_mul_f64 v[6:7], v[88:89], v[6:7]
	v_add_f64 v[80:81], v[86:87], -v[80:81]
	v_add_f64 v[6:7], v[80:81], v[6:7]
	v_add_f64 v[80:81], v[78:79], v[6:7]
	v_add_f64 v[78:79], v[80:81], -v[78:79]
	v_add_f64 v[6:7], v[6:7], -v[78:79]
	v_mul_f64 v[78:79], v[80:81], v[80:81]
	v_pk_mov_b32 v[82:83], v[20:21], v[20:21] op_sel:[0,1]
	v_fmac_f64_e32 v[82:83], s[18:19], v[78:79]
	v_pk_mov_b32 v[84:85], v[22:23], v[22:23] op_sel:[0,1]
	v_fmac_f64_e32 v[84:85], v[78:79], v[82:83]
	;; [unrolled: 2-line block ×6, first 2 shown]
	v_cvt_f64_i32_e32 v[82:83], v8
	v_mul_f64 v[86:87], v[82:83], s[20:21]
	v_fma_f64 v[88:89], v[82:83], s[20:21], -v[86:87]
	v_fmac_f64_e32 v[88:89], s[22:23], v[82:83]
	v_add_f64 v[82:83], v[86:87], v[88:89]
	v_add_f64 v[86:87], v[82:83], -v[86:87]
	v_mul_f64 v[78:79], v[80:81], v[78:79]
	v_add_f64 v[86:87], v[88:89], -v[86:87]
	v_ldexp_f64 v[88:89], v[80:81], 1
	v_mul_f64 v[78:79], v[78:79], v[84:85]
	v_add_f64 v[80:81], v[88:89], v[78:79]
	v_add_f64 v[84:85], v[80:81], -v[88:89]
	v_ldexp_f64 v[6:7], v[6:7], 1
	v_add_f64 v[78:79], v[78:79], -v[84:85]
	v_add_f64 v[6:7], v[6:7], v[78:79]
	v_add_f64 v[78:79], v[80:81], v[6:7]
	v_add_f64 v[80:81], v[78:79], -v[80:81]
	v_add_f64 v[6:7], v[6:7], -v[80:81]
	v_add_f64 v[80:81], v[82:83], v[78:79]
	v_add_f64 v[84:85], v[80:81], -v[82:83]
	v_add_f64 v[88:89], v[80:81], -v[84:85]
	;; [unrolled: 1-line block ×4, first 2 shown]
	v_add_f64 v[78:79], v[78:79], v[82:83]
	v_add_f64 v[82:83], v[86:87], v[6:7]
	v_add_f64 v[84:85], v[82:83], -v[86:87]
	v_add_f64 v[78:79], v[82:83], v[78:79]
	v_add_f64 v[88:89], v[82:83], -v[84:85]
	;; [unrolled: 2-line block ×3, first 2 shown]
	v_add_f64 v[6:7], v[6:7], -v[84:85]
	v_add_f64 v[80:81], v[82:83], -v[80:81]
	v_add_f64 v[6:7], v[6:7], v[86:87]
	v_add_f64 v[78:79], v[78:79], -v[80:81]
	v_add_f64 v[6:7], v[6:7], v[78:79]
	v_max_f64 v[78:79], |v[12:13]|, |v[12:13]|
	v_max_f64 v[80:81], |v[10:11]|, |v[10:11]|
	v_add_f64 v[6:7], v[82:83], v[6:7]
	v_max_f64 v[82:83], v[80:81], v[78:79]
	v_min_f64 v[78:79], v[80:81], v[78:79]
	v_div_scale_f64 v[80:81], s[2:3], v[82:83], v[82:83], v[78:79]
	v_cmp_eq_f64_e32 vcc, s[24:25], v[76:77]
	v_rcp_f64_e32 v[84:85], v[80:81]
	v_cndmask_b32_e32 v7, v7, v77, vcc
	v_cndmask_b32_e32 v6, v6, v76, vcc
	v_mul_f64 v[6:7], v[6:7], 0.5
	v_cmp_ngt_f64_e32 vcc, -1.0, v[76:77]
	v_cndmask_b32_e32 v7, v105, v7, vcc
	v_cmp_nge_f64_e32 vcc, -1.0, v[76:77]
	v_cndmask_b32_e32 v6, 0, v6, vcc
	v_cmp_neq_f64_e32 vcc, -1.0, v[76:77]
	v_fma_f64 v[76:77], -v[80:81], v[84:85], 1.0
	v_fmac_f64_e32 v[84:85], v[84:85], v[76:77]
	v_fma_f64 v[76:77], -v[80:81], v[84:85], 1.0
	v_cndmask_b32_e32 v7, v106, v7, vcc
	v_fmac_f64_e32 v[84:85], v[84:85], v[76:77]
	v_div_scale_f64 v[76:77], vcc, v[78:79], v[82:83], v[78:79]
	v_mul_f64 v[86:87], v[76:77], v[84:85]
	v_fma_f64 v[76:77], -v[80:81], v[86:87], v[76:77]
	v_pk_mov_b32 v[80:81], v[32:33], v[32:33] op_sel:[0,1]
	s_nop 0
	v_div_fmas_f64 v[76:77], v[76:77], v[84:85], v[86:87]
	v_div_fixup_f64 v[76:77], v[76:77], v[82:83], v[78:79]
	v_mul_f64 v[78:79], v[76:77], v[76:77]
	v_fmac_f64_e32 v[80:81], s[26:27], v[78:79]
	v_pk_mov_b32 v[82:83], v[34:35], v[34:35] op_sel:[0,1]
	v_fmac_f64_e32 v[82:83], v[78:79], v[80:81]
	v_pk_mov_b32 v[80:81], v[36:37], v[36:37] op_sel:[0,1]
	;; [unrolled: 2-line block ×18, first 2 shown]
	v_fmac_f64_e32 v[80:81], v[78:79], v[82:83]
	v_cmp_gt_i32_e32 vcc, 0, v11
	v_mul_f64 v[78:79], v[78:79], v[80:81]
	v_cmp_class_f64_e64 s[56:57], v[10:11], s63
	v_cndmask_b32_e32 v10, v109, v110, vcc
	v_fmac_f64_e32 v[76:77], v[76:77], v[78:79]
	v_bfi_b32 v19, s61, v10, v13
	v_ashrrev_i32_e32 v10, 31, v11
	v_and_b32_e32 v78, 0x400921fb, v10
	v_and_b32_e32 v79, 0x54442d18, v10
	v_add_f64 v[10:11], -v[76:77], s[28:29]
	v_cndmask_b32_e64 v11, v77, v11, s[0:1]
	v_cndmask_b32_e64 v10, v76, v10, s[0:1]
	s_mov_b32 s30, s28
	v_add_f64 v[76:77], -v[10:11], s[30:31]
	v_cmp_class_f64_e64 s[2:3], v[12:13], s63
	v_cndmask_b32_e32 v8, v107, v108, vcc
	v_cndmask_b32_e32 v11, v11, v77, vcc
	;; [unrolled: 1-line block ×3, first 2 shown]
	v_cmp_eq_f64_e32 vcc, 0, v[12:13]
	v_cndmask_b32_e32 v10, v10, v79, vcc
	v_cndmask_b32_e32 v11, v11, v78, vcc
	s_and_b64 vcc, s[56:57], s[2:3]
	v_cndmask_b32_e32 v77, v11, v19, vcc
	v_cndmask_b32_e32 v76, v10, v8, vcc
.LBB198_209:                            ;   in Loop: Header=BB198_162 Depth=1
	s_or_b64 exec, exec, s[54:55]
.LBB198_210:                            ;   in Loop: Header=BB198_162 Depth=1
	s_or_b64 exec, exec, s[52:53]
.LBB198_211:                            ;   in Loop: Header=BB198_162 Depth=1
	s_andn2_saveexec_b64 s[50:51], s[50:51]
	s_cbranch_execz .LBB198_213
; %bb.212:                              ;   in Loop: Header=BB198_162 Depth=1
	v_max_f64 v[6:7], |v[12:13]|, |v[12:13]|
	v_max_f64 v[76:77], |v[10:11]|, |v[10:11]|
	v_max_f64 v[78:79], v[76:77], v[6:7]
	v_frexp_exp_i32_f64_e32 v8, v[78:79]
	v_sub_u32_e32 v19, 0, v8
	v_ldexp_f64 v[82:83], |v[12:13]|, v19
	v_ldexp_f64 v[80:81], |v[10:11]|, v19
	v_mul_f64 v[82:83], v[82:83], v[82:83]
	v_fmac_f64_e32 v[82:83], v[80:81], v[80:81]
	v_rsq_f64_e32 v[80:81], v[82:83]
	v_cmp_eq_f64_e32 vcc, 0, v[82:83]
	v_cmp_class_f64_e64 s[52:53], v[10:11], s63
	v_cmp_class_f64_e64 s[54:55], v[12:13], s63
	v_mul_f64 v[84:85], v[82:83], v[80:81]
	v_mul_f64 v[80:81], v[80:81], 0.5
	v_fma_f64 v[86:87], -v[80:81], v[84:85], 0.5
	v_fmac_f64_e32 v[84:85], v[84:85], v[86:87]
	v_fmac_f64_e32 v[80:81], v[80:81], v[86:87]
	v_fma_f64 v[86:87], -v[84:85], v[84:85], v[82:83]
	v_fmac_f64_e32 v[84:85], v[86:87], v[80:81]
	v_cndmask_b32_e32 v81, v85, v83, vcc
	v_cndmask_b32_e32 v80, v84, v82, vcc
	v_ldexp_f64 v[80:81], v[80:81], v8
	s_or_b64 vcc, s[52:53], s[54:55]
	v_cndmask_b32_e32 v83, v81, v112, vcc
	v_cndmask_b32_e64 v82, v80, 0, vcc
	v_frexp_mant_f64_e32 v[84:85], v[82:83]
	v_cmp_gt_f64_e64 s[2:3], s[14:15], v[84:85]
	v_cndmask_b32_e64 v19, v111, 2.0, s[2:3]
	v_mul_f64 v[84:85], v[84:85], v[18:19]
	v_add_f64 v[86:87], v[84:85], 1.0
	v_rcp_f64_e32 v[88:89], v[86:87]
	v_add_f64 v[92:93], v[86:87], -1.0
	v_add_f64 v[90:91], v[84:85], -1.0
	v_add_f64 v[84:85], v[84:85], -v[92:93]
	v_fma_f64 v[92:93], -v[86:87], v[88:89], 1.0
	v_fmac_f64_e32 v[88:89], v[92:93], v[88:89]
	v_fma_f64 v[92:93], -v[86:87], v[88:89], 1.0
	v_fmac_f64_e32 v[88:89], v[92:93], v[88:89]
	v_mul_f64 v[92:93], v[90:91], v[88:89]
	v_mul_f64 v[94:95], v[86:87], v[92:93]
	v_fma_f64 v[86:87], v[92:93], v[86:87], -v[94:95]
	v_fmac_f64_e32 v[86:87], v[92:93], v[84:85]
	v_add_f64 v[84:85], v[94:95], v[86:87]
	v_add_f64 v[96:97], v[90:91], -v[84:85]
	v_add_f64 v[94:95], v[84:85], -v[94:95]
	;; [unrolled: 1-line block ×5, first 2 shown]
	v_add_f64 v[84:85], v[86:87], v[84:85]
	v_add_f64 v[84:85], v[96:97], v[84:85]
	v_mul_f64 v[84:85], v[88:89], v[84:85]
	v_add_f64 v[86:87], v[92:93], v[84:85]
	v_add_f64 v[88:89], v[86:87], -v[92:93]
	v_add_f64 v[84:85], v[84:85], -v[88:89]
	v_mul_f64 v[88:89], v[86:87], v[86:87]
	v_pk_mov_b32 v[90:91], v[20:21], v[20:21] op_sel:[0,1]
	v_fmac_f64_e32 v[90:91], s[18:19], v[88:89]
	v_pk_mov_b32 v[92:93], v[22:23], v[22:23] op_sel:[0,1]
	v_fmac_f64_e32 v[92:93], v[88:89], v[90:91]
	;; [unrolled: 2-line block ×6, first 2 shown]
	v_ldexp_f64 v[90:91], v[86:87], 1
	v_mul_f64 v[86:87], v[86:87], v[88:89]
	v_mul_f64 v[86:87], v[86:87], v[92:93]
	v_add_f64 v[88:89], v[90:91], v[86:87]
	v_add_f64 v[90:91], v[88:89], -v[90:91]
	v_ldexp_f64 v[84:85], v[84:85], 1
	v_add_f64 v[86:87], v[86:87], -v[90:91]
	v_add_f64 v[84:85], v[84:85], v[86:87]
	v_frexp_exp_i32_f64_e32 v8, v[82:83]
	v_add_f64 v[86:87], v[88:89], v[84:85]
	v_subbrev_co_u32_e64 v8, s[2:3], 0, v8, s[2:3]
	v_add_f64 v[88:89], v[86:87], -v[88:89]
	v_add_f64 v[84:85], v[84:85], -v[88:89]
	v_cvt_f64_i32_e32 v[88:89], v8
	v_mul_f64 v[90:91], v[88:89], s[20:21]
	v_fma_f64 v[92:93], v[88:89], s[20:21], -v[90:91]
	v_fmac_f64_e32 v[92:93], s[22:23], v[88:89]
	v_add_f64 v[88:89], v[90:91], v[92:93]
	v_add_f64 v[90:91], v[88:89], -v[90:91]
	v_add_f64 v[90:91], v[92:93], -v[90:91]
	v_add_f64 v[92:93], v[88:89], v[86:87]
	v_add_f64 v[94:95], v[92:93], -v[88:89]
	v_add_f64 v[96:97], v[92:93], -v[94:95]
	;; [unrolled: 1-line block ×4, first 2 shown]
	v_add_f64 v[86:87], v[86:87], v[88:89]
	v_add_f64 v[88:89], v[90:91], v[84:85]
	v_add_f64 v[94:95], v[88:89], -v[90:91]
	v_add_f64 v[96:97], v[88:89], -v[94:95]
	v_add_f64 v[86:87], v[88:89], v[86:87]
	v_add_f64 v[90:91], v[90:91], -v[96:97]
	v_add_f64 v[84:85], v[84:85], -v[94:95]
	v_add_f64 v[88:89], v[92:93], v[86:87]
	v_add_f64 v[84:85], v[84:85], v[90:91]
	v_add_f64 v[90:91], v[88:89], -v[92:93]
	v_add_f64 v[86:87], v[86:87], -v[90:91]
	v_add_f64 v[84:85], v[84:85], v[86:87]
	v_add_f64 v[84:85], v[88:89], v[84:85]
	v_cmp_class_f64_e64 s[2:3], v[80:81], s63
	v_min_f64 v[76:77], v[76:77], v[6:7]
	v_cndmask_b32_e64 v8, v85, v81, s[2:3]
	v_cndmask_b32_e64 v10, v84, v80, s[2:3]
	v_div_scale_f64 v[80:81], s[2:3], v[78:79], v[78:79], v[76:77]
	v_rcp_f64_e32 v[84:85], v[80:81]
	v_cndmask_b32_e64 v10, v10, 0, vcc
	v_cndmask_b32_e32 v8, v8, v112, vcc
	v_cmp_ngt_f64_e32 vcc, 0, v[82:83]
	v_cndmask_b32_e32 v8, v105, v8, vcc
	v_cmp_nge_f64_e32 vcc, 0, v[82:83]
	v_cndmask_b32_e32 v6, 0, v10, vcc
	v_cmp_neq_f64_e32 vcc, 0, v[82:83]
	v_fma_f64 v[82:83], -v[80:81], v[84:85], 1.0
	v_fmac_f64_e32 v[84:85], v[84:85], v[82:83]
	v_fma_f64 v[82:83], -v[80:81], v[84:85], 1.0
	v_cndmask_b32_e32 v7, v106, v8, vcc
	v_fmac_f64_e32 v[84:85], v[84:85], v[82:83]
	v_div_scale_f64 v[82:83], vcc, v[76:77], v[78:79], v[76:77]
	v_mul_f64 v[86:87], v[82:83], v[84:85]
	v_fma_f64 v[80:81], -v[80:81], v[86:87], v[82:83]
	v_pk_mov_b32 v[82:83], v[34:35], v[34:35] op_sel:[0,1]
	s_nop 0
	v_div_fmas_f64 v[80:81], v[80:81], v[84:85], v[86:87]
	v_div_fixup_f64 v[76:77], v[80:81], v[78:79], v[76:77]
	v_mul_f64 v[78:79], v[76:77], v[76:77]
	v_pk_mov_b32 v[80:81], v[32:33], v[32:33] op_sel:[0,1]
	v_fmac_f64_e32 v[80:81], s[26:27], v[78:79]
	v_fmac_f64_e32 v[82:83], v[78:79], v[80:81]
	v_pk_mov_b32 v[80:81], v[36:37], v[36:37] op_sel:[0,1]
	v_fmac_f64_e32 v[80:81], v[78:79], v[82:83]
	v_pk_mov_b32 v[82:83], v[38:39], v[38:39] op_sel:[0,1]
	;; [unrolled: 2-line block ×17, first 2 shown]
	v_fmac_f64_e32 v[80:81], v[78:79], v[82:83]
	v_cmp_gt_i32_e32 vcc, 0, v11
	v_mul_f64 v[78:79], v[78:79], v[80:81]
	v_cndmask_b32_e32 v10, v109, v110, vcc
	v_fmac_f64_e32 v[76:77], v[76:77], v[78:79]
	v_bfi_b32 v19, s61, v10, v13
	v_ashrrev_i32_e32 v10, 31, v11
	v_and_b32_e32 v78, 0x400921fb, v10
	v_and_b32_e32 v79, 0x54442d18, v10
	v_add_f64 v[10:11], -v[76:77], s[28:29]
	v_cndmask_b32_e64 v11, v77, v11, s[0:1]
	v_cndmask_b32_e64 v10, v76, v10, s[0:1]
	s_mov_b32 s30, s28
	v_add_f64 v[76:77], -v[10:11], s[30:31]
	v_cndmask_b32_e32 v8, v107, v108, vcc
	v_cndmask_b32_e32 v11, v11, v77, vcc
	;; [unrolled: 1-line block ×3, first 2 shown]
	v_cmp_eq_f64_e32 vcc, 0, v[12:13]
	v_cndmask_b32_e32 v10, v10, v79, vcc
	v_cndmask_b32_e32 v11, v11, v78, vcc
	s_and_b64 vcc, s[52:53], s[54:55]
	v_cndmask_b32_e32 v77, v11, v19, vcc
	v_cndmask_b32_e32 v76, v10, v8, vcc
.LBB198_213:                            ;   in Loop: Header=BB198_162 Depth=1
	s_or_b64 exec, exec, s[50:51]
                                        ; implicit-def: $vgpr78_vgpr79
.LBB198_214:                            ;   in Loop: Header=BB198_162 Depth=1
	s_andn2_saveexec_b64 s[2:3], s[48:49]
	s_cbranch_execz .LBB198_220
; %bb.215:                              ;   in Loop: Header=BB198_162 Depth=1
	v_cmp_ngt_f64_e32 vcc, s[36:37], v[78:79]
                                        ; implicit-def: $vgpr6_vgpr7
                                        ; implicit-def: $vgpr76_vgpr77
	s_and_saveexec_b64 s[48:49], vcc
	s_xor_b64 s[48:49], exec, s[48:49]
	s_cbranch_execz .LBB198_217
; %bb.216:                              ;   in Loop: Header=BB198_162 Depth=1
	v_mul_f64 v[6:7], v[78:79], v[78:79]
	v_add_f64 v[76:77], v[6:7], 1.0
	v_add_f64 v[78:79], v[76:77], -1.0
	v_add_f64 v[80:81], v[78:79], -v[76:77]
	v_add_f64 v[80:81], v[80:81], 1.0
	v_add_f64 v[78:79], v[6:7], -v[78:79]
	v_add_f64 v[78:79], v[78:79], v[80:81]
	v_frexp_mant_f64_e32 v[80:81], v[76:77]
	v_frexp_exp_i32_f64_e32 v8, v[76:77]
	v_cmp_gt_f64_e32 vcc, s[14:15], v[80:81]
	v_subbrev_co_u32_e32 v8, vcc, 0, v8, vcc
	v_sub_u32_e32 v19, 0, v8
	v_ldexp_f64 v[76:77], v[76:77], v19
	v_add_f64 v[80:81], v[76:77], -1.0
	v_add_f64 v[86:87], v[76:77], 1.0
	v_add_f64 v[82:83], v[80:81], 1.0
	v_add_f64 v[88:89], v[86:87], -1.0
	v_ldexp_f64 v[78:79], v[78:79], v19
	v_add_f64 v[82:83], v[76:77], -v[82:83]
	v_add_f64 v[76:77], v[76:77], -v[88:89]
	v_add_f64 v[76:77], v[78:79], v[76:77]
	v_add_f64 v[82:83], v[78:79], v[82:83]
	;; [unrolled: 1-line block ×3, first 2 shown]
	v_rcp_f64_e32 v[88:89], v[78:79]
	v_add_f64 v[84:85], v[80:81], v[82:83]
	v_add_f64 v[80:81], v[80:81], -v[84:85]
	v_add_f64 v[80:81], v[82:83], v[80:81]
	v_add_f64 v[82:83], v[86:87], -v[78:79]
	v_add_f64 v[76:77], v[76:77], v[82:83]
	v_fma_f64 v[82:83], -v[78:79], v[88:89], 1.0
	v_fmac_f64_e32 v[88:89], v[82:83], v[88:89]
	v_fma_f64 v[82:83], -v[78:79], v[88:89], 1.0
	v_fmac_f64_e32 v[88:89], v[82:83], v[88:89]
	v_mul_f64 v[82:83], v[84:85], v[88:89]
	v_mul_f64 v[86:87], v[78:79], v[82:83]
	v_fma_f64 v[90:91], v[82:83], v[78:79], -v[86:87]
	v_fmac_f64_e32 v[90:91], v[82:83], v[76:77]
	v_add_f64 v[92:93], v[86:87], v[90:91]
	v_add_f64 v[94:95], v[84:85], -v[92:93]
	v_add_f64 v[84:85], v[84:85], -v[94:95]
	;; [unrolled: 1-line block ×4, first 2 shown]
	v_add_f64 v[80:81], v[80:81], v[84:85]
	v_add_f64 v[84:85], v[86:87], -v[90:91]
	v_add_f64 v[80:81], v[84:85], v[80:81]
	v_add_f64 v[84:85], v[94:95], v[80:81]
	v_add_f64 v[86:87], v[94:95], -v[84:85]
	v_add_f64 v[80:81], v[80:81], v[86:87]
	v_mul_f64 v[86:87], v[88:89], v[84:85]
	v_mul_f64 v[90:91], v[78:79], v[86:87]
	v_fma_f64 v[78:79], v[86:87], v[78:79], -v[90:91]
	v_fmac_f64_e32 v[78:79], v[86:87], v[76:77]
	v_add_f64 v[76:77], v[90:91], v[78:79]
	v_add_f64 v[92:93], v[84:85], -v[76:77]
	v_add_f64 v[84:85], v[84:85], -v[92:93]
	v_add_f64 v[90:91], v[76:77], -v[90:91]
	v_add_f64 v[76:77], v[84:85], -v[76:77]
	v_add_f64 v[76:77], v[80:81], v[76:77]
	v_add_f64 v[78:79], v[90:91], -v[78:79]
	v_add_f64 v[76:77], v[78:79], v[76:77]
	v_add_f64 v[78:79], v[82:83], v[86:87]
	;; [unrolled: 1-line block ×3, first 2 shown]
	v_add_f64 v[80:81], v[78:79], -v[82:83]
	v_mul_f64 v[76:77], v[88:89], v[76:77]
	v_add_f64 v[80:81], v[86:87], -v[80:81]
	v_add_f64 v[76:77], v[80:81], v[76:77]
	v_add_f64 v[80:81], v[78:79], v[76:77]
	v_add_f64 v[78:79], v[80:81], -v[78:79]
	v_add_f64 v[76:77], v[76:77], -v[78:79]
	v_mul_f64 v[78:79], v[80:81], v[80:81]
	v_pk_mov_b32 v[82:83], v[20:21], v[20:21] op_sel:[0,1]
	v_fmac_f64_e32 v[82:83], s[18:19], v[78:79]
	v_pk_mov_b32 v[84:85], v[22:23], v[22:23] op_sel:[0,1]
	v_fmac_f64_e32 v[84:85], v[78:79], v[82:83]
	v_pk_mov_b32 v[82:83], v[24:25], v[24:25] op_sel:[0,1]
	v_fmac_f64_e32 v[82:83], v[78:79], v[84:85]
	v_pk_mov_b32 v[84:85], v[26:27], v[26:27] op_sel:[0,1]
	v_fmac_f64_e32 v[84:85], v[78:79], v[82:83]
	v_pk_mov_b32 v[82:83], v[28:29], v[28:29] op_sel:[0,1]
	v_fmac_f64_e32 v[82:83], v[78:79], v[84:85]
	v_pk_mov_b32 v[84:85], v[30:31], v[30:31] op_sel:[0,1]
	v_fmac_f64_e32 v[84:85], v[78:79], v[82:83]
	v_cvt_f64_i32_e32 v[82:83], v8
	v_mul_f64 v[86:87], v[82:83], s[20:21]
	v_fma_f64 v[88:89], v[82:83], s[20:21], -v[86:87]
	v_fmac_f64_e32 v[88:89], s[22:23], v[82:83]
	v_add_f64 v[82:83], v[86:87], v[88:89]
	v_add_f64 v[86:87], v[82:83], -v[86:87]
	v_mul_f64 v[78:79], v[80:81], v[78:79]
	v_add_f64 v[86:87], v[88:89], -v[86:87]
	v_ldexp_f64 v[88:89], v[80:81], 1
	v_mul_f64 v[78:79], v[78:79], v[84:85]
	v_add_f64 v[80:81], v[88:89], v[78:79]
	v_add_f64 v[84:85], v[80:81], -v[88:89]
	v_ldexp_f64 v[76:77], v[76:77], 1
	v_add_f64 v[78:79], v[78:79], -v[84:85]
	v_add_f64 v[76:77], v[76:77], v[78:79]
	v_add_f64 v[78:79], v[80:81], v[76:77]
	v_add_f64 v[80:81], v[78:79], -v[80:81]
	v_add_f64 v[76:77], v[76:77], -v[80:81]
	v_add_f64 v[80:81], v[82:83], v[78:79]
	v_add_f64 v[84:85], v[80:81], -v[82:83]
	v_add_f64 v[88:89], v[80:81], -v[84:85]
	;; [unrolled: 1-line block ×4, first 2 shown]
	v_add_f64 v[78:79], v[78:79], v[82:83]
	v_add_f64 v[82:83], v[86:87], v[76:77]
	v_add_f64 v[84:85], v[82:83], -v[86:87]
	v_add_f64 v[78:79], v[82:83], v[78:79]
	v_add_f64 v[88:89], v[82:83], -v[84:85]
	;; [unrolled: 2-line block ×3, first 2 shown]
	v_add_f64 v[76:77], v[76:77], -v[84:85]
	v_add_f64 v[80:81], v[82:83], -v[80:81]
	v_add_f64 v[76:77], v[76:77], v[86:87]
	v_add_f64 v[78:79], v[78:79], -v[80:81]
	v_add_f64 v[76:77], v[76:77], v[78:79]
	v_max_f64 v[78:79], |v[12:13]|, |v[12:13]|
	v_max_f64 v[80:81], |v[10:11]|, |v[10:11]|
	v_add_f64 v[76:77], v[82:83], v[76:77]
	v_max_f64 v[82:83], v[80:81], v[78:79]
	v_min_f64 v[78:79], v[80:81], v[78:79]
	v_div_scale_f64 v[80:81], s[50:51], v[82:83], v[82:83], v[78:79]
	v_rcp_f64_e32 v[84:85], v[80:81]
	v_cmp_eq_f64_e32 vcc, s[24:25], v[6:7]
	v_cndmask_b32_e32 v7, v77, v7, vcc
	v_cndmask_b32_e32 v6, v76, v6, vcc
	v_fma_f64 v[76:77], -v[80:81], v[84:85], 1.0
	v_fmac_f64_e32 v[84:85], v[84:85], v[76:77]
	v_fma_f64 v[76:77], -v[80:81], v[84:85], 1.0
	v_fmac_f64_e32 v[84:85], v[84:85], v[76:77]
	v_div_scale_f64 v[76:77], vcc, v[78:79], v[82:83], v[78:79]
	v_mul_f64 v[86:87], v[76:77], v[84:85]
	v_fma_f64 v[76:77], -v[80:81], v[86:87], v[76:77]
	v_pk_mov_b32 v[80:81], v[32:33], v[32:33] op_sel:[0,1]
	s_nop 0
	v_div_fmas_f64 v[76:77], v[76:77], v[84:85], v[86:87]
	v_div_fixup_f64 v[76:77], v[76:77], v[82:83], v[78:79]
	v_mul_f64 v[78:79], v[76:77], v[76:77]
	v_fmac_f64_e32 v[80:81], s[26:27], v[78:79]
	v_pk_mov_b32 v[82:83], v[34:35], v[34:35] op_sel:[0,1]
	v_fmac_f64_e32 v[82:83], v[78:79], v[80:81]
	v_pk_mov_b32 v[80:81], v[36:37], v[36:37] op_sel:[0,1]
	;; [unrolled: 2-line block ×18, first 2 shown]
	v_fmac_f64_e32 v[80:81], v[78:79], v[82:83]
	v_cmp_gt_i32_e32 vcc, 0, v11
	v_mul_f64 v[78:79], v[78:79], v[80:81]
	v_cmp_class_f64_e64 s[52:53], v[10:11], s63
	v_cndmask_b32_e32 v10, v109, v110, vcc
	v_fmac_f64_e32 v[76:77], v[76:77], v[78:79]
	v_bfi_b32 v19, s61, v10, v13
	v_ashrrev_i32_e32 v10, 31, v11
	v_and_b32_e32 v78, 0x400921fb, v10
	v_and_b32_e32 v79, 0x54442d18, v10
	v_add_f64 v[10:11], -v[76:77], s[28:29]
	v_cndmask_b32_e64 v11, v77, v11, s[0:1]
	v_cndmask_b32_e64 v10, v76, v10, s[0:1]
	s_mov_b32 s30, s28
	v_add_f64 v[76:77], -v[10:11], s[30:31]
	v_cmp_class_f64_e64 s[50:51], v[12:13], s63
	v_cndmask_b32_e32 v8, v107, v108, vcc
	v_cndmask_b32_e32 v11, v11, v77, vcc
	;; [unrolled: 1-line block ×3, first 2 shown]
	v_cmp_eq_f64_e32 vcc, 0, v[12:13]
	v_cndmask_b32_e32 v10, v10, v79, vcc
	v_cndmask_b32_e32 v11, v11, v78, vcc
	s_and_b64 vcc, s[52:53], s[50:51]
	v_mul_f64 v[6:7], v[6:7], 0.5
	v_cndmask_b32_e32 v77, v11, v19, vcc
	v_cndmask_b32_e32 v76, v10, v8, vcc
                                        ; implicit-def: $vgpr78_vgpr79
.LBB198_217:                            ;   in Loop: Header=BB198_162 Depth=1
	s_andn2_saveexec_b64 s[48:49], s[48:49]
	s_cbranch_execz .LBB198_219
; %bb.218:                              ;   in Loop: Header=BB198_162 Depth=1
	v_max_f64 v[6:7], |v[12:13]|, |v[12:13]|
	v_max_f64 v[76:77], |v[10:11]|, |v[10:11]|
	v_max_f64 v[80:81], v[76:77], v[6:7]
	v_min_f64 v[76:77], v[76:77], v[6:7]
	v_div_scale_f64 v[82:83], s[50:51], v[80:81], v[80:81], v[76:77]
	v_rcp_f64_e32 v[84:85], v[82:83]
	v_mul_f64 v[6:7], v[78:79], 0.5
	v_mul_f64 v[6:7], v[78:79], v[6:7]
	v_cmp_class_f64_e64 s[52:53], v[10:11], s63
	v_fma_f64 v[78:79], -v[82:83], v[84:85], 1.0
	v_fmac_f64_e32 v[84:85], v[84:85], v[78:79]
	v_fma_f64 v[78:79], -v[82:83], v[84:85], 1.0
	v_fmac_f64_e32 v[84:85], v[84:85], v[78:79]
	v_div_scale_f64 v[78:79], vcc, v[76:77], v[80:81], v[76:77]
	v_mul_f64 v[86:87], v[78:79], v[84:85]
	v_fma_f64 v[78:79], -v[82:83], v[86:87], v[78:79]
	v_pk_mov_b32 v[82:83], v[34:35], v[34:35] op_sel:[0,1]
	s_nop 0
	v_div_fmas_f64 v[78:79], v[78:79], v[84:85], v[86:87]
	v_div_fixup_f64 v[76:77], v[78:79], v[80:81], v[76:77]
	v_mul_f64 v[78:79], v[76:77], v[76:77]
	v_pk_mov_b32 v[80:81], v[32:33], v[32:33] op_sel:[0,1]
	v_fmac_f64_e32 v[80:81], s[26:27], v[78:79]
	v_fmac_f64_e32 v[82:83], v[78:79], v[80:81]
	v_pk_mov_b32 v[80:81], v[36:37], v[36:37] op_sel:[0,1]
	v_fmac_f64_e32 v[80:81], v[78:79], v[82:83]
	v_pk_mov_b32 v[82:83], v[38:39], v[38:39] op_sel:[0,1]
	;; [unrolled: 2-line block ×17, first 2 shown]
	v_fmac_f64_e32 v[80:81], v[78:79], v[82:83]
	v_cmp_gt_i32_e32 vcc, 0, v11
	v_mul_f64 v[78:79], v[78:79], v[80:81]
	v_cndmask_b32_e32 v10, v109, v110, vcc
	v_fmac_f64_e32 v[76:77], v[76:77], v[78:79]
	v_bfi_b32 v19, s61, v10, v13
	v_ashrrev_i32_e32 v10, 31, v11
	v_and_b32_e32 v78, 0x400921fb, v10
	v_and_b32_e32 v79, 0x54442d18, v10
	v_add_f64 v[10:11], -v[76:77], s[28:29]
	v_cndmask_b32_e64 v11, v77, v11, s[0:1]
	v_cndmask_b32_e64 v10, v76, v10, s[0:1]
	s_mov_b32 s30, s28
	v_add_f64 v[76:77], -v[10:11], s[30:31]
	v_cmp_class_f64_e64 s[50:51], v[12:13], s63
	v_cndmask_b32_e32 v8, v107, v108, vcc
	v_cndmask_b32_e32 v11, v11, v77, vcc
	;; [unrolled: 1-line block ×3, first 2 shown]
	v_cmp_eq_f64_e32 vcc, 0, v[12:13]
	v_cndmask_b32_e32 v10, v10, v79, vcc
	v_cndmask_b32_e32 v11, v11, v78, vcc
	s_and_b64 vcc, s[52:53], s[50:51]
	v_cndmask_b32_e32 v77, v11, v19, vcc
	v_cndmask_b32_e32 v76, v10, v8, vcc
.LBB198_219:                            ;   in Loop: Header=BB198_162 Depth=1
	s_or_b64 exec, exec, s[48:49]
.LBB198_220:                            ;   in Loop: Header=BB198_162 Depth=1
	s_or_b64 exec, exec, s[2:3]
.LBB198_221:                            ;   in Loop: Header=BB198_162 Depth=1
	s_andn2_saveexec_b64 s[48:49], s[4:5]
	s_cbranch_execz .LBB198_223
; %bb.222:                              ;   in Loop: Header=BB198_162 Depth=1
	v_div_scale_f64 v[6:7], s[2:3], s[38:39], s[38:39], v[10:11]
	v_rcp_f64_e32 v[76:77], v[6:7]
	v_div_scale_f64 v[78:79], vcc, v[10:11], s[38:39], v[10:11]
	s_mov_b32 s30, s28
	v_fma_f64 v[80:81], -v[6:7], v[76:77], 1.0
	v_fmac_f64_e32 v[76:77], v[76:77], v[80:81]
	v_fma_f64 v[80:81], -v[6:7], v[76:77], 1.0
	v_fmac_f64_e32 v[76:77], v[76:77], v[80:81]
	v_mul_f64 v[80:81], v[78:79], v[76:77]
	v_fma_f64 v[6:7], -v[6:7], v[80:81], v[78:79]
	v_div_scale_f64 v[78:79], s[2:3], s[38:39], s[38:39], v[12:13]
	v_rcp_f64_e32 v[82:83], v[78:79]
	v_div_fmas_f64 v[6:7], v[6:7], v[76:77], v[80:81]
	v_div_fixup_f64 v[6:7], v[6:7], s[38:39], v[10:11]
	v_cmp_class_f64_e64 s[4:5], v[6:7], s63
	v_fma_f64 v[76:77], -v[78:79], v[82:83], 1.0
	v_fmac_f64_e32 v[82:83], v[82:83], v[76:77]
	v_fma_f64 v[76:77], -v[78:79], v[82:83], 1.0
	v_fmac_f64_e32 v[82:83], v[82:83], v[76:77]
	v_div_scale_f64 v[76:77], vcc, v[12:13], s[38:39], v[12:13]
	v_mul_f64 v[80:81], v[76:77], v[82:83]
	v_fma_f64 v[76:77], -v[78:79], v[80:81], v[76:77]
	s_nop 1
	v_div_fmas_f64 v[76:77], v[76:77], v[82:83], v[80:81]
	v_div_fixup_f64 v[76:77], v[76:77], s[38:39], v[12:13]
	v_max_f64 v[78:79], |v[6:7]|, |v[76:77]|
	v_frexp_exp_i32_f64_e32 v8, v[78:79]
	v_sub_u32_e32 v19, 0, v8
	v_ldexp_f64 v[80:81], |v[76:77]|, v19
	v_ldexp_f64 v[78:79], |v[6:7]|, v19
	v_mul_f64 v[80:81], v[80:81], v[80:81]
	v_fmac_f64_e32 v[80:81], v[78:79], v[78:79]
	v_rsq_f64_e32 v[78:79], v[80:81]
	v_cmp_eq_f64_e32 vcc, 0, v[80:81]
	v_cmp_o_f64_e64 s[2:3], v[6:7], v[76:77]
	v_cmp_class_f64_e64 s[50:51], v[76:77], s63
	v_mul_f64 v[82:83], v[80:81], v[78:79]
	v_mul_f64 v[78:79], v[78:79], 0.5
	v_fma_f64 v[84:85], -v[78:79], v[82:83], 0.5
	v_fmac_f64_e32 v[82:83], v[82:83], v[84:85]
	v_fmac_f64_e32 v[78:79], v[78:79], v[84:85]
	v_fma_f64 v[84:85], -v[82:83], v[82:83], v[80:81]
	v_fmac_f64_e32 v[82:83], v[84:85], v[78:79]
	v_cndmask_b32_e32 v79, v83, v81, vcc
	v_cndmask_b32_e32 v78, v82, v80, vcc
	v_ldexp_f64 v[78:79], v[78:79], v8
	v_cndmask_b32_e64 v8, 0, v78, s[2:3]
	v_cndmask_b32_e64 v92, v105, v79, s[2:3]
	s_or_b64 vcc, s[4:5], s[50:51]
	v_cndmask_b32_e32 v77, v92, v112, vcc
	v_cndmask_b32_e64 v76, v8, 0, vcc
	v_frexp_mant_f64_e32 v[6:7], v[76:77]
	v_cmp_gt_f64_e64 s[4:5], s[14:15], v[6:7]
	v_cndmask_b32_e64 v19, v111, 2.0, s[4:5]
	v_frexp_exp_i32_f64_e32 v80, v[76:77]
	v_mul_f64 v[6:7], v[6:7], v[18:19]
	v_subbrev_co_u32_e64 v19, s[4:5], 0, v80, s[4:5]
	v_add_f64 v[80:81], v[6:7], 1.0
	v_rcp_f64_e32 v[82:83], v[80:81]
	v_add_f64 v[86:87], v[80:81], -1.0
	v_add_f64 v[84:85], v[6:7], -1.0
	v_add_f64 v[6:7], v[6:7], -v[86:87]
	v_fma_f64 v[86:87], -v[80:81], v[82:83], 1.0
	v_fmac_f64_e32 v[82:83], v[86:87], v[82:83]
	v_fma_f64 v[86:87], -v[80:81], v[82:83], 1.0
	v_fmac_f64_e32 v[82:83], v[86:87], v[82:83]
	v_mul_f64 v[86:87], v[84:85], v[82:83]
	v_mul_f64 v[88:89], v[80:81], v[86:87]
	v_fma_f64 v[80:81], v[86:87], v[80:81], -v[88:89]
	v_fmac_f64_e32 v[80:81], v[86:87], v[6:7]
	v_add_f64 v[6:7], v[88:89], v[80:81]
	v_add_f64 v[90:91], v[84:85], -v[6:7]
	v_add_f64 v[88:89], v[6:7], -v[88:89]
	;; [unrolled: 1-line block ×5, first 2 shown]
	v_add_f64 v[6:7], v[80:81], v[6:7]
	v_add_f64 v[6:7], v[90:91], v[6:7]
	v_mul_f64 v[6:7], v[82:83], v[6:7]
	v_add_f64 v[80:81], v[86:87], v[6:7]
	v_add_f64 v[82:83], v[80:81], -v[86:87]
	v_add_f64 v[6:7], v[6:7], -v[82:83]
	v_mul_f64 v[82:83], v[80:81], v[80:81]
	v_pk_mov_b32 v[84:85], v[20:21], v[20:21] op_sel:[0,1]
	v_fmac_f64_e32 v[84:85], s[18:19], v[82:83]
	v_pk_mov_b32 v[86:87], v[22:23], v[22:23] op_sel:[0,1]
	v_fmac_f64_e32 v[86:87], v[82:83], v[84:85]
	;; [unrolled: 2-line block ×6, first 2 shown]
	v_ldexp_f64 v[84:85], v[80:81], 1
	v_mul_f64 v[80:81], v[80:81], v[82:83]
	v_mul_f64 v[80:81], v[80:81], v[86:87]
	v_add_f64 v[82:83], v[84:85], v[80:81]
	v_add_f64 v[84:85], v[82:83], -v[84:85]
	v_ldexp_f64 v[6:7], v[6:7], 1
	v_add_f64 v[80:81], v[80:81], -v[84:85]
	v_add_f64 v[6:7], v[6:7], v[80:81]
	v_add_f64 v[80:81], v[82:83], v[6:7]
	v_add_f64 v[82:83], v[80:81], -v[82:83]
	v_add_f64 v[6:7], v[6:7], -v[82:83]
	v_cvt_f64_i32_e32 v[82:83], v19
	v_mul_f64 v[84:85], v[82:83], s[20:21]
	v_fma_f64 v[86:87], v[82:83], s[20:21], -v[84:85]
	v_fmac_f64_e32 v[86:87], s[22:23], v[82:83]
	v_add_f64 v[82:83], v[84:85], v[86:87]
	v_add_f64 v[84:85], v[82:83], -v[84:85]
	v_add_f64 v[84:85], v[86:87], -v[84:85]
	v_add_f64 v[86:87], v[82:83], v[80:81]
	v_add_f64 v[88:89], v[86:87], -v[82:83]
	v_add_f64 v[90:91], v[86:87], -v[88:89]
	;; [unrolled: 1-line block ×4, first 2 shown]
	v_add_f64 v[80:81], v[80:81], v[82:83]
	v_add_f64 v[82:83], v[84:85], v[6:7]
	v_add_f64 v[88:89], v[82:83], -v[84:85]
	v_add_f64 v[90:91], v[82:83], -v[88:89]
	v_add_f64 v[80:81], v[82:83], v[80:81]
	v_add_f64 v[84:85], v[84:85], -v[90:91]
	v_add_f64 v[6:7], v[6:7], -v[88:89]
	v_add_f64 v[82:83], v[86:87], v[80:81]
	v_add_f64 v[6:7], v[6:7], v[84:85]
	v_add_f64 v[84:85], v[82:83], -v[86:87]
	v_add_f64 v[80:81], v[80:81], -v[84:85]
	v_and_b32_e32 v79, 0x7fffffff, v79
	v_add_f64 v[6:7], v[6:7], v[80:81]
	v_cmp_eq_f64_e64 s[4:5], s[24:25], v[78:79]
	v_add_f64 v[6:7], v[82:83], v[6:7]
	s_and_b64 s[2:3], s[2:3], s[4:5]
	v_cndmask_b32_e64 v7, v7, v92, s[2:3]
	v_cndmask_b32_e64 v6, v6, v8, s[2:3]
	v_add_f64 v[6:7], v[6:7], 1.0
	v_cndmask_b32_e64 v8, v6, 0, vcc
	v_cndmask_b32_e32 v6, v7, v112, vcc
	v_cmp_ngt_f64_e32 vcc, 0, v[76:77]
	v_cndmask_b32_e32 v19, v105, v6, vcc
	v_max_f64 v[6:7], |v[12:13]|, |v[12:13]|
	v_max_f64 v[78:79], |v[10:11]|, |v[10:11]|
	v_max_f64 v[80:81], v[78:79], v[6:7]
	v_min_f64 v[78:79], v[78:79], v[6:7]
	v_div_scale_f64 v[82:83], s[2:3], v[80:81], v[80:81], v[78:79]
	v_rcp_f64_e32 v[84:85], v[82:83]
	v_cmp_nge_f64_e32 vcc, 0, v[76:77]
	v_cndmask_b32_e32 v6, 0, v8, vcc
	v_cmp_neq_f64_e32 vcc, 0, v[76:77]
	v_fma_f64 v[76:77], -v[82:83], v[84:85], 1.0
	v_fmac_f64_e32 v[84:85], v[84:85], v[76:77]
	v_fma_f64 v[76:77], -v[82:83], v[84:85], 1.0
	v_cndmask_b32_e32 v7, v106, v19, vcc
	v_fmac_f64_e32 v[84:85], v[84:85], v[76:77]
	v_div_scale_f64 v[76:77], vcc, v[78:79], v[80:81], v[78:79]
	v_mul_f64 v[86:87], v[76:77], v[84:85]
	v_fma_f64 v[76:77], -v[82:83], v[86:87], v[76:77]
	v_pk_mov_b32 v[82:83], v[34:35], v[34:35] op_sel:[0,1]
	s_nop 0
	v_div_fmas_f64 v[76:77], v[76:77], v[84:85], v[86:87]
	v_div_fixup_f64 v[76:77], v[76:77], v[80:81], v[78:79]
	v_mul_f64 v[78:79], v[76:77], v[76:77]
	v_pk_mov_b32 v[80:81], v[32:33], v[32:33] op_sel:[0,1]
	v_fmac_f64_e32 v[80:81], s[26:27], v[78:79]
	v_fmac_f64_e32 v[82:83], v[78:79], v[80:81]
	v_pk_mov_b32 v[80:81], v[36:37], v[36:37] op_sel:[0,1]
	v_fmac_f64_e32 v[80:81], v[78:79], v[82:83]
	v_pk_mov_b32 v[82:83], v[38:39], v[38:39] op_sel:[0,1]
	v_fmac_f64_e32 v[82:83], v[78:79], v[80:81]
	v_pk_mov_b32 v[80:81], v[40:41], v[40:41] op_sel:[0,1]
	v_fmac_f64_e32 v[80:81], v[78:79], v[82:83]
	v_pk_mov_b32 v[82:83], v[42:43], v[42:43] op_sel:[0,1]
	v_fmac_f64_e32 v[82:83], v[78:79], v[80:81]
	v_pk_mov_b32 v[80:81], v[44:45], v[44:45] op_sel:[0,1]
	v_fmac_f64_e32 v[80:81], v[78:79], v[82:83]
	v_pk_mov_b32 v[82:83], v[46:47], v[46:47] op_sel:[0,1]
	v_fmac_f64_e32 v[82:83], v[78:79], v[80:81]
	v_pk_mov_b32 v[80:81], v[48:49], v[48:49] op_sel:[0,1]
	v_fmac_f64_e32 v[80:81], v[78:79], v[82:83]
	v_pk_mov_b32 v[82:83], v[50:51], v[50:51] op_sel:[0,1]
	v_fmac_f64_e32 v[82:83], v[78:79], v[80:81]
	v_pk_mov_b32 v[80:81], v[52:53], v[52:53] op_sel:[0,1]
	v_fmac_f64_e32 v[80:81], v[78:79], v[82:83]
	v_pk_mov_b32 v[82:83], v[54:55], v[54:55] op_sel:[0,1]
	v_fmac_f64_e32 v[82:83], v[78:79], v[80:81]
	v_pk_mov_b32 v[80:81], v[56:57], v[56:57] op_sel:[0,1]
	v_fmac_f64_e32 v[80:81], v[78:79], v[82:83]
	v_pk_mov_b32 v[82:83], v[58:59], v[58:59] op_sel:[0,1]
	v_fmac_f64_e32 v[82:83], v[78:79], v[80:81]
	v_pk_mov_b32 v[80:81], v[60:61], v[60:61] op_sel:[0,1]
	v_fmac_f64_e32 v[80:81], v[78:79], v[82:83]
	v_pk_mov_b32 v[82:83], v[62:63], v[62:63] op_sel:[0,1]
	v_fmac_f64_e32 v[82:83], v[78:79], v[80:81]
	v_pk_mov_b32 v[80:81], v[64:65], v[64:65] op_sel:[0,1]
	v_fmac_f64_e32 v[80:81], v[78:79], v[82:83]
	v_pk_mov_b32 v[82:83], v[66:67], v[66:67] op_sel:[0,1]
	v_fmac_f64_e32 v[82:83], v[78:79], v[80:81]
	v_pk_mov_b32 v[80:81], v[68:69], v[68:69] op_sel:[0,1]
	v_fmac_f64_e32 v[80:81], v[78:79], v[82:83]
	v_cmp_gt_i32_e32 vcc, 0, v11
	v_mul_f64 v[78:79], v[78:79], v[80:81]
	v_cmp_class_f64_e64 s[4:5], v[10:11], s63
	v_cndmask_b32_e32 v10, v109, v110, vcc
	v_fmac_f64_e32 v[76:77], v[76:77], v[78:79]
	v_bfi_b32 v19, s61, v10, v13
	v_ashrrev_i32_e32 v10, 31, v11
	v_and_b32_e32 v78, 0x400921fb, v10
	v_and_b32_e32 v79, 0x54442d18, v10
	v_add_f64 v[10:11], -v[76:77], s[28:29]
	v_cndmask_b32_e64 v11, v77, v11, s[0:1]
	v_cndmask_b32_e64 v10, v76, v10, s[0:1]
	v_add_f64 v[76:77], -v[10:11], s[30:31]
	v_cmp_class_f64_e64 s[2:3], v[12:13], s63
	v_cndmask_b32_e32 v8, v107, v108, vcc
	v_cndmask_b32_e32 v11, v11, v77, vcc
	;; [unrolled: 1-line block ×3, first 2 shown]
	v_cmp_eq_f64_e32 vcc, 0, v[12:13]
	v_cndmask_b32_e32 v10, v10, v79, vcc
	v_cndmask_b32_e32 v11, v11, v78, vcc
	s_and_b64 vcc, s[4:5], s[2:3]
	v_cndmask_b32_e32 v77, v11, v19, vcc
	v_cndmask_b32_e32 v76, v10, v8, vcc
.LBB198_223:                            ;   in Loop: Header=BB198_162 Depth=1
	s_or_b64 exec, exec, s[48:49]
.LBB198_224:                            ;   in Loop: Header=BB198_162 Depth=1
	s_andn2_saveexec_b64 s[0:1], s[46:47]
	s_cbranch_execz .LBB198_230
; %bb.225:                              ;   in Loop: Header=BB198_162 Depth=1
	v_cmp_nlt_f64_e64 s[2:3], |v[10:11]|, s[40:41]
	v_cmp_nlt_f64_e64 s[4:5], |v[12:13]|, s[40:41]
	s_or_b64 s[2:3], s[2:3], s[4:5]
                                        ; implicit-def: $vgpr76_vgpr77
	s_and_saveexec_b64 s[4:5], s[2:3]
	s_xor_b64 s[2:3], exec, s[4:5]
; %bb.226:                              ;   in Loop: Header=BB198_162 Depth=1
	v_mul_f64 v[76:77], v[12:13], v[12:13]
	v_fmac_f64_e32 v[76:77], v[10:11], v[10:11]
; %bb.227:                              ;   in Loop: Header=BB198_162 Depth=1
	s_andn2_saveexec_b64 s[2:3], s[2:3]
; %bb.228:                              ;   in Loop: Header=BB198_162 Depth=1
	v_mul_f64 v[6:7], v[10:11], 4.0
	v_mul_f64 v[10:11], v[12:13], 4.0
	v_mul_f64 v[10:11], v[10:11], v[10:11]
	v_fmac_f64_e32 v[10:11], v[6:7], v[6:7]
	v_ldexp_f64 v[76:77], v[10:11], -4
; %bb.229:                              ;   in Loop: Header=BB198_162 Depth=1
	s_or_b64 exec, exec, s[2:3]
	v_frexp_mant_f64_e32 v[6:7], v[76:77]
	v_cmp_gt_f64_e32 vcc, s[14:15], v[6:7]
	v_cndmask_b32_e64 v19, v111, 2.0, vcc
	v_mul_f64 v[6:7], v[6:7], v[18:19]
	v_add_f64 v[10:11], v[6:7], 1.0
	v_rcp_f64_e32 v[78:79], v[10:11]
	v_add_f64 v[82:83], v[10:11], -1.0
	v_add_f64 v[80:81], v[6:7], -1.0
	v_add_f64 v[6:7], v[6:7], -v[82:83]
	v_fma_f64 v[82:83], -v[10:11], v[78:79], 1.0
	v_fmac_f64_e32 v[78:79], v[82:83], v[78:79]
	v_fma_f64 v[82:83], -v[10:11], v[78:79], 1.0
	v_fmac_f64_e32 v[78:79], v[82:83], v[78:79]
	v_mul_f64 v[82:83], v[80:81], v[78:79]
	v_mul_f64 v[84:85], v[10:11], v[82:83]
	v_fma_f64 v[10:11], v[82:83], v[10:11], -v[84:85]
	v_fmac_f64_e32 v[10:11], v[82:83], v[6:7]
	v_add_f64 v[6:7], v[84:85], v[10:11]
	v_add_f64 v[86:87], v[80:81], -v[6:7]
	v_add_f64 v[84:85], v[6:7], -v[84:85]
	;; [unrolled: 1-line block ×5, first 2 shown]
	v_add_f64 v[6:7], v[10:11], v[6:7]
	v_add_f64 v[6:7], v[86:87], v[6:7]
	v_mul_f64 v[6:7], v[78:79], v[6:7]
	v_add_f64 v[10:11], v[82:83], v[6:7]
	v_add_f64 v[78:79], v[10:11], -v[82:83]
	v_add_f64 v[6:7], v[6:7], -v[78:79]
	v_mul_f64 v[78:79], v[10:11], v[10:11]
	v_pk_mov_b32 v[80:81], v[20:21], v[20:21] op_sel:[0,1]
	v_fmac_f64_e32 v[80:81], s[18:19], v[78:79]
	v_pk_mov_b32 v[82:83], v[22:23], v[22:23] op_sel:[0,1]
	v_fmac_f64_e32 v[82:83], v[78:79], v[80:81]
	;; [unrolled: 2-line block ×6, first 2 shown]
	v_ldexp_f64 v[80:81], v[10:11], 1
	v_mul_f64 v[10:11], v[10:11], v[78:79]
	v_mul_f64 v[10:11], v[10:11], v[82:83]
	v_add_f64 v[78:79], v[80:81], v[10:11]
	v_add_f64 v[80:81], v[78:79], -v[80:81]
	v_ldexp_f64 v[6:7], v[6:7], 1
	v_add_f64 v[10:11], v[10:11], -v[80:81]
	v_add_f64 v[6:7], v[6:7], v[10:11]
	v_frexp_exp_i32_f64_e32 v8, v[76:77]
	v_add_f64 v[10:11], v[78:79], v[6:7]
	v_subbrev_co_u32_e32 v8, vcc, 0, v8, vcc
	v_add_f64 v[78:79], v[10:11], -v[78:79]
	v_add_f64 v[6:7], v[6:7], -v[78:79]
	v_cvt_f64_i32_e32 v[78:79], v8
	v_mul_f64 v[80:81], v[78:79], s[20:21]
	v_fma_f64 v[82:83], v[78:79], s[20:21], -v[80:81]
	v_fmac_f64_e32 v[82:83], s[22:23], v[78:79]
	v_add_f64 v[78:79], v[80:81], v[82:83]
	v_add_f64 v[80:81], v[78:79], -v[80:81]
	v_add_f64 v[80:81], v[82:83], -v[80:81]
	v_add_f64 v[82:83], v[78:79], v[10:11]
	v_add_f64 v[84:85], v[82:83], -v[78:79]
	v_add_f64 v[86:87], v[82:83], -v[84:85]
	;; [unrolled: 1-line block ×4, first 2 shown]
	v_add_f64 v[10:11], v[10:11], v[78:79]
	v_add_f64 v[78:79], v[80:81], v[6:7]
	v_add_f64 v[84:85], v[78:79], -v[80:81]
	v_add_f64 v[86:87], v[78:79], -v[84:85]
	v_add_f64 v[10:11], v[78:79], v[10:11]
	v_add_f64 v[80:81], v[80:81], -v[86:87]
	v_add_f64 v[6:7], v[6:7], -v[84:85]
	v_add_f64 v[78:79], v[82:83], v[10:11]
	v_add_f64 v[6:7], v[6:7], v[80:81]
	v_add_f64 v[80:81], v[78:79], -v[82:83]
	v_add_f64 v[10:11], v[10:11], -v[80:81]
	v_add_f64 v[6:7], v[6:7], v[10:11]
	v_add_f64 v[6:7], v[78:79], v[6:7]
	v_cmp_class_f64_e64 vcc, v[76:77], s63
	v_cndmask_b32_e32 v6, v6, v76, vcc
	v_cndmask_b32_e32 v7, v7, v77, vcc
	v_cmp_ngt_f64_e32 vcc, 0, v[76:77]
	v_cndmask_b32_e32 v7, v105, v7, vcc
	v_cmp_nge_f64_e32 vcc, 0, v[76:77]
	v_cndmask_b32_e32 v6, 0, v6, vcc
	v_cmp_neq_f64_e32 vcc, 0, v[76:77]
	v_mov_b32_e32 v76, 0
	v_cndmask_b32_e32 v7, v106, v7, vcc
	v_mov_b32_e32 v77, 0x7ff80000
.LBB198_230:                            ;   in Loop: Header=BB198_162 Depth=1
	s_or_b64 exec, exec, s[0:1]
	s_waitcnt vmcnt(0)
	v_cmp_o_f64_e32 vcc, v[14:15], v[16:17]
                                        ; implicit-def: $vgpr10_vgpr11
                                        ; implicit-def: $vgpr78_vgpr79
	s_and_saveexec_b64 s[0:1], vcc
	s_xor_b64 s[46:47], exec, s[0:1]
	s_cbranch_execz .LBB198_258
; %bb.231:                              ;   in Loop: Header=BB198_162 Depth=1
	v_and_b32_e32 v12, 0x7fffffff, v15
	v_and_b32_e32 v19, 0x7fffffff, v17
	v_mov_b32_e32 v8, v16
	v_cmp_lt_f64_e64 s[0:1], |v[14:15]|, |v[16:17]|
	v_cndmask_b32_e64 v81, v19, v12, s[0:1]
	v_cndmask_b32_e64 v80, v8, v14, s[0:1]
	v_cmp_nlt_f64_e32 vcc, s[8:9], v[80:81]
                                        ; implicit-def: $vgpr10_vgpr11
                                        ; implicit-def: $vgpr78_vgpr79
	s_and_saveexec_b64 s[2:3], vcc
	s_xor_b64 s[4:5], exec, s[2:3]
	s_cbranch_execz .LBB198_255
; %bb.232:                              ;   in Loop: Header=BB198_162 Depth=1
	v_cndmask_b32_e64 v85, v12, v19, s[0:1]
	v_cndmask_b32_e64 v84, v14, v8, s[0:1]
	v_cmp_neq_f64_e32 vcc, 1.0, v[84:85]
                                        ; implicit-def: $vgpr10_vgpr11
                                        ; implicit-def: $vgpr78_vgpr79
	s_and_saveexec_b64 s[2:3], vcc
	s_xor_b64 s[48:49], exec, s[2:3]
	s_cbranch_execz .LBB198_248
; %bb.233:                              ;   in Loop: Header=BB198_162 Depth=1
	v_max_f64 v[10:11], v[80:81], v[80:81]
	v_max_f64 v[78:79], v[84:85], v[84:85]
	v_min_f64 v[82:83], v[78:79], v[10:11]
	v_max_f64 v[10:11], v[78:79], v[10:11]
	v_cmp_ngt_f64_e32 vcc, s[10:11], v[82:83]
	v_cmp_nlt_f64_e64 s[2:3], s[12:13], v[10:11]
	s_and_b64 s[2:3], s[2:3], vcc
                                        ; implicit-def: $vgpr10_vgpr11
                                        ; implicit-def: $vgpr78_vgpr79
	s_and_saveexec_b64 s[50:51], s[2:3]
	s_xor_b64 s[50:51], exec, s[50:51]
	s_cbranch_execz .LBB198_245
; %bb.234:                              ;   in Loop: Header=BB198_162 Depth=1
	v_cmp_le_f64_e32 vcc, 1.0, v[84:85]
                                        ; implicit-def: $vgpr10_vgpr11
                                        ; implicit-def: $vgpr78_vgpr79
	s_and_saveexec_b64 s[2:3], vcc
	s_xor_b64 s[2:3], exec, s[2:3]
	s_cbranch_execz .LBB198_236
; %bb.235:                              ;   in Loop: Header=BB198_162 Depth=1
	v_add_f64 v[10:11], v[84:85], -1.0
	v_add_f64 v[78:79], v[84:85], 1.0
	v_mul_f64 v[78:79], v[10:11], v[78:79]
	v_fmac_f64_e32 v[78:79], v[80:81], v[80:81]
	v_add_f64 v[10:11], v[78:79], 1.0
	v_add_f64 v[80:81], v[10:11], -1.0
	v_add_f64 v[82:83], v[80:81], -v[10:11]
	v_add_f64 v[82:83], v[82:83], 1.0
	v_add_f64 v[80:81], v[78:79], -v[80:81]
	v_add_f64 v[80:81], v[80:81], v[82:83]
	v_frexp_mant_f64_e32 v[82:83], v[10:11]
	v_frexp_exp_i32_f64_e32 v8, v[10:11]
	v_cmp_gt_f64_e32 vcc, s[14:15], v[82:83]
	v_subbrev_co_u32_e32 v8, vcc, 0, v8, vcc
	v_sub_u32_e32 v12, 0, v8
	v_ldexp_f64 v[10:11], v[10:11], v12
	v_add_f64 v[82:83], v[10:11], -1.0
	v_add_f64 v[88:89], v[10:11], 1.0
	v_add_f64 v[84:85], v[82:83], 1.0
	v_add_f64 v[90:91], v[88:89], -1.0
	v_ldexp_f64 v[80:81], v[80:81], v12
	v_add_f64 v[84:85], v[10:11], -v[84:85]
	v_add_f64 v[10:11], v[10:11], -v[90:91]
	v_add_f64 v[10:11], v[80:81], v[10:11]
	v_add_f64 v[84:85], v[80:81], v[84:85]
	;; [unrolled: 1-line block ×3, first 2 shown]
	v_rcp_f64_e32 v[90:91], v[80:81]
	v_add_f64 v[86:87], v[82:83], v[84:85]
	v_add_f64 v[82:83], v[86:87], -v[82:83]
	v_add_f64 v[82:83], v[84:85], -v[82:83]
	;; [unrolled: 1-line block ×4, first 2 shown]
	v_fma_f64 v[84:85], -v[80:81], v[90:91], 1.0
	v_fmac_f64_e32 v[90:91], v[84:85], v[90:91]
	v_fma_f64 v[84:85], -v[80:81], v[90:91], 1.0
	v_fmac_f64_e32 v[90:91], v[84:85], v[90:91]
	v_mul_f64 v[84:85], v[86:87], v[90:91]
	v_mul_f64 v[88:89], v[80:81], v[84:85]
	v_fma_f64 v[92:93], v[84:85], v[80:81], -v[88:89]
	v_fmac_f64_e32 v[92:93], v[84:85], v[10:11]
	v_add_f64 v[94:95], v[88:89], v[92:93]
	v_add_f64 v[96:97], v[86:87], -v[94:95]
	v_add_f64 v[86:87], v[86:87], -v[96:97]
	;; [unrolled: 1-line block ×4, first 2 shown]
	v_add_f64 v[82:83], v[82:83], v[86:87]
	v_add_f64 v[86:87], v[88:89], -v[92:93]
	v_add_f64 v[82:83], v[86:87], v[82:83]
	v_add_f64 v[86:87], v[96:97], v[82:83]
	v_add_f64 v[88:89], v[96:97], -v[86:87]
	v_add_f64 v[82:83], v[82:83], v[88:89]
	v_mul_f64 v[88:89], v[90:91], v[86:87]
	v_mul_f64 v[92:93], v[80:81], v[88:89]
	v_fma_f64 v[80:81], v[88:89], v[80:81], -v[92:93]
	v_fmac_f64_e32 v[80:81], v[88:89], v[10:11]
	v_add_f64 v[10:11], v[92:93], v[80:81]
	v_add_f64 v[94:95], v[86:87], -v[10:11]
	v_add_f64 v[86:87], v[86:87], -v[94:95]
	;; [unrolled: 1-line block ×4, first 2 shown]
	v_add_f64 v[10:11], v[82:83], v[10:11]
	v_add_f64 v[80:81], v[92:93], -v[80:81]
	v_add_f64 v[10:11], v[80:81], v[10:11]
	v_add_f64 v[80:81], v[84:85], v[88:89]
	;; [unrolled: 1-line block ×3, first 2 shown]
	v_add_f64 v[82:83], v[80:81], -v[84:85]
	v_mul_f64 v[10:11], v[90:91], v[10:11]
	v_add_f64 v[82:83], v[88:89], -v[82:83]
	v_add_f64 v[10:11], v[82:83], v[10:11]
	v_add_f64 v[82:83], v[80:81], v[10:11]
	v_add_f64 v[80:81], v[82:83], -v[80:81]
	v_add_f64 v[10:11], v[10:11], -v[80:81]
	v_mul_f64 v[80:81], v[82:83], v[82:83]
	v_pk_mov_b32 v[84:85], v[20:21], v[20:21] op_sel:[0,1]
	v_fmac_f64_e32 v[84:85], s[18:19], v[80:81]
	v_pk_mov_b32 v[86:87], v[22:23], v[22:23] op_sel:[0,1]
	v_fmac_f64_e32 v[86:87], v[80:81], v[84:85]
	;; [unrolled: 2-line block ×6, first 2 shown]
	v_cvt_f64_i32_e32 v[84:85], v8
	v_mul_f64 v[88:89], v[84:85], s[20:21]
	v_fma_f64 v[90:91], v[84:85], s[20:21], -v[88:89]
	v_fmac_f64_e32 v[90:91], s[22:23], v[84:85]
	v_add_f64 v[84:85], v[88:89], v[90:91]
	v_add_f64 v[88:89], v[84:85], -v[88:89]
	v_mul_f64 v[80:81], v[82:83], v[80:81]
	v_add_f64 v[88:89], v[90:91], -v[88:89]
	v_ldexp_f64 v[90:91], v[82:83], 1
	v_mul_f64 v[80:81], v[80:81], v[86:87]
	v_add_f64 v[82:83], v[90:91], v[80:81]
	v_add_f64 v[86:87], v[82:83], -v[90:91]
	v_ldexp_f64 v[10:11], v[10:11], 1
	v_add_f64 v[80:81], v[80:81], -v[86:87]
	v_add_f64 v[10:11], v[10:11], v[80:81]
	v_add_f64 v[80:81], v[82:83], v[10:11]
	v_add_f64 v[82:83], v[80:81], -v[82:83]
	v_add_f64 v[10:11], v[10:11], -v[82:83]
	v_add_f64 v[82:83], v[84:85], v[80:81]
	v_add_f64 v[86:87], v[82:83], -v[84:85]
	v_add_f64 v[90:91], v[82:83], -v[86:87]
	;; [unrolled: 1-line block ×4, first 2 shown]
	v_add_f64 v[80:81], v[80:81], v[84:85]
	v_add_f64 v[84:85], v[88:89], v[10:11]
	v_add_f64 v[86:87], v[84:85], -v[88:89]
	v_add_f64 v[80:81], v[84:85], v[80:81]
	v_add_f64 v[90:91], v[84:85], -v[86:87]
	;; [unrolled: 2-line block ×3, first 2 shown]
	v_add_f64 v[10:11], v[10:11], -v[86:87]
	v_add_f64 v[82:83], v[84:85], -v[82:83]
	v_add_f64 v[10:11], v[10:11], v[88:89]
	v_add_f64 v[80:81], v[80:81], -v[82:83]
	v_add_f64 v[10:11], v[10:11], v[80:81]
	v_max_f64 v[80:81], |v[16:17]|, |v[16:17]|
	v_max_f64 v[82:83], |v[14:15]|, |v[14:15]|
	v_add_f64 v[10:11], v[84:85], v[10:11]
	v_max_f64 v[84:85], v[82:83], v[80:81]
	v_min_f64 v[80:81], v[82:83], v[80:81]
	v_div_scale_f64 v[82:83], s[52:53], v[84:85], v[84:85], v[80:81]
	v_cmp_eq_f64_e32 vcc, s[24:25], v[78:79]
	v_rcp_f64_e32 v[86:87], v[82:83]
	v_cndmask_b32_e32 v11, v11, v79, vcc
	v_cndmask_b32_e32 v10, v10, v78, vcc
	v_mul_f64 v[10:11], v[10:11], 0.5
	v_cmp_ngt_f64_e32 vcc, -1.0, v[78:79]
	v_cndmask_b32_e32 v8, v105, v11, vcc
	v_cmp_nge_f64_e32 vcc, -1.0, v[78:79]
	v_cndmask_b32_e32 v10, 0, v10, vcc
	v_cmp_neq_f64_e32 vcc, -1.0, v[78:79]
	v_fma_f64 v[78:79], -v[82:83], v[86:87], 1.0
	v_fmac_f64_e32 v[86:87], v[86:87], v[78:79]
	v_fma_f64 v[78:79], -v[82:83], v[86:87], 1.0
	v_cndmask_b32_e32 v11, v106, v8, vcc
	v_fmac_f64_e32 v[86:87], v[86:87], v[78:79]
	v_div_scale_f64 v[78:79], vcc, v[80:81], v[84:85], v[80:81]
	v_mul_f64 v[88:89], v[78:79], v[86:87]
	v_fma_f64 v[78:79], -v[82:83], v[88:89], v[78:79]
	v_pk_mov_b32 v[82:83], v[32:33], v[32:33] op_sel:[0,1]
	s_nop 0
	v_div_fmas_f64 v[78:79], v[78:79], v[86:87], v[88:89]
	v_div_fixup_f64 v[78:79], v[78:79], v[84:85], v[80:81]
	v_mul_f64 v[80:81], v[78:79], v[78:79]
	v_fmac_f64_e32 v[82:83], s[26:27], v[80:81]
	v_pk_mov_b32 v[84:85], v[34:35], v[34:35] op_sel:[0,1]
	v_fmac_f64_e32 v[84:85], v[80:81], v[82:83]
	v_pk_mov_b32 v[82:83], v[36:37], v[36:37] op_sel:[0,1]
	;; [unrolled: 2-line block ×18, first 2 shown]
	v_fmac_f64_e32 v[82:83], v[80:81], v[84:85]
	v_mul_f64 v[80:81], v[80:81], v[82:83]
	v_fmac_f64_e32 v[78:79], v[78:79], v[80:81]
	v_cmp_class_f64_e64 s[54:55], v[14:15], s63
	v_ashrrev_i32_e32 v14, 31, v15
	v_cmp_gt_i32_e32 vcc, 0, v15
	v_and_b32_e32 v19, 0x400921fb, v14
	v_and_b32_e32 v80, 0x54442d18, v14
	v_add_f64 v[14:15], -v[78:79], s[28:29]
	v_cndmask_b32_e64 v15, v79, v15, s[0:1]
	v_cndmask_b32_e64 v14, v78, v14, s[0:1]
	s_mov_b32 s30, s28
	v_add_f64 v[78:79], -v[14:15], s[30:31]
	v_cmp_class_f64_e64 s[52:53], v[16:17], s63
	v_cndmask_b32_e32 v8, v107, v108, vcc
	v_cndmask_b32_e32 v12, v109, v110, vcc
	;; [unrolled: 1-line block ×4, first 2 shown]
	v_cmp_eq_f64_e32 vcc, 0, v[16:17]
	v_bfi_b32 v12, s61, v12, v17
	v_cndmask_b32_e32 v14, v14, v80, vcc
	v_cndmask_b32_e32 v15, v15, v19, vcc
	s_and_b64 vcc, s[54:55], s[52:53]
	v_cndmask_b32_e32 v79, v15, v12, vcc
	v_cndmask_b32_e32 v78, v14, v8, vcc
                                        ; implicit-def: $vgpr80_vgpr81
                                        ; implicit-def: $vgpr84_vgpr85
.LBB198_236:                            ;   in Loop: Header=BB198_162 Depth=1
	s_andn2_saveexec_b64 s[52:53], s[2:3]
	s_cbranch_execz .LBB198_244
; %bb.237:                              ;   in Loop: Header=BB198_162 Depth=1
	v_mul_f64 v[82:83], v[80:81], v[80:81]
	v_fmac_f64_e32 v[82:83], v[84:85], v[84:85]
	v_cmp_ge_f64_e32 vcc, s[34:35], v[82:83]
                                        ; implicit-def: $vgpr10_vgpr11
                                        ; implicit-def: $vgpr78_vgpr79
	s_and_saveexec_b64 s[2:3], vcc
	s_xor_b64 s[2:3], exec, s[2:3]
	s_cbranch_execz .LBB198_239
; %bb.238:                              ;   in Loop: Header=BB198_162 Depth=1
	v_frexp_mant_f64_e32 v[10:11], v[82:83]
	v_cmp_gt_f64_e32 vcc, s[14:15], v[10:11]
	v_cndmask_b32_e64 v19, v111, 2.0, vcc
	v_mul_f64 v[10:11], v[10:11], v[18:19]
	v_add_f64 v[78:79], v[10:11], 1.0
	v_rcp_f64_e32 v[80:81], v[78:79]
	v_add_f64 v[86:87], v[78:79], -1.0
	v_add_f64 v[84:85], v[10:11], -1.0
	v_add_f64 v[10:11], v[10:11], -v[86:87]
	v_fma_f64 v[86:87], -v[78:79], v[80:81], 1.0
	v_fmac_f64_e32 v[80:81], v[86:87], v[80:81]
	v_fma_f64 v[86:87], -v[78:79], v[80:81], 1.0
	v_fmac_f64_e32 v[80:81], v[86:87], v[80:81]
	v_mul_f64 v[86:87], v[84:85], v[80:81]
	v_mul_f64 v[88:89], v[78:79], v[86:87]
	v_fma_f64 v[78:79], v[86:87], v[78:79], -v[88:89]
	v_fmac_f64_e32 v[78:79], v[86:87], v[10:11]
	v_add_f64 v[10:11], v[88:89], v[78:79]
	v_add_f64 v[90:91], v[84:85], -v[10:11]
	v_add_f64 v[88:89], v[10:11], -v[88:89]
	;; [unrolled: 1-line block ×5, first 2 shown]
	v_add_f64 v[10:11], v[78:79], v[10:11]
	v_add_f64 v[10:11], v[90:91], v[10:11]
	v_mul_f64 v[10:11], v[80:81], v[10:11]
	v_add_f64 v[78:79], v[86:87], v[10:11]
	v_add_f64 v[80:81], v[78:79], -v[86:87]
	v_add_f64 v[10:11], v[10:11], -v[80:81]
	v_mul_f64 v[80:81], v[78:79], v[78:79]
	v_pk_mov_b32 v[84:85], v[20:21], v[20:21] op_sel:[0,1]
	v_fmac_f64_e32 v[84:85], s[18:19], v[80:81]
	v_pk_mov_b32 v[86:87], v[22:23], v[22:23] op_sel:[0,1]
	v_fmac_f64_e32 v[86:87], v[80:81], v[84:85]
	;; [unrolled: 2-line block ×6, first 2 shown]
	v_ldexp_f64 v[84:85], v[78:79], 1
	v_mul_f64 v[78:79], v[78:79], v[80:81]
	v_mul_f64 v[78:79], v[78:79], v[86:87]
	v_add_f64 v[80:81], v[84:85], v[78:79]
	v_add_f64 v[84:85], v[80:81], -v[84:85]
	v_ldexp_f64 v[10:11], v[10:11], 1
	v_add_f64 v[78:79], v[78:79], -v[84:85]
	v_add_f64 v[10:11], v[10:11], v[78:79]
	v_frexp_exp_i32_f64_e32 v8, v[82:83]
	v_add_f64 v[78:79], v[80:81], v[10:11]
	v_subbrev_co_u32_e32 v8, vcc, 0, v8, vcc
	v_add_f64 v[80:81], v[78:79], -v[80:81]
	v_add_f64 v[10:11], v[10:11], -v[80:81]
	v_cvt_f64_i32_e32 v[80:81], v8
	v_mul_f64 v[84:85], v[80:81], s[20:21]
	v_fma_f64 v[86:87], v[80:81], s[20:21], -v[84:85]
	v_fmac_f64_e32 v[86:87], s[22:23], v[80:81]
	v_add_f64 v[80:81], v[84:85], v[86:87]
	v_add_f64 v[84:85], v[80:81], -v[84:85]
	v_add_f64 v[84:85], v[86:87], -v[84:85]
	v_add_f64 v[86:87], v[80:81], v[78:79]
	v_add_f64 v[88:89], v[86:87], -v[80:81]
	v_add_f64 v[90:91], v[86:87], -v[88:89]
	;; [unrolled: 1-line block ×4, first 2 shown]
	v_add_f64 v[78:79], v[78:79], v[80:81]
	v_add_f64 v[80:81], v[84:85], v[10:11]
	v_add_f64 v[88:89], v[80:81], -v[84:85]
	v_add_f64 v[90:91], v[80:81], -v[88:89]
	v_add_f64 v[78:79], v[80:81], v[78:79]
	v_add_f64 v[84:85], v[84:85], -v[90:91]
	v_add_f64 v[10:11], v[10:11], -v[88:89]
	v_add_f64 v[80:81], v[86:87], v[78:79]
	v_add_f64 v[10:11], v[10:11], v[84:85]
	v_add_f64 v[84:85], v[80:81], -v[86:87]
	v_add_f64 v[78:79], v[78:79], -v[84:85]
	v_add_f64 v[10:11], v[10:11], v[78:79]
	v_add_f64 v[10:11], v[80:81], v[10:11]
	v_max_f64 v[78:79], |v[16:17]|, |v[16:17]|
	v_max_f64 v[80:81], |v[14:15]|, |v[14:15]|
	v_max_f64 v[84:85], v[80:81], v[78:79]
	v_min_f64 v[78:79], v[80:81], v[78:79]
	v_div_scale_f64 v[80:81], s[54:55], v[84:85], v[84:85], v[78:79]
	v_rcp_f64_e32 v[86:87], v[80:81]
	v_cmp_neq_f64_e32 vcc, 0, v[82:83]
	v_mul_f64 v[10:11], v[10:11], 0.5
	v_cndmask_b32_e32 v11, v106, v11, vcc
	v_fma_f64 v[82:83], -v[80:81], v[86:87], 1.0
	v_fmac_f64_e32 v[86:87], v[86:87], v[82:83]
	v_fma_f64 v[82:83], -v[80:81], v[86:87], 1.0
	v_cndmask_b32_e32 v10, 0, v10, vcc
	v_fmac_f64_e32 v[86:87], v[86:87], v[82:83]
	v_div_scale_f64 v[82:83], vcc, v[78:79], v[84:85], v[78:79]
	v_mul_f64 v[88:89], v[82:83], v[86:87]
	v_fma_f64 v[80:81], -v[80:81], v[88:89], v[82:83]
	v_pk_mov_b32 v[82:83], v[32:33], v[32:33] op_sel:[0,1]
	s_nop 0
	v_div_fmas_f64 v[80:81], v[80:81], v[86:87], v[88:89]
	v_div_fixup_f64 v[78:79], v[80:81], v[84:85], v[78:79]
	v_mul_f64 v[80:81], v[78:79], v[78:79]
	v_fmac_f64_e32 v[82:83], s[26:27], v[80:81]
	v_pk_mov_b32 v[84:85], v[34:35], v[34:35] op_sel:[0,1]
	v_fmac_f64_e32 v[84:85], v[80:81], v[82:83]
	v_pk_mov_b32 v[82:83], v[36:37], v[36:37] op_sel:[0,1]
	;; [unrolled: 2-line block ×18, first 2 shown]
	v_fmac_f64_e32 v[82:83], v[80:81], v[84:85]
	v_mul_f64 v[80:81], v[80:81], v[82:83]
	v_fmac_f64_e32 v[78:79], v[78:79], v[80:81]
	v_cmp_class_f64_e64 s[56:57], v[14:15], s63
	v_ashrrev_i32_e32 v14, 31, v15
	v_cmp_gt_i32_e32 vcc, 0, v15
	v_and_b32_e32 v19, 0x400921fb, v14
	v_and_b32_e32 v80, 0x54442d18, v14
	v_add_f64 v[14:15], -v[78:79], s[28:29]
	v_cndmask_b32_e64 v15, v79, v15, s[0:1]
	v_cndmask_b32_e64 v14, v78, v14, s[0:1]
	s_mov_b32 s30, s28
	v_add_f64 v[78:79], -v[14:15], s[30:31]
	v_cmp_class_f64_e64 s[54:55], v[16:17], s63
	v_cndmask_b32_e32 v8, v107, v108, vcc
	v_cndmask_b32_e32 v12, v109, v110, vcc
	;; [unrolled: 1-line block ×4, first 2 shown]
	v_cmp_eq_f64_e32 vcc, 0, v[16:17]
	v_bfi_b32 v12, s61, v12, v17
	v_cndmask_b32_e32 v14, v14, v80, vcc
	v_cndmask_b32_e32 v15, v15, v19, vcc
	s_and_b64 vcc, s[56:57], s[54:55]
	v_cndmask_b32_e32 v79, v15, v12, vcc
	v_cndmask_b32_e32 v78, v14, v8, vcc
                                        ; implicit-def: $vgpr84_vgpr85
                                        ; implicit-def: $vgpr80_vgpr81
.LBB198_239:                            ;   in Loop: Header=BB198_162 Depth=1
	s_andn2_saveexec_b64 s[54:55], s[2:3]
	s_cbranch_execz .LBB198_243
; %bb.240:                              ;   in Loop: Header=BB198_162 Depth=1
	v_and_b32_e32 v19, 0x7ffffff8, v85
	v_add_f64 v[10:11], v[84:85], -v[18:19]
	v_and_b32_e32 v93, -8, v11
	v_mov_b32_e32 v92, v18
	v_and_b32_e32 v83, 0x7ffffff8, v81
	v_mov_b32_e32 v82, v18
	v_add_f64 v[96:97], v[10:11], -v[92:93]
	v_add_f64 v[10:11], v[80:81], -v[82:83]
	v_and_b32_e32 v95, -8, v11
	v_mov_b32_e32 v94, v18
	v_add_f64 v[86:87], v[18:19], v[18:19]
	v_add_f64 v[100:101], v[82:83], v[82:83]
	v_add_f64 v[98:99], v[10:11], -v[94:95]
	v_mul_f64 v[78:79], v[82:83], v[82:83]
	v_mul_f64 v[84:85], v[86:87], v[92:93]
	;; [unrolled: 1-line block ×5, first 2 shown]
	v_add_f64 v[92:93], v[92:93], v[92:93]
	v_add_f64 v[94:95], v[94:95], v[94:95]
	v_mul_f64 v[10:11], v[18:19], v[18:19]
	v_mul_f64 v[88:89], v[86:87], v[96:97]
	;; [unrolled: 1-line block ×7, first 2 shown]
	s_mov_b64 s[56:57], 0
.LBB198_241:                            ;   Parent Loop BB198_162 Depth=1
                                        ; =>  This Inner Loop Header: Depth=2
	v_cmp_nlt_f64_e32 vcc, v[10:11], v[78:79]
	v_cndmask_b32_e32 v101, v11, v79, vcc
	v_cndmask_b32_e32 v100, v10, v78, vcc
	v_cmp_nlt_f64_e64 s[2:3], v[100:101], v[84:85]
	v_cndmask_b32_e64 v103, v101, v85, s[2:3]
	v_cndmask_b32_e64 v102, v100, v84, s[2:3]
	v_cndmask_b32_e32 v11, v79, v11, vcc
	v_cndmask_b32_e32 v10, v78, v10, vcc
	s_and_b64 s[58:59], vcc, s[2:3]
	v_cmp_nlt_f64_e32 vcc, v[102:103], v[82:83]
	v_cndmask_b32_e64 v79, v85, v101, s[2:3]
	v_cndmask_b32_e64 v78, v84, v100, s[2:3]
	v_cndmask_b32_e32 v101, v103, v83, vcc
	v_cndmask_b32_e32 v100, v102, v82, vcc
	v_cmp_nlt_f64_e64 s[2:3], v[100:101], v[90:91]
	v_cndmask_b32_e32 v85, v83, v103, vcc
	v_cndmask_b32_e32 v84, v82, v102, vcc
	v_cndmask_b32_e64 v103, v101, v91, s[2:3]
	v_cndmask_b32_e64 v102, v100, v90, s[2:3]
	s_and_b64 s[64:65], vcc, s[2:3]
	v_cmp_nlt_f64_e32 vcc, v[102:103], v[80:81]
	v_cndmask_b32_e64 v83, v91, v101, s[2:3]
	v_cndmask_b32_e64 v82, v90, v100, s[2:3]
	v_cndmask_b32_e32 v101, v103, v81, vcc
	v_cndmask_b32_e32 v100, v102, v80, vcc
	v_cmp_nlt_f64_e64 s[2:3], v[100:101], v[88:89]
	v_cndmask_b32_e32 v91, v81, v103, vcc
	v_cndmask_b32_e32 v90, v80, v102, vcc
	v_cndmask_b32_e64 v103, v101, v89, s[2:3]
	v_cndmask_b32_e64 v102, v100, v88, s[2:3]
	;; [unrolled: 1-line block ×4, first 2 shown]
	s_and_b64 s[2:3], vcc, s[2:3]
	v_cmp_nlt_f64_e32 vcc, v[102:103], v[86:87]
	v_cndmask_b32_e32 v101, v103, v87, vcc
	v_cndmask_b32_e32 v100, v102, v86, vcc
	v_cndmask_b32_e32 v89, v87, v103, vcc
	v_cndmask_b32_e32 v88, v86, v102, vcc
	s_and_b64 s[2:3], s[2:3], vcc
	v_cmp_nlt_f64_e32 vcc, v[100:101], v[92:93]
	v_cndmask_b32_e32 v103, v101, v93, vcc
	v_cndmask_b32_e32 v102, v100, v92, vcc
	v_cndmask_b32_e32 v87, v93, v101, vcc
	v_cndmask_b32_e32 v86, v92, v100, vcc
	s_and_b64 s[2:3], s[2:3], vcc
	;; [unrolled: 6-line block ×4, first 2 shown]
	v_cmp_nlt_f64_e32 vcc, v[102:103], v[98:99]
	s_and_b64 s[2:3], s[2:3], vcc
	s_and_b64 s[2:3], s[2:3], s[64:65]
	s_and_b64 s[2:3], s[2:3], s[58:59]
	v_cndmask_b32_e32 v101, v103, v99, vcc
	v_cndmask_b32_e32 v100, v102, v98, vcc
	s_and_b64 s[2:3], exec, s[2:3]
	v_cndmask_b32_e32 v97, v99, v103, vcc
	v_cndmask_b32_e32 v96, v98, v102, vcc
	s_or_b64 s[56:57], s[2:3], s[56:57]
	v_pk_mov_b32 v[98:99], v[100:101], v[100:101] op_sel:[0,1]
	s_andn2_b64 exec, exec, s[56:57]
	s_cbranch_execnz .LBB198_241
; %bb.242:                              ;   in Loop: Header=BB198_162 Depth=1
	s_or_b64 exec, exec, s[56:57]
	v_add_f64 v[10:11], v[10:11], -1.0
	v_add_f64 v[10:11], v[10:11], v[78:79]
	v_add_f64 v[10:11], v[10:11], v[84:85]
	;; [unrolled: 1-line block ×11, first 2 shown]
	v_add_f64 v[10:11], v[78:79], 1.0
	v_add_f64 v[80:81], v[10:11], -1.0
	v_add_f64 v[82:83], v[80:81], -v[10:11]
	v_add_f64 v[82:83], v[82:83], 1.0
	v_add_f64 v[80:81], v[78:79], -v[80:81]
	v_add_f64 v[80:81], v[80:81], v[82:83]
	v_frexp_mant_f64_e32 v[82:83], v[10:11]
	v_frexp_exp_i32_f64_e32 v8, v[10:11]
	v_cmp_gt_f64_e32 vcc, s[14:15], v[82:83]
	v_subbrev_co_u32_e32 v8, vcc, 0, v8, vcc
	v_sub_u32_e32 v12, 0, v8
	v_ldexp_f64 v[10:11], v[10:11], v12
	v_add_f64 v[82:83], v[10:11], -1.0
	v_add_f64 v[88:89], v[10:11], 1.0
	v_add_f64 v[84:85], v[82:83], 1.0
	v_add_f64 v[90:91], v[88:89], -1.0
	v_ldexp_f64 v[80:81], v[80:81], v12
	v_add_f64 v[84:85], v[10:11], -v[84:85]
	v_add_f64 v[10:11], v[10:11], -v[90:91]
	v_add_f64 v[10:11], v[80:81], v[10:11]
	v_add_f64 v[84:85], v[80:81], v[84:85]
	;; [unrolled: 1-line block ×3, first 2 shown]
	v_rcp_f64_e32 v[90:91], v[80:81]
	v_add_f64 v[86:87], v[82:83], v[84:85]
	v_add_f64 v[82:83], v[86:87], -v[82:83]
	v_add_f64 v[82:83], v[84:85], -v[82:83]
	;; [unrolled: 1-line block ×4, first 2 shown]
	v_fma_f64 v[84:85], -v[80:81], v[90:91], 1.0
	v_fmac_f64_e32 v[90:91], v[84:85], v[90:91]
	v_fma_f64 v[84:85], -v[80:81], v[90:91], 1.0
	v_fmac_f64_e32 v[90:91], v[84:85], v[90:91]
	v_mul_f64 v[84:85], v[86:87], v[90:91]
	v_mul_f64 v[88:89], v[80:81], v[84:85]
	v_fma_f64 v[92:93], v[84:85], v[80:81], -v[88:89]
	v_fmac_f64_e32 v[92:93], v[84:85], v[10:11]
	v_add_f64 v[94:95], v[88:89], v[92:93]
	v_add_f64 v[96:97], v[86:87], -v[94:95]
	v_add_f64 v[86:87], v[86:87], -v[96:97]
	;; [unrolled: 1-line block ×4, first 2 shown]
	v_add_f64 v[82:83], v[82:83], v[86:87]
	v_add_f64 v[86:87], v[88:89], -v[92:93]
	v_add_f64 v[82:83], v[86:87], v[82:83]
	v_add_f64 v[86:87], v[96:97], v[82:83]
	v_add_f64 v[88:89], v[96:97], -v[86:87]
	v_add_f64 v[82:83], v[82:83], v[88:89]
	v_mul_f64 v[88:89], v[90:91], v[86:87]
	v_mul_f64 v[92:93], v[80:81], v[88:89]
	v_fma_f64 v[80:81], v[88:89], v[80:81], -v[92:93]
	v_fmac_f64_e32 v[80:81], v[88:89], v[10:11]
	v_add_f64 v[10:11], v[92:93], v[80:81]
	v_add_f64 v[94:95], v[86:87], -v[10:11]
	v_add_f64 v[86:87], v[86:87], -v[94:95]
	;; [unrolled: 1-line block ×4, first 2 shown]
	v_add_f64 v[10:11], v[82:83], v[10:11]
	v_add_f64 v[80:81], v[92:93], -v[80:81]
	v_add_f64 v[10:11], v[80:81], v[10:11]
	v_add_f64 v[80:81], v[84:85], v[88:89]
	v_add_f64 v[10:11], v[94:95], v[10:11]
	v_add_f64 v[82:83], v[80:81], -v[84:85]
	v_mul_f64 v[10:11], v[90:91], v[10:11]
	v_add_f64 v[82:83], v[88:89], -v[82:83]
	v_add_f64 v[10:11], v[82:83], v[10:11]
	v_add_f64 v[82:83], v[80:81], v[10:11]
	v_add_f64 v[80:81], v[82:83], -v[80:81]
	v_add_f64 v[10:11], v[10:11], -v[80:81]
	v_mul_f64 v[80:81], v[82:83], v[82:83]
	v_pk_mov_b32 v[84:85], v[20:21], v[20:21] op_sel:[0,1]
	v_fmac_f64_e32 v[84:85], s[18:19], v[80:81]
	v_pk_mov_b32 v[86:87], v[22:23], v[22:23] op_sel:[0,1]
	v_fmac_f64_e32 v[86:87], v[80:81], v[84:85]
	v_pk_mov_b32 v[84:85], v[24:25], v[24:25] op_sel:[0,1]
	v_fmac_f64_e32 v[84:85], v[80:81], v[86:87]
	v_pk_mov_b32 v[86:87], v[26:27], v[26:27] op_sel:[0,1]
	v_fmac_f64_e32 v[86:87], v[80:81], v[84:85]
	v_pk_mov_b32 v[84:85], v[28:29], v[28:29] op_sel:[0,1]
	v_fmac_f64_e32 v[84:85], v[80:81], v[86:87]
	v_pk_mov_b32 v[86:87], v[30:31], v[30:31] op_sel:[0,1]
	v_fmac_f64_e32 v[86:87], v[80:81], v[84:85]
	v_cvt_f64_i32_e32 v[84:85], v8
	v_mul_f64 v[88:89], v[84:85], s[20:21]
	v_fma_f64 v[90:91], v[84:85], s[20:21], -v[88:89]
	v_fmac_f64_e32 v[90:91], s[22:23], v[84:85]
	v_add_f64 v[84:85], v[88:89], v[90:91]
	v_add_f64 v[88:89], v[84:85], -v[88:89]
	v_mul_f64 v[80:81], v[82:83], v[80:81]
	v_add_f64 v[88:89], v[90:91], -v[88:89]
	v_ldexp_f64 v[90:91], v[82:83], 1
	v_mul_f64 v[80:81], v[80:81], v[86:87]
	v_add_f64 v[82:83], v[90:91], v[80:81]
	v_add_f64 v[86:87], v[82:83], -v[90:91]
	v_ldexp_f64 v[10:11], v[10:11], 1
	v_add_f64 v[80:81], v[80:81], -v[86:87]
	v_add_f64 v[10:11], v[10:11], v[80:81]
	v_add_f64 v[80:81], v[82:83], v[10:11]
	v_add_f64 v[82:83], v[80:81], -v[82:83]
	v_add_f64 v[10:11], v[10:11], -v[82:83]
	v_add_f64 v[82:83], v[84:85], v[80:81]
	v_add_f64 v[86:87], v[82:83], -v[84:85]
	v_add_f64 v[90:91], v[82:83], -v[86:87]
	;; [unrolled: 1-line block ×4, first 2 shown]
	v_add_f64 v[80:81], v[80:81], v[84:85]
	v_add_f64 v[84:85], v[88:89], v[10:11]
	v_add_f64 v[86:87], v[84:85], -v[88:89]
	v_add_f64 v[80:81], v[84:85], v[80:81]
	v_add_f64 v[90:91], v[84:85], -v[86:87]
	;; [unrolled: 2-line block ×3, first 2 shown]
	v_add_f64 v[10:11], v[10:11], -v[86:87]
	v_add_f64 v[82:83], v[84:85], -v[82:83]
	v_add_f64 v[10:11], v[10:11], v[88:89]
	v_add_f64 v[80:81], v[80:81], -v[82:83]
	v_add_f64 v[10:11], v[10:11], v[80:81]
	v_max_f64 v[80:81], |v[16:17]|, |v[16:17]|
	v_max_f64 v[82:83], |v[14:15]|, |v[14:15]|
	v_add_f64 v[10:11], v[84:85], v[10:11]
	v_max_f64 v[84:85], v[82:83], v[80:81]
	v_min_f64 v[80:81], v[82:83], v[80:81]
	v_div_scale_f64 v[82:83], s[2:3], v[84:85], v[84:85], v[80:81]
	v_cmp_eq_f64_e32 vcc, s[24:25], v[78:79]
	v_rcp_f64_e32 v[86:87], v[82:83]
	v_cndmask_b32_e32 v11, v11, v79, vcc
	v_cndmask_b32_e32 v10, v10, v78, vcc
	v_mul_f64 v[10:11], v[10:11], 0.5
	v_cmp_ngt_f64_e32 vcc, -1.0, v[78:79]
	v_cndmask_b32_e32 v8, v105, v11, vcc
	v_cmp_nge_f64_e32 vcc, -1.0, v[78:79]
	v_cndmask_b32_e32 v10, 0, v10, vcc
	v_cmp_neq_f64_e32 vcc, -1.0, v[78:79]
	v_fma_f64 v[78:79], -v[82:83], v[86:87], 1.0
	v_fmac_f64_e32 v[86:87], v[86:87], v[78:79]
	v_fma_f64 v[78:79], -v[82:83], v[86:87], 1.0
	v_cndmask_b32_e32 v11, v106, v8, vcc
	v_fmac_f64_e32 v[86:87], v[86:87], v[78:79]
	v_div_scale_f64 v[78:79], vcc, v[80:81], v[84:85], v[80:81]
	v_mul_f64 v[88:89], v[78:79], v[86:87]
	v_fma_f64 v[78:79], -v[82:83], v[88:89], v[78:79]
	v_pk_mov_b32 v[82:83], v[32:33], v[32:33] op_sel:[0,1]
	s_nop 0
	v_div_fmas_f64 v[78:79], v[78:79], v[86:87], v[88:89]
	v_div_fixup_f64 v[78:79], v[78:79], v[84:85], v[80:81]
	v_mul_f64 v[80:81], v[78:79], v[78:79]
	v_fmac_f64_e32 v[82:83], s[26:27], v[80:81]
	v_pk_mov_b32 v[84:85], v[34:35], v[34:35] op_sel:[0,1]
	v_fmac_f64_e32 v[84:85], v[80:81], v[82:83]
	v_pk_mov_b32 v[82:83], v[36:37], v[36:37] op_sel:[0,1]
	;; [unrolled: 2-line block ×18, first 2 shown]
	v_fmac_f64_e32 v[82:83], v[80:81], v[84:85]
	v_mul_f64 v[80:81], v[80:81], v[82:83]
	v_fmac_f64_e32 v[78:79], v[78:79], v[80:81]
	v_cmp_class_f64_e64 s[56:57], v[14:15], s63
	v_ashrrev_i32_e32 v14, 31, v15
	v_cmp_gt_i32_e32 vcc, 0, v15
	v_and_b32_e32 v19, 0x400921fb, v14
	v_and_b32_e32 v80, 0x54442d18, v14
	v_add_f64 v[14:15], -v[78:79], s[28:29]
	v_cndmask_b32_e64 v15, v79, v15, s[0:1]
	v_cndmask_b32_e64 v14, v78, v14, s[0:1]
	s_mov_b32 s30, s28
	v_add_f64 v[78:79], -v[14:15], s[30:31]
	v_cmp_class_f64_e64 s[2:3], v[16:17], s63
	v_cndmask_b32_e32 v8, v107, v108, vcc
	v_cndmask_b32_e32 v12, v109, v110, vcc
	;; [unrolled: 1-line block ×4, first 2 shown]
	v_cmp_eq_f64_e32 vcc, 0, v[16:17]
	v_bfi_b32 v12, s61, v12, v17
	v_cndmask_b32_e32 v14, v14, v80, vcc
	v_cndmask_b32_e32 v15, v15, v19, vcc
	s_and_b64 vcc, s[56:57], s[2:3]
	v_cndmask_b32_e32 v79, v15, v12, vcc
	v_cndmask_b32_e32 v78, v14, v8, vcc
.LBB198_243:                            ;   in Loop: Header=BB198_162 Depth=1
	s_or_b64 exec, exec, s[54:55]
.LBB198_244:                            ;   in Loop: Header=BB198_162 Depth=1
	s_or_b64 exec, exec, s[52:53]
.LBB198_245:                            ;   in Loop: Header=BB198_162 Depth=1
	s_andn2_saveexec_b64 s[50:51], s[50:51]
	s_cbranch_execz .LBB198_247
; %bb.246:                              ;   in Loop: Header=BB198_162 Depth=1
	v_max_f64 v[10:11], |v[16:17]|, |v[16:17]|
	v_max_f64 v[78:79], |v[14:15]|, |v[14:15]|
	v_max_f64 v[80:81], v[78:79], v[10:11]
	v_frexp_exp_i32_f64_e32 v8, v[80:81]
	v_sub_u32_e32 v12, 0, v8
	v_ldexp_f64 v[84:85], |v[16:17]|, v12
	v_ldexp_f64 v[82:83], |v[14:15]|, v12
	v_mul_f64 v[84:85], v[84:85], v[84:85]
	v_fmac_f64_e32 v[84:85], v[82:83], v[82:83]
	v_rsq_f64_e32 v[82:83], v[84:85]
	v_cmp_eq_f64_e32 vcc, 0, v[84:85]
	v_cmp_class_f64_e64 s[52:53], v[14:15], s63
	v_cmp_class_f64_e64 s[54:55], v[16:17], s63
	v_mul_f64 v[86:87], v[84:85], v[82:83]
	v_mul_f64 v[82:83], v[82:83], 0.5
	v_fma_f64 v[88:89], -v[82:83], v[86:87], 0.5
	v_fmac_f64_e32 v[86:87], v[86:87], v[88:89]
	v_fmac_f64_e32 v[82:83], v[82:83], v[88:89]
	v_fma_f64 v[88:89], -v[86:87], v[86:87], v[84:85]
	v_fmac_f64_e32 v[86:87], v[88:89], v[82:83]
	v_cndmask_b32_e32 v83, v87, v85, vcc
	v_cndmask_b32_e32 v82, v86, v84, vcc
	v_ldexp_f64 v[82:83], v[82:83], v8
	s_or_b64 vcc, s[52:53], s[54:55]
	v_cndmask_b32_e32 v85, v83, v112, vcc
	v_cndmask_b32_e64 v84, v82, 0, vcc
	v_frexp_mant_f64_e32 v[86:87], v[84:85]
	v_cmp_gt_f64_e64 s[2:3], s[14:15], v[86:87]
	v_cndmask_b32_e64 v19, v111, 2.0, s[2:3]
	v_mul_f64 v[86:87], v[86:87], v[18:19]
	v_add_f64 v[88:89], v[86:87], 1.0
	v_rcp_f64_e32 v[90:91], v[88:89]
	v_add_f64 v[94:95], v[88:89], -1.0
	v_add_f64 v[92:93], v[86:87], -1.0
	v_add_f64 v[86:87], v[86:87], -v[94:95]
	v_fma_f64 v[94:95], -v[88:89], v[90:91], 1.0
	v_fmac_f64_e32 v[90:91], v[94:95], v[90:91]
	v_fma_f64 v[94:95], -v[88:89], v[90:91], 1.0
	v_fmac_f64_e32 v[90:91], v[94:95], v[90:91]
	v_mul_f64 v[94:95], v[92:93], v[90:91]
	v_mul_f64 v[96:97], v[88:89], v[94:95]
	v_fma_f64 v[88:89], v[94:95], v[88:89], -v[96:97]
	v_fmac_f64_e32 v[88:89], v[94:95], v[86:87]
	v_add_f64 v[86:87], v[96:97], v[88:89]
	v_add_f64 v[98:99], v[92:93], -v[86:87]
	v_add_f64 v[96:97], v[86:87], -v[96:97]
	;; [unrolled: 1-line block ×5, first 2 shown]
	v_add_f64 v[86:87], v[88:89], v[86:87]
	v_add_f64 v[86:87], v[98:99], v[86:87]
	v_mul_f64 v[86:87], v[90:91], v[86:87]
	v_add_f64 v[88:89], v[94:95], v[86:87]
	v_add_f64 v[90:91], v[88:89], -v[94:95]
	v_add_f64 v[86:87], v[86:87], -v[90:91]
	v_mul_f64 v[90:91], v[88:89], v[88:89]
	v_pk_mov_b32 v[92:93], v[20:21], v[20:21] op_sel:[0,1]
	v_fmac_f64_e32 v[92:93], s[18:19], v[90:91]
	v_pk_mov_b32 v[94:95], v[22:23], v[22:23] op_sel:[0,1]
	v_fmac_f64_e32 v[94:95], v[90:91], v[92:93]
	;; [unrolled: 2-line block ×6, first 2 shown]
	v_ldexp_f64 v[92:93], v[88:89], 1
	v_mul_f64 v[88:89], v[88:89], v[90:91]
	v_mul_f64 v[88:89], v[88:89], v[94:95]
	v_add_f64 v[90:91], v[92:93], v[88:89]
	v_add_f64 v[92:93], v[90:91], -v[92:93]
	v_ldexp_f64 v[86:87], v[86:87], 1
	v_add_f64 v[88:89], v[88:89], -v[92:93]
	v_add_f64 v[86:87], v[86:87], v[88:89]
	v_frexp_exp_i32_f64_e32 v8, v[84:85]
	v_add_f64 v[88:89], v[90:91], v[86:87]
	v_subbrev_co_u32_e64 v8, s[2:3], 0, v8, s[2:3]
	v_add_f64 v[90:91], v[88:89], -v[90:91]
	v_add_f64 v[86:87], v[86:87], -v[90:91]
	v_cvt_f64_i32_e32 v[90:91], v8
	v_mul_f64 v[92:93], v[90:91], s[20:21]
	v_fma_f64 v[94:95], v[90:91], s[20:21], -v[92:93]
	v_fmac_f64_e32 v[94:95], s[22:23], v[90:91]
	v_add_f64 v[90:91], v[92:93], v[94:95]
	v_add_f64 v[92:93], v[90:91], -v[92:93]
	v_add_f64 v[92:93], v[94:95], -v[92:93]
	v_add_f64 v[94:95], v[90:91], v[88:89]
	v_add_f64 v[96:97], v[94:95], -v[90:91]
	v_add_f64 v[98:99], v[94:95], -v[96:97]
	;; [unrolled: 1-line block ×4, first 2 shown]
	v_add_f64 v[88:89], v[88:89], v[90:91]
	v_add_f64 v[90:91], v[92:93], v[86:87]
	v_add_f64 v[96:97], v[90:91], -v[92:93]
	v_add_f64 v[98:99], v[90:91], -v[96:97]
	v_add_f64 v[88:89], v[90:91], v[88:89]
	v_add_f64 v[92:93], v[92:93], -v[98:99]
	v_add_f64 v[86:87], v[86:87], -v[96:97]
	v_add_f64 v[90:91], v[94:95], v[88:89]
	v_add_f64 v[86:87], v[86:87], v[92:93]
	v_add_f64 v[92:93], v[90:91], -v[94:95]
	v_add_f64 v[88:89], v[88:89], -v[92:93]
	v_add_f64 v[86:87], v[86:87], v[88:89]
	v_add_f64 v[86:87], v[90:91], v[86:87]
	v_cmp_class_f64_e64 s[2:3], v[82:83], s63
	v_min_f64 v[78:79], v[78:79], v[10:11]
	v_cndmask_b32_e64 v8, v87, v83, s[2:3]
	v_cndmask_b32_e64 v12, v86, v82, s[2:3]
	v_div_scale_f64 v[82:83], s[2:3], v[80:81], v[80:81], v[78:79]
	v_rcp_f64_e32 v[86:87], v[82:83]
	v_cndmask_b32_e64 v12, v12, 0, vcc
	v_cndmask_b32_e32 v8, v8, v112, vcc
	v_cmp_ngt_f64_e32 vcc, 0, v[84:85]
	v_cndmask_b32_e32 v8, v105, v8, vcc
	v_cmp_nge_f64_e32 vcc, 0, v[84:85]
	v_cndmask_b32_e32 v10, 0, v12, vcc
	v_cmp_neq_f64_e32 vcc, 0, v[84:85]
	v_fma_f64 v[84:85], -v[82:83], v[86:87], 1.0
	v_fmac_f64_e32 v[86:87], v[86:87], v[84:85]
	v_fma_f64 v[84:85], -v[82:83], v[86:87], 1.0
	v_cndmask_b32_e32 v11, v106, v8, vcc
	v_fmac_f64_e32 v[86:87], v[86:87], v[84:85]
	v_div_scale_f64 v[84:85], vcc, v[78:79], v[80:81], v[78:79]
	v_mul_f64 v[88:89], v[84:85], v[86:87]
	v_fma_f64 v[82:83], -v[82:83], v[88:89], v[84:85]
	v_pk_mov_b32 v[84:85], v[34:35], v[34:35] op_sel:[0,1]
	s_nop 0
	v_div_fmas_f64 v[82:83], v[82:83], v[86:87], v[88:89]
	v_div_fixup_f64 v[78:79], v[82:83], v[80:81], v[78:79]
	v_mul_f64 v[80:81], v[78:79], v[78:79]
	v_pk_mov_b32 v[82:83], v[32:33], v[32:33] op_sel:[0,1]
	v_fmac_f64_e32 v[82:83], s[26:27], v[80:81]
	v_fmac_f64_e32 v[84:85], v[80:81], v[82:83]
	v_pk_mov_b32 v[82:83], v[36:37], v[36:37] op_sel:[0,1]
	v_fmac_f64_e32 v[82:83], v[80:81], v[84:85]
	v_pk_mov_b32 v[84:85], v[38:39], v[38:39] op_sel:[0,1]
	v_fmac_f64_e32 v[84:85], v[80:81], v[82:83]
	v_pk_mov_b32 v[82:83], v[40:41], v[40:41] op_sel:[0,1]
	v_fmac_f64_e32 v[82:83], v[80:81], v[84:85]
	v_pk_mov_b32 v[84:85], v[42:43], v[42:43] op_sel:[0,1]
	v_fmac_f64_e32 v[84:85], v[80:81], v[82:83]
	v_pk_mov_b32 v[82:83], v[44:45], v[44:45] op_sel:[0,1]
	v_fmac_f64_e32 v[82:83], v[80:81], v[84:85]
	v_pk_mov_b32 v[84:85], v[46:47], v[46:47] op_sel:[0,1]
	v_fmac_f64_e32 v[84:85], v[80:81], v[82:83]
	v_pk_mov_b32 v[82:83], v[48:49], v[48:49] op_sel:[0,1]
	v_fmac_f64_e32 v[82:83], v[80:81], v[84:85]
	v_pk_mov_b32 v[84:85], v[50:51], v[50:51] op_sel:[0,1]
	v_fmac_f64_e32 v[84:85], v[80:81], v[82:83]
	v_pk_mov_b32 v[82:83], v[52:53], v[52:53] op_sel:[0,1]
	v_fmac_f64_e32 v[82:83], v[80:81], v[84:85]
	v_pk_mov_b32 v[84:85], v[54:55], v[54:55] op_sel:[0,1]
	v_fmac_f64_e32 v[84:85], v[80:81], v[82:83]
	v_pk_mov_b32 v[82:83], v[56:57], v[56:57] op_sel:[0,1]
	v_fmac_f64_e32 v[82:83], v[80:81], v[84:85]
	v_pk_mov_b32 v[84:85], v[58:59], v[58:59] op_sel:[0,1]
	v_fmac_f64_e32 v[84:85], v[80:81], v[82:83]
	v_pk_mov_b32 v[82:83], v[60:61], v[60:61] op_sel:[0,1]
	v_fmac_f64_e32 v[82:83], v[80:81], v[84:85]
	v_pk_mov_b32 v[84:85], v[62:63], v[62:63] op_sel:[0,1]
	v_fmac_f64_e32 v[84:85], v[80:81], v[82:83]
	v_pk_mov_b32 v[82:83], v[64:65], v[64:65] op_sel:[0,1]
	v_fmac_f64_e32 v[82:83], v[80:81], v[84:85]
	v_pk_mov_b32 v[84:85], v[66:67], v[66:67] op_sel:[0,1]
	v_fmac_f64_e32 v[84:85], v[80:81], v[82:83]
	v_pk_mov_b32 v[82:83], v[68:69], v[68:69] op_sel:[0,1]
	v_fmac_f64_e32 v[82:83], v[80:81], v[84:85]
	v_mul_f64 v[80:81], v[80:81], v[82:83]
	v_fmac_f64_e32 v[78:79], v[78:79], v[80:81]
	v_ashrrev_i32_e32 v14, 31, v15
	v_cmp_gt_i32_e32 vcc, 0, v15
	v_and_b32_e32 v19, 0x400921fb, v14
	v_and_b32_e32 v80, 0x54442d18, v14
	v_add_f64 v[14:15], -v[78:79], s[28:29]
	v_cndmask_b32_e64 v15, v79, v15, s[0:1]
	v_cndmask_b32_e64 v14, v78, v14, s[0:1]
	s_mov_b32 s30, s28
	v_add_f64 v[78:79], -v[14:15], s[30:31]
	v_cndmask_b32_e32 v8, v107, v108, vcc
	v_cndmask_b32_e32 v12, v109, v110, vcc
	;; [unrolled: 1-line block ×4, first 2 shown]
	v_cmp_eq_f64_e32 vcc, 0, v[16:17]
	v_bfi_b32 v12, s61, v12, v17
	v_cndmask_b32_e32 v14, v14, v80, vcc
	v_cndmask_b32_e32 v15, v15, v19, vcc
	s_and_b64 vcc, s[52:53], s[54:55]
	v_cndmask_b32_e32 v79, v15, v12, vcc
	v_cndmask_b32_e32 v78, v14, v8, vcc
.LBB198_247:                            ;   in Loop: Header=BB198_162 Depth=1
	s_or_b64 exec, exec, s[50:51]
                                        ; implicit-def: $vgpr80_vgpr81
.LBB198_248:                            ;   in Loop: Header=BB198_162 Depth=1
	s_andn2_saveexec_b64 s[2:3], s[48:49]
	s_cbranch_execz .LBB198_254
; %bb.249:                              ;   in Loop: Header=BB198_162 Depth=1
	v_cmp_ngt_f64_e32 vcc, s[36:37], v[80:81]
                                        ; implicit-def: $vgpr10_vgpr11
                                        ; implicit-def: $vgpr78_vgpr79
	s_and_saveexec_b64 s[48:49], vcc
	s_xor_b64 s[48:49], exec, s[48:49]
	s_cbranch_execz .LBB198_251
; %bb.250:                              ;   in Loop: Header=BB198_162 Depth=1
	v_mul_f64 v[10:11], v[80:81], v[80:81]
	v_add_f64 v[78:79], v[10:11], 1.0
	v_add_f64 v[80:81], v[78:79], -1.0
	v_add_f64 v[82:83], v[80:81], -v[78:79]
	v_add_f64 v[82:83], v[82:83], 1.0
	v_add_f64 v[80:81], v[10:11], -v[80:81]
	v_add_f64 v[80:81], v[80:81], v[82:83]
	v_frexp_mant_f64_e32 v[82:83], v[78:79]
	v_frexp_exp_i32_f64_e32 v8, v[78:79]
	v_cmp_gt_f64_e32 vcc, s[14:15], v[82:83]
	v_subbrev_co_u32_e32 v8, vcc, 0, v8, vcc
	v_sub_u32_e32 v12, 0, v8
	v_ldexp_f64 v[78:79], v[78:79], v12
	v_add_f64 v[82:83], v[78:79], -1.0
	v_add_f64 v[88:89], v[78:79], 1.0
	v_add_f64 v[84:85], v[82:83], 1.0
	v_add_f64 v[90:91], v[88:89], -1.0
	v_ldexp_f64 v[80:81], v[80:81], v12
	v_add_f64 v[84:85], v[78:79], -v[84:85]
	v_add_f64 v[78:79], v[78:79], -v[90:91]
	v_add_f64 v[78:79], v[80:81], v[78:79]
	v_add_f64 v[84:85], v[80:81], v[84:85]
	;; [unrolled: 1-line block ×3, first 2 shown]
	v_rcp_f64_e32 v[90:91], v[80:81]
	v_add_f64 v[86:87], v[82:83], v[84:85]
	v_add_f64 v[82:83], v[82:83], -v[86:87]
	v_add_f64 v[82:83], v[84:85], v[82:83]
	v_add_f64 v[84:85], v[88:89], -v[80:81]
	v_add_f64 v[78:79], v[78:79], v[84:85]
	v_fma_f64 v[84:85], -v[80:81], v[90:91], 1.0
	v_fmac_f64_e32 v[90:91], v[84:85], v[90:91]
	v_fma_f64 v[84:85], -v[80:81], v[90:91], 1.0
	v_fmac_f64_e32 v[90:91], v[84:85], v[90:91]
	v_mul_f64 v[84:85], v[86:87], v[90:91]
	v_mul_f64 v[88:89], v[80:81], v[84:85]
	v_fma_f64 v[92:93], v[84:85], v[80:81], -v[88:89]
	v_fmac_f64_e32 v[92:93], v[84:85], v[78:79]
	v_add_f64 v[94:95], v[88:89], v[92:93]
	v_add_f64 v[96:97], v[86:87], -v[94:95]
	v_add_f64 v[86:87], v[86:87], -v[96:97]
	v_add_f64 v[88:89], v[94:95], -v[88:89]
	v_add_f64 v[86:87], v[86:87], -v[94:95]
	v_add_f64 v[82:83], v[82:83], v[86:87]
	v_add_f64 v[86:87], v[88:89], -v[92:93]
	v_add_f64 v[82:83], v[86:87], v[82:83]
	v_add_f64 v[86:87], v[96:97], v[82:83]
	v_add_f64 v[88:89], v[96:97], -v[86:87]
	v_add_f64 v[82:83], v[82:83], v[88:89]
	v_mul_f64 v[88:89], v[90:91], v[86:87]
	v_mul_f64 v[92:93], v[80:81], v[88:89]
	v_fma_f64 v[80:81], v[88:89], v[80:81], -v[92:93]
	v_fmac_f64_e32 v[80:81], v[88:89], v[78:79]
	v_add_f64 v[78:79], v[92:93], v[80:81]
	v_add_f64 v[94:95], v[86:87], -v[78:79]
	v_add_f64 v[86:87], v[86:87], -v[94:95]
	;; [unrolled: 1-line block ×4, first 2 shown]
	v_add_f64 v[78:79], v[82:83], v[78:79]
	v_add_f64 v[80:81], v[92:93], -v[80:81]
	v_add_f64 v[78:79], v[80:81], v[78:79]
	v_add_f64 v[80:81], v[84:85], v[88:89]
	;; [unrolled: 1-line block ×3, first 2 shown]
	v_add_f64 v[82:83], v[80:81], -v[84:85]
	v_mul_f64 v[78:79], v[90:91], v[78:79]
	v_add_f64 v[82:83], v[88:89], -v[82:83]
	v_add_f64 v[78:79], v[82:83], v[78:79]
	v_add_f64 v[82:83], v[80:81], v[78:79]
	v_add_f64 v[80:81], v[82:83], -v[80:81]
	v_add_f64 v[78:79], v[78:79], -v[80:81]
	v_mul_f64 v[80:81], v[82:83], v[82:83]
	v_pk_mov_b32 v[84:85], v[20:21], v[20:21] op_sel:[0,1]
	v_fmac_f64_e32 v[84:85], s[18:19], v[80:81]
	v_pk_mov_b32 v[86:87], v[22:23], v[22:23] op_sel:[0,1]
	v_fmac_f64_e32 v[86:87], v[80:81], v[84:85]
	;; [unrolled: 2-line block ×6, first 2 shown]
	v_cvt_f64_i32_e32 v[84:85], v8
	v_mul_f64 v[88:89], v[84:85], s[20:21]
	v_fma_f64 v[90:91], v[84:85], s[20:21], -v[88:89]
	v_fmac_f64_e32 v[90:91], s[22:23], v[84:85]
	v_add_f64 v[84:85], v[88:89], v[90:91]
	v_add_f64 v[88:89], v[84:85], -v[88:89]
	v_mul_f64 v[80:81], v[82:83], v[80:81]
	v_add_f64 v[88:89], v[90:91], -v[88:89]
	v_ldexp_f64 v[90:91], v[82:83], 1
	v_mul_f64 v[80:81], v[80:81], v[86:87]
	v_add_f64 v[82:83], v[90:91], v[80:81]
	v_add_f64 v[86:87], v[82:83], -v[90:91]
	v_ldexp_f64 v[78:79], v[78:79], 1
	v_add_f64 v[80:81], v[80:81], -v[86:87]
	v_add_f64 v[78:79], v[78:79], v[80:81]
	v_add_f64 v[80:81], v[82:83], v[78:79]
	v_add_f64 v[82:83], v[80:81], -v[82:83]
	v_add_f64 v[78:79], v[78:79], -v[82:83]
	v_add_f64 v[82:83], v[84:85], v[80:81]
	v_add_f64 v[86:87], v[82:83], -v[84:85]
	v_add_f64 v[90:91], v[82:83], -v[86:87]
	;; [unrolled: 1-line block ×4, first 2 shown]
	v_add_f64 v[80:81], v[80:81], v[84:85]
	v_add_f64 v[84:85], v[88:89], v[78:79]
	v_add_f64 v[86:87], v[84:85], -v[88:89]
	v_add_f64 v[80:81], v[84:85], v[80:81]
	v_add_f64 v[90:91], v[84:85], -v[86:87]
	;; [unrolled: 2-line block ×3, first 2 shown]
	v_add_f64 v[78:79], v[78:79], -v[86:87]
	v_add_f64 v[82:83], v[84:85], -v[82:83]
	v_add_f64 v[78:79], v[78:79], v[88:89]
	v_add_f64 v[80:81], v[80:81], -v[82:83]
	v_add_f64 v[78:79], v[78:79], v[80:81]
	v_max_f64 v[80:81], |v[16:17]|, |v[16:17]|
	v_max_f64 v[82:83], |v[14:15]|, |v[14:15]|
	v_add_f64 v[78:79], v[84:85], v[78:79]
	v_max_f64 v[84:85], v[82:83], v[80:81]
	v_min_f64 v[80:81], v[82:83], v[80:81]
	v_div_scale_f64 v[82:83], s[50:51], v[84:85], v[84:85], v[80:81]
	v_rcp_f64_e32 v[86:87], v[82:83]
	v_cmp_eq_f64_e32 vcc, s[24:25], v[10:11]
	v_cndmask_b32_e32 v11, v79, v11, vcc
	v_cndmask_b32_e32 v10, v78, v10, vcc
	v_fma_f64 v[78:79], -v[82:83], v[86:87], 1.0
	v_fmac_f64_e32 v[86:87], v[86:87], v[78:79]
	v_fma_f64 v[78:79], -v[82:83], v[86:87], 1.0
	v_fmac_f64_e32 v[86:87], v[86:87], v[78:79]
	v_div_scale_f64 v[78:79], vcc, v[80:81], v[84:85], v[80:81]
	v_mul_f64 v[88:89], v[78:79], v[86:87]
	v_fma_f64 v[78:79], -v[82:83], v[88:89], v[78:79]
	v_pk_mov_b32 v[82:83], v[32:33], v[32:33] op_sel:[0,1]
	s_nop 0
	v_div_fmas_f64 v[78:79], v[78:79], v[86:87], v[88:89]
	v_div_fixup_f64 v[78:79], v[78:79], v[84:85], v[80:81]
	v_mul_f64 v[80:81], v[78:79], v[78:79]
	v_fmac_f64_e32 v[82:83], s[26:27], v[80:81]
	v_pk_mov_b32 v[84:85], v[34:35], v[34:35] op_sel:[0,1]
	v_fmac_f64_e32 v[84:85], v[80:81], v[82:83]
	v_pk_mov_b32 v[82:83], v[36:37], v[36:37] op_sel:[0,1]
	;; [unrolled: 2-line block ×18, first 2 shown]
	v_fmac_f64_e32 v[82:83], v[80:81], v[84:85]
	v_mul_f64 v[80:81], v[80:81], v[82:83]
	v_fmac_f64_e32 v[78:79], v[78:79], v[80:81]
	v_cmp_class_f64_e64 s[52:53], v[14:15], s63
	v_ashrrev_i32_e32 v14, 31, v15
	v_cmp_gt_i32_e32 vcc, 0, v15
	v_and_b32_e32 v19, 0x400921fb, v14
	v_and_b32_e32 v80, 0x54442d18, v14
	v_add_f64 v[14:15], -v[78:79], s[28:29]
	v_cndmask_b32_e64 v15, v79, v15, s[0:1]
	v_cndmask_b32_e64 v14, v78, v14, s[0:1]
	s_mov_b32 s30, s28
	v_add_f64 v[78:79], -v[14:15], s[30:31]
	v_cmp_class_f64_e64 s[50:51], v[16:17], s63
	v_cndmask_b32_e32 v8, v107, v108, vcc
	v_cndmask_b32_e32 v12, v109, v110, vcc
	;; [unrolled: 1-line block ×4, first 2 shown]
	v_cmp_eq_f64_e32 vcc, 0, v[16:17]
	v_bfi_b32 v12, s61, v12, v17
	v_cndmask_b32_e32 v14, v14, v80, vcc
	v_cndmask_b32_e32 v15, v15, v19, vcc
	s_and_b64 vcc, s[52:53], s[50:51]
	v_mul_f64 v[10:11], v[10:11], 0.5
	v_cndmask_b32_e32 v79, v15, v12, vcc
	v_cndmask_b32_e32 v78, v14, v8, vcc
                                        ; implicit-def: $vgpr80_vgpr81
.LBB198_251:                            ;   in Loop: Header=BB198_162 Depth=1
	s_andn2_saveexec_b64 s[48:49], s[48:49]
	s_cbranch_execz .LBB198_253
; %bb.252:                              ;   in Loop: Header=BB198_162 Depth=1
	v_max_f64 v[10:11], |v[16:17]|, |v[16:17]|
	v_max_f64 v[78:79], |v[14:15]|, |v[14:15]|
	v_max_f64 v[82:83], v[78:79], v[10:11]
	v_min_f64 v[78:79], v[78:79], v[10:11]
	v_div_scale_f64 v[84:85], s[50:51], v[82:83], v[82:83], v[78:79]
	v_rcp_f64_e32 v[86:87], v[84:85]
	v_mul_f64 v[10:11], v[80:81], 0.5
	v_mul_f64 v[10:11], v[80:81], v[10:11]
	v_cmp_class_f64_e64 s[52:53], v[14:15], s63
	v_fma_f64 v[80:81], -v[84:85], v[86:87], 1.0
	v_fmac_f64_e32 v[86:87], v[86:87], v[80:81]
	v_fma_f64 v[80:81], -v[84:85], v[86:87], 1.0
	v_fmac_f64_e32 v[86:87], v[86:87], v[80:81]
	v_div_scale_f64 v[80:81], vcc, v[78:79], v[82:83], v[78:79]
	v_mul_f64 v[88:89], v[80:81], v[86:87]
	v_fma_f64 v[80:81], -v[84:85], v[88:89], v[80:81]
	v_pk_mov_b32 v[84:85], v[34:35], v[34:35] op_sel:[0,1]
	s_nop 0
	v_div_fmas_f64 v[80:81], v[80:81], v[86:87], v[88:89]
	v_div_fixup_f64 v[78:79], v[80:81], v[82:83], v[78:79]
	v_mul_f64 v[80:81], v[78:79], v[78:79]
	v_pk_mov_b32 v[82:83], v[32:33], v[32:33] op_sel:[0,1]
	v_fmac_f64_e32 v[82:83], s[26:27], v[80:81]
	v_fmac_f64_e32 v[84:85], v[80:81], v[82:83]
	v_pk_mov_b32 v[82:83], v[36:37], v[36:37] op_sel:[0,1]
	v_fmac_f64_e32 v[82:83], v[80:81], v[84:85]
	v_pk_mov_b32 v[84:85], v[38:39], v[38:39] op_sel:[0,1]
	;; [unrolled: 2-line block ×17, first 2 shown]
	v_fmac_f64_e32 v[82:83], v[80:81], v[84:85]
	v_mul_f64 v[80:81], v[80:81], v[82:83]
	v_fmac_f64_e32 v[78:79], v[78:79], v[80:81]
	v_ashrrev_i32_e32 v14, 31, v15
	v_cmp_gt_i32_e32 vcc, 0, v15
	v_and_b32_e32 v19, 0x400921fb, v14
	v_and_b32_e32 v80, 0x54442d18, v14
	v_add_f64 v[14:15], -v[78:79], s[28:29]
	v_cndmask_b32_e64 v15, v79, v15, s[0:1]
	v_cndmask_b32_e64 v14, v78, v14, s[0:1]
	s_mov_b32 s30, s28
	v_add_f64 v[78:79], -v[14:15], s[30:31]
	v_cmp_class_f64_e64 s[50:51], v[16:17], s63
	v_cndmask_b32_e32 v8, v107, v108, vcc
	v_cndmask_b32_e32 v12, v109, v110, vcc
	;; [unrolled: 1-line block ×4, first 2 shown]
	v_cmp_eq_f64_e32 vcc, 0, v[16:17]
	v_bfi_b32 v12, s61, v12, v17
	v_cndmask_b32_e32 v14, v14, v80, vcc
	v_cndmask_b32_e32 v15, v15, v19, vcc
	s_and_b64 vcc, s[52:53], s[50:51]
	v_cndmask_b32_e32 v79, v15, v12, vcc
	v_cndmask_b32_e32 v78, v14, v8, vcc
.LBB198_253:                            ;   in Loop: Header=BB198_162 Depth=1
	s_or_b64 exec, exec, s[48:49]
.LBB198_254:                            ;   in Loop: Header=BB198_162 Depth=1
	s_or_b64 exec, exec, s[2:3]
.LBB198_255:                            ;   in Loop: Header=BB198_162 Depth=1
	s_andn2_saveexec_b64 s[48:49], s[4:5]
	s_cbranch_execz .LBB198_257
; %bb.256:                              ;   in Loop: Header=BB198_162 Depth=1
	v_div_scale_f64 v[10:11], s[2:3], s[38:39], s[38:39], v[14:15]
	v_rcp_f64_e32 v[78:79], v[10:11]
	v_div_scale_f64 v[80:81], vcc, v[14:15], s[38:39], v[14:15]
	s_mov_b32 s30, s28
	v_fma_f64 v[82:83], -v[10:11], v[78:79], 1.0
	v_fmac_f64_e32 v[78:79], v[78:79], v[82:83]
	v_fma_f64 v[82:83], -v[10:11], v[78:79], 1.0
	v_fmac_f64_e32 v[78:79], v[78:79], v[82:83]
	v_mul_f64 v[82:83], v[80:81], v[78:79]
	v_fma_f64 v[10:11], -v[10:11], v[82:83], v[80:81]
	v_div_scale_f64 v[80:81], s[2:3], s[38:39], s[38:39], v[16:17]
	v_rcp_f64_e32 v[84:85], v[80:81]
	v_div_fmas_f64 v[10:11], v[10:11], v[78:79], v[82:83]
	v_div_fixup_f64 v[10:11], v[10:11], s[38:39], v[14:15]
	v_cmp_class_f64_e64 s[4:5], v[10:11], s63
	v_fma_f64 v[78:79], -v[80:81], v[84:85], 1.0
	v_fmac_f64_e32 v[84:85], v[84:85], v[78:79]
	v_fma_f64 v[78:79], -v[80:81], v[84:85], 1.0
	v_fmac_f64_e32 v[84:85], v[84:85], v[78:79]
	v_div_scale_f64 v[78:79], vcc, v[16:17], s[38:39], v[16:17]
	v_mul_f64 v[82:83], v[78:79], v[84:85]
	v_fma_f64 v[78:79], -v[80:81], v[82:83], v[78:79]
	s_nop 1
	v_div_fmas_f64 v[78:79], v[78:79], v[84:85], v[82:83]
	v_div_fixup_f64 v[78:79], v[78:79], s[38:39], v[16:17]
	v_max_f64 v[80:81], |v[10:11]|, |v[78:79]|
	v_frexp_exp_i32_f64_e32 v8, v[80:81]
	v_sub_u32_e32 v12, 0, v8
	v_ldexp_f64 v[82:83], |v[78:79]|, v12
	v_ldexp_f64 v[80:81], |v[10:11]|, v12
	v_mul_f64 v[82:83], v[82:83], v[82:83]
	v_fmac_f64_e32 v[82:83], v[80:81], v[80:81]
	v_rsq_f64_e32 v[80:81], v[82:83]
	v_cmp_eq_f64_e32 vcc, 0, v[82:83]
	v_cmp_o_f64_e64 s[2:3], v[10:11], v[78:79]
	v_cmp_class_f64_e64 s[50:51], v[78:79], s63
	v_mul_f64 v[84:85], v[82:83], v[80:81]
	v_mul_f64 v[80:81], v[80:81], 0.5
	v_fma_f64 v[86:87], -v[80:81], v[84:85], 0.5
	v_fmac_f64_e32 v[84:85], v[84:85], v[86:87]
	v_fmac_f64_e32 v[80:81], v[80:81], v[86:87]
	v_fma_f64 v[86:87], -v[84:85], v[84:85], v[82:83]
	v_fmac_f64_e32 v[84:85], v[86:87], v[80:81]
	v_cndmask_b32_e32 v81, v85, v83, vcc
	v_cndmask_b32_e32 v80, v84, v82, vcc
	v_ldexp_f64 v[80:81], v[80:81], v8
	v_cndmask_b32_e64 v8, 0, v80, s[2:3]
	v_cndmask_b32_e64 v12, v105, v81, s[2:3]
	s_or_b64 vcc, s[4:5], s[50:51]
	v_cndmask_b32_e32 v79, v12, v112, vcc
	v_cndmask_b32_e64 v78, v8, 0, vcc
	v_frexp_mant_f64_e32 v[10:11], v[78:79]
	v_cmp_gt_f64_e64 s[4:5], s[14:15], v[10:11]
	v_cndmask_b32_e64 v19, v111, 2.0, s[4:5]
	v_frexp_exp_i32_f64_e32 v82, v[78:79]
	v_mul_f64 v[10:11], v[10:11], v[18:19]
	v_subbrev_co_u32_e64 v19, s[4:5], 0, v82, s[4:5]
	v_add_f64 v[82:83], v[10:11], 1.0
	v_rcp_f64_e32 v[84:85], v[82:83]
	v_add_f64 v[88:89], v[82:83], -1.0
	v_add_f64 v[86:87], v[10:11], -1.0
	v_add_f64 v[10:11], v[10:11], -v[88:89]
	v_fma_f64 v[88:89], -v[82:83], v[84:85], 1.0
	v_fmac_f64_e32 v[84:85], v[88:89], v[84:85]
	v_fma_f64 v[88:89], -v[82:83], v[84:85], 1.0
	v_fmac_f64_e32 v[84:85], v[88:89], v[84:85]
	v_mul_f64 v[88:89], v[86:87], v[84:85]
	v_mul_f64 v[90:91], v[82:83], v[88:89]
	v_fma_f64 v[82:83], v[88:89], v[82:83], -v[90:91]
	v_fmac_f64_e32 v[82:83], v[88:89], v[10:11]
	v_add_f64 v[10:11], v[90:91], v[82:83]
	v_add_f64 v[92:93], v[86:87], -v[10:11]
	v_add_f64 v[90:91], v[10:11], -v[90:91]
	;; [unrolled: 1-line block ×5, first 2 shown]
	v_add_f64 v[10:11], v[82:83], v[10:11]
	v_add_f64 v[10:11], v[92:93], v[10:11]
	v_mul_f64 v[10:11], v[84:85], v[10:11]
	v_add_f64 v[82:83], v[88:89], v[10:11]
	v_add_f64 v[84:85], v[82:83], -v[88:89]
	v_add_f64 v[10:11], v[10:11], -v[84:85]
	v_mul_f64 v[84:85], v[82:83], v[82:83]
	v_pk_mov_b32 v[86:87], v[20:21], v[20:21] op_sel:[0,1]
	v_fmac_f64_e32 v[86:87], s[18:19], v[84:85]
	v_pk_mov_b32 v[88:89], v[22:23], v[22:23] op_sel:[0,1]
	v_fmac_f64_e32 v[88:89], v[84:85], v[86:87]
	;; [unrolled: 2-line block ×6, first 2 shown]
	v_ldexp_f64 v[86:87], v[82:83], 1
	v_mul_f64 v[82:83], v[82:83], v[84:85]
	v_mul_f64 v[82:83], v[82:83], v[88:89]
	v_add_f64 v[84:85], v[86:87], v[82:83]
	v_add_f64 v[86:87], v[84:85], -v[86:87]
	v_ldexp_f64 v[10:11], v[10:11], 1
	v_add_f64 v[82:83], v[82:83], -v[86:87]
	v_add_f64 v[10:11], v[10:11], v[82:83]
	v_add_f64 v[82:83], v[84:85], v[10:11]
	v_add_f64 v[84:85], v[82:83], -v[84:85]
	v_add_f64 v[10:11], v[10:11], -v[84:85]
	v_cvt_f64_i32_e32 v[84:85], v19
	v_mul_f64 v[86:87], v[84:85], s[20:21]
	v_fma_f64 v[88:89], v[84:85], s[20:21], -v[86:87]
	v_fmac_f64_e32 v[88:89], s[22:23], v[84:85]
	v_add_f64 v[84:85], v[86:87], v[88:89]
	v_add_f64 v[86:87], v[84:85], -v[86:87]
	v_add_f64 v[86:87], v[88:89], -v[86:87]
	v_add_f64 v[88:89], v[84:85], v[82:83]
	v_add_f64 v[90:91], v[88:89], -v[84:85]
	v_add_f64 v[92:93], v[88:89], -v[90:91]
	;; [unrolled: 1-line block ×4, first 2 shown]
	v_add_f64 v[82:83], v[82:83], v[84:85]
	v_add_f64 v[84:85], v[86:87], v[10:11]
	v_add_f64 v[90:91], v[84:85], -v[86:87]
	v_add_f64 v[92:93], v[84:85], -v[90:91]
	v_add_f64 v[82:83], v[84:85], v[82:83]
	v_add_f64 v[86:87], v[86:87], -v[92:93]
	v_add_f64 v[10:11], v[10:11], -v[90:91]
	v_add_f64 v[84:85], v[88:89], v[82:83]
	v_add_f64 v[10:11], v[10:11], v[86:87]
	v_add_f64 v[86:87], v[84:85], -v[88:89]
	v_add_f64 v[82:83], v[82:83], -v[86:87]
	v_and_b32_e32 v81, 0x7fffffff, v81
	v_add_f64 v[10:11], v[10:11], v[82:83]
	v_cmp_eq_f64_e64 s[4:5], s[24:25], v[80:81]
	v_add_f64 v[10:11], v[84:85], v[10:11]
	s_and_b64 s[2:3], s[2:3], s[4:5]
	v_cndmask_b32_e64 v11, v11, v12, s[2:3]
	v_cndmask_b32_e64 v10, v10, v8, s[2:3]
	v_add_f64 v[10:11], v[10:11], 1.0
	v_cndmask_b32_e64 v8, v10, 0, vcc
	v_cndmask_b32_e32 v10, v11, v112, vcc
	v_cmp_ngt_f64_e32 vcc, 0, v[78:79]
	v_cndmask_b32_e32 v12, v105, v10, vcc
	v_max_f64 v[10:11], |v[16:17]|, |v[16:17]|
	v_max_f64 v[80:81], |v[14:15]|, |v[14:15]|
	v_max_f64 v[82:83], v[80:81], v[10:11]
	v_min_f64 v[80:81], v[80:81], v[10:11]
	v_div_scale_f64 v[84:85], s[2:3], v[82:83], v[82:83], v[80:81]
	v_rcp_f64_e32 v[86:87], v[84:85]
	v_cmp_nge_f64_e32 vcc, 0, v[78:79]
	v_cndmask_b32_e32 v10, 0, v8, vcc
	v_cmp_neq_f64_e32 vcc, 0, v[78:79]
	v_fma_f64 v[78:79], -v[84:85], v[86:87], 1.0
	v_fmac_f64_e32 v[86:87], v[86:87], v[78:79]
	v_fma_f64 v[78:79], -v[84:85], v[86:87], 1.0
	v_cndmask_b32_e32 v11, v106, v12, vcc
	v_fmac_f64_e32 v[86:87], v[86:87], v[78:79]
	v_div_scale_f64 v[78:79], vcc, v[80:81], v[82:83], v[80:81]
	v_mul_f64 v[88:89], v[78:79], v[86:87]
	v_fma_f64 v[78:79], -v[84:85], v[88:89], v[78:79]
	v_pk_mov_b32 v[84:85], v[34:35], v[34:35] op_sel:[0,1]
	s_nop 0
	v_div_fmas_f64 v[78:79], v[78:79], v[86:87], v[88:89]
	v_div_fixup_f64 v[78:79], v[78:79], v[82:83], v[80:81]
	v_mul_f64 v[80:81], v[78:79], v[78:79]
	v_pk_mov_b32 v[82:83], v[32:33], v[32:33] op_sel:[0,1]
	v_fmac_f64_e32 v[82:83], s[26:27], v[80:81]
	v_fmac_f64_e32 v[84:85], v[80:81], v[82:83]
	v_pk_mov_b32 v[82:83], v[36:37], v[36:37] op_sel:[0,1]
	v_fmac_f64_e32 v[82:83], v[80:81], v[84:85]
	v_pk_mov_b32 v[84:85], v[38:39], v[38:39] op_sel:[0,1]
	;; [unrolled: 2-line block ×17, first 2 shown]
	v_fmac_f64_e32 v[82:83], v[80:81], v[84:85]
	v_mul_f64 v[80:81], v[80:81], v[82:83]
	v_fmac_f64_e32 v[78:79], v[78:79], v[80:81]
	v_cmp_class_f64_e64 s[4:5], v[14:15], s63
	v_ashrrev_i32_e32 v14, 31, v15
	v_cmp_gt_i32_e32 vcc, 0, v15
	v_and_b32_e32 v19, 0x400921fb, v14
	v_and_b32_e32 v80, 0x54442d18, v14
	v_add_f64 v[14:15], -v[78:79], s[28:29]
	v_cndmask_b32_e64 v15, v79, v15, s[0:1]
	v_cndmask_b32_e64 v14, v78, v14, s[0:1]
	v_add_f64 v[78:79], -v[14:15], s[30:31]
	v_cmp_class_f64_e64 s[2:3], v[16:17], s63
	v_cndmask_b32_e32 v8, v107, v108, vcc
	v_cndmask_b32_e32 v12, v109, v110, vcc
	;; [unrolled: 1-line block ×4, first 2 shown]
	v_cmp_eq_f64_e32 vcc, 0, v[16:17]
	v_bfi_b32 v12, s61, v12, v17
	v_cndmask_b32_e32 v14, v14, v80, vcc
	v_cndmask_b32_e32 v15, v15, v19, vcc
	s_and_b64 vcc, s[4:5], s[2:3]
	v_cndmask_b32_e32 v79, v15, v12, vcc
	v_cndmask_b32_e32 v78, v14, v8, vcc
.LBB198_257:                            ;   in Loop: Header=BB198_162 Depth=1
	s_or_b64 exec, exec, s[48:49]
.LBB198_258:                            ;   in Loop: Header=BB198_162 Depth=1
	s_andn2_saveexec_b64 s[0:1], s[46:47]
	s_cbranch_execz .LBB198_264
; %bb.259:                              ;   in Loop: Header=BB198_162 Depth=1
	v_cmp_nlt_f64_e64 s[2:3], |v[14:15]|, s[40:41]
	v_cmp_nlt_f64_e64 s[4:5], |v[16:17]|, s[40:41]
	s_or_b64 s[2:3], s[2:3], s[4:5]
                                        ; implicit-def: $vgpr78_vgpr79
	s_and_saveexec_b64 s[4:5], s[2:3]
	s_xor_b64 s[2:3], exec, s[4:5]
; %bb.260:                              ;   in Loop: Header=BB198_162 Depth=1
	v_mul_f64 v[78:79], v[16:17], v[16:17]
	v_fmac_f64_e32 v[78:79], v[14:15], v[14:15]
; %bb.261:                              ;   in Loop: Header=BB198_162 Depth=1
	s_andn2_saveexec_b64 s[2:3], s[2:3]
; %bb.262:                              ;   in Loop: Header=BB198_162 Depth=1
	v_mul_f64 v[10:11], v[14:15], 4.0
	v_mul_f64 v[14:15], v[16:17], 4.0
	v_mul_f64 v[14:15], v[14:15], v[14:15]
	v_fmac_f64_e32 v[14:15], v[10:11], v[10:11]
	v_ldexp_f64 v[78:79], v[14:15], -4
; %bb.263:                              ;   in Loop: Header=BB198_162 Depth=1
	s_or_b64 exec, exec, s[2:3]
	v_frexp_mant_f64_e32 v[10:11], v[78:79]
	v_cmp_gt_f64_e32 vcc, s[14:15], v[10:11]
	v_cndmask_b32_e64 v19, v111, 2.0, vcc
	v_mul_f64 v[10:11], v[10:11], v[18:19]
	v_add_f64 v[14:15], v[10:11], 1.0
	v_rcp_f64_e32 v[80:81], v[14:15]
	v_add_f64 v[84:85], v[14:15], -1.0
	v_add_f64 v[82:83], v[10:11], -1.0
	v_add_f64 v[10:11], v[10:11], -v[84:85]
	v_fma_f64 v[84:85], -v[14:15], v[80:81], 1.0
	v_fmac_f64_e32 v[80:81], v[84:85], v[80:81]
	v_fma_f64 v[84:85], -v[14:15], v[80:81], 1.0
	v_fmac_f64_e32 v[80:81], v[84:85], v[80:81]
	v_mul_f64 v[84:85], v[82:83], v[80:81]
	v_mul_f64 v[86:87], v[14:15], v[84:85]
	v_fma_f64 v[14:15], v[84:85], v[14:15], -v[86:87]
	v_fmac_f64_e32 v[14:15], v[84:85], v[10:11]
	v_add_f64 v[10:11], v[86:87], v[14:15]
	v_add_f64 v[88:89], v[82:83], -v[10:11]
	v_add_f64 v[86:87], v[10:11], -v[86:87]
	;; [unrolled: 1-line block ×5, first 2 shown]
	v_add_f64 v[10:11], v[14:15], v[10:11]
	v_add_f64 v[10:11], v[88:89], v[10:11]
	v_mul_f64 v[10:11], v[80:81], v[10:11]
	v_add_f64 v[14:15], v[84:85], v[10:11]
	v_add_f64 v[80:81], v[14:15], -v[84:85]
	v_add_f64 v[10:11], v[10:11], -v[80:81]
	v_mul_f64 v[80:81], v[14:15], v[14:15]
	v_pk_mov_b32 v[82:83], v[20:21], v[20:21] op_sel:[0,1]
	v_fmac_f64_e32 v[82:83], s[18:19], v[80:81]
	v_pk_mov_b32 v[84:85], v[22:23], v[22:23] op_sel:[0,1]
	v_fmac_f64_e32 v[84:85], v[80:81], v[82:83]
	;; [unrolled: 2-line block ×6, first 2 shown]
	v_ldexp_f64 v[82:83], v[14:15], 1
	v_mul_f64 v[14:15], v[14:15], v[80:81]
	v_mul_f64 v[14:15], v[14:15], v[84:85]
	v_add_f64 v[80:81], v[82:83], v[14:15]
	v_add_f64 v[82:83], v[80:81], -v[82:83]
	v_ldexp_f64 v[10:11], v[10:11], 1
	v_add_f64 v[14:15], v[14:15], -v[82:83]
	v_add_f64 v[10:11], v[10:11], v[14:15]
	v_frexp_exp_i32_f64_e32 v8, v[78:79]
	v_add_f64 v[14:15], v[80:81], v[10:11]
	v_subbrev_co_u32_e32 v8, vcc, 0, v8, vcc
	v_add_f64 v[80:81], v[14:15], -v[80:81]
	v_add_f64 v[10:11], v[10:11], -v[80:81]
	v_cvt_f64_i32_e32 v[80:81], v8
	v_mul_f64 v[82:83], v[80:81], s[20:21]
	v_fma_f64 v[84:85], v[80:81], s[20:21], -v[82:83]
	v_fmac_f64_e32 v[84:85], s[22:23], v[80:81]
	v_add_f64 v[80:81], v[82:83], v[84:85]
	v_add_f64 v[82:83], v[80:81], -v[82:83]
	v_add_f64 v[82:83], v[84:85], -v[82:83]
	v_add_f64 v[84:85], v[80:81], v[14:15]
	v_add_f64 v[86:87], v[84:85], -v[80:81]
	v_add_f64 v[88:89], v[84:85], -v[86:87]
	;; [unrolled: 1-line block ×4, first 2 shown]
	v_add_f64 v[14:15], v[14:15], v[80:81]
	v_add_f64 v[80:81], v[82:83], v[10:11]
	v_add_f64 v[86:87], v[80:81], -v[82:83]
	v_add_f64 v[88:89], v[80:81], -v[86:87]
	v_add_f64 v[14:15], v[80:81], v[14:15]
	v_add_f64 v[82:83], v[82:83], -v[88:89]
	v_add_f64 v[10:11], v[10:11], -v[86:87]
	v_add_f64 v[80:81], v[84:85], v[14:15]
	v_add_f64 v[10:11], v[10:11], v[82:83]
	v_add_f64 v[82:83], v[80:81], -v[84:85]
	v_add_f64 v[14:15], v[14:15], -v[82:83]
	v_add_f64 v[10:11], v[10:11], v[14:15]
	v_add_f64 v[10:11], v[80:81], v[10:11]
	v_cmp_class_f64_e64 vcc, v[78:79], s63
	v_cndmask_b32_e32 v8, v10, v78, vcc
	v_cndmask_b32_e32 v10, v11, v79, vcc
	v_cmp_ngt_f64_e32 vcc, 0, v[78:79]
	v_cndmask_b32_e32 v11, v105, v10, vcc
	v_cmp_nge_f64_e32 vcc, 0, v[78:79]
	v_cndmask_b32_e32 v10, 0, v8, vcc
	v_cmp_neq_f64_e32 vcc, 0, v[78:79]
	v_mov_b32_e32 v78, 0
	v_cndmask_b32_e32 v11, v106, v11, vcc
	v_mov_b32_e32 v79, 0x7ff80000
.LBB198_264:                            ;   in Loop: Header=BB198_162 Depth=1
	s_or_b64 exec, exec, s[0:1]
	v_cmp_o_f64_e32 vcc, v[2:3], v[4:5]
                                        ; implicit-def: $vgpr14_vgpr15
                                        ; implicit-def: $vgpr80_vgpr81
	s_and_saveexec_b64 s[0:1], vcc
	s_xor_b64 s[46:47], exec, s[0:1]
	s_cbranch_execz .LBB198_292
; %bb.265:                              ;   in Loop: Header=BB198_162 Depth=1
	v_and_b32_e32 v12, 0x7fffffff, v3
	v_and_b32_e32 v19, 0x7fffffff, v5
	v_mov_b32_e32 v8, v4
	v_cmp_lt_f64_e64 s[0:1], |v[2:3]|, |v[4:5]|
	v_cndmask_b32_e64 v83, v19, v12, s[0:1]
	v_cndmask_b32_e64 v82, v8, v2, s[0:1]
	v_cmp_nlt_f64_e32 vcc, s[8:9], v[82:83]
                                        ; implicit-def: $vgpr14_vgpr15
                                        ; implicit-def: $vgpr80_vgpr81
	s_and_saveexec_b64 s[2:3], vcc
	s_xor_b64 s[4:5], exec, s[2:3]
	s_cbranch_execz .LBB198_289
; %bb.266:                              ;   in Loop: Header=BB198_162 Depth=1
	v_cndmask_b32_e64 v87, v12, v19, s[0:1]
	v_cndmask_b32_e64 v86, v2, v8, s[0:1]
	v_cmp_neq_f64_e32 vcc, 1.0, v[86:87]
                                        ; implicit-def: $vgpr14_vgpr15
                                        ; implicit-def: $vgpr80_vgpr81
	s_and_saveexec_b64 s[2:3], vcc
	s_xor_b64 s[48:49], exec, s[2:3]
	s_cbranch_execz .LBB198_282
; %bb.267:                              ;   in Loop: Header=BB198_162 Depth=1
	v_max_f64 v[14:15], v[82:83], v[82:83]
	v_max_f64 v[80:81], v[86:87], v[86:87]
	v_min_f64 v[84:85], v[80:81], v[14:15]
	v_max_f64 v[14:15], v[80:81], v[14:15]
	v_cmp_ngt_f64_e32 vcc, s[10:11], v[84:85]
	v_cmp_nlt_f64_e64 s[2:3], s[12:13], v[14:15]
	s_and_b64 s[2:3], s[2:3], vcc
                                        ; implicit-def: $vgpr14_vgpr15
                                        ; implicit-def: $vgpr80_vgpr81
	s_and_saveexec_b64 s[50:51], s[2:3]
	s_xor_b64 s[50:51], exec, s[50:51]
	s_cbranch_execz .LBB198_279
; %bb.268:                              ;   in Loop: Header=BB198_162 Depth=1
	v_cmp_le_f64_e32 vcc, 1.0, v[86:87]
                                        ; implicit-def: $vgpr14_vgpr15
                                        ; implicit-def: $vgpr80_vgpr81
	s_and_saveexec_b64 s[2:3], vcc
	s_xor_b64 s[2:3], exec, s[2:3]
	s_cbranch_execz .LBB198_270
; %bb.269:                              ;   in Loop: Header=BB198_162 Depth=1
	v_add_f64 v[14:15], v[86:87], -1.0
	v_add_f64 v[80:81], v[86:87], 1.0
	v_mul_f64 v[80:81], v[14:15], v[80:81]
	v_fmac_f64_e32 v[80:81], v[82:83], v[82:83]
	v_add_f64 v[14:15], v[80:81], 1.0
	v_add_f64 v[82:83], v[14:15], -1.0
	v_add_f64 v[84:85], v[82:83], -v[14:15]
	v_add_f64 v[84:85], v[84:85], 1.0
	v_add_f64 v[82:83], v[80:81], -v[82:83]
	v_add_f64 v[82:83], v[82:83], v[84:85]
	v_frexp_mant_f64_e32 v[84:85], v[14:15]
	v_frexp_exp_i32_f64_e32 v8, v[14:15]
	v_cmp_gt_f64_e32 vcc, s[14:15], v[84:85]
	v_subbrev_co_u32_e32 v8, vcc, 0, v8, vcc
	v_sub_u32_e32 v12, 0, v8
	v_ldexp_f64 v[14:15], v[14:15], v12
	v_add_f64 v[84:85], v[14:15], -1.0
	v_add_f64 v[90:91], v[14:15], 1.0
	v_add_f64 v[86:87], v[84:85], 1.0
	v_add_f64 v[92:93], v[90:91], -1.0
	v_ldexp_f64 v[82:83], v[82:83], v12
	v_add_f64 v[86:87], v[14:15], -v[86:87]
	v_add_f64 v[14:15], v[14:15], -v[92:93]
	v_add_f64 v[14:15], v[82:83], v[14:15]
	v_add_f64 v[86:87], v[82:83], v[86:87]
	;; [unrolled: 1-line block ×3, first 2 shown]
	v_rcp_f64_e32 v[92:93], v[82:83]
	v_add_f64 v[88:89], v[84:85], v[86:87]
	v_add_f64 v[84:85], v[88:89], -v[84:85]
	v_add_f64 v[84:85], v[86:87], -v[84:85]
	;; [unrolled: 1-line block ×4, first 2 shown]
	v_fma_f64 v[86:87], -v[82:83], v[92:93], 1.0
	v_fmac_f64_e32 v[92:93], v[86:87], v[92:93]
	v_fma_f64 v[86:87], -v[82:83], v[92:93], 1.0
	v_fmac_f64_e32 v[92:93], v[86:87], v[92:93]
	v_mul_f64 v[86:87], v[88:89], v[92:93]
	v_mul_f64 v[90:91], v[82:83], v[86:87]
	v_fma_f64 v[94:95], v[86:87], v[82:83], -v[90:91]
	v_fmac_f64_e32 v[94:95], v[86:87], v[14:15]
	v_add_f64 v[96:97], v[90:91], v[94:95]
	v_add_f64 v[98:99], v[88:89], -v[96:97]
	v_add_f64 v[88:89], v[88:89], -v[98:99]
	;; [unrolled: 1-line block ×4, first 2 shown]
	v_add_f64 v[84:85], v[84:85], v[88:89]
	v_add_f64 v[88:89], v[90:91], -v[94:95]
	v_add_f64 v[84:85], v[88:89], v[84:85]
	v_add_f64 v[88:89], v[98:99], v[84:85]
	v_add_f64 v[90:91], v[98:99], -v[88:89]
	v_add_f64 v[84:85], v[84:85], v[90:91]
	v_mul_f64 v[90:91], v[92:93], v[88:89]
	v_mul_f64 v[94:95], v[82:83], v[90:91]
	v_fma_f64 v[82:83], v[90:91], v[82:83], -v[94:95]
	v_fmac_f64_e32 v[82:83], v[90:91], v[14:15]
	v_add_f64 v[14:15], v[94:95], v[82:83]
	v_add_f64 v[96:97], v[88:89], -v[14:15]
	v_add_f64 v[88:89], v[88:89], -v[96:97]
	;; [unrolled: 1-line block ×4, first 2 shown]
	v_add_f64 v[14:15], v[84:85], v[14:15]
	v_add_f64 v[82:83], v[94:95], -v[82:83]
	v_add_f64 v[14:15], v[82:83], v[14:15]
	v_add_f64 v[82:83], v[86:87], v[90:91]
	;; [unrolled: 1-line block ×3, first 2 shown]
	v_add_f64 v[84:85], v[82:83], -v[86:87]
	v_mul_f64 v[14:15], v[92:93], v[14:15]
	v_add_f64 v[84:85], v[90:91], -v[84:85]
	v_add_f64 v[14:15], v[84:85], v[14:15]
	v_add_f64 v[84:85], v[82:83], v[14:15]
	v_add_f64 v[82:83], v[84:85], -v[82:83]
	v_add_f64 v[14:15], v[14:15], -v[82:83]
	v_mul_f64 v[82:83], v[84:85], v[84:85]
	v_pk_mov_b32 v[86:87], v[20:21], v[20:21] op_sel:[0,1]
	v_fmac_f64_e32 v[86:87], s[18:19], v[82:83]
	v_pk_mov_b32 v[88:89], v[22:23], v[22:23] op_sel:[0,1]
	v_fmac_f64_e32 v[88:89], v[82:83], v[86:87]
	v_pk_mov_b32 v[86:87], v[24:25], v[24:25] op_sel:[0,1]
	v_fmac_f64_e32 v[86:87], v[82:83], v[88:89]
	v_pk_mov_b32 v[88:89], v[26:27], v[26:27] op_sel:[0,1]
	v_fmac_f64_e32 v[88:89], v[82:83], v[86:87]
	v_pk_mov_b32 v[86:87], v[28:29], v[28:29] op_sel:[0,1]
	v_fmac_f64_e32 v[86:87], v[82:83], v[88:89]
	v_pk_mov_b32 v[88:89], v[30:31], v[30:31] op_sel:[0,1]
	v_fmac_f64_e32 v[88:89], v[82:83], v[86:87]
	v_cvt_f64_i32_e32 v[86:87], v8
	v_mul_f64 v[90:91], v[86:87], s[20:21]
	v_fma_f64 v[92:93], v[86:87], s[20:21], -v[90:91]
	v_fmac_f64_e32 v[92:93], s[22:23], v[86:87]
	v_add_f64 v[86:87], v[90:91], v[92:93]
	v_add_f64 v[90:91], v[86:87], -v[90:91]
	v_mul_f64 v[82:83], v[84:85], v[82:83]
	v_add_f64 v[90:91], v[92:93], -v[90:91]
	v_ldexp_f64 v[92:93], v[84:85], 1
	v_mul_f64 v[82:83], v[82:83], v[88:89]
	v_add_f64 v[84:85], v[92:93], v[82:83]
	v_add_f64 v[88:89], v[84:85], -v[92:93]
	v_ldexp_f64 v[14:15], v[14:15], 1
	v_add_f64 v[82:83], v[82:83], -v[88:89]
	v_add_f64 v[14:15], v[14:15], v[82:83]
	v_add_f64 v[82:83], v[84:85], v[14:15]
	v_add_f64 v[84:85], v[82:83], -v[84:85]
	v_add_f64 v[14:15], v[14:15], -v[84:85]
	v_add_f64 v[84:85], v[86:87], v[82:83]
	v_add_f64 v[88:89], v[84:85], -v[86:87]
	v_add_f64 v[92:93], v[84:85], -v[88:89]
	;; [unrolled: 1-line block ×4, first 2 shown]
	v_add_f64 v[82:83], v[82:83], v[86:87]
	v_add_f64 v[86:87], v[90:91], v[14:15]
	v_add_f64 v[88:89], v[86:87], -v[90:91]
	v_add_f64 v[82:83], v[86:87], v[82:83]
	v_add_f64 v[92:93], v[86:87], -v[88:89]
	;; [unrolled: 2-line block ×3, first 2 shown]
	v_add_f64 v[14:15], v[14:15], -v[88:89]
	v_add_f64 v[84:85], v[86:87], -v[84:85]
	v_add_f64 v[14:15], v[14:15], v[90:91]
	v_add_f64 v[82:83], v[82:83], -v[84:85]
	v_add_f64 v[14:15], v[14:15], v[82:83]
	v_max_f64 v[82:83], |v[4:5]|, |v[4:5]|
	v_max_f64 v[84:85], |v[2:3]|, |v[2:3]|
	v_add_f64 v[14:15], v[86:87], v[14:15]
	v_max_f64 v[86:87], v[84:85], v[82:83]
	v_min_f64 v[82:83], v[84:85], v[82:83]
	v_div_scale_f64 v[84:85], s[52:53], v[86:87], v[86:87], v[82:83]
	v_cmp_eq_f64_e32 vcc, s[24:25], v[80:81]
	v_rcp_f64_e32 v[88:89], v[84:85]
	v_cndmask_b32_e32 v15, v15, v81, vcc
	v_cndmask_b32_e32 v14, v14, v80, vcc
	v_mul_f64 v[14:15], v[14:15], 0.5
	v_cmp_ngt_f64_e32 vcc, -1.0, v[80:81]
	v_cndmask_b32_e32 v8, v105, v15, vcc
	v_cmp_nge_f64_e32 vcc, -1.0, v[80:81]
	v_cndmask_b32_e32 v14, 0, v14, vcc
	v_cmp_neq_f64_e32 vcc, -1.0, v[80:81]
	v_fma_f64 v[80:81], -v[84:85], v[88:89], 1.0
	v_fmac_f64_e32 v[88:89], v[88:89], v[80:81]
	v_fma_f64 v[80:81], -v[84:85], v[88:89], 1.0
	v_cndmask_b32_e32 v15, v106, v8, vcc
	v_fmac_f64_e32 v[88:89], v[88:89], v[80:81]
	v_div_scale_f64 v[80:81], vcc, v[82:83], v[86:87], v[82:83]
	v_mul_f64 v[90:91], v[80:81], v[88:89]
	v_fma_f64 v[80:81], -v[84:85], v[90:91], v[80:81]
	v_pk_mov_b32 v[84:85], v[32:33], v[32:33] op_sel:[0,1]
	s_nop 0
	v_div_fmas_f64 v[80:81], v[80:81], v[88:89], v[90:91]
	v_div_fixup_f64 v[80:81], v[80:81], v[86:87], v[82:83]
	v_mul_f64 v[82:83], v[80:81], v[80:81]
	v_fmac_f64_e32 v[84:85], s[26:27], v[82:83]
	v_pk_mov_b32 v[86:87], v[34:35], v[34:35] op_sel:[0,1]
	v_fmac_f64_e32 v[86:87], v[82:83], v[84:85]
	v_pk_mov_b32 v[84:85], v[36:37], v[36:37] op_sel:[0,1]
	;; [unrolled: 2-line block ×18, first 2 shown]
	v_fmac_f64_e32 v[84:85], v[82:83], v[86:87]
	v_cmp_gt_i32_e32 vcc, 0, v3
	v_mul_f64 v[82:83], v[82:83], v[84:85]
	v_cmp_class_f64_e64 s[54:55], v[2:3], s63
	v_cndmask_b32_e32 v2, v109, v110, vcc
	v_fmac_f64_e32 v[80:81], v[80:81], v[82:83]
	v_bfi_b32 v12, s61, v2, v5
	v_ashrrev_i32_e32 v2, 31, v3
	v_and_b32_e32 v16, 0x400921fb, v2
	v_and_b32_e32 v19, 0x54442d18, v2
	v_add_f64 v[2:3], -v[80:81], s[28:29]
	v_cndmask_b32_e64 v3, v81, v3, s[0:1]
	v_cndmask_b32_e64 v2, v80, v2, s[0:1]
	s_mov_b32 s30, s28
	v_add_f64 v[80:81], -v[2:3], s[30:31]
	v_cmp_class_f64_e64 s[52:53], v[4:5], s63
	v_cndmask_b32_e32 v8, v107, v108, vcc
	v_cndmask_b32_e32 v3, v3, v81, vcc
	;; [unrolled: 1-line block ×3, first 2 shown]
	v_cmp_eq_f64_e32 vcc, 0, v[4:5]
	v_cndmask_b32_e32 v2, v2, v19, vcc
	v_cndmask_b32_e32 v3, v3, v16, vcc
	s_and_b64 vcc, s[54:55], s[52:53]
	v_cndmask_b32_e32 v81, v3, v12, vcc
	v_cndmask_b32_e32 v80, v2, v8, vcc
                                        ; implicit-def: $vgpr82_vgpr83
                                        ; implicit-def: $vgpr86_vgpr87
.LBB198_270:                            ;   in Loop: Header=BB198_162 Depth=1
	s_andn2_saveexec_b64 s[52:53], s[2:3]
	s_cbranch_execz .LBB198_278
; %bb.271:                              ;   in Loop: Header=BB198_162 Depth=1
	v_mul_f64 v[84:85], v[82:83], v[82:83]
	v_fmac_f64_e32 v[84:85], v[86:87], v[86:87]
	v_cmp_ge_f64_e32 vcc, s[34:35], v[84:85]
                                        ; implicit-def: $vgpr14_vgpr15
                                        ; implicit-def: $vgpr80_vgpr81
	s_and_saveexec_b64 s[2:3], vcc
	s_xor_b64 s[2:3], exec, s[2:3]
	s_cbranch_execz .LBB198_273
; %bb.272:                              ;   in Loop: Header=BB198_162 Depth=1
	v_frexp_mant_f64_e32 v[14:15], v[84:85]
	v_cmp_gt_f64_e32 vcc, s[14:15], v[14:15]
	v_cndmask_b32_e64 v19, v111, 2.0, vcc
	v_mul_f64 v[14:15], v[14:15], v[18:19]
	v_add_f64 v[80:81], v[14:15], 1.0
	v_rcp_f64_e32 v[82:83], v[80:81]
	v_add_f64 v[88:89], v[80:81], -1.0
	v_add_f64 v[86:87], v[14:15], -1.0
	v_add_f64 v[14:15], v[14:15], -v[88:89]
	v_fma_f64 v[88:89], -v[80:81], v[82:83], 1.0
	v_fmac_f64_e32 v[82:83], v[88:89], v[82:83]
	v_fma_f64 v[88:89], -v[80:81], v[82:83], 1.0
	v_fmac_f64_e32 v[82:83], v[88:89], v[82:83]
	v_mul_f64 v[88:89], v[86:87], v[82:83]
	v_mul_f64 v[90:91], v[80:81], v[88:89]
	v_fma_f64 v[80:81], v[88:89], v[80:81], -v[90:91]
	v_fmac_f64_e32 v[80:81], v[88:89], v[14:15]
	v_add_f64 v[14:15], v[90:91], v[80:81]
	v_add_f64 v[92:93], v[86:87], -v[14:15]
	v_add_f64 v[90:91], v[14:15], -v[90:91]
	;; [unrolled: 1-line block ×5, first 2 shown]
	v_add_f64 v[14:15], v[80:81], v[14:15]
	v_add_f64 v[14:15], v[92:93], v[14:15]
	v_mul_f64 v[14:15], v[82:83], v[14:15]
	v_add_f64 v[80:81], v[88:89], v[14:15]
	v_add_f64 v[82:83], v[80:81], -v[88:89]
	v_add_f64 v[14:15], v[14:15], -v[82:83]
	v_mul_f64 v[82:83], v[80:81], v[80:81]
	v_pk_mov_b32 v[86:87], v[20:21], v[20:21] op_sel:[0,1]
	v_fmac_f64_e32 v[86:87], s[18:19], v[82:83]
	v_pk_mov_b32 v[88:89], v[22:23], v[22:23] op_sel:[0,1]
	v_fmac_f64_e32 v[88:89], v[82:83], v[86:87]
	;; [unrolled: 2-line block ×6, first 2 shown]
	v_ldexp_f64 v[86:87], v[80:81], 1
	v_mul_f64 v[80:81], v[80:81], v[82:83]
	v_mul_f64 v[80:81], v[80:81], v[88:89]
	v_add_f64 v[82:83], v[86:87], v[80:81]
	v_add_f64 v[86:87], v[82:83], -v[86:87]
	v_ldexp_f64 v[14:15], v[14:15], 1
	v_add_f64 v[80:81], v[80:81], -v[86:87]
	v_add_f64 v[14:15], v[14:15], v[80:81]
	v_frexp_exp_i32_f64_e32 v8, v[84:85]
	v_add_f64 v[80:81], v[82:83], v[14:15]
	v_subbrev_co_u32_e32 v8, vcc, 0, v8, vcc
	v_add_f64 v[82:83], v[80:81], -v[82:83]
	v_add_f64 v[14:15], v[14:15], -v[82:83]
	v_cvt_f64_i32_e32 v[82:83], v8
	v_mul_f64 v[86:87], v[82:83], s[20:21]
	v_fma_f64 v[88:89], v[82:83], s[20:21], -v[86:87]
	v_fmac_f64_e32 v[88:89], s[22:23], v[82:83]
	v_add_f64 v[82:83], v[86:87], v[88:89]
	v_add_f64 v[86:87], v[82:83], -v[86:87]
	v_add_f64 v[86:87], v[88:89], -v[86:87]
	v_add_f64 v[88:89], v[82:83], v[80:81]
	v_add_f64 v[90:91], v[88:89], -v[82:83]
	v_add_f64 v[92:93], v[88:89], -v[90:91]
	;; [unrolled: 1-line block ×4, first 2 shown]
	v_add_f64 v[80:81], v[80:81], v[82:83]
	v_add_f64 v[82:83], v[86:87], v[14:15]
	v_add_f64 v[90:91], v[82:83], -v[86:87]
	v_add_f64 v[92:93], v[82:83], -v[90:91]
	v_add_f64 v[80:81], v[82:83], v[80:81]
	v_add_f64 v[86:87], v[86:87], -v[92:93]
	v_add_f64 v[14:15], v[14:15], -v[90:91]
	v_add_f64 v[82:83], v[88:89], v[80:81]
	v_add_f64 v[14:15], v[14:15], v[86:87]
	v_add_f64 v[86:87], v[82:83], -v[88:89]
	v_add_f64 v[80:81], v[80:81], -v[86:87]
	v_add_f64 v[14:15], v[14:15], v[80:81]
	v_add_f64 v[14:15], v[82:83], v[14:15]
	v_max_f64 v[80:81], |v[4:5]|, |v[4:5]|
	v_max_f64 v[82:83], |v[2:3]|, |v[2:3]|
	v_max_f64 v[86:87], v[82:83], v[80:81]
	v_min_f64 v[80:81], v[82:83], v[80:81]
	v_div_scale_f64 v[82:83], s[54:55], v[86:87], v[86:87], v[80:81]
	v_rcp_f64_e32 v[88:89], v[82:83]
	v_cmp_neq_f64_e32 vcc, 0, v[84:85]
	v_mul_f64 v[14:15], v[14:15], 0.5
	v_cndmask_b32_e32 v15, v106, v15, vcc
	v_fma_f64 v[84:85], -v[82:83], v[88:89], 1.0
	v_fmac_f64_e32 v[88:89], v[88:89], v[84:85]
	v_fma_f64 v[84:85], -v[82:83], v[88:89], 1.0
	v_cndmask_b32_e32 v14, 0, v14, vcc
	v_fmac_f64_e32 v[88:89], v[88:89], v[84:85]
	v_div_scale_f64 v[84:85], vcc, v[80:81], v[86:87], v[80:81]
	v_mul_f64 v[90:91], v[84:85], v[88:89]
	v_fma_f64 v[82:83], -v[82:83], v[90:91], v[84:85]
	v_pk_mov_b32 v[84:85], v[32:33], v[32:33] op_sel:[0,1]
	s_nop 0
	v_div_fmas_f64 v[82:83], v[82:83], v[88:89], v[90:91]
	v_div_fixup_f64 v[80:81], v[82:83], v[86:87], v[80:81]
	v_mul_f64 v[82:83], v[80:81], v[80:81]
	v_fmac_f64_e32 v[84:85], s[26:27], v[82:83]
	v_pk_mov_b32 v[86:87], v[34:35], v[34:35] op_sel:[0,1]
	v_fmac_f64_e32 v[86:87], v[82:83], v[84:85]
	v_pk_mov_b32 v[84:85], v[36:37], v[36:37] op_sel:[0,1]
	v_fmac_f64_e32 v[84:85], v[82:83], v[86:87]
	v_pk_mov_b32 v[86:87], v[38:39], v[38:39] op_sel:[0,1]
	v_fmac_f64_e32 v[86:87], v[82:83], v[84:85]
	v_pk_mov_b32 v[84:85], v[40:41], v[40:41] op_sel:[0,1]
	v_fmac_f64_e32 v[84:85], v[82:83], v[86:87]
	v_pk_mov_b32 v[86:87], v[42:43], v[42:43] op_sel:[0,1]
	v_fmac_f64_e32 v[86:87], v[82:83], v[84:85]
	v_pk_mov_b32 v[84:85], v[44:45], v[44:45] op_sel:[0,1]
	v_fmac_f64_e32 v[84:85], v[82:83], v[86:87]
	v_pk_mov_b32 v[86:87], v[46:47], v[46:47] op_sel:[0,1]
	v_fmac_f64_e32 v[86:87], v[82:83], v[84:85]
	v_pk_mov_b32 v[84:85], v[48:49], v[48:49] op_sel:[0,1]
	v_fmac_f64_e32 v[84:85], v[82:83], v[86:87]
	v_pk_mov_b32 v[86:87], v[50:51], v[50:51] op_sel:[0,1]
	v_fmac_f64_e32 v[86:87], v[82:83], v[84:85]
	v_pk_mov_b32 v[84:85], v[52:53], v[52:53] op_sel:[0,1]
	v_fmac_f64_e32 v[84:85], v[82:83], v[86:87]
	v_pk_mov_b32 v[86:87], v[54:55], v[54:55] op_sel:[0,1]
	v_fmac_f64_e32 v[86:87], v[82:83], v[84:85]
	v_pk_mov_b32 v[84:85], v[56:57], v[56:57] op_sel:[0,1]
	v_fmac_f64_e32 v[84:85], v[82:83], v[86:87]
	v_pk_mov_b32 v[86:87], v[58:59], v[58:59] op_sel:[0,1]
	v_fmac_f64_e32 v[86:87], v[82:83], v[84:85]
	v_pk_mov_b32 v[84:85], v[60:61], v[60:61] op_sel:[0,1]
	v_fmac_f64_e32 v[84:85], v[82:83], v[86:87]
	v_pk_mov_b32 v[86:87], v[62:63], v[62:63] op_sel:[0,1]
	v_fmac_f64_e32 v[86:87], v[82:83], v[84:85]
	v_pk_mov_b32 v[84:85], v[64:65], v[64:65] op_sel:[0,1]
	v_fmac_f64_e32 v[84:85], v[82:83], v[86:87]
	v_pk_mov_b32 v[86:87], v[66:67], v[66:67] op_sel:[0,1]
	v_fmac_f64_e32 v[86:87], v[82:83], v[84:85]
	v_pk_mov_b32 v[84:85], v[68:69], v[68:69] op_sel:[0,1]
	v_fmac_f64_e32 v[84:85], v[82:83], v[86:87]
	v_cmp_gt_i32_e32 vcc, 0, v3
	v_mul_f64 v[82:83], v[82:83], v[84:85]
	v_cmp_class_f64_e64 s[56:57], v[2:3], s63
	v_cndmask_b32_e32 v2, v109, v110, vcc
	v_fmac_f64_e32 v[80:81], v[80:81], v[82:83]
	v_bfi_b32 v12, s61, v2, v5
	v_ashrrev_i32_e32 v2, 31, v3
	v_and_b32_e32 v16, 0x400921fb, v2
	v_and_b32_e32 v19, 0x54442d18, v2
	v_add_f64 v[2:3], -v[80:81], s[28:29]
	v_cndmask_b32_e64 v3, v81, v3, s[0:1]
	v_cndmask_b32_e64 v2, v80, v2, s[0:1]
	s_mov_b32 s30, s28
	v_add_f64 v[80:81], -v[2:3], s[30:31]
	v_cmp_class_f64_e64 s[54:55], v[4:5], s63
	v_cndmask_b32_e32 v8, v107, v108, vcc
	v_cndmask_b32_e32 v3, v3, v81, vcc
	;; [unrolled: 1-line block ×3, first 2 shown]
	v_cmp_eq_f64_e32 vcc, 0, v[4:5]
	v_cndmask_b32_e32 v2, v2, v19, vcc
	v_cndmask_b32_e32 v3, v3, v16, vcc
	s_and_b64 vcc, s[56:57], s[54:55]
	v_cndmask_b32_e32 v81, v3, v12, vcc
	v_cndmask_b32_e32 v80, v2, v8, vcc
                                        ; implicit-def: $vgpr86_vgpr87
                                        ; implicit-def: $vgpr82_vgpr83
.LBB198_273:                            ;   in Loop: Header=BB198_162 Depth=1
	s_andn2_saveexec_b64 s[54:55], s[2:3]
	s_cbranch_execz .LBB198_277
; %bb.274:                              ;   in Loop: Header=BB198_162 Depth=1
	v_and_b32_e32 v19, 0x7ffffff8, v87
	v_add_f64 v[14:15], v[86:87], -v[18:19]
	v_and_b32_e32 v95, -8, v15
	v_mov_b32_e32 v94, v18
	v_and_b32_e32 v85, 0x7ffffff8, v83
	v_mov_b32_e32 v84, v18
	v_add_f64 v[98:99], v[14:15], -v[94:95]
	v_add_f64 v[14:15], v[82:83], -v[84:85]
	v_and_b32_e32 v97, -8, v15
	v_mov_b32_e32 v96, v18
	v_add_f64 v[88:89], v[18:19], v[18:19]
	v_add_f64 v[102:103], v[84:85], v[84:85]
	v_add_f64 v[100:101], v[14:15], -v[96:97]
	v_mul_f64 v[80:81], v[84:85], v[84:85]
	v_mul_f64 v[86:87], v[88:89], v[94:95]
	;; [unrolled: 1-line block ×5, first 2 shown]
	v_add_f64 v[94:95], v[94:95], v[94:95]
	v_add_f64 v[96:97], v[96:97], v[96:97]
	v_mul_f64 v[14:15], v[18:19], v[18:19]
	v_mul_f64 v[90:91], v[88:89], v[98:99]
	;; [unrolled: 1-line block ×7, first 2 shown]
	s_mov_b64 s[56:57], 0
.LBB198_275:                            ;   Parent Loop BB198_162 Depth=1
                                        ; =>  This Inner Loop Header: Depth=2
	v_cmp_nlt_f64_e32 vcc, v[14:15], v[80:81]
	v_cndmask_b32_e32 v103, v15, v81, vcc
	v_cndmask_b32_e32 v102, v14, v80, vcc
	v_cmp_nlt_f64_e64 s[2:3], v[102:103], v[86:87]
	v_cndmask_b32_e64 v115, v103, v87, s[2:3]
	v_cndmask_b32_e64 v114, v102, v86, s[2:3]
	v_cndmask_b32_e32 v15, v81, v15, vcc
	v_cndmask_b32_e32 v14, v80, v14, vcc
	s_and_b64 s[58:59], vcc, s[2:3]
	v_cmp_nlt_f64_e32 vcc, v[114:115], v[84:85]
	v_cndmask_b32_e64 v81, v87, v103, s[2:3]
	v_cndmask_b32_e64 v80, v86, v102, s[2:3]
	v_cndmask_b32_e32 v103, v115, v85, vcc
	v_cndmask_b32_e32 v102, v114, v84, vcc
	v_cmp_nlt_f64_e64 s[2:3], v[102:103], v[92:93]
	v_cndmask_b32_e32 v87, v85, v115, vcc
	v_cndmask_b32_e32 v86, v84, v114, vcc
	v_cndmask_b32_e64 v115, v103, v93, s[2:3]
	v_cndmask_b32_e64 v114, v102, v92, s[2:3]
	s_and_b64 s[64:65], vcc, s[2:3]
	v_cmp_nlt_f64_e32 vcc, v[114:115], v[82:83]
	v_cndmask_b32_e64 v85, v93, v103, s[2:3]
	v_cndmask_b32_e64 v84, v92, v102, s[2:3]
	v_cndmask_b32_e32 v103, v115, v83, vcc
	v_cndmask_b32_e32 v102, v114, v82, vcc
	v_cmp_nlt_f64_e64 s[2:3], v[102:103], v[90:91]
	v_cndmask_b32_e32 v93, v83, v115, vcc
	v_cndmask_b32_e32 v92, v82, v114, vcc
	v_cndmask_b32_e64 v115, v103, v91, s[2:3]
	v_cndmask_b32_e64 v114, v102, v90, s[2:3]
	;; [unrolled: 1-line block ×4, first 2 shown]
	s_and_b64 s[2:3], vcc, s[2:3]
	v_cmp_nlt_f64_e32 vcc, v[114:115], v[88:89]
	v_cndmask_b32_e32 v103, v115, v89, vcc
	v_cndmask_b32_e32 v102, v114, v88, vcc
	v_cndmask_b32_e32 v91, v89, v115, vcc
	v_cndmask_b32_e32 v90, v88, v114, vcc
	s_and_b64 s[2:3], s[2:3], vcc
	v_cmp_nlt_f64_e32 vcc, v[102:103], v[94:95]
	v_cndmask_b32_e32 v115, v103, v95, vcc
	v_cndmask_b32_e32 v114, v102, v94, vcc
	v_cndmask_b32_e32 v89, v95, v103, vcc
	v_cndmask_b32_e32 v88, v94, v102, vcc
	s_and_b64 s[2:3], s[2:3], vcc
	;; [unrolled: 6-line block ×4, first 2 shown]
	v_cmp_nlt_f64_e32 vcc, v[114:115], v[100:101]
	s_and_b64 s[2:3], s[2:3], vcc
	s_and_b64 s[2:3], s[2:3], s[64:65]
	s_and_b64 s[2:3], s[2:3], s[58:59]
	v_cndmask_b32_e32 v103, v115, v101, vcc
	v_cndmask_b32_e32 v102, v114, v100, vcc
	s_and_b64 s[2:3], exec, s[2:3]
	v_cndmask_b32_e32 v99, v101, v115, vcc
	v_cndmask_b32_e32 v98, v100, v114, vcc
	s_or_b64 s[56:57], s[2:3], s[56:57]
	v_pk_mov_b32 v[100:101], v[102:103], v[102:103] op_sel:[0,1]
	s_andn2_b64 exec, exec, s[56:57]
	s_cbranch_execnz .LBB198_275
; %bb.276:                              ;   in Loop: Header=BB198_162 Depth=1
	s_or_b64 exec, exec, s[56:57]
	v_add_f64 v[14:15], v[14:15], -1.0
	v_add_f64 v[14:15], v[14:15], v[80:81]
	v_add_f64 v[14:15], v[14:15], v[86:87]
	;; [unrolled: 1-line block ×11, first 2 shown]
	v_add_f64 v[14:15], v[80:81], 1.0
	v_add_f64 v[82:83], v[14:15], -1.0
	v_add_f64 v[84:85], v[82:83], -v[14:15]
	v_add_f64 v[84:85], v[84:85], 1.0
	v_add_f64 v[82:83], v[80:81], -v[82:83]
	v_add_f64 v[82:83], v[82:83], v[84:85]
	v_frexp_mant_f64_e32 v[84:85], v[14:15]
	v_frexp_exp_i32_f64_e32 v8, v[14:15]
	v_cmp_gt_f64_e32 vcc, s[14:15], v[84:85]
	v_subbrev_co_u32_e32 v8, vcc, 0, v8, vcc
	v_sub_u32_e32 v12, 0, v8
	v_ldexp_f64 v[14:15], v[14:15], v12
	v_add_f64 v[84:85], v[14:15], -1.0
	v_add_f64 v[90:91], v[14:15], 1.0
	v_add_f64 v[86:87], v[84:85], 1.0
	v_add_f64 v[92:93], v[90:91], -1.0
	v_ldexp_f64 v[82:83], v[82:83], v12
	v_add_f64 v[86:87], v[14:15], -v[86:87]
	v_add_f64 v[14:15], v[14:15], -v[92:93]
	v_add_f64 v[14:15], v[82:83], v[14:15]
	v_add_f64 v[86:87], v[82:83], v[86:87]
	;; [unrolled: 1-line block ×3, first 2 shown]
	v_rcp_f64_e32 v[92:93], v[82:83]
	v_add_f64 v[88:89], v[84:85], v[86:87]
	v_add_f64 v[84:85], v[88:89], -v[84:85]
	v_add_f64 v[84:85], v[86:87], -v[84:85]
	v_add_f64 v[86:87], v[82:83], -v[90:91]
	v_add_f64 v[14:15], v[14:15], -v[86:87]
	v_fma_f64 v[86:87], -v[82:83], v[92:93], 1.0
	v_fmac_f64_e32 v[92:93], v[86:87], v[92:93]
	v_fma_f64 v[86:87], -v[82:83], v[92:93], 1.0
	v_fmac_f64_e32 v[92:93], v[86:87], v[92:93]
	v_mul_f64 v[86:87], v[88:89], v[92:93]
	v_mul_f64 v[90:91], v[82:83], v[86:87]
	v_fma_f64 v[94:95], v[86:87], v[82:83], -v[90:91]
	v_fmac_f64_e32 v[94:95], v[86:87], v[14:15]
	v_add_f64 v[96:97], v[90:91], v[94:95]
	v_add_f64 v[98:99], v[88:89], -v[96:97]
	v_add_f64 v[88:89], v[88:89], -v[98:99]
	;; [unrolled: 1-line block ×4, first 2 shown]
	v_add_f64 v[84:85], v[84:85], v[88:89]
	v_add_f64 v[88:89], v[90:91], -v[94:95]
	v_add_f64 v[84:85], v[88:89], v[84:85]
	v_add_f64 v[88:89], v[98:99], v[84:85]
	v_add_f64 v[90:91], v[98:99], -v[88:89]
	v_add_f64 v[84:85], v[84:85], v[90:91]
	v_mul_f64 v[90:91], v[92:93], v[88:89]
	v_mul_f64 v[94:95], v[82:83], v[90:91]
	v_fma_f64 v[82:83], v[90:91], v[82:83], -v[94:95]
	v_fmac_f64_e32 v[82:83], v[90:91], v[14:15]
	v_add_f64 v[14:15], v[94:95], v[82:83]
	v_add_f64 v[96:97], v[88:89], -v[14:15]
	v_add_f64 v[88:89], v[88:89], -v[96:97]
	;; [unrolled: 1-line block ×4, first 2 shown]
	v_add_f64 v[14:15], v[84:85], v[14:15]
	v_add_f64 v[82:83], v[94:95], -v[82:83]
	v_add_f64 v[14:15], v[82:83], v[14:15]
	v_add_f64 v[82:83], v[86:87], v[90:91]
	;; [unrolled: 1-line block ×3, first 2 shown]
	v_add_f64 v[84:85], v[82:83], -v[86:87]
	v_mul_f64 v[14:15], v[92:93], v[14:15]
	v_add_f64 v[84:85], v[90:91], -v[84:85]
	v_add_f64 v[14:15], v[84:85], v[14:15]
	v_add_f64 v[84:85], v[82:83], v[14:15]
	v_add_f64 v[82:83], v[84:85], -v[82:83]
	v_add_f64 v[14:15], v[14:15], -v[82:83]
	v_mul_f64 v[82:83], v[84:85], v[84:85]
	v_pk_mov_b32 v[86:87], v[20:21], v[20:21] op_sel:[0,1]
	v_fmac_f64_e32 v[86:87], s[18:19], v[82:83]
	v_pk_mov_b32 v[88:89], v[22:23], v[22:23] op_sel:[0,1]
	v_fmac_f64_e32 v[88:89], v[82:83], v[86:87]
	;; [unrolled: 2-line block ×6, first 2 shown]
	v_cvt_f64_i32_e32 v[86:87], v8
	v_mul_f64 v[90:91], v[86:87], s[20:21]
	v_fma_f64 v[92:93], v[86:87], s[20:21], -v[90:91]
	v_fmac_f64_e32 v[92:93], s[22:23], v[86:87]
	v_add_f64 v[86:87], v[90:91], v[92:93]
	v_add_f64 v[90:91], v[86:87], -v[90:91]
	v_mul_f64 v[82:83], v[84:85], v[82:83]
	v_add_f64 v[90:91], v[92:93], -v[90:91]
	v_ldexp_f64 v[92:93], v[84:85], 1
	v_mul_f64 v[82:83], v[82:83], v[88:89]
	v_add_f64 v[84:85], v[92:93], v[82:83]
	v_add_f64 v[88:89], v[84:85], -v[92:93]
	v_ldexp_f64 v[14:15], v[14:15], 1
	v_add_f64 v[82:83], v[82:83], -v[88:89]
	v_add_f64 v[14:15], v[14:15], v[82:83]
	v_add_f64 v[82:83], v[84:85], v[14:15]
	v_add_f64 v[84:85], v[82:83], -v[84:85]
	v_add_f64 v[14:15], v[14:15], -v[84:85]
	v_add_f64 v[84:85], v[86:87], v[82:83]
	v_add_f64 v[88:89], v[84:85], -v[86:87]
	v_add_f64 v[92:93], v[84:85], -v[88:89]
	;; [unrolled: 1-line block ×4, first 2 shown]
	v_add_f64 v[82:83], v[82:83], v[86:87]
	v_add_f64 v[86:87], v[90:91], v[14:15]
	v_add_f64 v[88:89], v[86:87], -v[90:91]
	v_add_f64 v[82:83], v[86:87], v[82:83]
	v_add_f64 v[92:93], v[86:87], -v[88:89]
	;; [unrolled: 2-line block ×3, first 2 shown]
	v_add_f64 v[14:15], v[14:15], -v[88:89]
	v_add_f64 v[84:85], v[86:87], -v[84:85]
	v_add_f64 v[14:15], v[14:15], v[90:91]
	v_add_f64 v[82:83], v[82:83], -v[84:85]
	v_add_f64 v[14:15], v[14:15], v[82:83]
	v_max_f64 v[82:83], |v[4:5]|, |v[4:5]|
	v_max_f64 v[84:85], |v[2:3]|, |v[2:3]|
	v_add_f64 v[14:15], v[86:87], v[14:15]
	v_max_f64 v[86:87], v[84:85], v[82:83]
	v_min_f64 v[82:83], v[84:85], v[82:83]
	v_div_scale_f64 v[84:85], s[2:3], v[86:87], v[86:87], v[82:83]
	v_cmp_eq_f64_e32 vcc, s[24:25], v[80:81]
	v_rcp_f64_e32 v[88:89], v[84:85]
	v_cndmask_b32_e32 v15, v15, v81, vcc
	v_cndmask_b32_e32 v14, v14, v80, vcc
	v_mul_f64 v[14:15], v[14:15], 0.5
	v_cmp_ngt_f64_e32 vcc, -1.0, v[80:81]
	v_cndmask_b32_e32 v8, v105, v15, vcc
	v_cmp_nge_f64_e32 vcc, -1.0, v[80:81]
	v_cndmask_b32_e32 v14, 0, v14, vcc
	v_cmp_neq_f64_e32 vcc, -1.0, v[80:81]
	v_fma_f64 v[80:81], -v[84:85], v[88:89], 1.0
	v_fmac_f64_e32 v[88:89], v[88:89], v[80:81]
	v_fma_f64 v[80:81], -v[84:85], v[88:89], 1.0
	v_cndmask_b32_e32 v15, v106, v8, vcc
	v_fmac_f64_e32 v[88:89], v[88:89], v[80:81]
	v_div_scale_f64 v[80:81], vcc, v[82:83], v[86:87], v[82:83]
	v_mul_f64 v[90:91], v[80:81], v[88:89]
	v_fma_f64 v[80:81], -v[84:85], v[90:91], v[80:81]
	v_pk_mov_b32 v[84:85], v[32:33], v[32:33] op_sel:[0,1]
	s_nop 0
	v_div_fmas_f64 v[80:81], v[80:81], v[88:89], v[90:91]
	v_div_fixup_f64 v[80:81], v[80:81], v[86:87], v[82:83]
	v_mul_f64 v[82:83], v[80:81], v[80:81]
	v_fmac_f64_e32 v[84:85], s[26:27], v[82:83]
	v_pk_mov_b32 v[86:87], v[34:35], v[34:35] op_sel:[0,1]
	v_fmac_f64_e32 v[86:87], v[82:83], v[84:85]
	v_pk_mov_b32 v[84:85], v[36:37], v[36:37] op_sel:[0,1]
	;; [unrolled: 2-line block ×18, first 2 shown]
	v_fmac_f64_e32 v[84:85], v[82:83], v[86:87]
	v_cmp_gt_i32_e32 vcc, 0, v3
	v_mul_f64 v[82:83], v[82:83], v[84:85]
	v_cmp_class_f64_e64 s[56:57], v[2:3], s63
	v_cndmask_b32_e32 v2, v109, v110, vcc
	v_fmac_f64_e32 v[80:81], v[80:81], v[82:83]
	v_bfi_b32 v12, s61, v2, v5
	v_ashrrev_i32_e32 v2, 31, v3
	v_and_b32_e32 v16, 0x400921fb, v2
	v_and_b32_e32 v19, 0x54442d18, v2
	v_add_f64 v[2:3], -v[80:81], s[28:29]
	v_cndmask_b32_e64 v3, v81, v3, s[0:1]
	v_cndmask_b32_e64 v2, v80, v2, s[0:1]
	s_mov_b32 s30, s28
	v_add_f64 v[80:81], -v[2:3], s[30:31]
	v_cmp_class_f64_e64 s[2:3], v[4:5], s63
	v_cndmask_b32_e32 v8, v107, v108, vcc
	v_cndmask_b32_e32 v3, v3, v81, vcc
	;; [unrolled: 1-line block ×3, first 2 shown]
	v_cmp_eq_f64_e32 vcc, 0, v[4:5]
	v_cndmask_b32_e32 v2, v2, v19, vcc
	v_cndmask_b32_e32 v3, v3, v16, vcc
	s_and_b64 vcc, s[56:57], s[2:3]
	v_cndmask_b32_e32 v81, v3, v12, vcc
	v_cndmask_b32_e32 v80, v2, v8, vcc
.LBB198_277:                            ;   in Loop: Header=BB198_162 Depth=1
	s_or_b64 exec, exec, s[54:55]
.LBB198_278:                            ;   in Loop: Header=BB198_162 Depth=1
	s_or_b64 exec, exec, s[52:53]
.LBB198_279:                            ;   in Loop: Header=BB198_162 Depth=1
	s_andn2_saveexec_b64 s[50:51], s[50:51]
	s_cbranch_execz .LBB198_281
; %bb.280:                              ;   in Loop: Header=BB198_162 Depth=1
	v_max_f64 v[14:15], |v[4:5]|, |v[4:5]|
	v_max_f64 v[80:81], |v[2:3]|, |v[2:3]|
	v_max_f64 v[82:83], v[80:81], v[14:15]
	v_frexp_exp_i32_f64_e32 v8, v[82:83]
	v_sub_u32_e32 v12, 0, v8
	v_ldexp_f64 v[86:87], |v[4:5]|, v12
	v_ldexp_f64 v[84:85], |v[2:3]|, v12
	v_mul_f64 v[86:87], v[86:87], v[86:87]
	v_fmac_f64_e32 v[86:87], v[84:85], v[84:85]
	v_rsq_f64_e32 v[84:85], v[86:87]
	v_cmp_eq_f64_e32 vcc, 0, v[86:87]
	v_cmp_class_f64_e64 s[52:53], v[2:3], s63
	v_cmp_class_f64_e64 s[54:55], v[4:5], s63
	v_mul_f64 v[88:89], v[86:87], v[84:85]
	v_mul_f64 v[84:85], v[84:85], 0.5
	v_fma_f64 v[90:91], -v[84:85], v[88:89], 0.5
	v_fmac_f64_e32 v[88:89], v[88:89], v[90:91]
	v_fmac_f64_e32 v[84:85], v[84:85], v[90:91]
	v_fma_f64 v[90:91], -v[88:89], v[88:89], v[86:87]
	v_fmac_f64_e32 v[88:89], v[90:91], v[84:85]
	v_cndmask_b32_e32 v85, v89, v87, vcc
	v_cndmask_b32_e32 v84, v88, v86, vcc
	v_ldexp_f64 v[84:85], v[84:85], v8
	s_or_b64 vcc, s[52:53], s[54:55]
	v_cndmask_b32_e32 v87, v85, v112, vcc
	v_cndmask_b32_e64 v86, v84, 0, vcc
	v_frexp_mant_f64_e32 v[88:89], v[86:87]
	v_cmp_gt_f64_e64 s[2:3], s[14:15], v[88:89]
	v_cndmask_b32_e64 v19, v111, 2.0, s[2:3]
	v_mul_f64 v[88:89], v[88:89], v[18:19]
	v_add_f64 v[90:91], v[88:89], 1.0
	v_rcp_f64_e32 v[92:93], v[90:91]
	v_add_f64 v[96:97], v[90:91], -1.0
	v_add_f64 v[94:95], v[88:89], -1.0
	v_add_f64 v[88:89], v[88:89], -v[96:97]
	v_fma_f64 v[96:97], -v[90:91], v[92:93], 1.0
	v_fmac_f64_e32 v[92:93], v[96:97], v[92:93]
	v_fma_f64 v[96:97], -v[90:91], v[92:93], 1.0
	v_fmac_f64_e32 v[92:93], v[96:97], v[92:93]
	v_mul_f64 v[96:97], v[94:95], v[92:93]
	v_mul_f64 v[98:99], v[90:91], v[96:97]
	v_fma_f64 v[90:91], v[96:97], v[90:91], -v[98:99]
	v_fmac_f64_e32 v[90:91], v[96:97], v[88:89]
	v_add_f64 v[88:89], v[98:99], v[90:91]
	v_add_f64 v[100:101], v[94:95], -v[88:89]
	v_add_f64 v[98:99], v[88:89], -v[98:99]
	;; [unrolled: 1-line block ×5, first 2 shown]
	v_add_f64 v[88:89], v[90:91], v[88:89]
	v_add_f64 v[88:89], v[100:101], v[88:89]
	v_mul_f64 v[88:89], v[92:93], v[88:89]
	v_add_f64 v[90:91], v[96:97], v[88:89]
	v_add_f64 v[92:93], v[90:91], -v[96:97]
	v_add_f64 v[88:89], v[88:89], -v[92:93]
	v_mul_f64 v[92:93], v[90:91], v[90:91]
	v_pk_mov_b32 v[94:95], v[20:21], v[20:21] op_sel:[0,1]
	v_fmac_f64_e32 v[94:95], s[18:19], v[92:93]
	v_pk_mov_b32 v[96:97], v[22:23], v[22:23] op_sel:[0,1]
	v_fmac_f64_e32 v[96:97], v[92:93], v[94:95]
	;; [unrolled: 2-line block ×6, first 2 shown]
	v_ldexp_f64 v[94:95], v[90:91], 1
	v_mul_f64 v[90:91], v[90:91], v[92:93]
	v_mul_f64 v[90:91], v[90:91], v[96:97]
	v_add_f64 v[92:93], v[94:95], v[90:91]
	v_add_f64 v[94:95], v[92:93], -v[94:95]
	v_ldexp_f64 v[88:89], v[88:89], 1
	v_add_f64 v[90:91], v[90:91], -v[94:95]
	v_add_f64 v[88:89], v[88:89], v[90:91]
	v_frexp_exp_i32_f64_e32 v2, v[86:87]
	v_add_f64 v[90:91], v[92:93], v[88:89]
	v_subbrev_co_u32_e64 v2, s[2:3], 0, v2, s[2:3]
	v_add_f64 v[92:93], v[90:91], -v[92:93]
	v_add_f64 v[88:89], v[88:89], -v[92:93]
	v_cvt_f64_i32_e32 v[92:93], v2
	v_mul_f64 v[94:95], v[92:93], s[20:21]
	v_fma_f64 v[96:97], v[92:93], s[20:21], -v[94:95]
	v_fmac_f64_e32 v[96:97], s[22:23], v[92:93]
	v_add_f64 v[92:93], v[94:95], v[96:97]
	v_add_f64 v[94:95], v[92:93], -v[94:95]
	v_add_f64 v[94:95], v[96:97], -v[94:95]
	v_add_f64 v[96:97], v[92:93], v[90:91]
	v_add_f64 v[98:99], v[96:97], -v[92:93]
	v_add_f64 v[100:101], v[96:97], -v[98:99]
	;; [unrolled: 1-line block ×4, first 2 shown]
	v_add_f64 v[90:91], v[90:91], v[92:93]
	v_add_f64 v[92:93], v[94:95], v[88:89]
	v_add_f64 v[98:99], v[92:93], -v[94:95]
	v_add_f64 v[100:101], v[92:93], -v[98:99]
	v_add_f64 v[90:91], v[92:93], v[90:91]
	v_add_f64 v[94:95], v[94:95], -v[100:101]
	v_add_f64 v[88:89], v[88:89], -v[98:99]
	v_add_f64 v[92:93], v[96:97], v[90:91]
	v_add_f64 v[88:89], v[88:89], v[94:95]
	v_add_f64 v[94:95], v[92:93], -v[96:97]
	v_add_f64 v[90:91], v[90:91], -v[94:95]
	v_add_f64 v[88:89], v[88:89], v[90:91]
	v_add_f64 v[88:89], v[92:93], v[88:89]
	v_cmp_class_f64_e64 s[2:3], v[84:85], s63
	v_min_f64 v[80:81], v[80:81], v[14:15]
	v_cndmask_b32_e64 v2, v89, v85, s[2:3]
	v_cndmask_b32_e64 v8, v88, v84, s[2:3]
	v_div_scale_f64 v[84:85], s[2:3], v[82:83], v[82:83], v[80:81]
	v_rcp_f64_e32 v[88:89], v[84:85]
	v_cndmask_b32_e64 v8, v8, 0, vcc
	v_cndmask_b32_e32 v2, v2, v112, vcc
	v_cmp_ngt_f64_e32 vcc, 0, v[86:87]
	v_cndmask_b32_e32 v2, v105, v2, vcc
	v_cmp_nge_f64_e32 vcc, 0, v[86:87]
	v_cndmask_b32_e32 v14, 0, v8, vcc
	v_cmp_neq_f64_e32 vcc, 0, v[86:87]
	v_fma_f64 v[86:87], -v[84:85], v[88:89], 1.0
	v_fmac_f64_e32 v[88:89], v[88:89], v[86:87]
	v_fma_f64 v[86:87], -v[84:85], v[88:89], 1.0
	v_cndmask_b32_e32 v15, v106, v2, vcc
	v_fmac_f64_e32 v[88:89], v[88:89], v[86:87]
	v_div_scale_f64 v[86:87], vcc, v[80:81], v[82:83], v[80:81]
	v_mul_f64 v[90:91], v[86:87], v[88:89]
	v_fma_f64 v[84:85], -v[84:85], v[90:91], v[86:87]
	v_pk_mov_b32 v[86:87], v[34:35], v[34:35] op_sel:[0,1]
	s_nop 0
	v_div_fmas_f64 v[84:85], v[84:85], v[88:89], v[90:91]
	v_div_fixup_f64 v[80:81], v[84:85], v[82:83], v[80:81]
	v_mul_f64 v[82:83], v[80:81], v[80:81]
	v_pk_mov_b32 v[84:85], v[32:33], v[32:33] op_sel:[0,1]
	v_fmac_f64_e32 v[84:85], s[26:27], v[82:83]
	v_fmac_f64_e32 v[86:87], v[82:83], v[84:85]
	v_pk_mov_b32 v[84:85], v[36:37], v[36:37] op_sel:[0,1]
	v_fmac_f64_e32 v[84:85], v[82:83], v[86:87]
	v_pk_mov_b32 v[86:87], v[38:39], v[38:39] op_sel:[0,1]
	;; [unrolled: 2-line block ×17, first 2 shown]
	v_fmac_f64_e32 v[84:85], v[82:83], v[86:87]
	v_cmp_gt_i32_e32 vcc, 0, v3
	v_mul_f64 v[82:83], v[82:83], v[84:85]
	v_cndmask_b32_e32 v2, v109, v110, vcc
	v_fmac_f64_e32 v[80:81], v[80:81], v[82:83]
	v_bfi_b32 v12, s61, v2, v5
	v_ashrrev_i32_e32 v2, 31, v3
	v_and_b32_e32 v16, 0x400921fb, v2
	v_and_b32_e32 v19, 0x54442d18, v2
	v_add_f64 v[2:3], -v[80:81], s[28:29]
	v_cndmask_b32_e64 v3, v81, v3, s[0:1]
	v_cndmask_b32_e64 v2, v80, v2, s[0:1]
	s_mov_b32 s30, s28
	v_add_f64 v[80:81], -v[2:3], s[30:31]
	v_cndmask_b32_e32 v8, v107, v108, vcc
	v_cndmask_b32_e32 v3, v3, v81, vcc
	;; [unrolled: 1-line block ×3, first 2 shown]
	v_cmp_eq_f64_e32 vcc, 0, v[4:5]
	v_cndmask_b32_e32 v2, v2, v19, vcc
	v_cndmask_b32_e32 v3, v3, v16, vcc
	s_and_b64 vcc, s[52:53], s[54:55]
	v_cndmask_b32_e32 v81, v3, v12, vcc
	v_cndmask_b32_e32 v80, v2, v8, vcc
.LBB198_281:                            ;   in Loop: Header=BB198_162 Depth=1
	s_or_b64 exec, exec, s[50:51]
                                        ; implicit-def: $vgpr82_vgpr83
.LBB198_282:                            ;   in Loop: Header=BB198_162 Depth=1
	s_andn2_saveexec_b64 s[2:3], s[48:49]
	s_cbranch_execz .LBB198_288
; %bb.283:                              ;   in Loop: Header=BB198_162 Depth=1
	v_cmp_ngt_f64_e32 vcc, s[36:37], v[82:83]
                                        ; implicit-def: $vgpr14_vgpr15
                                        ; implicit-def: $vgpr80_vgpr81
	s_and_saveexec_b64 s[48:49], vcc
	s_xor_b64 s[48:49], exec, s[48:49]
	s_cbranch_execz .LBB198_285
; %bb.284:                              ;   in Loop: Header=BB198_162 Depth=1
	v_mul_f64 v[14:15], v[82:83], v[82:83]
	v_add_f64 v[80:81], v[14:15], 1.0
	v_add_f64 v[82:83], v[80:81], -1.0
	v_add_f64 v[84:85], v[82:83], -v[80:81]
	v_add_f64 v[84:85], v[84:85], 1.0
	v_add_f64 v[82:83], v[14:15], -v[82:83]
	v_add_f64 v[82:83], v[82:83], v[84:85]
	v_frexp_mant_f64_e32 v[84:85], v[80:81]
	v_frexp_exp_i32_f64_e32 v8, v[80:81]
	v_cmp_gt_f64_e32 vcc, s[14:15], v[84:85]
	v_subbrev_co_u32_e32 v8, vcc, 0, v8, vcc
	v_sub_u32_e32 v12, 0, v8
	v_ldexp_f64 v[80:81], v[80:81], v12
	v_add_f64 v[84:85], v[80:81], -1.0
	v_add_f64 v[90:91], v[80:81], 1.0
	v_add_f64 v[86:87], v[84:85], 1.0
	v_add_f64 v[92:93], v[90:91], -1.0
	v_ldexp_f64 v[82:83], v[82:83], v12
	v_add_f64 v[86:87], v[80:81], -v[86:87]
	v_add_f64 v[80:81], v[80:81], -v[92:93]
	v_add_f64 v[80:81], v[82:83], v[80:81]
	v_add_f64 v[86:87], v[82:83], v[86:87]
	v_add_f64 v[82:83], v[90:91], v[80:81]
	v_rcp_f64_e32 v[92:93], v[82:83]
	v_add_f64 v[88:89], v[84:85], v[86:87]
	v_add_f64 v[84:85], v[84:85], -v[88:89]
	v_add_f64 v[84:85], v[86:87], v[84:85]
	v_add_f64 v[86:87], v[90:91], -v[82:83]
	v_add_f64 v[80:81], v[80:81], v[86:87]
	v_fma_f64 v[86:87], -v[82:83], v[92:93], 1.0
	v_fmac_f64_e32 v[92:93], v[86:87], v[92:93]
	v_fma_f64 v[86:87], -v[82:83], v[92:93], 1.0
	v_fmac_f64_e32 v[92:93], v[86:87], v[92:93]
	v_mul_f64 v[86:87], v[88:89], v[92:93]
	v_mul_f64 v[90:91], v[82:83], v[86:87]
	v_fma_f64 v[94:95], v[86:87], v[82:83], -v[90:91]
	v_fmac_f64_e32 v[94:95], v[86:87], v[80:81]
	v_add_f64 v[96:97], v[90:91], v[94:95]
	v_add_f64 v[98:99], v[88:89], -v[96:97]
	v_add_f64 v[88:89], v[88:89], -v[98:99]
	;; [unrolled: 1-line block ×4, first 2 shown]
	v_add_f64 v[84:85], v[84:85], v[88:89]
	v_add_f64 v[88:89], v[90:91], -v[94:95]
	v_add_f64 v[84:85], v[88:89], v[84:85]
	v_add_f64 v[88:89], v[98:99], v[84:85]
	v_add_f64 v[90:91], v[98:99], -v[88:89]
	v_add_f64 v[84:85], v[84:85], v[90:91]
	v_mul_f64 v[90:91], v[92:93], v[88:89]
	v_mul_f64 v[94:95], v[82:83], v[90:91]
	v_fma_f64 v[82:83], v[90:91], v[82:83], -v[94:95]
	v_fmac_f64_e32 v[82:83], v[90:91], v[80:81]
	v_add_f64 v[80:81], v[94:95], v[82:83]
	v_add_f64 v[96:97], v[88:89], -v[80:81]
	v_add_f64 v[88:89], v[88:89], -v[96:97]
	;; [unrolled: 1-line block ×4, first 2 shown]
	v_add_f64 v[80:81], v[84:85], v[80:81]
	v_add_f64 v[82:83], v[94:95], -v[82:83]
	v_add_f64 v[80:81], v[82:83], v[80:81]
	v_add_f64 v[82:83], v[86:87], v[90:91]
	;; [unrolled: 1-line block ×3, first 2 shown]
	v_add_f64 v[84:85], v[82:83], -v[86:87]
	v_mul_f64 v[80:81], v[92:93], v[80:81]
	v_add_f64 v[84:85], v[90:91], -v[84:85]
	v_add_f64 v[80:81], v[84:85], v[80:81]
	v_add_f64 v[84:85], v[82:83], v[80:81]
	v_add_f64 v[82:83], v[84:85], -v[82:83]
	v_add_f64 v[80:81], v[80:81], -v[82:83]
	v_mul_f64 v[82:83], v[84:85], v[84:85]
	v_pk_mov_b32 v[86:87], v[20:21], v[20:21] op_sel:[0,1]
	v_fmac_f64_e32 v[86:87], s[18:19], v[82:83]
	v_pk_mov_b32 v[88:89], v[22:23], v[22:23] op_sel:[0,1]
	v_fmac_f64_e32 v[88:89], v[82:83], v[86:87]
	;; [unrolled: 2-line block ×6, first 2 shown]
	v_cvt_f64_i32_e32 v[86:87], v8
	v_mul_f64 v[90:91], v[86:87], s[20:21]
	v_fma_f64 v[92:93], v[86:87], s[20:21], -v[90:91]
	v_fmac_f64_e32 v[92:93], s[22:23], v[86:87]
	v_add_f64 v[86:87], v[90:91], v[92:93]
	v_add_f64 v[90:91], v[86:87], -v[90:91]
	v_mul_f64 v[82:83], v[84:85], v[82:83]
	v_add_f64 v[90:91], v[92:93], -v[90:91]
	v_ldexp_f64 v[92:93], v[84:85], 1
	v_mul_f64 v[82:83], v[82:83], v[88:89]
	v_add_f64 v[84:85], v[92:93], v[82:83]
	v_add_f64 v[88:89], v[84:85], -v[92:93]
	v_ldexp_f64 v[80:81], v[80:81], 1
	v_add_f64 v[82:83], v[82:83], -v[88:89]
	v_add_f64 v[80:81], v[80:81], v[82:83]
	v_add_f64 v[82:83], v[84:85], v[80:81]
	v_add_f64 v[84:85], v[82:83], -v[84:85]
	v_add_f64 v[80:81], v[80:81], -v[84:85]
	v_add_f64 v[84:85], v[86:87], v[82:83]
	v_add_f64 v[88:89], v[84:85], -v[86:87]
	v_add_f64 v[92:93], v[84:85], -v[88:89]
	;; [unrolled: 1-line block ×4, first 2 shown]
	v_add_f64 v[82:83], v[82:83], v[86:87]
	v_add_f64 v[86:87], v[90:91], v[80:81]
	v_add_f64 v[88:89], v[86:87], -v[90:91]
	v_add_f64 v[82:83], v[86:87], v[82:83]
	v_add_f64 v[92:93], v[86:87], -v[88:89]
	;; [unrolled: 2-line block ×3, first 2 shown]
	v_add_f64 v[80:81], v[80:81], -v[88:89]
	v_add_f64 v[84:85], v[86:87], -v[84:85]
	v_add_f64 v[80:81], v[80:81], v[90:91]
	v_add_f64 v[82:83], v[82:83], -v[84:85]
	v_add_f64 v[80:81], v[80:81], v[82:83]
	v_max_f64 v[82:83], |v[4:5]|, |v[4:5]|
	v_max_f64 v[84:85], |v[2:3]|, |v[2:3]|
	v_add_f64 v[80:81], v[86:87], v[80:81]
	v_max_f64 v[86:87], v[84:85], v[82:83]
	v_min_f64 v[82:83], v[84:85], v[82:83]
	v_div_scale_f64 v[84:85], s[50:51], v[86:87], v[86:87], v[82:83]
	v_rcp_f64_e32 v[88:89], v[84:85]
	v_cmp_eq_f64_e32 vcc, s[24:25], v[14:15]
	v_cndmask_b32_e32 v15, v81, v15, vcc
	v_cndmask_b32_e32 v14, v80, v14, vcc
	v_fma_f64 v[80:81], -v[84:85], v[88:89], 1.0
	v_fmac_f64_e32 v[88:89], v[88:89], v[80:81]
	v_fma_f64 v[80:81], -v[84:85], v[88:89], 1.0
	v_fmac_f64_e32 v[88:89], v[88:89], v[80:81]
	v_div_scale_f64 v[80:81], vcc, v[82:83], v[86:87], v[82:83]
	v_mul_f64 v[90:91], v[80:81], v[88:89]
	v_fma_f64 v[80:81], -v[84:85], v[90:91], v[80:81]
	v_pk_mov_b32 v[84:85], v[32:33], v[32:33] op_sel:[0,1]
	s_nop 0
	v_div_fmas_f64 v[80:81], v[80:81], v[88:89], v[90:91]
	v_div_fixup_f64 v[80:81], v[80:81], v[86:87], v[82:83]
	v_mul_f64 v[82:83], v[80:81], v[80:81]
	v_fmac_f64_e32 v[84:85], s[26:27], v[82:83]
	v_pk_mov_b32 v[86:87], v[34:35], v[34:35] op_sel:[0,1]
	v_fmac_f64_e32 v[86:87], v[82:83], v[84:85]
	v_pk_mov_b32 v[84:85], v[36:37], v[36:37] op_sel:[0,1]
	;; [unrolled: 2-line block ×18, first 2 shown]
	v_fmac_f64_e32 v[84:85], v[82:83], v[86:87]
	v_cmp_gt_i32_e32 vcc, 0, v3
	v_mul_f64 v[82:83], v[82:83], v[84:85]
	v_cmp_class_f64_e64 s[52:53], v[2:3], s63
	v_cndmask_b32_e32 v2, v109, v110, vcc
	v_fmac_f64_e32 v[80:81], v[80:81], v[82:83]
	v_bfi_b32 v12, s61, v2, v5
	v_ashrrev_i32_e32 v2, 31, v3
	v_and_b32_e32 v16, 0x400921fb, v2
	v_and_b32_e32 v19, 0x54442d18, v2
	v_add_f64 v[2:3], -v[80:81], s[28:29]
	v_cndmask_b32_e64 v3, v81, v3, s[0:1]
	v_cndmask_b32_e64 v2, v80, v2, s[0:1]
	s_mov_b32 s30, s28
	v_add_f64 v[80:81], -v[2:3], s[30:31]
	v_cmp_class_f64_e64 s[50:51], v[4:5], s63
	v_cndmask_b32_e32 v8, v107, v108, vcc
	v_cndmask_b32_e32 v3, v3, v81, vcc
	;; [unrolled: 1-line block ×3, first 2 shown]
	v_cmp_eq_f64_e32 vcc, 0, v[4:5]
	v_cndmask_b32_e32 v2, v2, v19, vcc
	v_cndmask_b32_e32 v3, v3, v16, vcc
	s_and_b64 vcc, s[52:53], s[50:51]
	v_mul_f64 v[14:15], v[14:15], 0.5
	v_cndmask_b32_e32 v81, v3, v12, vcc
	v_cndmask_b32_e32 v80, v2, v8, vcc
                                        ; implicit-def: $vgpr82_vgpr83
.LBB198_285:                            ;   in Loop: Header=BB198_162 Depth=1
	s_andn2_saveexec_b64 s[48:49], s[48:49]
	s_cbranch_execz .LBB198_287
; %bb.286:                              ;   in Loop: Header=BB198_162 Depth=1
	v_max_f64 v[14:15], |v[4:5]|, |v[4:5]|
	v_max_f64 v[80:81], |v[2:3]|, |v[2:3]|
	v_max_f64 v[84:85], v[80:81], v[14:15]
	v_min_f64 v[80:81], v[80:81], v[14:15]
	v_div_scale_f64 v[86:87], s[50:51], v[84:85], v[84:85], v[80:81]
	v_rcp_f64_e32 v[88:89], v[86:87]
	v_mul_f64 v[14:15], v[82:83], 0.5
	v_mul_f64 v[14:15], v[82:83], v[14:15]
	v_cmp_class_f64_e64 s[52:53], v[2:3], s63
	v_fma_f64 v[82:83], -v[86:87], v[88:89], 1.0
	v_fmac_f64_e32 v[88:89], v[88:89], v[82:83]
	v_fma_f64 v[82:83], -v[86:87], v[88:89], 1.0
	v_fmac_f64_e32 v[88:89], v[88:89], v[82:83]
	v_div_scale_f64 v[82:83], vcc, v[80:81], v[84:85], v[80:81]
	v_mul_f64 v[90:91], v[82:83], v[88:89]
	v_fma_f64 v[82:83], -v[86:87], v[90:91], v[82:83]
	v_pk_mov_b32 v[86:87], v[34:35], v[34:35] op_sel:[0,1]
	s_nop 0
	v_div_fmas_f64 v[82:83], v[82:83], v[88:89], v[90:91]
	v_div_fixup_f64 v[80:81], v[82:83], v[84:85], v[80:81]
	v_mul_f64 v[82:83], v[80:81], v[80:81]
	v_pk_mov_b32 v[84:85], v[32:33], v[32:33] op_sel:[0,1]
	v_fmac_f64_e32 v[84:85], s[26:27], v[82:83]
	v_fmac_f64_e32 v[86:87], v[82:83], v[84:85]
	v_pk_mov_b32 v[84:85], v[36:37], v[36:37] op_sel:[0,1]
	v_fmac_f64_e32 v[84:85], v[82:83], v[86:87]
	v_pk_mov_b32 v[86:87], v[38:39], v[38:39] op_sel:[0,1]
	;; [unrolled: 2-line block ×17, first 2 shown]
	v_fmac_f64_e32 v[84:85], v[82:83], v[86:87]
	v_cmp_gt_i32_e32 vcc, 0, v3
	v_mul_f64 v[82:83], v[82:83], v[84:85]
	v_cndmask_b32_e32 v2, v109, v110, vcc
	v_fmac_f64_e32 v[80:81], v[80:81], v[82:83]
	v_bfi_b32 v12, s61, v2, v5
	v_ashrrev_i32_e32 v2, 31, v3
	v_and_b32_e32 v16, 0x400921fb, v2
	v_and_b32_e32 v19, 0x54442d18, v2
	v_add_f64 v[2:3], -v[80:81], s[28:29]
	v_cndmask_b32_e64 v3, v81, v3, s[0:1]
	v_cndmask_b32_e64 v2, v80, v2, s[0:1]
	s_mov_b32 s30, s28
	v_add_f64 v[80:81], -v[2:3], s[30:31]
	v_cmp_class_f64_e64 s[50:51], v[4:5], s63
	v_cndmask_b32_e32 v8, v107, v108, vcc
	v_cndmask_b32_e32 v3, v3, v81, vcc
	;; [unrolled: 1-line block ×3, first 2 shown]
	v_cmp_eq_f64_e32 vcc, 0, v[4:5]
	v_cndmask_b32_e32 v2, v2, v19, vcc
	v_cndmask_b32_e32 v3, v3, v16, vcc
	s_and_b64 vcc, s[52:53], s[50:51]
	v_cndmask_b32_e32 v81, v3, v12, vcc
	v_cndmask_b32_e32 v80, v2, v8, vcc
.LBB198_287:                            ;   in Loop: Header=BB198_162 Depth=1
	s_or_b64 exec, exec, s[48:49]
.LBB198_288:                            ;   in Loop: Header=BB198_162 Depth=1
	s_or_b64 exec, exec, s[2:3]
.LBB198_289:                            ;   in Loop: Header=BB198_162 Depth=1
	s_andn2_saveexec_b64 s[48:49], s[4:5]
	s_cbranch_execz .LBB198_291
; %bb.290:                              ;   in Loop: Header=BB198_162 Depth=1
	v_div_scale_f64 v[14:15], s[2:3], s[38:39], s[38:39], v[2:3]
	v_rcp_f64_e32 v[80:81], v[14:15]
	v_div_scale_f64 v[82:83], vcc, v[2:3], s[38:39], v[2:3]
	s_mov_b32 s30, s28
	v_fma_f64 v[84:85], -v[14:15], v[80:81], 1.0
	v_fmac_f64_e32 v[80:81], v[80:81], v[84:85]
	v_fma_f64 v[84:85], -v[14:15], v[80:81], 1.0
	v_fmac_f64_e32 v[80:81], v[80:81], v[84:85]
	v_mul_f64 v[84:85], v[82:83], v[80:81]
	v_fma_f64 v[14:15], -v[14:15], v[84:85], v[82:83]
	v_div_scale_f64 v[82:83], s[2:3], s[38:39], s[38:39], v[4:5]
	v_rcp_f64_e32 v[86:87], v[82:83]
	v_div_fmas_f64 v[14:15], v[14:15], v[80:81], v[84:85]
	v_div_fixup_f64 v[14:15], v[14:15], s[38:39], v[2:3]
	v_cmp_class_f64_e64 s[4:5], v[14:15], s63
	v_fma_f64 v[80:81], -v[82:83], v[86:87], 1.0
	v_fmac_f64_e32 v[86:87], v[86:87], v[80:81]
	v_fma_f64 v[80:81], -v[82:83], v[86:87], 1.0
	v_fmac_f64_e32 v[86:87], v[86:87], v[80:81]
	v_div_scale_f64 v[80:81], vcc, v[4:5], s[38:39], v[4:5]
	v_mul_f64 v[84:85], v[80:81], v[86:87]
	v_fma_f64 v[80:81], -v[82:83], v[84:85], v[80:81]
	s_nop 1
	v_div_fmas_f64 v[80:81], v[80:81], v[86:87], v[84:85]
	v_div_fixup_f64 v[80:81], v[80:81], s[38:39], v[4:5]
	v_max_f64 v[82:83], |v[14:15]|, |v[80:81]|
	v_frexp_exp_i32_f64_e32 v8, v[82:83]
	v_sub_u32_e32 v12, 0, v8
	v_ldexp_f64 v[84:85], |v[80:81]|, v12
	v_ldexp_f64 v[82:83], |v[14:15]|, v12
	v_mul_f64 v[84:85], v[84:85], v[84:85]
	v_fmac_f64_e32 v[84:85], v[82:83], v[82:83]
	v_rsq_f64_e32 v[82:83], v[84:85]
	v_cmp_eq_f64_e32 vcc, 0, v[84:85]
	v_cmp_o_f64_e64 s[2:3], v[14:15], v[80:81]
	v_cmp_class_f64_e64 s[50:51], v[80:81], s63
	v_mul_f64 v[86:87], v[84:85], v[82:83]
	v_mul_f64 v[82:83], v[82:83], 0.5
	v_fma_f64 v[88:89], -v[82:83], v[86:87], 0.5
	v_fmac_f64_e32 v[86:87], v[86:87], v[88:89]
	v_fmac_f64_e32 v[82:83], v[82:83], v[88:89]
	v_fma_f64 v[88:89], -v[86:87], v[86:87], v[84:85]
	v_fmac_f64_e32 v[86:87], v[88:89], v[82:83]
	v_cndmask_b32_e32 v83, v87, v85, vcc
	v_cndmask_b32_e32 v82, v86, v84, vcc
	v_ldexp_f64 v[82:83], v[82:83], v8
	v_cndmask_b32_e64 v8, 0, v82, s[2:3]
	v_cndmask_b32_e64 v12, v105, v83, s[2:3]
	s_or_b64 vcc, s[4:5], s[50:51]
	v_cndmask_b32_e32 v81, v12, v112, vcc
	v_cndmask_b32_e64 v80, v8, 0, vcc
	v_frexp_mant_f64_e32 v[14:15], v[80:81]
	v_cmp_gt_f64_e64 s[4:5], s[14:15], v[14:15]
	v_cndmask_b32_e64 v19, v111, 2.0, s[4:5]
	v_mul_f64 v[14:15], v[14:15], v[18:19]
	v_add_f64 v[84:85], v[14:15], 1.0
	v_rcp_f64_e32 v[86:87], v[84:85]
	v_add_f64 v[90:91], v[84:85], -1.0
	v_add_f64 v[88:89], v[14:15], -1.0
	v_add_f64 v[14:15], v[14:15], -v[90:91]
	v_fma_f64 v[90:91], -v[84:85], v[86:87], 1.0
	v_fmac_f64_e32 v[86:87], v[90:91], v[86:87]
	v_fma_f64 v[90:91], -v[84:85], v[86:87], 1.0
	v_fmac_f64_e32 v[86:87], v[90:91], v[86:87]
	v_mul_f64 v[90:91], v[88:89], v[86:87]
	v_mul_f64 v[92:93], v[84:85], v[90:91]
	v_fma_f64 v[84:85], v[90:91], v[84:85], -v[92:93]
	v_fmac_f64_e32 v[84:85], v[90:91], v[14:15]
	v_add_f64 v[14:15], v[92:93], v[84:85]
	v_add_f64 v[94:95], v[88:89], -v[14:15]
	v_add_f64 v[92:93], v[14:15], -v[92:93]
	;; [unrolled: 1-line block ×5, first 2 shown]
	v_add_f64 v[14:15], v[84:85], v[14:15]
	v_add_f64 v[14:15], v[94:95], v[14:15]
	v_mul_f64 v[14:15], v[86:87], v[14:15]
	v_add_f64 v[84:85], v[90:91], v[14:15]
	v_add_f64 v[86:87], v[84:85], -v[90:91]
	v_add_f64 v[14:15], v[14:15], -v[86:87]
	v_mul_f64 v[86:87], v[84:85], v[84:85]
	v_pk_mov_b32 v[88:89], v[20:21], v[20:21] op_sel:[0,1]
	v_fmac_f64_e32 v[88:89], s[18:19], v[86:87]
	v_pk_mov_b32 v[90:91], v[22:23], v[22:23] op_sel:[0,1]
	v_fmac_f64_e32 v[90:91], v[86:87], v[88:89]
	;; [unrolled: 2-line block ×6, first 2 shown]
	v_ldexp_f64 v[88:89], v[84:85], 1
	v_mul_f64 v[84:85], v[84:85], v[86:87]
	v_mul_f64 v[84:85], v[84:85], v[90:91]
	v_add_f64 v[86:87], v[88:89], v[84:85]
	v_add_f64 v[88:89], v[86:87], -v[88:89]
	v_ldexp_f64 v[14:15], v[14:15], 1
	v_add_f64 v[84:85], v[84:85], -v[88:89]
	v_add_f64 v[14:15], v[14:15], v[84:85]
	v_frexp_exp_i32_f64_e32 v16, v[80:81]
	v_add_f64 v[84:85], v[86:87], v[14:15]
	v_subbrev_co_u32_e64 v16, s[4:5], 0, v16, s[4:5]
	v_add_f64 v[86:87], v[84:85], -v[86:87]
	v_add_f64 v[14:15], v[14:15], -v[86:87]
	v_cvt_f64_i32_e32 v[86:87], v16
	v_mul_f64 v[88:89], v[86:87], s[20:21]
	v_fma_f64 v[90:91], v[86:87], s[20:21], -v[88:89]
	v_fmac_f64_e32 v[90:91], s[22:23], v[86:87]
	v_add_f64 v[86:87], v[88:89], v[90:91]
	v_add_f64 v[88:89], v[86:87], -v[88:89]
	v_add_f64 v[88:89], v[90:91], -v[88:89]
	v_add_f64 v[90:91], v[86:87], v[84:85]
	v_add_f64 v[92:93], v[90:91], -v[86:87]
	v_add_f64 v[94:95], v[90:91], -v[92:93]
	;; [unrolled: 1-line block ×4, first 2 shown]
	v_add_f64 v[84:85], v[84:85], v[86:87]
	v_add_f64 v[86:87], v[88:89], v[14:15]
	v_add_f64 v[92:93], v[86:87], -v[88:89]
	v_add_f64 v[94:95], v[86:87], -v[92:93]
	v_add_f64 v[84:85], v[86:87], v[84:85]
	v_add_f64 v[88:89], v[88:89], -v[94:95]
	v_add_f64 v[14:15], v[14:15], -v[92:93]
	v_add_f64 v[86:87], v[90:91], v[84:85]
	v_add_f64 v[14:15], v[14:15], v[88:89]
	v_add_f64 v[88:89], v[86:87], -v[90:91]
	v_add_f64 v[84:85], v[84:85], -v[88:89]
	v_and_b32_e32 v83, 0x7fffffff, v83
	v_add_f64 v[14:15], v[14:15], v[84:85]
	v_cmp_eq_f64_e64 s[4:5], s[24:25], v[82:83]
	v_add_f64 v[14:15], v[86:87], v[14:15]
	s_and_b64 s[2:3], s[2:3], s[4:5]
	v_cndmask_b32_e64 v15, v15, v12, s[2:3]
	v_cndmask_b32_e64 v14, v14, v8, s[2:3]
	v_add_f64 v[14:15], v[14:15], 1.0
	v_cndmask_b32_e64 v8, v14, 0, vcc
	v_cndmask_b32_e32 v12, v15, v112, vcc
	v_max_f64 v[14:15], |v[4:5]|, |v[4:5]|
	v_max_f64 v[82:83], |v[2:3]|, |v[2:3]|
	v_max_f64 v[84:85], v[82:83], v[14:15]
	v_min_f64 v[82:83], v[82:83], v[14:15]
	v_div_scale_f64 v[86:87], s[2:3], v[84:85], v[84:85], v[82:83]
	v_rcp_f64_e32 v[88:89], v[86:87]
	v_cmp_ngt_f64_e32 vcc, 0, v[80:81]
	v_cndmask_b32_e32 v12, v105, v12, vcc
	v_cmp_nge_f64_e32 vcc, 0, v[80:81]
	v_cndmask_b32_e32 v14, 0, v8, vcc
	v_cmp_neq_f64_e32 vcc, 0, v[80:81]
	v_fma_f64 v[80:81], -v[86:87], v[88:89], 1.0
	v_fmac_f64_e32 v[88:89], v[88:89], v[80:81]
	v_fma_f64 v[80:81], -v[86:87], v[88:89], 1.0
	v_cndmask_b32_e32 v15, v106, v12, vcc
	v_fmac_f64_e32 v[88:89], v[88:89], v[80:81]
	v_div_scale_f64 v[80:81], vcc, v[82:83], v[84:85], v[82:83]
	v_mul_f64 v[90:91], v[80:81], v[88:89]
	v_fma_f64 v[80:81], -v[86:87], v[90:91], v[80:81]
	v_pk_mov_b32 v[86:87], v[34:35], v[34:35] op_sel:[0,1]
	s_nop 0
	v_div_fmas_f64 v[80:81], v[80:81], v[88:89], v[90:91]
	v_div_fixup_f64 v[80:81], v[80:81], v[84:85], v[82:83]
	v_mul_f64 v[82:83], v[80:81], v[80:81]
	v_pk_mov_b32 v[84:85], v[32:33], v[32:33] op_sel:[0,1]
	v_fmac_f64_e32 v[84:85], s[26:27], v[82:83]
	v_fmac_f64_e32 v[86:87], v[82:83], v[84:85]
	v_pk_mov_b32 v[84:85], v[36:37], v[36:37] op_sel:[0,1]
	v_fmac_f64_e32 v[84:85], v[82:83], v[86:87]
	v_pk_mov_b32 v[86:87], v[38:39], v[38:39] op_sel:[0,1]
	;; [unrolled: 2-line block ×17, first 2 shown]
	v_fmac_f64_e32 v[84:85], v[82:83], v[86:87]
	v_cmp_gt_i32_e32 vcc, 0, v3
	v_mul_f64 v[82:83], v[82:83], v[84:85]
	v_cmp_class_f64_e64 s[4:5], v[2:3], s63
	v_cndmask_b32_e32 v2, v109, v110, vcc
	v_fmac_f64_e32 v[80:81], v[80:81], v[82:83]
	v_bfi_b32 v12, s61, v2, v5
	v_ashrrev_i32_e32 v2, 31, v3
	v_and_b32_e32 v16, 0x400921fb, v2
	v_and_b32_e32 v19, 0x54442d18, v2
	v_add_f64 v[2:3], -v[80:81], s[28:29]
	v_cndmask_b32_e64 v3, v81, v3, s[0:1]
	v_cndmask_b32_e64 v2, v80, v2, s[0:1]
	v_add_f64 v[80:81], -v[2:3], s[30:31]
	v_cmp_class_f64_e64 s[2:3], v[4:5], s63
	v_cndmask_b32_e32 v8, v107, v108, vcc
	v_cndmask_b32_e32 v3, v3, v81, vcc
	;; [unrolled: 1-line block ×3, first 2 shown]
	v_cmp_eq_f64_e32 vcc, 0, v[4:5]
	v_cndmask_b32_e32 v2, v2, v19, vcc
	v_cndmask_b32_e32 v3, v3, v16, vcc
	s_and_b64 vcc, s[4:5], s[2:3]
	v_cndmask_b32_e32 v81, v3, v12, vcc
	v_cndmask_b32_e32 v80, v2, v8, vcc
.LBB198_291:                            ;   in Loop: Header=BB198_162 Depth=1
	s_or_b64 exec, exec, s[48:49]
.LBB198_292:                            ;   in Loop: Header=BB198_162 Depth=1
	s_andn2_saveexec_b64 s[0:1], s[46:47]
	s_cbranch_execz .LBB198_161
; %bb.293:                              ;   in Loop: Header=BB198_162 Depth=1
	v_cmp_nlt_f64_e64 s[2:3], |v[2:3]|, s[40:41]
	v_cmp_nlt_f64_e64 s[4:5], |v[4:5]|, s[40:41]
	s_or_b64 s[2:3], s[2:3], s[4:5]
                                        ; implicit-def: $vgpr80_vgpr81
	s_and_saveexec_b64 s[4:5], s[2:3]
	s_xor_b64 s[2:3], exec, s[4:5]
; %bb.294:                              ;   in Loop: Header=BB198_162 Depth=1
	v_mul_f64 v[80:81], v[4:5], v[4:5]
	v_fmac_f64_e32 v[80:81], v[2:3], v[2:3]
; %bb.295:                              ;   in Loop: Header=BB198_162 Depth=1
	s_andn2_saveexec_b64 s[2:3], s[2:3]
	s_cbranch_execz .LBB198_160
; %bb.296:                              ;   in Loop: Header=BB198_162 Depth=1
	v_mul_f64 v[14:15], v[4:5], 4.0
	v_mul_f64 v[2:3], v[2:3], 4.0
	v_mul_f64 v[14:15], v[14:15], v[14:15]
	v_fmac_f64_e32 v[14:15], v[2:3], v[2:3]
	v_ldexp_f64 v[80:81], v[14:15], -4
	s_branch .LBB198_160
.LBB198_297:
	s_endpgm
	.section	.rodata,"a",@progbits
	.p2align	6, 0x0
	.amdhsa_kernel _ZN2at6native12_GLOBAL__N_125multi_tensor_apply_kernelINS1_18TensorListMetadataILi1EEENS1_14UnaryOpFunctorIN3c107complexIdEELi1ELi1ELi0EEEJNS0_4Log2IS8_EEEEEvT_T0_DpT1_
		.amdhsa_group_segment_fixed_size 0
		.amdhsa_private_segment_fixed_size 0
		.amdhsa_kernarg_size 3632
		.amdhsa_user_sgpr_count 6
		.amdhsa_user_sgpr_private_segment_buffer 1
		.amdhsa_user_sgpr_dispatch_ptr 0
		.amdhsa_user_sgpr_queue_ptr 0
		.amdhsa_user_sgpr_kernarg_segment_ptr 1
		.amdhsa_user_sgpr_dispatch_id 0
		.amdhsa_user_sgpr_flat_scratch_init 0
		.amdhsa_user_sgpr_kernarg_preload_length 0
		.amdhsa_user_sgpr_kernarg_preload_offset 0
		.amdhsa_user_sgpr_private_segment_size 0
		.amdhsa_uses_dynamic_stack 0
		.amdhsa_system_sgpr_private_segment_wavefront_offset 0
		.amdhsa_system_sgpr_workgroup_id_x 1
		.amdhsa_system_sgpr_workgroup_id_y 0
		.amdhsa_system_sgpr_workgroup_id_z 0
		.amdhsa_system_sgpr_workgroup_info 0
		.amdhsa_system_vgpr_workitem_id 0
		.amdhsa_next_free_vgpr 122
		.amdhsa_next_free_sgpr 80
		.amdhsa_accum_offset 124
		.amdhsa_reserve_vcc 1
		.amdhsa_reserve_flat_scratch 0
		.amdhsa_float_round_mode_32 0
		.amdhsa_float_round_mode_16_64 0
		.amdhsa_float_denorm_mode_32 3
		.amdhsa_float_denorm_mode_16_64 3
		.amdhsa_dx10_clamp 1
		.amdhsa_ieee_mode 1
		.amdhsa_fp16_overflow 0
		.amdhsa_tg_split 0
		.amdhsa_exception_fp_ieee_invalid_op 0
		.amdhsa_exception_fp_denorm_src 0
		.amdhsa_exception_fp_ieee_div_zero 0
		.amdhsa_exception_fp_ieee_overflow 0
		.amdhsa_exception_fp_ieee_underflow 0
		.amdhsa_exception_fp_ieee_inexact 0
		.amdhsa_exception_int_div_zero 0
	.end_amdhsa_kernel
	.section	.text._ZN2at6native12_GLOBAL__N_125multi_tensor_apply_kernelINS1_18TensorListMetadataILi1EEENS1_14UnaryOpFunctorIN3c107complexIdEELi1ELi1ELi0EEEJNS0_4Log2IS8_EEEEEvT_T0_DpT1_,"axG",@progbits,_ZN2at6native12_GLOBAL__N_125multi_tensor_apply_kernelINS1_18TensorListMetadataILi1EEENS1_14UnaryOpFunctorIN3c107complexIdEELi1ELi1ELi0EEEJNS0_4Log2IS8_EEEEEvT_T0_DpT1_,comdat
.Lfunc_end198:
	.size	_ZN2at6native12_GLOBAL__N_125multi_tensor_apply_kernelINS1_18TensorListMetadataILi1EEENS1_14UnaryOpFunctorIN3c107complexIdEELi1ELi1ELi0EEEJNS0_4Log2IS8_EEEEEvT_T0_DpT1_, .Lfunc_end198-_ZN2at6native12_GLOBAL__N_125multi_tensor_apply_kernelINS1_18TensorListMetadataILi1EEENS1_14UnaryOpFunctorIN3c107complexIdEELi1ELi1ELi0EEEJNS0_4Log2IS8_EEEEEvT_T0_DpT1_
                                        ; -- End function
	.section	.AMDGPU.csdata,"",@progbits
; Kernel info:
; codeLenInByte = 84008
; NumSgprs: 84
; NumVgprs: 122
; NumAgprs: 0
; TotalNumVgprs: 122
; ScratchSize: 0
; MemoryBound: 1
; FloatMode: 240
; IeeeMode: 1
; LDSByteSize: 0 bytes/workgroup (compile time only)
; SGPRBlocks: 10
; VGPRBlocks: 15
; NumSGPRsForWavesPerEU: 84
; NumVGPRsForWavesPerEU: 122
; AccumOffset: 124
; Occupancy: 4
; WaveLimiterHint : 0
; COMPUTE_PGM_RSRC2:SCRATCH_EN: 0
; COMPUTE_PGM_RSRC2:USER_SGPR: 6
; COMPUTE_PGM_RSRC2:TRAP_HANDLER: 0
; COMPUTE_PGM_RSRC2:TGID_X_EN: 1
; COMPUTE_PGM_RSRC2:TGID_Y_EN: 0
; COMPUTE_PGM_RSRC2:TGID_Z_EN: 0
; COMPUTE_PGM_RSRC2:TIDIG_COMP_CNT: 0
; COMPUTE_PGM_RSRC3_GFX90A:ACCUM_OFFSET: 30
; COMPUTE_PGM_RSRC3_GFX90A:TG_SPLIT: 0
	.section	.text._ZN2at6native12_GLOBAL__N_125multi_tensor_apply_kernelINS1_18TensorListMetadataILi1EEENS1_14UnaryOpFunctorIN3c107complexIfEELi1ELi1ELi0EEEJNS0_4Log2IS8_EEEEEvT_T0_DpT1_,"axG",@progbits,_ZN2at6native12_GLOBAL__N_125multi_tensor_apply_kernelINS1_18TensorListMetadataILi1EEENS1_14UnaryOpFunctorIN3c107complexIfEELi1ELi1ELi0EEEJNS0_4Log2IS8_EEEEEvT_T0_DpT1_,comdat
	.globl	_ZN2at6native12_GLOBAL__N_125multi_tensor_apply_kernelINS1_18TensorListMetadataILi1EEENS1_14UnaryOpFunctorIN3c107complexIfEELi1ELi1ELi0EEEJNS0_4Log2IS8_EEEEEvT_T0_DpT1_ ; -- Begin function _ZN2at6native12_GLOBAL__N_125multi_tensor_apply_kernelINS1_18TensorListMetadataILi1EEENS1_14UnaryOpFunctorIN3c107complexIfEELi1ELi1ELi0EEEJNS0_4Log2IS8_EEEEEvT_T0_DpT1_
	.p2align	8
	.type	_ZN2at6native12_GLOBAL__N_125multi_tensor_apply_kernelINS1_18TensorListMetadataILi1EEENS1_14UnaryOpFunctorIN3c107complexIfEELi1ELi1ELi0EEEJNS0_4Log2IS8_EEEEEvT_T0_DpT1_,@function
_ZN2at6native12_GLOBAL__N_125multi_tensor_apply_kernelINS1_18TensorListMetadataILi1EEENS1_14UnaryOpFunctorIN3c107complexIfEELi1ELi1ELi0EEEJNS0_4Log2IS8_EEEEEvT_T0_DpT1_: ; @_ZN2at6native12_GLOBAL__N_125multi_tensor_apply_kernelINS1_18TensorListMetadataILi1EEENS1_14UnaryOpFunctorIN3c107complexIfEELi1ELi1ELi0EEEJNS0_4Log2IS8_EEEEEvT_T0_DpT1_
; %bb.0:
	v_mov_b32_e32 v1, s6
	global_load_ubyte v1, v1, s[4:5] offset:1760
	s_add_u32 s0, s4, s6
	s_mul_hi_u32 s1, s6, 3
	s_mul_i32 s6, s6, 3
	s_addc_u32 s2, s5, 0
	s_add_u32 s0, s0, s6
	s_addc_u32 s1, s2, s1
	s_load_dword s0, s[0:1], 0x820
	s_mov_b32 s9, 0
	s_waitcnt vmcnt(0)
	v_readfirstlane_b32 s1, v1
	s_lshl_b32 s1, s1, 3
	s_load_dwordx2 s[2:3], s[4:5], s1 offset:0x0
	s_load_dwordx2 s[6:7], s[4:5], s1 offset:0x370
	s_waitcnt lgkmcnt(0)
	s_ashr_i32 s1, s0, 31
	s_lshl_b64 s[10:11], s[0:1], 19
	s_add_u32 s33, s2, s10
	s_addc_u32 s23, s3, s11
	s_lshl_b64 s[0:1], s[0:1], 16
	s_and_b32 s8, s33, 31
	s_sub_u32 s14, s6, s0
	s_subb_u32 s15, s7, s1
	s_and_b32 s0, s6, 3
	s_mov_b32 s1, s9
	s_or_b64 s[0:1], s[8:9], s[0:1]
	s_cmp_eq_u64 s[0:1], 0
	s_cbranch_scc1 .LBB199_157
; %bb.1:
	v_cmp_lt_i64_e64 s[0:1], s[14:15], 1
	s_and_b64 vcc, exec, s[0:1]
	s_cbranch_vccnz .LBB199_156
; %bb.2:
	s_load_dword s0, s[4:5], 0xd3c
	v_mov_b32_e32 v2, 0x10000
	v_mov_b32_e32 v3, 0
	v_cmp_lt_u64_e32 vcc, s[14:15], v[2:3]
	s_mov_b32 s2, 0
	s_waitcnt lgkmcnt(0)
	s_and_b32 s40, s0, 0xffff
	s_and_b64 s[0:1], vcc, exec
	s_mov_b32 s20, -1.0
	s_cselect_b32 s17, s15, 0
	s_cselect_b32 s16, s14, 0x10000
	s_lshl_b32 s41, s40, 1
	s_mul_i32 s42, s40, 3
	s_lshl_b32 s43, s40, 2
	s_mov_b64 s[18:19], 0
	v_mov_b32_e32 v1, s2
	v_mov_b32_e32 v32, s2
	;; [unrolled: 1-line block ×3, first 2 shown]
	s_brev_b32 s44, -2
	s_mov_b32 s45, 0x77f684df
	s_mov_b32 s21, 1.0
	s_mov_b32 s46, 0x358637bd
	s_mov_b32 s47, 0x49742400
	;; [unrolled: 1-line block ×3, first 2 shown]
	v_mov_b32_e32 v34, 0x3f2aaada
	s_mov_b32 s49, 0x3f317218
	s_mov_b32 s50, 0x7f800000
	;; [unrolled: 1-line block ×3, first 2 shown]
	v_mov_b32_e32 v35, 0x3d29fb3f
	v_mov_b32_e32 v36, 0xbd97d4d7
	v_mov_b32_e32 v37, 0x3dd931b2
	v_mov_b32_e32 v38, 0xbe1160e6
	v_mov_b32_e32 v39, 0x3e4cb8bf
	v_mov_b32_e32 v40, 0xbeaaaa62
	s_movk_i32 s52, 0x204
	s_mov_b32 s53, 0x3f333333
	s_mov_b32 s54, 0x800000
	;; [unrolled: 1-line block ×5, first 2 shown]
	s_brev_b32 s58, 4
	s_mov_b32 s22, 0x3fb8aa3b
	v_mov_b32_e32 v2, 0x3f317218
	v_mov_b32_e32 v41, 0x7fc00000
	;; [unrolled: 1-line block ×9, first 2 shown]
	s_branch .LBB199_4
.LBB199_3:                              ;   in Loop: Header=BB199_4 Depth=1
	s_or_b64 exec, exec, s[0:1]
	s_add_u32 s18, s18, s43
	s_addc_u32 s19, s19, 0
	v_pk_mov_b32 v[4:5], s[14:15], s[14:15] op_sel:[0,1]
	v_cmp_ge_i64_e32 vcc, s[18:19], v[4:5]
	v_mov_b32_e32 v4, 0xffff
	v_mov_b32_e32 v5, 0
	v_cmp_gt_u64_e64 s[0:1], s[18:19], v[4:5]
	s_or_b64 s[0:1], vcc, s[0:1]
	s_and_b64 vcc, exec, s[0:1]
	s_cbranch_vccnz .LBB199_156
.LBB199_4:                              ; =>This Loop Header: Depth=1
                                        ;     Child Loop BB199_23 Depth 2
                                        ;     Child Loop BB199_57 Depth 2
	;; [unrolled: 1-line block ×4, first 2 shown]
	v_mov_b32_e32 v3, s19
	v_add_co_u32_e32 v12, vcc, s18, v0
	v_addc_co_u32_e32 v13, vcc, 0, v3, vcc
	v_cmp_gt_u64_e64 s[0:1], s[16:17], v[12:13]
	v_lshlrev_b64 v[6:7], 3, v[12:13]
	v_mov_b32_e32 v14, 0
	v_mov_b32_e32 v15, 0
	s_and_saveexec_b64 s[2:3], s[0:1]
	s_cbranch_execz .LBB199_6
; %bb.5:                                ;   in Loop: Header=BB199_4 Depth=1
	v_mov_b32_e32 v3, s23
	v_add_co_u32_e32 v4, vcc, s33, v6
	v_addc_co_u32_e32 v5, vcc, v3, v7, vcc
	global_load_dwordx2 v[14:15], v[4:5], off
.LBB199_6:                              ;   in Loop: Header=BB199_4 Depth=1
	s_or_b64 exec, exec, s[2:3]
	v_add_co_u32_e32 v8, vcc, s40, v12
	v_addc_co_u32_e32 v9, vcc, v13, v1, vcc
	v_cmp_gt_u64_e64 s[2:3], s[16:17], v[8:9]
	v_mov_b32_e32 v4, 0
	v_lshlrev_b64 v[8:9], 3, v[8:9]
	v_mov_b32_e32 v16, 0
	v_mov_b32_e32 v17, 0
	s_and_saveexec_b64 s[6:7], s[2:3]
	s_cbranch_execz .LBB199_8
; %bb.7:                                ;   in Loop: Header=BB199_4 Depth=1
	v_mov_b32_e32 v3, s23
	v_add_co_u32_e32 v10, vcc, s33, v8
	v_addc_co_u32_e32 v11, vcc, v3, v9, vcc
	global_load_dwordx2 v[16:17], v[10:11], off
.LBB199_8:                              ;   in Loop: Header=BB199_4 Depth=1
	s_or_b64 exec, exec, s[6:7]
	v_add_co_u32_e32 v10, vcc, s41, v12
	v_addc_co_u32_e32 v11, vcc, v13, v32, vcc
	v_cmp_gt_u64_e64 s[6:7], s[16:17], v[10:11]
	v_lshlrev_b64 v[10:11], 3, v[10:11]
	v_mov_b32_e32 v5, 0
	s_and_saveexec_b64 s[8:9], s[6:7]
	s_cbranch_execz .LBB199_10
; %bb.9:                                ;   in Loop: Header=BB199_4 Depth=1
	v_mov_b32_e32 v3, s23
	v_add_co_u32_e32 v4, vcc, s33, v10
	v_addc_co_u32_e32 v5, vcc, v3, v11, vcc
	global_load_dwordx2 v[4:5], v[4:5], off
.LBB199_10:                             ;   in Loop: Header=BB199_4 Depth=1
	s_or_b64 exec, exec, s[8:9]
	v_add_co_u32_e32 v12, vcc, s42, v12
	v_addc_co_u32_e32 v13, vcc, v13, v33, vcc
	v_mov_b32_e32 v18, 0
	v_cmp_gt_u64_e64 s[8:9], s[16:17], v[12:13]
	v_lshlrev_b64 v[12:13], 3, v[12:13]
	v_mov_b32_e32 v19, v18
	s_and_saveexec_b64 s[10:11], s[8:9]
	s_cbranch_execz .LBB199_12
; %bb.11:                               ;   in Loop: Header=BB199_4 Depth=1
	v_mov_b32_e32 v3, s23
	v_add_co_u32_e32 v18, vcc, s33, v12
	v_addc_co_u32_e32 v19, vcc, v3, v13, vcc
	global_load_dwordx2 v[18:19], v[18:19], off
.LBB199_12:                             ;   in Loop: Header=BB199_4 Depth=1
	s_or_b64 exec, exec, s[10:11]
	s_waitcnt vmcnt(0)
	v_cmp_o_f32_e32 vcc, v15, v14
                                        ; implicit-def: $vgpr21
                                        ; implicit-def: $vgpr20
	s_and_saveexec_b64 s[10:11], vcc
	s_xor_b64 s[24:25], exec, s[10:11]
	s_cbranch_execz .LBB199_40
; %bb.13:                               ;   in Loop: Header=BB199_4 Depth=1
	v_cmp_lt_f32_e64 s[10:11], |v14|, |v15|
	v_cndmask_b32_e64 v3, v15, v14, s[10:11]
	v_cmp_ngt_f32_e64 s[12:13], |v3|, s45
                                        ; implicit-def: $vgpr21
                                        ; implicit-def: $vgpr20
	s_and_saveexec_b64 s[26:27], s[12:13]
	s_xor_b64 s[26:27], exec, s[26:27]
	s_cbranch_execz .LBB199_37
; %bb.14:                               ;   in Loop: Header=BB199_4 Depth=1
	v_cndmask_b32_e64 v20, v14, v15, s[10:11]
	v_and_b32_e32 v23, 0x7fffffff, v20
	v_and_b32_e32 v22, 0x7fffffff, v3
	v_cmp_neq_f32_e32 vcc, 1.0, v23
                                        ; implicit-def: $vgpr21
                                        ; implicit-def: $vgpr20
	s_and_saveexec_b64 s[12:13], vcc
	s_xor_b64 s[28:29], exec, s[12:13]
	s_cbranch_execz .LBB199_30
; %bb.15:                               ;   in Loop: Header=BB199_4 Depth=1
	v_max_f32_e32 v3, v22, v22
	v_max_f32_e32 v20, v23, v23
	v_min_f32_e32 v21, v20, v3
	v_max_f32_e32 v3, v20, v3
	v_cmp_ngt_f32_e32 vcc, s46, v21
	v_cmp_nlt_f32_e64 s[12:13], s47, v3
	s_and_b64 s[12:13], s[12:13], vcc
                                        ; implicit-def: $vgpr21
                                        ; implicit-def: $vgpr20
	s_and_saveexec_b64 s[30:31], s[12:13]
	s_xor_b64 s[30:31], exec, s[30:31]
	s_cbranch_execz .LBB199_27
; %bb.16:                               ;   in Loop: Header=BB199_4 Depth=1
	v_cmp_le_f32_e32 vcc, 1.0, v23
                                        ; implicit-def: $vgpr21
                                        ; implicit-def: $vgpr20
	s_and_saveexec_b64 s[12:13], vcc
	s_xor_b64 s[34:35], exec, s[12:13]
	s_cbranch_execz .LBB199_18
; %bb.17:                               ;   in Loop: Header=BB199_4 Depth=1
	v_pk_add_f32 v[20:21], v[22:23], s[20:21] op_sel:[1,0]
	v_mov_b32_e32 v24, v21
	v_pk_mul_f32 v[20:21], v[20:21], v[24:25]
	v_pk_fma_f32 v[20:21], v[22:23], v[22:23], v[20:21]
	v_add_f32_e32 v23, 1.0, v20
	v_add_f32_e32 v21, -1.0, v23
	v_mov_b32_e32 v22, v21
	v_pk_add_f32 v[24:25], v[20:21], v[22:23] neg_lo:[0,1] neg_hi:[0,1]
	v_add_f32_e32 v3, 1.0, v25
	v_add_f32_e32 v3, v24, v3
	v_frexp_mant_f32_e32 v21, v23
	v_cvt_f64_f32_e32 v[24:25], v23
	v_frexp_exp_i32_f64_e32 v22, v[24:25]
	v_cmp_gt_f32_e32 vcc, s48, v21
	v_subbrev_co_u32_e32 v21, vcc, 0, v22, vcc
	v_sub_u32_e32 v22, 0, v21
	v_ldexp_f32 v23, v23, v22
	v_ldexp_f32 v3, v3, v22
	v_add_f32_e32 v22, -1.0, v23
	v_add_f32_e32 v25, 1.0, v23
	v_add_f32_e32 v24, 1.0, v22
	v_add_f32_e32 v26, -1.0, v25
	v_sub_f32_e32 v24, v23, v24
	v_sub_f32_e32 v23, v23, v26
	v_add_f32_e32 v24, v3, v24
	v_add_f32_e32 v3, v3, v23
	;; [unrolled: 1-line block ×3, first 2 shown]
	v_rcp_f32_e32 v31, v30
	v_sub_f32_e32 v23, v30, v25
	v_sub_f32_e32 v3, v3, v23
	v_add_f32_e32 v23, v22, v24
	v_sub_f32_e32 v22, v23, v22
	v_mul_f32_e32 v50, v23, v31
	v_sub_f32_e32 v49, v24, v22
	v_mul_f32_e32 v24, v30, v50
	v_fma_f32 v26, v50, v30, -v24
	v_fmac_f32_e32 v26, v50, v3
	v_add_f32_e32 v22, v24, v26
	v_sub_f32_e32 v25, v23, v22
	v_pk_add_f32 v[28:29], v[22:23], v[24:25] neg_lo:[0,1] neg_hi:[0,1]
	v_mov_b32_e32 v27, v22
	v_pk_add_f32 v[22:23], v[28:29], v[26:27] neg_lo:[0,1] neg_hi:[0,1]
	v_add_f32_e32 v23, v49, v23
	v_add_f32_e32 v22, v22, v23
	v_add_f32_e32 v23, v25, v22
	v_mul_f32_e32 v49, v31, v23
	v_mul_f32_e32 v24, v30, v49
	v_fma_f32 v26, v49, v30, -v24
	v_fmac_f32_e32 v26, v49, v3
	v_sub_f32_e32 v3, v25, v23
	v_add_f32_e32 v3, v22, v3
	v_add_f32_e32 v22, v24, v26
	v_sub_f32_e32 v25, v23, v22
	v_pk_add_f32 v[28:29], v[22:23], v[24:25] neg_lo:[0,1] neg_hi:[0,1]
	v_mov_b32_e32 v27, v22
	v_pk_add_f32 v[22:23], v[28:29], v[26:27] neg_lo:[0,1] neg_hi:[0,1]
	v_add_f32_e32 v3, v3, v23
	v_add_f32_e32 v3, v22, v3
	;; [unrolled: 1-line block ×4, first 2 shown]
	v_sub_f32_e32 v22, v23, v50
	v_mul_f32_e32 v3, v31, v3
	v_sub_f32_e32 v22, v49, v22
	v_add_f32_e32 v24, v22, v3
	v_add_f32_e32 v26, v23, v24
	v_cvt_f32_i32_e32 v22, v21
	v_mul_f32_e32 v27, v26, v26
	v_mov_b32_e32 v3, 0x3ecc95a3
	v_fmac_f32_e32 v3, 0x3e9b6dac, v27
	v_fma_f32 v3, v27, v3, v34
	v_sub_f32_e32 v21, v26, v23
	v_mul_f32_e32 v23, v26, v27
	v_ldexp_f32 v25, v26, 1
	v_pk_mul_f32 v[26:27], v[22:23], v[2:3]
	v_sub_f32_e32 v21, v24, v21
	v_fma_f32 v24, v22, s49, -v26
	v_fmac_f32_e32 v24, 0xb102e308, v22
	v_pk_add_f32 v[22:23], v[26:27], v[24:25]
	v_sub_f32_e32 v3, v23, v25
	v_ldexp_f32 v21, v21, 1
	v_sub_f32_e32 v3, v27, v3
	v_add_f32_e32 v29, v21, v3
	v_mov_b32_e32 v28, v26
	v_pk_add_f32 v[26:27], v[22:23], v[26:27] neg_lo:[0,1] neg_hi:[0,1]
	v_pk_add_f32 v[30:31], v[22:23], v[28:29]
	v_mov_b32_e32 v27, v31
	v_mov_b32_e32 v25, v22
	v_pk_add_f32 v[50:51], v[24:25], v[26:27] neg_lo:[0,1] neg_hi:[0,1]
	v_pk_add_f32 v[24:25], v[24:25], v[26:27]
	v_mov_b32_e32 v26, v25
	v_pk_add_f32 v[52:53], v[26:27], v[22:23] neg_lo:[0,1] neg_hi:[0,1]
	v_mov_b32_e32 v3, v52
	v_pk_add_f32 v[54:55], v[30:31], v[2:3] neg_lo:[0,1] neg_hi:[0,1]
	v_mov_b32_e32 v24, v31
	v_mov_b32_e32 v30, v23
	;; [unrolled: 1-line block ×4, first 2 shown]
	v_pk_add_f32 v[24:25], v[24:25], v[30:31] neg_lo:[0,1] neg_hi:[0,1]
	v_mov_b32_e32 v28, v29
	v_mov_b32_e32 v29, v22
	v_pk_add_f32 v[22:23], v[28:29], v[24:25] neg_lo:[0,1] neg_hi:[0,1]
	v_mov_b32_e32 v54, v50
	v_pk_add_f32 v[24:25], v[54:55], v[22:23]
	v_mov_b32_e32 v28, v25
	v_pk_add_f32 v[28:29], v[24:25], v[28:29]
	v_pk_add_f32 v[26:27], v[26:27], v[28:29]
	v_mov_b32_e32 v25, v26
	v_pk_add_f32 v[30:31], v[24:25], v[50:51] neg_lo:[0,1] neg_hi:[0,1]
	v_mov_b32_e32 v23, v28
	v_sub_f32_e32 v3, v24, v30
	v_pk_add_f32 v[22:23], v[22:23], v[30:31] neg_lo:[0,1] neg_hi:[0,1]
	v_sub_f32_e32 v3, v50, v3
	v_add_f32_e32 v3, v22, v3
	v_add_f32_e32 v3, v3, v23
	;; [unrolled: 1-line block ×3, first 2 shown]
	v_cmp_eq_f32_e32 vcc, s50, v20
	v_cndmask_b32_e32 v3, v3, v20, vcc
	v_cmp_ngt_f32_e32 vcc, -1.0, v20
	v_cndmask_b32_e32 v3, v41, v3, vcc
	v_cmp_neq_f32_e32 vcc, -1.0, v20
	v_cndmask_b32_e32 v3, v42, v3, vcc
	v_cmp_lt_f32_e64 vcc, |v20|, s51
	v_cndmask_b32_e32 v3, v3, v20, vcc
	v_mul_f32_e32 v21, 0.5, v3
	v_max_f32_e64 v3, |v15|, |v15|
	v_max_f32_e64 v20, |v14|, |v14|
	v_min_f32_e32 v22, v20, v3
	v_max_f32_e32 v3, v20, v3
	v_frexp_mant_f32_e32 v20, v3
	v_rcp_f32_e32 v20, v20
	v_frexp_exp_i32_f32_e32 v3, v3
	v_frexp_exp_i32_f32_e32 v23, v22
	v_frexp_mant_f32_e32 v22, v22
	v_mul_f32_e32 v20, v22, v20
	v_sub_u32_e32 v3, v23, v3
	v_ldexp_f32 v3, v20, v3
	v_mul_f32_e32 v20, v3, v3
	v_mov_b32_e32 v22, 0xbc7a590c
	v_fmac_f32_e32 v22, 0x3b2d2a58, v20
	v_fma_f32 v22, v20, v22, v35
	v_fma_f32 v22, v20, v22, v36
	v_fma_f32 v22, v20, v22, v37
	v_fma_f32 v22, v20, v22, v38
	v_fma_f32 v22, v20, v22, v39
	v_fma_f32 v22, v20, v22, v40
	v_mul_f32_e32 v20, v20, v22
	v_fmac_f32_e32 v3, v3, v20
	v_sub_f32_e32 v20, 0x3fc90fdb, v3
	v_cndmask_b32_e64 v3, v3, v20, s[10:11]
	v_sub_f32_e32 v20, 0x40490fdb, v3
	v_cmp_gt_f32_e32 vcc, 0, v14
	v_cmp_gt_i32_e64 s[12:13], 0, v14
	v_cndmask_b32_e32 v3, v3, v20, vcc
	v_cndmask_b32_e64 v20, 0, v43, s[12:13]
	v_cmp_eq_f32_e64 s[12:13], 0, v15
	v_cndmask_b32_e64 v3, v3, v20, s[12:13]
	v_cmp_class_f32_e64 s[12:13], v14, s52
	v_cmp_class_f32_e64 s[36:37], v15, s52
	v_cndmask_b32_e32 v20, v44, v45, vcc
	s_and_b64 vcc, s[36:37], s[12:13]
	v_cndmask_b32_e32 v20, v3, v20, vcc
                                        ; implicit-def: $vgpr22_vgpr23
.LBB199_18:                             ;   in Loop: Header=BB199_4 Depth=1
	s_andn2_saveexec_b64 s[34:35], s[34:35]
	s_cbranch_execz .LBB199_26
; %bb.19:                               ;   in Loop: Header=BB199_4 Depth=1
	v_pk_mul_f32 v[20:21], v[22:23], v[22:23]
	v_add_f32_e32 v3, v21, v20
	v_cmp_ge_f32_e32 vcc, s53, v3
                                        ; implicit-def: $vgpr21
                                        ; implicit-def: $vgpr20
	s_and_saveexec_b64 s[12:13], vcc
	s_xor_b64 s[36:37], exec, s[12:13]
	s_cbranch_execz .LBB199_21
; %bb.20:                               ;   in Loop: Header=BB199_4 Depth=1
	v_cmp_gt_f32_e32 vcc, s54, v3
	v_cndmask_b32_e32 v20, 1.0, v46, vcc
	v_mul_f32_e32 v3, v3, v20
	v_log_f32_e32 v3, v3
	v_cndmask_b32_e32 v20, 0, v47, vcc
	v_cmp_gt_i32_e64 s[12:13], 0, v14
	v_cmp_class_f32_e64 s[38:39], v15, s52
	v_mul_f32_e32 v21, 0x3f317217, v3
	v_fma_f32 v22, v3, s55, -v21
	v_fmac_f32_e32 v22, 0x3377d1cf, v3
	v_add_f32_e32 v21, v21, v22
	v_cmp_lt_f32_e64 vcc, |v3|, s50
	v_cndmask_b32_e32 v3, v3, v21, vcc
	v_sub_f32_e32 v3, v3, v20
	v_mul_f32_e32 v21, 0.5, v3
	v_max_f32_e64 v3, |v15|, |v15|
	v_max_f32_e64 v20, |v14|, |v14|
	v_min_f32_e32 v22, v20, v3
	v_max_f32_e32 v3, v20, v3
	v_frexp_mant_f32_e32 v20, v3
	v_rcp_f32_e32 v20, v20
	v_frexp_exp_i32_f32_e32 v3, v3
	v_frexp_exp_i32_f32_e32 v23, v22
	v_frexp_mant_f32_e32 v22, v22
	v_mul_f32_e32 v20, v22, v20
	v_sub_u32_e32 v3, v23, v3
	v_ldexp_f32 v3, v20, v3
	v_mul_f32_e32 v20, v3, v3
	v_mov_b32_e32 v22, 0xbc7a590c
	v_fmac_f32_e32 v22, 0x3b2d2a58, v20
	v_fma_f32 v22, v20, v22, v35
	v_fma_f32 v22, v20, v22, v36
	;; [unrolled: 1-line block ×6, first 2 shown]
	v_mul_f32_e32 v20, v20, v22
	v_fmac_f32_e32 v3, v3, v20
	v_sub_f32_e32 v20, 0x3fc90fdb, v3
	v_cndmask_b32_e64 v3, v3, v20, s[10:11]
	v_sub_f32_e32 v20, 0x40490fdb, v3
	v_cmp_gt_f32_e32 vcc, 0, v14
	v_cndmask_b32_e32 v3, v3, v20, vcc
	v_cndmask_b32_e64 v20, 0, v43, s[12:13]
	v_cmp_eq_f32_e64 s[12:13], 0, v15
	v_cndmask_b32_e64 v3, v3, v20, s[12:13]
	v_cmp_class_f32_e64 s[12:13], v14, s52
	v_cndmask_b32_e32 v20, v44, v45, vcc
	s_and_b64 vcc, s[38:39], s[12:13]
	v_cndmask_b32_e32 v20, v3, v20, vcc
                                        ; implicit-def: $vgpr22_vgpr23
.LBB199_21:                             ;   in Loop: Header=BB199_4 Depth=1
	s_andn2_saveexec_b64 s[36:37], s[36:37]
	s_cbranch_execz .LBB199_25
; %bb.22:                               ;   in Loop: Header=BB199_4 Depth=1
	v_and_b32_e32 v25, 0x7fff0000, v22
	v_and_b32_e32 v24, 0x7fff0000, v23
	v_pk_add_f32 v[20:21], v[22:23], v[24:25] op_sel:[1,0] op_sel_hi:[0,1] neg_lo:[0,1] neg_hi:[0,1]
	v_and_b32_e32 v31, 0xffff0000, v21
	v_and_b32_e32 v30, 0xffff0000, v20
	v_pk_add_f32 v[50:51], v[20:21], v[30:31] neg_lo:[0,1] neg_hi:[0,1]
	v_pk_mul_f32 v[20:21], v[24:25], v[24:25]
	v_add_f32_e32 v24, v24, v24
	v_mul_f32_e32 v26, v24, v30
	v_mul_f32_e32 v28, v24, v50
	v_add_f32_e32 v24, v30, v30
	v_add_f32_e32 v25, v25, v25
	v_mul_f32_e32 v29, v24, v50
	v_add_f32_e32 v24, v31, v31
	v_mul_f32_e32 v3, v25, v31
	v_pk_mul_f32 v[22:23], v[30:31], v[30:31]
	v_mul_f32_e32 v27, v25, v51
	v_mul_f32_e32 v30, v24, v51
	v_pk_mul_f32 v[24:25], v[50:51], v[50:51]
	s_mov_b64 s[38:39], 0
.LBB199_23:                             ;   Parent Loop BB199_4 Depth=1
                                        ; =>  This Inner Loop Header: Depth=2
	v_cmp_nlt_f32_e32 vcc, v20, v21
	v_cndmask_b32_e32 v31, v20, v21, vcc
	v_cmp_nlt_f32_e64 s[12:13], v31, v26
	v_cndmask_b32_e64 v49, v31, v26, s[12:13]
	v_cndmask_b32_e32 v20, v21, v20, vcc
	s_and_b64 s[60:61], vcc, s[12:13]
	v_cmp_nlt_f32_e32 vcc, v49, v3
	v_cndmask_b32_e64 v21, v26, v31, s[12:13]
	v_cndmask_b32_e32 v31, v49, v3, vcc
	v_cmp_nlt_f32_e64 s[12:13], v31, v22
	v_cndmask_b32_e32 v26, v3, v49, vcc
	v_cndmask_b32_e64 v49, v31, v22, s[12:13]
	s_and_b64 s[62:63], vcc, s[12:13]
	v_cmp_nlt_f32_e32 vcc, v49, v23
	v_cndmask_b32_e64 v3, v22, v31, s[12:13]
	v_cndmask_b32_e32 v31, v49, v23, vcc
	v_cmp_nlt_f32_e64 s[12:13], v31, v28
	v_cndmask_b32_e32 v22, v23, v49, vcc
	v_cndmask_b32_e64 v49, v31, v28, s[12:13]
	v_cndmask_b32_e64 v23, v28, v31, s[12:13]
	s_and_b64 s[12:13], vcc, s[12:13]
	v_cmp_nlt_f32_e32 vcc, v49, v27
	v_cndmask_b32_e32 v31, v49, v27, vcc
	v_cndmask_b32_e32 v28, v27, v49, vcc
	s_and_b64 s[12:13], s[12:13], vcc
	v_cmp_nlt_f32_e32 vcc, v31, v29
	v_cndmask_b32_e32 v49, v31, v29, vcc
	v_cndmask_b32_e32 v27, v29, v31, vcc
	s_and_b64 s[12:13], s[12:13], vcc
	;; [unrolled: 4-line block ×4, first 2 shown]
	v_cmp_nlt_f32_e32 vcc, v49, v25
	s_and_b64 s[12:13], s[12:13], vcc
	s_and_b64 s[12:13], s[12:13], s[62:63]
	s_and_b64 s[12:13], s[12:13], s[60:61]
	s_and_b64 s[12:13], exec, s[12:13]
	v_cndmask_b32_e32 v24, v25, v49, vcc
	s_or_b64 s[38:39], s[12:13], s[38:39]
	v_cndmask_b32_e32 v25, v49, v25, vcc
	s_andn2_b64 exec, exec, s[38:39]
	s_cbranch_execnz .LBB199_23
; %bb.24:                               ;   in Loop: Header=BB199_4 Depth=1
	s_or_b64 exec, exec, s[38:39]
	v_add_f32_e32 v20, -1.0, v20
	v_add_f32_e32 v20, v20, v21
	v_add_f32_e32 v20, v20, v26
	;; [unrolled: 1-line block ×11, first 2 shown]
	v_add_f32_e32 v23, 1.0, v20
	v_add_f32_e32 v21, -1.0, v23
	v_mov_b32_e32 v22, v21
	v_pk_add_f32 v[24:25], v[20:21], v[22:23] neg_lo:[0,1] neg_hi:[0,1]
	v_add_f32_e32 v3, 1.0, v25
	v_add_f32_e32 v3, v24, v3
	v_frexp_mant_f32_e32 v21, v23
	v_cvt_f64_f32_e32 v[24:25], v23
	v_frexp_exp_i32_f64_e32 v22, v[24:25]
	v_cmp_gt_f32_e32 vcc, s48, v21
	v_subbrev_co_u32_e32 v21, vcc, 0, v22, vcc
	v_sub_u32_e32 v22, 0, v21
	v_ldexp_f32 v23, v23, v22
	v_ldexp_f32 v3, v3, v22
	v_add_f32_e32 v22, -1.0, v23
	v_add_f32_e32 v25, 1.0, v23
	v_add_f32_e32 v24, 1.0, v22
	v_add_f32_e32 v26, -1.0, v25
	v_sub_f32_e32 v24, v23, v24
	v_sub_f32_e32 v23, v23, v26
	v_add_f32_e32 v24, v3, v24
	v_add_f32_e32 v3, v3, v23
	;; [unrolled: 1-line block ×3, first 2 shown]
	v_rcp_f32_e32 v31, v30
	v_sub_f32_e32 v23, v30, v25
	v_sub_f32_e32 v3, v3, v23
	v_add_f32_e32 v23, v22, v24
	v_sub_f32_e32 v22, v23, v22
	v_mul_f32_e32 v50, v23, v31
	v_sub_f32_e32 v49, v24, v22
	v_mul_f32_e32 v24, v30, v50
	v_fma_f32 v26, v50, v30, -v24
	v_fmac_f32_e32 v26, v50, v3
	v_add_f32_e32 v22, v24, v26
	v_sub_f32_e32 v25, v23, v22
	v_pk_add_f32 v[28:29], v[22:23], v[24:25] neg_lo:[0,1] neg_hi:[0,1]
	v_mov_b32_e32 v27, v22
	v_pk_add_f32 v[22:23], v[28:29], v[26:27] neg_lo:[0,1] neg_hi:[0,1]
	v_add_f32_e32 v23, v49, v23
	v_add_f32_e32 v22, v22, v23
	v_add_f32_e32 v23, v25, v22
	v_mul_f32_e32 v49, v31, v23
	v_mul_f32_e32 v24, v30, v49
	v_fma_f32 v26, v49, v30, -v24
	v_fmac_f32_e32 v26, v49, v3
	v_sub_f32_e32 v3, v25, v23
	v_add_f32_e32 v3, v22, v3
	v_add_f32_e32 v22, v24, v26
	v_sub_f32_e32 v25, v23, v22
	v_pk_add_f32 v[28:29], v[22:23], v[24:25] neg_lo:[0,1] neg_hi:[0,1]
	v_mov_b32_e32 v27, v22
	v_pk_add_f32 v[22:23], v[28:29], v[26:27] neg_lo:[0,1] neg_hi:[0,1]
	v_add_f32_e32 v3, v3, v23
	v_add_f32_e32 v3, v22, v3
	;; [unrolled: 1-line block ×4, first 2 shown]
	v_sub_f32_e32 v22, v23, v50
	v_mul_f32_e32 v3, v31, v3
	v_sub_f32_e32 v22, v49, v22
	v_add_f32_e32 v24, v22, v3
	v_add_f32_e32 v26, v23, v24
	v_cvt_f32_i32_e32 v22, v21
	v_mul_f32_e32 v27, v26, v26
	v_mov_b32_e32 v3, 0x3ecc95a3
	v_fmac_f32_e32 v3, 0x3e9b6dac, v27
	v_fma_f32 v3, v27, v3, v34
	v_sub_f32_e32 v21, v26, v23
	v_mul_f32_e32 v23, v26, v27
	v_ldexp_f32 v25, v26, 1
	v_pk_mul_f32 v[26:27], v[22:23], v[2:3]
	v_sub_f32_e32 v21, v24, v21
	v_fma_f32 v24, v22, s49, -v26
	v_fmac_f32_e32 v24, 0xb102e308, v22
	v_pk_add_f32 v[22:23], v[26:27], v[24:25]
	v_sub_f32_e32 v3, v23, v25
	v_ldexp_f32 v21, v21, 1
	v_sub_f32_e32 v3, v27, v3
	v_add_f32_e32 v29, v21, v3
	v_mov_b32_e32 v28, v26
	v_pk_add_f32 v[26:27], v[22:23], v[26:27] neg_lo:[0,1] neg_hi:[0,1]
	v_pk_add_f32 v[30:31], v[22:23], v[28:29]
	v_mov_b32_e32 v27, v31
	v_mov_b32_e32 v25, v22
	v_pk_add_f32 v[50:51], v[24:25], v[26:27] neg_lo:[0,1] neg_hi:[0,1]
	v_pk_add_f32 v[24:25], v[24:25], v[26:27]
	v_mov_b32_e32 v26, v25
	v_pk_add_f32 v[52:53], v[26:27], v[22:23] neg_lo:[0,1] neg_hi:[0,1]
	v_mov_b32_e32 v3, v52
	v_pk_add_f32 v[54:55], v[30:31], v[2:3] neg_lo:[0,1] neg_hi:[0,1]
	v_mov_b32_e32 v24, v31
	v_mov_b32_e32 v30, v23
	;; [unrolled: 1-line block ×4, first 2 shown]
	v_pk_add_f32 v[24:25], v[24:25], v[30:31] neg_lo:[0,1] neg_hi:[0,1]
	v_mov_b32_e32 v28, v29
	v_mov_b32_e32 v29, v22
	v_pk_add_f32 v[22:23], v[28:29], v[24:25] neg_lo:[0,1] neg_hi:[0,1]
	v_mov_b32_e32 v54, v50
	v_pk_add_f32 v[24:25], v[54:55], v[22:23]
	v_mov_b32_e32 v28, v25
	v_pk_add_f32 v[28:29], v[24:25], v[28:29]
	v_pk_add_f32 v[26:27], v[26:27], v[28:29]
	v_mov_b32_e32 v25, v26
	v_pk_add_f32 v[30:31], v[24:25], v[50:51] neg_lo:[0,1] neg_hi:[0,1]
	v_mov_b32_e32 v23, v28
	v_sub_f32_e32 v3, v24, v30
	v_pk_add_f32 v[22:23], v[22:23], v[30:31] neg_lo:[0,1] neg_hi:[0,1]
	v_sub_f32_e32 v3, v50, v3
	v_add_f32_e32 v3, v22, v3
	v_add_f32_e32 v3, v3, v23
	;; [unrolled: 1-line block ×3, first 2 shown]
	v_cmp_eq_f32_e32 vcc, s50, v20
	v_cndmask_b32_e32 v3, v3, v20, vcc
	v_cmp_ngt_f32_e32 vcc, -1.0, v20
	v_cndmask_b32_e32 v3, v41, v3, vcc
	v_cmp_neq_f32_e32 vcc, -1.0, v20
	v_cndmask_b32_e32 v3, v42, v3, vcc
	v_cmp_lt_f32_e64 vcc, |v20|, s51
	v_cndmask_b32_e32 v3, v3, v20, vcc
	v_mul_f32_e32 v21, 0.5, v3
	v_max_f32_e64 v3, |v15|, |v15|
	v_max_f32_e64 v20, |v14|, |v14|
	v_min_f32_e32 v22, v20, v3
	v_max_f32_e32 v3, v20, v3
	v_frexp_mant_f32_e32 v20, v3
	v_rcp_f32_e32 v20, v20
	v_frexp_exp_i32_f32_e32 v3, v3
	v_frexp_exp_i32_f32_e32 v23, v22
	v_frexp_mant_f32_e32 v22, v22
	v_mul_f32_e32 v20, v22, v20
	v_sub_u32_e32 v3, v23, v3
	v_ldexp_f32 v3, v20, v3
	v_mul_f32_e32 v20, v3, v3
	v_mov_b32_e32 v22, 0xbc7a590c
	v_fmac_f32_e32 v22, 0x3b2d2a58, v20
	v_fma_f32 v22, v20, v22, v35
	v_fma_f32 v22, v20, v22, v36
	;; [unrolled: 1-line block ×6, first 2 shown]
	v_mul_f32_e32 v20, v20, v22
	v_fmac_f32_e32 v3, v3, v20
	v_sub_f32_e32 v20, 0x3fc90fdb, v3
	v_cndmask_b32_e64 v3, v3, v20, s[10:11]
	v_sub_f32_e32 v20, 0x40490fdb, v3
	v_cmp_gt_f32_e32 vcc, 0, v14
	v_cmp_gt_i32_e64 s[12:13], 0, v14
	v_cndmask_b32_e32 v3, v3, v20, vcc
	v_cndmask_b32_e64 v20, 0, v43, s[12:13]
	v_cmp_eq_f32_e64 s[12:13], 0, v15
	v_cndmask_b32_e64 v3, v3, v20, s[12:13]
	v_cmp_class_f32_e64 s[12:13], v14, s52
	v_cmp_class_f32_e64 s[38:39], v15, s52
	v_cndmask_b32_e32 v20, v44, v45, vcc
	s_and_b64 vcc, s[38:39], s[12:13]
	v_cndmask_b32_e32 v20, v3, v20, vcc
.LBB199_25:                             ;   in Loop: Header=BB199_4 Depth=1
	s_or_b64 exec, exec, s[36:37]
.LBB199_26:                             ;   in Loop: Header=BB199_4 Depth=1
	s_or_b64 exec, exec, s[34:35]
.LBB199_27:                             ;   in Loop: Header=BB199_4 Depth=1
	s_andn2_saveexec_b64 s[30:31], s[30:31]
	s_cbranch_execz .LBB199_29
; %bb.28:                               ;   in Loop: Header=BB199_4 Depth=1
	v_max_f32_e64 v3, |v15|, |v15|
	v_max_f32_e64 v22, |v14|, |v14|
	v_max_f32_e32 v23, v22, v3
	v_cvt_f64_f32_e32 v[20:21], v23
	v_frexp_exp_i32_f64_e32 v20, v[20:21]
	v_sub_u32_e32 v21, 0, v20
	v_ldexp_f32 v24, |v14|, v21
	v_ldexp_f32 v21, |v15|, v21
	v_mul_f32_e32 v21, v21, v21
	v_fmac_f32_e32 v21, v24, v24
	v_sqrt_f32_e32 v21, v21
	v_cmp_neq_f32_e32 vcc, s50, v23
	v_min_f32_e32 v3, v22, v3
	v_frexp_exp_i32_f32_e32 v22, v23
	v_ldexp_f32 v20, v21, v20
	v_cndmask_b32_e32 v20, v48, v20, vcc
	v_cmp_gt_f32_e32 vcc, s54, v20
	v_cndmask_b32_e32 v21, 1.0, v46, vcc
	v_mul_f32_e32 v20, v20, v21
	v_log_f32_e32 v20, v20
	v_cndmask_b32_e32 v21, 0, v47, vcc
	v_cmp_gt_i32_e64 s[12:13], 0, v14
	v_cmp_class_f32_e64 s[34:35], v15, s52
	v_mul_f32_e32 v24, 0x3f317217, v20
	v_fma_f32 v25, v20, s55, -v24
	v_fmac_f32_e32 v25, 0x3377d1cf, v20
	v_add_f32_e32 v24, v24, v25
	v_cmp_lt_f32_e64 vcc, |v20|, s50
	v_cndmask_b32_e32 v20, v20, v24, vcc
	v_sub_f32_e32 v21, v20, v21
	v_frexp_mant_f32_e32 v20, v23
	v_rcp_f32_e32 v20, v20
	v_frexp_exp_i32_f32_e32 v23, v3
	v_frexp_mant_f32_e32 v3, v3
	v_cmp_gt_f32_e32 vcc, 0, v14
	v_mul_f32_e32 v3, v3, v20
	v_sub_u32_e32 v20, v23, v22
	v_ldexp_f32 v3, v3, v20
	v_mul_f32_e32 v20, v3, v3
	v_mov_b32_e32 v22, 0xbc7a590c
	v_fmac_f32_e32 v22, 0x3b2d2a58, v20
	v_fma_f32 v22, v20, v22, v35
	v_fma_f32 v22, v20, v22, v36
	;; [unrolled: 1-line block ×6, first 2 shown]
	v_mul_f32_e32 v20, v20, v22
	v_fmac_f32_e32 v3, v3, v20
	v_sub_f32_e32 v20, 0x3fc90fdb, v3
	v_cndmask_b32_e64 v3, v3, v20, s[10:11]
	v_sub_f32_e32 v20, 0x40490fdb, v3
	v_cndmask_b32_e32 v3, v3, v20, vcc
	v_cndmask_b32_e64 v20, 0, v43, s[12:13]
	v_cmp_eq_f32_e64 s[12:13], 0, v15
	v_cndmask_b32_e64 v3, v3, v20, s[12:13]
	v_cmp_class_f32_e64 s[12:13], v14, s52
	v_cndmask_b32_e32 v20, v44, v45, vcc
	s_and_b64 vcc, s[34:35], s[12:13]
	v_cndmask_b32_e32 v20, v3, v20, vcc
.LBB199_29:                             ;   in Loop: Header=BB199_4 Depth=1
	s_or_b64 exec, exec, s[30:31]
                                        ; implicit-def: $vgpr22
.LBB199_30:                             ;   in Loop: Header=BB199_4 Depth=1
	s_andn2_saveexec_b64 s[28:29], s[28:29]
	s_cbranch_execz .LBB199_36
; %bb.31:                               ;   in Loop: Header=BB199_4 Depth=1
	v_cmp_ngt_f32_e32 vcc, s56, v22
                                        ; implicit-def: $vgpr21
                                        ; implicit-def: $vgpr20
	s_and_saveexec_b64 s[12:13], vcc
	s_xor_b64 s[30:31], exec, s[12:13]
	s_cbranch_execz .LBB199_33
; %bb.32:                               ;   in Loop: Header=BB199_4 Depth=1
	v_pk_mul_f32 v[20:21], v[22:23], v[22:23]
	v_add_f32_e32 v23, 1.0, v20
	v_add_f32_e32 v21, -1.0, v23
	v_mov_b32_e32 v22, v21
	v_pk_add_f32 v[24:25], v[20:21], v[22:23] neg_lo:[0,1] neg_hi:[0,1]
	v_add_f32_e32 v3, 1.0, v25
	v_add_f32_e32 v3, v24, v3
	v_frexp_mant_f32_e32 v21, v23
	v_cvt_f64_f32_e32 v[24:25], v23
	v_frexp_exp_i32_f64_e32 v22, v[24:25]
	v_cmp_gt_f32_e32 vcc, s48, v21
	v_subbrev_co_u32_e32 v21, vcc, 0, v22, vcc
	v_sub_u32_e32 v22, 0, v21
	v_ldexp_f32 v23, v23, v22
	v_ldexp_f32 v3, v3, v22
	v_add_f32_e32 v22, -1.0, v23
	v_add_f32_e32 v25, 1.0, v23
	v_add_f32_e32 v24, 1.0, v22
	v_add_f32_e32 v26, -1.0, v25
	v_sub_f32_e32 v24, v23, v24
	v_sub_f32_e32 v23, v23, v26
	v_add_f32_e32 v24, v3, v24
	v_add_f32_e32 v3, v3, v23
	;; [unrolled: 1-line block ×3, first 2 shown]
	v_rcp_f32_e32 v31, v30
	v_sub_f32_e32 v23, v25, v30
	v_add_f32_e32 v3, v3, v23
	v_add_f32_e32 v23, v22, v24
	v_sub_f32_e32 v22, v22, v23
	v_mul_f32_e32 v50, v23, v31
	v_add_f32_e32 v49, v24, v22
	v_mul_f32_e32 v24, v30, v50
	v_fma_f32 v26, v50, v30, -v24
	v_fmac_f32_e32 v26, v50, v3
	v_add_f32_e32 v22, v24, v26
	v_sub_f32_e32 v25, v23, v22
	v_pk_add_f32 v[28:29], v[22:23], v[24:25] neg_lo:[0,1] neg_hi:[0,1]
	v_mov_b32_e32 v27, v22
	v_pk_add_f32 v[22:23], v[28:29], v[26:27] neg_lo:[0,1] neg_hi:[0,1]
	v_add_f32_e32 v23, v49, v23
	v_add_f32_e32 v22, v22, v23
	;; [unrolled: 1-line block ×3, first 2 shown]
	v_mul_f32_e32 v49, v31, v23
	v_mul_f32_e32 v24, v30, v49
	v_fma_f32 v26, v49, v30, -v24
	v_fmac_f32_e32 v26, v49, v3
	v_sub_f32_e32 v3, v25, v23
	v_add_f32_e32 v3, v22, v3
	v_add_f32_e32 v22, v24, v26
	v_sub_f32_e32 v25, v23, v22
	v_pk_add_f32 v[28:29], v[22:23], v[24:25] neg_lo:[0,1] neg_hi:[0,1]
	v_mov_b32_e32 v27, v22
	v_pk_add_f32 v[22:23], v[28:29], v[26:27] neg_lo:[0,1] neg_hi:[0,1]
	v_add_f32_e32 v3, v3, v23
	v_add_f32_e32 v3, v22, v3
	;; [unrolled: 1-line block ×4, first 2 shown]
	v_sub_f32_e32 v22, v23, v50
	v_mul_f32_e32 v3, v31, v3
	v_sub_f32_e32 v22, v49, v22
	v_add_f32_e32 v24, v22, v3
	v_add_f32_e32 v26, v23, v24
	v_cvt_f32_i32_e32 v22, v21
	v_mul_f32_e32 v27, v26, v26
	v_mov_b32_e32 v3, 0x3ecc95a3
	v_fmac_f32_e32 v3, 0x3e9b6dac, v27
	v_fma_f32 v3, v27, v3, v34
	v_sub_f32_e32 v21, v26, v23
	v_mul_f32_e32 v23, v26, v27
	v_ldexp_f32 v25, v26, 1
	v_pk_mul_f32 v[26:27], v[22:23], v[2:3]
	v_sub_f32_e32 v21, v24, v21
	v_fma_f32 v24, v22, s49, -v26
	v_fmac_f32_e32 v24, 0xb102e308, v22
	v_pk_add_f32 v[22:23], v[26:27], v[24:25]
	v_sub_f32_e32 v3, v23, v25
	v_ldexp_f32 v21, v21, 1
	v_sub_f32_e32 v3, v27, v3
	v_add_f32_e32 v29, v21, v3
	v_mov_b32_e32 v28, v26
	v_pk_add_f32 v[26:27], v[22:23], v[26:27] neg_lo:[0,1] neg_hi:[0,1]
	v_pk_add_f32 v[30:31], v[22:23], v[28:29]
	v_mov_b32_e32 v27, v31
	v_mov_b32_e32 v25, v22
	v_pk_add_f32 v[50:51], v[24:25], v[26:27] neg_lo:[0,1] neg_hi:[0,1]
	v_pk_add_f32 v[24:25], v[24:25], v[26:27]
	v_mov_b32_e32 v26, v25
	v_pk_add_f32 v[52:53], v[26:27], v[22:23] neg_lo:[0,1] neg_hi:[0,1]
	v_mov_b32_e32 v3, v52
	v_pk_add_f32 v[54:55], v[30:31], v[2:3] neg_lo:[0,1] neg_hi:[0,1]
	v_mov_b32_e32 v24, v31
	v_mov_b32_e32 v30, v23
	;; [unrolled: 1-line block ×4, first 2 shown]
	v_pk_add_f32 v[24:25], v[24:25], v[30:31] neg_lo:[0,1] neg_hi:[0,1]
	v_mov_b32_e32 v28, v29
	v_mov_b32_e32 v29, v22
	v_pk_add_f32 v[22:23], v[28:29], v[24:25] neg_lo:[0,1] neg_hi:[0,1]
	v_mov_b32_e32 v54, v50
	v_pk_add_f32 v[24:25], v[54:55], v[22:23]
	v_mov_b32_e32 v28, v25
	v_pk_add_f32 v[28:29], v[24:25], v[28:29]
	v_pk_add_f32 v[26:27], v[26:27], v[28:29]
	v_mov_b32_e32 v25, v26
	v_pk_add_f32 v[30:31], v[24:25], v[50:51] neg_lo:[0,1] neg_hi:[0,1]
	v_mov_b32_e32 v23, v28
	v_sub_f32_e32 v3, v24, v30
	v_pk_add_f32 v[22:23], v[22:23], v[30:31] neg_lo:[0,1] neg_hi:[0,1]
	v_sub_f32_e32 v3, v50, v3
	v_add_f32_e32 v3, v22, v3
	v_add_f32_e32 v3, v3, v23
	v_cmp_eq_f32_e32 vcc, s50, v20
	v_cmp_lt_f32_e64 s[12:13], |v20|, s51
	v_add_f32_e32 v3, v26, v3
	s_or_b64 vcc, vcc, s[12:13]
	v_cndmask_b32_e32 v3, v3, v20, vcc
	v_mul_f32_e32 v21, 0.5, v3
	v_max_f32_e64 v3, |v15|, |v15|
	v_max_f32_e64 v20, |v14|, |v14|
	v_min_f32_e32 v22, v20, v3
	v_max_f32_e32 v3, v20, v3
	v_frexp_mant_f32_e32 v20, v3
	v_rcp_f32_e32 v20, v20
	v_frexp_exp_i32_f32_e32 v3, v3
	v_frexp_exp_i32_f32_e32 v23, v22
	v_frexp_mant_f32_e32 v22, v22
	v_mul_f32_e32 v20, v22, v20
	v_sub_u32_e32 v3, v23, v3
	v_ldexp_f32 v3, v20, v3
	v_mul_f32_e32 v20, v3, v3
	v_mov_b32_e32 v22, 0xbc7a590c
	v_fmac_f32_e32 v22, 0x3b2d2a58, v20
	v_fma_f32 v22, v20, v22, v35
	v_fma_f32 v22, v20, v22, v36
	;; [unrolled: 1-line block ×6, first 2 shown]
	v_mul_f32_e32 v20, v20, v22
	v_fmac_f32_e32 v3, v3, v20
	v_sub_f32_e32 v20, 0x3fc90fdb, v3
	v_cndmask_b32_e64 v3, v3, v20, s[10:11]
	v_sub_f32_e32 v20, 0x40490fdb, v3
	v_cmp_gt_f32_e32 vcc, 0, v14
	v_cmp_gt_i32_e64 s[12:13], 0, v14
	v_cndmask_b32_e32 v3, v3, v20, vcc
	v_cndmask_b32_e64 v20, 0, v43, s[12:13]
	v_cmp_eq_f32_e64 s[12:13], 0, v15
	v_cndmask_b32_e64 v3, v3, v20, s[12:13]
	v_cmp_class_f32_e64 s[12:13], v14, s52
	v_cmp_class_f32_e64 s[34:35], v15, s52
	v_cndmask_b32_e32 v20, v44, v45, vcc
	s_and_b64 vcc, s[34:35], s[12:13]
	v_cndmask_b32_e32 v20, v3, v20, vcc
                                        ; implicit-def: $vgpr22
.LBB199_33:                             ;   in Loop: Header=BB199_4 Depth=1
	s_andn2_saveexec_b64 s[30:31], s[30:31]
	s_cbranch_execz .LBB199_35
; %bb.34:                               ;   in Loop: Header=BB199_4 Depth=1
	v_mul_f32_e32 v3, 0.5, v22
	v_mul_f32_e32 v21, v22, v3
	v_max_f32_e64 v3, |v15|, |v15|
	v_max_f32_e64 v20, |v14|, |v14|
	v_min_f32_e32 v22, v20, v3
	v_max_f32_e32 v3, v20, v3
	v_frexp_mant_f32_e32 v20, v3
	v_rcp_f32_e32 v20, v20
	v_frexp_exp_i32_f32_e32 v3, v3
	v_frexp_exp_i32_f32_e32 v23, v22
	v_frexp_mant_f32_e32 v22, v22
	v_mul_f32_e32 v20, v22, v20
	v_sub_u32_e32 v3, v23, v3
	v_ldexp_f32 v3, v20, v3
	v_mul_f32_e32 v20, v3, v3
	v_mov_b32_e32 v22, 0xbc7a590c
	v_fmac_f32_e32 v22, 0x3b2d2a58, v20
	v_fma_f32 v22, v20, v22, v35
	v_fma_f32 v22, v20, v22, v36
	;; [unrolled: 1-line block ×6, first 2 shown]
	v_mul_f32_e32 v20, v20, v22
	v_fmac_f32_e32 v3, v3, v20
	v_sub_f32_e32 v20, 0x3fc90fdb, v3
	v_cndmask_b32_e64 v3, v3, v20, s[10:11]
	v_sub_f32_e32 v20, 0x40490fdb, v3
	v_cmp_gt_f32_e32 vcc, 0, v14
	v_cmp_gt_i32_e64 s[12:13], 0, v14
	v_cndmask_b32_e32 v3, v3, v20, vcc
	v_cndmask_b32_e64 v20, 0, v43, s[12:13]
	v_cmp_eq_f32_e64 s[12:13], 0, v15
	v_cndmask_b32_e64 v3, v3, v20, s[12:13]
	v_cmp_class_f32_e64 s[12:13], v14, s52
	v_cmp_class_f32_e64 s[34:35], v15, s52
	v_cndmask_b32_e32 v20, v44, v45, vcc
	s_and_b64 vcc, s[34:35], s[12:13]
	v_cndmask_b32_e32 v20, v3, v20, vcc
.LBB199_35:                             ;   in Loop: Header=BB199_4 Depth=1
	s_or_b64 exec, exec, s[30:31]
.LBB199_36:                             ;   in Loop: Header=BB199_4 Depth=1
	s_or_b64 exec, exec, s[28:29]
.LBB199_37:                             ;   in Loop: Header=BB199_4 Depth=1
	s_andn2_saveexec_b64 s[26:27], s[26:27]
	s_cbranch_execz .LBB199_39
; %bb.38:                               ;   in Loop: Header=BB199_4 Depth=1
	v_div_scale_f32 v3, s[12:13], s57, s57, v14
	v_rcp_f32_e32 v20, v3
	v_div_scale_f32 v21, vcc, v14, s57, v14
	v_fma_f32 v22, -v3, v20, 1.0
	v_fmac_f32_e32 v20, v22, v20
	v_mul_f32_e32 v22, v21, v20
	v_fma_f32 v23, -v3, v22, v21
	v_fmac_f32_e32 v22, v23, v20
	v_fma_f32 v3, -v3, v22, v21
	v_div_scale_f32 v21, s[12:13], s57, s57, v15
	v_rcp_f32_e32 v23, v21
	v_div_fmas_f32 v3, v3, v20, v22
	v_div_fixup_f32 v3, v3, s57, v14
	v_fma_f32 v20, -v21, v23, 1.0
	v_fmac_f32_e32 v23, v20, v23
	v_div_scale_f32 v20, vcc, v15, s57, v15
	v_mul_f32_e32 v22, v20, v23
	v_fma_f32 v24, -v21, v22, v20
	v_fmac_f32_e32 v22, v24, v23
	v_fma_f32 v20, -v21, v22, v20
	v_div_fmas_f32 v20, v20, v23, v22
	v_div_fixup_f32 v22, v20, s57, v15
	v_max_f32_e64 v23, |v3|, |v22|
	v_cvt_f64_f32_e32 v[20:21], v23
	v_frexp_exp_i32_f64_e32 v20, v[20:21]
	v_sub_u32_e32 v21, 0, v20
	v_ldexp_f32 v3, |v3|, v21
	v_ldexp_f32 v21, |v22|, v21
	v_mul_f32_e32 v21, v21, v21
	v_fmac_f32_e32 v21, v3, v3
	v_sqrt_f32_e32 v3, v21
	v_cmp_neq_f32_e32 vcc, s50, v23
	v_ldexp_f32 v3, v3, v20
	v_cndmask_b32_e32 v3, v48, v3, vcc
	v_cmp_gt_f32_e32 vcc, s54, v3
	v_cndmask_b32_e32 v20, 1.0, v46, vcc
	v_mul_f32_e32 v3, v3, v20
	v_log_f32_e32 v3, v3
	v_mul_f32_e32 v20, 0x3f317217, v3
	v_fma_f32 v21, v3, s55, -v20
	v_fmac_f32_e32 v21, 0x3377d1cf, v3
	v_add_f32_e32 v20, v20, v21
	v_cmp_lt_f32_e64 s[12:13], |v3|, s50
	v_cndmask_b32_e64 v3, v3, v20, s[12:13]
	v_cndmask_b32_e32 v20, 0, v47, vcc
	v_sub_f32_e32 v3, v3, v20
	v_add_f32_e32 v21, 1.0, v3
	v_max_f32_e64 v3, |v15|, |v15|
	v_max_f32_e64 v20, |v14|, |v14|
	v_min_f32_e32 v22, v20, v3
	v_max_f32_e32 v3, v20, v3
	v_frexp_mant_f32_e32 v20, v3
	v_rcp_f32_e32 v20, v20
	v_frexp_exp_i32_f32_e32 v3, v3
	v_frexp_exp_i32_f32_e32 v23, v22
	v_frexp_mant_f32_e32 v22, v22
	v_mul_f32_e32 v20, v22, v20
	v_sub_u32_e32 v3, v23, v3
	v_ldexp_f32 v3, v20, v3
	v_mul_f32_e32 v20, v3, v3
	v_mov_b32_e32 v22, 0xbc7a590c
	v_fmac_f32_e32 v22, 0x3b2d2a58, v20
	v_fma_f32 v22, v20, v22, v35
	v_fma_f32 v22, v20, v22, v36
	;; [unrolled: 1-line block ×6, first 2 shown]
	v_mul_f32_e32 v20, v20, v22
	v_fmac_f32_e32 v3, v3, v20
	v_sub_f32_e32 v20, 0x3fc90fdb, v3
	v_cndmask_b32_e64 v3, v3, v20, s[10:11]
	v_sub_f32_e32 v20, 0x40490fdb, v3
	v_cmp_gt_f32_e32 vcc, 0, v14
	v_cmp_gt_i32_e64 s[10:11], 0, v14
	v_cndmask_b32_e32 v3, v3, v20, vcc
	v_cndmask_b32_e64 v20, 0, v43, s[10:11]
	v_cmp_eq_f32_e64 s[10:11], 0, v15
	v_cndmask_b32_e64 v3, v3, v20, s[10:11]
	v_cmp_class_f32_e64 s[10:11], v14, s52
	v_cmp_class_f32_e64 s[12:13], v15, s52
	v_cndmask_b32_e32 v20, v44, v45, vcc
	s_and_b64 vcc, s[12:13], s[10:11]
	v_cndmask_b32_e32 v20, v3, v20, vcc
.LBB199_39:                             ;   in Loop: Header=BB199_4 Depth=1
	s_or_b64 exec, exec, s[26:27]
.LBB199_40:                             ;   in Loop: Header=BB199_4 Depth=1
	s_andn2_saveexec_b64 s[10:11], s[24:25]
	s_cbranch_execz .LBB199_46
; %bb.41:                               ;   in Loop: Header=BB199_4 Depth=1
	v_cmp_nlt_f32_e64 s[12:13], |v14|, s58
	v_cmp_nlt_f32_e64 s[24:25], |v15|, s58
	s_or_b64 s[12:13], s[24:25], s[12:13]
                                        ; implicit-def: $vgpr3
	s_and_saveexec_b64 s[24:25], s[12:13]
	s_xor_b64 s[12:13], exec, s[24:25]
; %bb.42:                               ;   in Loop: Header=BB199_4 Depth=1
	v_pk_mul_f32 v[20:21], v[14:15], v[14:15]
	v_add_f32_e32 v3, v21, v20
; %bb.43:                               ;   in Loop: Header=BB199_4 Depth=1
	s_andn2_saveexec_b64 s[12:13], s[12:13]
; %bb.44:                               ;   in Loop: Header=BB199_4 Depth=1
	v_pk_mul_f32 v[20:21], v[14:15], 4.0 op_sel_hi:[1,0]
	v_pk_mul_f32 v[20:21], v[20:21], v[20:21]
	v_add_f32_e32 v3, v21, v20
	v_mul_f32_e32 v3, 0x3d800000, v3
; %bb.45:                               ;   in Loop: Header=BB199_4 Depth=1
	s_or_b64 exec, exec, s[12:13]
	v_cmp_gt_f32_e32 vcc, s54, v3
	v_cndmask_b32_e32 v14, 1.0, v46, vcc
	v_mul_f32_e32 v3, v3, v14
	v_log_f32_e32 v3, v3
	v_cndmask_b32_e32 v14, 0, v47, vcc
	v_mul_f32_e32 v20, 0x3f317217, v3
	v_fma_f32 v21, v3, s55, -v20
	v_fmac_f32_e32 v21, 0x3377d1cf, v3
	v_add_f32_e32 v20, v20, v21
	v_cmp_lt_f32_e64 vcc, |v3|, s50
	v_cndmask_b32_e32 v3, v3, v20, vcc
	v_sub_f32_e32 v21, v3, v14
	v_mov_b32_e32 v20, 0x7fc00000
.LBB199_46:                             ;   in Loop: Header=BB199_4 Depth=1
	s_or_b64 exec, exec, s[10:11]
	v_cmp_o_f32_e32 vcc, v17, v16
                                        ; implicit-def: $vgpr23
                                        ; implicit-def: $vgpr14
	s_and_saveexec_b64 s[10:11], vcc
	s_xor_b64 s[24:25], exec, s[10:11]
	s_cbranch_execz .LBB199_74
; %bb.47:                               ;   in Loop: Header=BB199_4 Depth=1
	v_cmp_lt_f32_e64 s[10:11], |v16|, |v17|
	v_cndmask_b32_e64 v3, v17, v16, s[10:11]
	v_cmp_ngt_f32_e64 s[12:13], |v3|, s45
                                        ; implicit-def: $vgpr23
                                        ; implicit-def: $vgpr14
	s_and_saveexec_b64 s[26:27], s[12:13]
	s_xor_b64 s[26:27], exec, s[26:27]
	s_cbranch_execz .LBB199_71
; %bb.48:                               ;   in Loop: Header=BB199_4 Depth=1
	v_cndmask_b32_e64 v14, v16, v17, s[10:11]
	v_and_b32_e32 v25, 0x7fffffff, v14
	v_and_b32_e32 v24, 0x7fffffff, v3
	v_cmp_neq_f32_e32 vcc, 1.0, v25
                                        ; implicit-def: $vgpr23
                                        ; implicit-def: $vgpr14
	s_and_saveexec_b64 s[12:13], vcc
	s_xor_b64 s[28:29], exec, s[12:13]
	s_cbranch_execz .LBB199_64
; %bb.49:                               ;   in Loop: Header=BB199_4 Depth=1
	v_max_f32_e32 v3, v24, v24
	v_max_f32_e32 v14, v25, v25
	v_min_f32_e32 v22, v14, v3
	v_max_f32_e32 v3, v14, v3
	v_cmp_ngt_f32_e32 vcc, s46, v22
	v_cmp_nlt_f32_e64 s[12:13], s47, v3
	s_and_b64 s[12:13], s[12:13], vcc
                                        ; implicit-def: $vgpr23
                                        ; implicit-def: $vgpr14
	s_and_saveexec_b64 s[30:31], s[12:13]
	s_xor_b64 s[30:31], exec, s[30:31]
	s_cbranch_execz .LBB199_61
; %bb.50:                               ;   in Loop: Header=BB199_4 Depth=1
	v_cmp_le_f32_e32 vcc, 1.0, v25
                                        ; implicit-def: $vgpr23
                                        ; implicit-def: $vgpr14
	s_and_saveexec_b64 s[12:13], vcc
	s_xor_b64 s[34:35], exec, s[12:13]
	s_cbranch_execz .LBB199_52
; %bb.51:                               ;   in Loop: Header=BB199_4 Depth=1
	v_pk_add_f32 v[22:23], v[24:25], s[20:21] op_sel:[1,0]
	v_mov_b32_e32 v14, v23
	v_pk_mul_f32 v[22:23], v[22:23], v[14:15]
	v_pk_fma_f32 v[22:23], v[24:25], v[24:25], v[22:23]
	v_add_f32_e32 v25, 1.0, v22
	v_add_f32_e32 v23, -1.0, v25
	v_mov_b32_e32 v24, v23
	v_pk_add_f32 v[26:27], v[22:23], v[24:25] neg_lo:[0,1] neg_hi:[0,1]
	v_add_f32_e32 v3, 1.0, v27
	v_add_f32_e32 v3, v26, v3
	v_frexp_mant_f32_e32 v14, v25
	v_cvt_f64_f32_e32 v[26:27], v25
	v_frexp_exp_i32_f64_e32 v23, v[26:27]
	v_cmp_gt_f32_e32 vcc, s48, v14
	v_subbrev_co_u32_e32 v14, vcc, 0, v23, vcc
	v_sub_u32_e32 v23, 0, v14
	v_ldexp_f32 v24, v25, v23
	v_ldexp_f32 v3, v3, v23
	v_add_f32_e32 v23, -1.0, v24
	v_add_f32_e32 v25, 1.0, v23
	v_sub_f32_e32 v25, v24, v25
	v_add_f32_e32 v26, v3, v25
	v_add_f32_e32 v25, 1.0, v24
	v_add_f32_e32 v27, -1.0, v25
	v_sub_f32_e32 v24, v24, v27
	v_add_f32_e32 v3, v3, v24
	v_add_f32_e32 v49, v25, v3
	v_rcp_f32_e32 v50, v49
	v_sub_f32_e32 v24, v49, v25
	v_add_f32_e32 v25, v23, v26
	v_sub_f32_e32 v23, v25, v23
	v_mul_f32_e32 v51, v25, v50
	v_sub_f32_e32 v23, v26, v23
	v_mul_f32_e32 v26, v49, v51
	v_sub_f32_e32 v3, v3, v24
	v_fma_f32 v28, v51, v49, -v26
	v_fmac_f32_e32 v28, v51, v3
	v_add_f32_e32 v24, v26, v28
	v_sub_f32_e32 v27, v25, v24
	v_pk_add_f32 v[30:31], v[24:25], v[26:27] neg_lo:[0,1] neg_hi:[0,1]
	v_mov_b32_e32 v29, v24
	v_pk_add_f32 v[24:25], v[30:31], v[28:29] neg_lo:[0,1] neg_hi:[0,1]
	v_add_f32_e32 v23, v23, v25
	v_add_f32_e32 v23, v24, v23
	v_add_f32_e32 v25, v27, v23
	v_mul_f32_e32 v52, v50, v25
	v_mul_f32_e32 v26, v49, v52
	v_fma_f32 v28, v52, v49, -v26
	v_fmac_f32_e32 v28, v52, v3
	v_add_f32_e32 v24, v26, v28
	v_sub_f32_e32 v3, v27, v25
	v_sub_f32_e32 v27, v25, v24
	v_pk_add_f32 v[30:31], v[24:25], v[26:27] neg_lo:[0,1] neg_hi:[0,1]
	v_mov_b32_e32 v29, v24
	v_add_f32_e32 v3, v23, v3
	v_pk_add_f32 v[24:25], v[30:31], v[28:29] neg_lo:[0,1] neg_hi:[0,1]
	v_add_f32_e32 v3, v3, v25
	v_add_f32_e32 v3, v24, v3
	;; [unrolled: 1-line block ×4, first 2 shown]
	v_sub_f32_e32 v24, v23, v51
	v_mul_f32_e32 v3, v50, v3
	v_sub_f32_e32 v24, v52, v24
	v_add_f32_e32 v25, v24, v3
	v_add_f32_e32 v26, v23, v25
	v_cvt_f32_i32_e32 v24, v14
	v_mul_f32_e32 v28, v26, v26
	v_mov_b32_e32 v3, 0x3ecc95a3
	v_fmac_f32_e32 v3, 0x3e9b6dac, v28
	v_sub_f32_e32 v14, v26, v23
	v_fma_f32 v3, v28, v3, v34
	v_sub_f32_e32 v14, v25, v14
	v_mul_f32_e32 v25, v26, v28
	v_pk_mul_f32 v[28:29], v[24:25], v[2:3]
	v_ldexp_f32 v27, v26, 1
	v_fma_f32 v26, v24, s49, -v28
	v_fmac_f32_e32 v26, 0xb102e308, v24
	v_pk_add_f32 v[24:25], v[28:29], v[26:27]
	v_sub_f32_e32 v3, v25, v27
	v_ldexp_f32 v14, v14, 1
	v_sub_f32_e32 v3, v29, v3
	v_add_f32_e32 v31, v14, v3
	v_mov_b32_e32 v30, v28
	v_pk_add_f32 v[28:29], v[24:25], v[28:29] neg_lo:[0,1] neg_hi:[0,1]
	v_pk_add_f32 v[50:51], v[24:25], v[30:31]
	v_mov_b32_e32 v29, v51
	v_mov_b32_e32 v27, v24
	v_pk_add_f32 v[52:53], v[26:27], v[28:29] neg_lo:[0,1] neg_hi:[0,1]
	v_pk_add_f32 v[26:27], v[26:27], v[28:29]
	v_mov_b32_e32 v14, v27
	v_pk_add_f32 v[28:29], v[14:15], v[24:25] neg_lo:[0,1] neg_hi:[0,1]
	v_mov_b32_e32 v3, v28
	v_pk_add_f32 v[54:55], v[50:51], v[2:3] neg_lo:[0,1] neg_hi:[0,1]
	v_mov_b32_e32 v26, v51
	v_mov_b32_e32 v50, v25
	;; [unrolled: 1-line block ×4, first 2 shown]
	v_pk_add_f32 v[26:27], v[26:27], v[50:51] neg_lo:[0,1] neg_hi:[0,1]
	v_mov_b32_e32 v28, v31
	v_mov_b32_e32 v29, v24
	v_pk_add_f32 v[24:25], v[28:29], v[26:27] neg_lo:[0,1] neg_hi:[0,1]
	v_mov_b32_e32 v54, v52
	v_pk_add_f32 v[26:27], v[54:55], v[24:25]
	v_mov_b32_e32 v28, v27
	v_pk_add_f32 v[28:29], v[26:27], v[28:29]
	v_pk_add_f32 v[30:31], v[14:15], v[28:29]
	v_mov_b32_e32 v27, v30
	v_pk_add_f32 v[50:51], v[26:27], v[52:53] neg_lo:[0,1] neg_hi:[0,1]
	v_mov_b32_e32 v25, v28
	v_sub_f32_e32 v3, v26, v50
	v_pk_add_f32 v[24:25], v[24:25], v[50:51] neg_lo:[0,1] neg_hi:[0,1]
	v_sub_f32_e32 v3, v52, v3
	v_add_f32_e32 v3, v24, v3
	v_add_f32_e32 v3, v3, v25
	;; [unrolled: 1-line block ×3, first 2 shown]
	v_cmp_eq_f32_e32 vcc, s50, v22
	v_cndmask_b32_e32 v3, v3, v22, vcc
	v_cmp_ngt_f32_e32 vcc, -1.0, v22
	v_cndmask_b32_e32 v3, v41, v3, vcc
	v_cmp_neq_f32_e32 vcc, -1.0, v22
	v_cndmask_b32_e32 v3, v42, v3, vcc
	v_cmp_lt_f32_e64 vcc, |v22|, s51
	v_cndmask_b32_e32 v3, v3, v22, vcc
	v_mul_f32_e32 v23, 0.5, v3
	v_max_f32_e64 v3, |v17|, |v17|
	v_max_f32_e64 v14, |v16|, |v16|
	v_min_f32_e32 v22, v14, v3
	v_max_f32_e32 v3, v14, v3
	v_frexp_mant_f32_e32 v14, v3
	v_rcp_f32_e32 v14, v14
	v_frexp_exp_i32_f32_e32 v3, v3
	v_frexp_exp_i32_f32_e32 v24, v22
	v_frexp_mant_f32_e32 v22, v22
	v_mul_f32_e32 v14, v22, v14
	v_sub_u32_e32 v3, v24, v3
	v_ldexp_f32 v3, v14, v3
	v_mul_f32_e32 v14, v3, v3
	v_mov_b32_e32 v22, 0xbc7a590c
	v_fmac_f32_e32 v22, 0x3b2d2a58, v14
	v_fma_f32 v22, v14, v22, v35
	v_fma_f32 v22, v14, v22, v36
	;; [unrolled: 1-line block ×6, first 2 shown]
	v_mul_f32_e32 v14, v14, v22
	v_fmac_f32_e32 v3, v3, v14
	v_sub_f32_e32 v14, 0x3fc90fdb, v3
	v_cndmask_b32_e64 v3, v3, v14, s[10:11]
	v_sub_f32_e32 v14, 0x40490fdb, v3
	v_cmp_gt_f32_e32 vcc, 0, v16
	v_cmp_gt_i32_e64 s[12:13], 0, v16
	v_cndmask_b32_e32 v3, v3, v14, vcc
	v_cndmask_b32_e64 v14, 0, v43, s[12:13]
	v_cmp_eq_f32_e64 s[12:13], 0, v17
	v_cndmask_b32_e64 v3, v3, v14, s[12:13]
	v_cmp_class_f32_e64 s[12:13], v16, s52
	v_cmp_class_f32_e64 s[36:37], v17, s52
	v_cndmask_b32_e32 v14, v44, v45, vcc
	s_and_b64 vcc, s[36:37], s[12:13]
	v_cndmask_b32_e32 v14, v3, v14, vcc
                                        ; implicit-def: $vgpr24_vgpr25
.LBB199_52:                             ;   in Loop: Header=BB199_4 Depth=1
	s_andn2_saveexec_b64 s[34:35], s[34:35]
	s_cbranch_execz .LBB199_60
; %bb.53:                               ;   in Loop: Header=BB199_4 Depth=1
	v_pk_mul_f32 v[22:23], v[24:25], v[24:25]
	v_add_f32_e32 v3, v23, v22
	v_cmp_ge_f32_e32 vcc, s53, v3
                                        ; implicit-def: $vgpr23
                                        ; implicit-def: $vgpr14
	s_and_saveexec_b64 s[12:13], vcc
	s_xor_b64 s[36:37], exec, s[12:13]
	s_cbranch_execz .LBB199_55
; %bb.54:                               ;   in Loop: Header=BB199_4 Depth=1
	v_cmp_gt_f32_e32 vcc, s54, v3
	v_cndmask_b32_e32 v14, 1.0, v46, vcc
	v_mul_f32_e32 v3, v3, v14
	v_log_f32_e32 v3, v3
	v_cndmask_b32_e32 v14, 0, v47, vcc
	v_cmp_gt_i32_e64 s[12:13], 0, v16
	v_cmp_class_f32_e64 s[38:39], v17, s52
	v_mul_f32_e32 v22, 0x3f317217, v3
	v_fma_f32 v23, v3, s55, -v22
	v_fmac_f32_e32 v23, 0x3377d1cf, v3
	v_add_f32_e32 v22, v22, v23
	v_cmp_lt_f32_e64 vcc, |v3|, s50
	v_cndmask_b32_e32 v3, v3, v22, vcc
	v_sub_f32_e32 v3, v3, v14
	v_mul_f32_e32 v23, 0.5, v3
	v_max_f32_e64 v3, |v17|, |v17|
	v_max_f32_e64 v14, |v16|, |v16|
	v_min_f32_e32 v22, v14, v3
	v_max_f32_e32 v3, v14, v3
	v_frexp_mant_f32_e32 v14, v3
	v_rcp_f32_e32 v14, v14
	v_frexp_exp_i32_f32_e32 v3, v3
	v_frexp_exp_i32_f32_e32 v24, v22
	v_frexp_mant_f32_e32 v22, v22
	v_mul_f32_e32 v14, v22, v14
	v_sub_u32_e32 v3, v24, v3
	v_ldexp_f32 v3, v14, v3
	v_mul_f32_e32 v14, v3, v3
	v_mov_b32_e32 v22, 0xbc7a590c
	v_fmac_f32_e32 v22, 0x3b2d2a58, v14
	v_fma_f32 v22, v14, v22, v35
	v_fma_f32 v22, v14, v22, v36
	;; [unrolled: 1-line block ×6, first 2 shown]
	v_mul_f32_e32 v14, v14, v22
	v_fmac_f32_e32 v3, v3, v14
	v_sub_f32_e32 v14, 0x3fc90fdb, v3
	v_cndmask_b32_e64 v3, v3, v14, s[10:11]
	v_sub_f32_e32 v14, 0x40490fdb, v3
	v_cmp_gt_f32_e32 vcc, 0, v16
	v_cndmask_b32_e32 v3, v3, v14, vcc
	v_cndmask_b32_e64 v14, 0, v43, s[12:13]
	v_cmp_eq_f32_e64 s[12:13], 0, v17
	v_cndmask_b32_e64 v3, v3, v14, s[12:13]
	v_cmp_class_f32_e64 s[12:13], v16, s52
	v_cndmask_b32_e32 v14, v44, v45, vcc
	s_and_b64 vcc, s[38:39], s[12:13]
	v_cndmask_b32_e32 v14, v3, v14, vcc
                                        ; implicit-def: $vgpr24_vgpr25
.LBB199_55:                             ;   in Loop: Header=BB199_4 Depth=1
	s_andn2_saveexec_b64 s[36:37], s[36:37]
	s_cbranch_execz .LBB199_59
; %bb.56:                               ;   in Loop: Header=BB199_4 Depth=1
	v_and_b32_e32 v27, 0x7fff0000, v24
	v_and_b32_e32 v26, 0x7fff0000, v25
	v_pk_add_f32 v[22:23], v[24:25], v[26:27] op_sel:[1,0] op_sel_hi:[0,1] neg_lo:[0,1] neg_hi:[0,1]
	v_and_b32_e32 v31, 0xffff0000, v23
	v_and_b32_e32 v30, 0xffff0000, v22
	v_pk_add_f32 v[50:51], v[22:23], v[30:31] neg_lo:[0,1] neg_hi:[0,1]
	v_pk_mul_f32 v[22:23], v[26:27], v[26:27]
	v_add_f32_e32 v26, v26, v26
	v_mul_f32_e32 v14, v26, v30
	v_mul_f32_e32 v29, v26, v50
	v_add_f32_e32 v26, v30, v30
	v_add_f32_e32 v27, v27, v27
	v_pk_mul_f32 v[24:25], v[30:31], v[30:31]
	v_mul_f32_e32 v30, v26, v50
	v_add_f32_e32 v26, v31, v31
	v_mul_f32_e32 v3, v27, v31
	v_mul_f32_e32 v28, v27, v51
	;; [unrolled: 1-line block ×3, first 2 shown]
	v_pk_mul_f32 v[26:27], v[50:51], v[50:51]
	s_mov_b64 s[38:39], 0
.LBB199_57:                             ;   Parent Loop BB199_4 Depth=1
                                        ; =>  This Inner Loop Header: Depth=2
	v_cmp_nlt_f32_e32 vcc, v22, v23
	v_cndmask_b32_e32 v49, v22, v23, vcc
	v_cmp_nlt_f32_e64 s[12:13], v49, v14
	v_cndmask_b32_e64 v50, v49, v14, s[12:13]
	v_cndmask_b32_e32 v22, v23, v22, vcc
	s_and_b64 s[60:61], vcc, s[12:13]
	v_cmp_nlt_f32_e32 vcc, v50, v3
	v_cndmask_b32_e64 v23, v14, v49, s[12:13]
	v_cndmask_b32_e32 v49, v50, v3, vcc
	v_cmp_nlt_f32_e64 s[12:13], v49, v24
	v_cndmask_b32_e32 v14, v3, v50, vcc
	v_cndmask_b32_e64 v50, v49, v24, s[12:13]
	s_and_b64 s[62:63], vcc, s[12:13]
	v_cmp_nlt_f32_e32 vcc, v50, v25
	v_cndmask_b32_e64 v3, v24, v49, s[12:13]
	v_cndmask_b32_e32 v49, v50, v25, vcc
	v_cmp_nlt_f32_e64 s[12:13], v49, v29
	v_cndmask_b32_e32 v24, v25, v50, vcc
	v_cndmask_b32_e64 v50, v49, v29, s[12:13]
	v_cndmask_b32_e64 v25, v29, v49, s[12:13]
	s_and_b64 s[12:13], vcc, s[12:13]
	v_cmp_nlt_f32_e32 vcc, v50, v28
	v_cndmask_b32_e32 v49, v50, v28, vcc
	v_cndmask_b32_e32 v29, v28, v50, vcc
	s_and_b64 s[12:13], s[12:13], vcc
	v_cmp_nlt_f32_e32 vcc, v49, v30
	v_cndmask_b32_e32 v50, v49, v30, vcc
	v_cndmask_b32_e32 v28, v30, v49, vcc
	s_and_b64 s[12:13], s[12:13], vcc
	;; [unrolled: 4-line block ×4, first 2 shown]
	v_cmp_nlt_f32_e32 vcc, v50, v27
	s_and_b64 s[12:13], s[12:13], vcc
	s_and_b64 s[12:13], s[12:13], s[62:63]
	s_and_b64 s[12:13], s[12:13], s[60:61]
	s_and_b64 s[12:13], exec, s[12:13]
	v_cndmask_b32_e32 v26, v27, v50, vcc
	s_or_b64 s[38:39], s[12:13], s[38:39]
	v_cndmask_b32_e32 v27, v50, v27, vcc
	s_andn2_b64 exec, exec, s[38:39]
	s_cbranch_execnz .LBB199_57
; %bb.58:                               ;   in Loop: Header=BB199_4 Depth=1
	s_or_b64 exec, exec, s[38:39]
	v_add_f32_e32 v22, -1.0, v22
	v_add_f32_e32 v22, v22, v23
	v_add_f32_e32 v14, v22, v14
	;; [unrolled: 1-line block ×11, first 2 shown]
	v_add_f32_e32 v25, 1.0, v22
	v_add_f32_e32 v23, -1.0, v25
	v_mov_b32_e32 v24, v23
	v_pk_add_f32 v[26:27], v[22:23], v[24:25] neg_lo:[0,1] neg_hi:[0,1]
	v_add_f32_e32 v3, 1.0, v27
	v_add_f32_e32 v3, v26, v3
	v_frexp_mant_f32_e32 v14, v25
	v_cvt_f64_f32_e32 v[26:27], v25
	v_frexp_exp_i32_f64_e32 v23, v[26:27]
	v_cmp_gt_f32_e32 vcc, s48, v14
	v_subbrev_co_u32_e32 v14, vcc, 0, v23, vcc
	v_sub_u32_e32 v23, 0, v14
	v_ldexp_f32 v24, v25, v23
	v_ldexp_f32 v3, v3, v23
	v_add_f32_e32 v23, -1.0, v24
	v_add_f32_e32 v25, 1.0, v23
	v_sub_f32_e32 v25, v24, v25
	v_add_f32_e32 v26, v3, v25
	v_add_f32_e32 v25, 1.0, v24
	v_add_f32_e32 v27, -1.0, v25
	v_sub_f32_e32 v24, v24, v27
	v_add_f32_e32 v3, v3, v24
	v_add_f32_e32 v49, v25, v3
	v_rcp_f32_e32 v50, v49
	v_sub_f32_e32 v24, v49, v25
	v_add_f32_e32 v25, v23, v26
	v_sub_f32_e32 v23, v25, v23
	v_mul_f32_e32 v51, v25, v50
	v_sub_f32_e32 v23, v26, v23
	v_mul_f32_e32 v26, v49, v51
	v_sub_f32_e32 v3, v3, v24
	v_fma_f32 v28, v51, v49, -v26
	v_fmac_f32_e32 v28, v51, v3
	v_add_f32_e32 v24, v26, v28
	v_sub_f32_e32 v27, v25, v24
	v_pk_add_f32 v[30:31], v[24:25], v[26:27] neg_lo:[0,1] neg_hi:[0,1]
	v_mov_b32_e32 v29, v24
	v_pk_add_f32 v[24:25], v[30:31], v[28:29] neg_lo:[0,1] neg_hi:[0,1]
	v_add_f32_e32 v23, v23, v25
	v_add_f32_e32 v23, v24, v23
	v_add_f32_e32 v25, v27, v23
	v_mul_f32_e32 v52, v50, v25
	v_mul_f32_e32 v26, v49, v52
	v_fma_f32 v28, v52, v49, -v26
	v_fmac_f32_e32 v28, v52, v3
	v_add_f32_e32 v24, v26, v28
	v_sub_f32_e32 v3, v27, v25
	v_sub_f32_e32 v27, v25, v24
	v_pk_add_f32 v[30:31], v[24:25], v[26:27] neg_lo:[0,1] neg_hi:[0,1]
	v_mov_b32_e32 v29, v24
	v_add_f32_e32 v3, v23, v3
	v_pk_add_f32 v[24:25], v[30:31], v[28:29] neg_lo:[0,1] neg_hi:[0,1]
	v_add_f32_e32 v3, v3, v25
	v_add_f32_e32 v3, v24, v3
	;; [unrolled: 1-line block ×4, first 2 shown]
	v_sub_f32_e32 v24, v23, v51
	v_mul_f32_e32 v3, v50, v3
	v_sub_f32_e32 v24, v52, v24
	v_add_f32_e32 v25, v24, v3
	v_add_f32_e32 v26, v23, v25
	v_cvt_f32_i32_e32 v24, v14
	v_mul_f32_e32 v28, v26, v26
	v_mov_b32_e32 v3, 0x3ecc95a3
	v_fmac_f32_e32 v3, 0x3e9b6dac, v28
	v_sub_f32_e32 v14, v26, v23
	v_fma_f32 v3, v28, v3, v34
	v_sub_f32_e32 v14, v25, v14
	v_mul_f32_e32 v25, v26, v28
	v_pk_mul_f32 v[28:29], v[24:25], v[2:3]
	v_ldexp_f32 v27, v26, 1
	v_fma_f32 v26, v24, s49, -v28
	v_fmac_f32_e32 v26, 0xb102e308, v24
	v_pk_add_f32 v[24:25], v[28:29], v[26:27]
	v_sub_f32_e32 v3, v25, v27
	v_ldexp_f32 v14, v14, 1
	v_sub_f32_e32 v3, v29, v3
	v_add_f32_e32 v31, v14, v3
	v_mov_b32_e32 v30, v28
	v_pk_add_f32 v[28:29], v[24:25], v[28:29] neg_lo:[0,1] neg_hi:[0,1]
	v_pk_add_f32 v[50:51], v[24:25], v[30:31]
	v_mov_b32_e32 v29, v51
	v_mov_b32_e32 v27, v24
	v_pk_add_f32 v[52:53], v[26:27], v[28:29] neg_lo:[0,1] neg_hi:[0,1]
	v_pk_add_f32 v[26:27], v[26:27], v[28:29]
	v_mov_b32_e32 v14, v27
	v_pk_add_f32 v[28:29], v[14:15], v[24:25] neg_lo:[0,1] neg_hi:[0,1]
	v_mov_b32_e32 v3, v28
	v_pk_add_f32 v[54:55], v[50:51], v[2:3] neg_lo:[0,1] neg_hi:[0,1]
	v_mov_b32_e32 v26, v51
	v_mov_b32_e32 v50, v25
	;; [unrolled: 1-line block ×4, first 2 shown]
	v_pk_add_f32 v[26:27], v[26:27], v[50:51] neg_lo:[0,1] neg_hi:[0,1]
	v_mov_b32_e32 v28, v31
	v_mov_b32_e32 v29, v24
	v_pk_add_f32 v[24:25], v[28:29], v[26:27] neg_lo:[0,1] neg_hi:[0,1]
	v_mov_b32_e32 v54, v52
	v_pk_add_f32 v[26:27], v[54:55], v[24:25]
	v_mov_b32_e32 v28, v27
	v_pk_add_f32 v[28:29], v[26:27], v[28:29]
	v_pk_add_f32 v[30:31], v[14:15], v[28:29]
	v_mov_b32_e32 v27, v30
	v_pk_add_f32 v[50:51], v[26:27], v[52:53] neg_lo:[0,1] neg_hi:[0,1]
	v_mov_b32_e32 v25, v28
	v_sub_f32_e32 v3, v26, v50
	v_pk_add_f32 v[24:25], v[24:25], v[50:51] neg_lo:[0,1] neg_hi:[0,1]
	v_sub_f32_e32 v3, v52, v3
	v_add_f32_e32 v3, v24, v3
	v_add_f32_e32 v3, v3, v25
	;; [unrolled: 1-line block ×3, first 2 shown]
	v_cmp_eq_f32_e32 vcc, s50, v22
	v_cndmask_b32_e32 v3, v3, v22, vcc
	v_cmp_ngt_f32_e32 vcc, -1.0, v22
	v_cndmask_b32_e32 v3, v41, v3, vcc
	v_cmp_neq_f32_e32 vcc, -1.0, v22
	v_cndmask_b32_e32 v3, v42, v3, vcc
	v_cmp_lt_f32_e64 vcc, |v22|, s51
	v_cndmask_b32_e32 v3, v3, v22, vcc
	v_mul_f32_e32 v23, 0.5, v3
	v_max_f32_e64 v3, |v17|, |v17|
	v_max_f32_e64 v14, |v16|, |v16|
	v_min_f32_e32 v22, v14, v3
	v_max_f32_e32 v3, v14, v3
	v_frexp_mant_f32_e32 v14, v3
	v_rcp_f32_e32 v14, v14
	v_frexp_exp_i32_f32_e32 v3, v3
	v_frexp_exp_i32_f32_e32 v24, v22
	v_frexp_mant_f32_e32 v22, v22
	v_mul_f32_e32 v14, v22, v14
	v_sub_u32_e32 v3, v24, v3
	v_ldexp_f32 v3, v14, v3
	v_mul_f32_e32 v14, v3, v3
	v_mov_b32_e32 v22, 0xbc7a590c
	v_fmac_f32_e32 v22, 0x3b2d2a58, v14
	v_fma_f32 v22, v14, v22, v35
	v_fma_f32 v22, v14, v22, v36
	;; [unrolled: 1-line block ×6, first 2 shown]
	v_mul_f32_e32 v14, v14, v22
	v_fmac_f32_e32 v3, v3, v14
	v_sub_f32_e32 v14, 0x3fc90fdb, v3
	v_cndmask_b32_e64 v3, v3, v14, s[10:11]
	v_sub_f32_e32 v14, 0x40490fdb, v3
	v_cmp_gt_f32_e32 vcc, 0, v16
	v_cmp_gt_i32_e64 s[12:13], 0, v16
	v_cndmask_b32_e32 v3, v3, v14, vcc
	v_cndmask_b32_e64 v14, 0, v43, s[12:13]
	v_cmp_eq_f32_e64 s[12:13], 0, v17
	v_cndmask_b32_e64 v3, v3, v14, s[12:13]
	v_cmp_class_f32_e64 s[12:13], v16, s52
	v_cmp_class_f32_e64 s[38:39], v17, s52
	v_cndmask_b32_e32 v14, v44, v45, vcc
	s_and_b64 vcc, s[38:39], s[12:13]
	v_cndmask_b32_e32 v14, v3, v14, vcc
.LBB199_59:                             ;   in Loop: Header=BB199_4 Depth=1
	s_or_b64 exec, exec, s[36:37]
.LBB199_60:                             ;   in Loop: Header=BB199_4 Depth=1
	s_or_b64 exec, exec, s[34:35]
.LBB199_61:                             ;   in Loop: Header=BB199_4 Depth=1
	s_andn2_saveexec_b64 s[30:31], s[30:31]
	s_cbranch_execz .LBB199_63
; %bb.62:                               ;   in Loop: Header=BB199_4 Depth=1
	v_max_f32_e64 v3, |v17|, |v17|
	v_max_f32_e64 v14, |v16|, |v16|
	v_max_f32_e32 v24, v14, v3
	v_cvt_f64_f32_e32 v[22:23], v24
	v_frexp_exp_i32_f64_e32 v22, v[22:23]
	v_sub_u32_e32 v23, 0, v22
	v_ldexp_f32 v25, |v16|, v23
	v_ldexp_f32 v23, |v17|, v23
	v_mul_f32_e32 v23, v23, v23
	v_fmac_f32_e32 v23, v25, v25
	v_sqrt_f32_e32 v23, v23
	v_cmp_neq_f32_e32 vcc, s50, v24
	v_min_f32_e32 v3, v14, v3
	v_frexp_mant_f32_e32 v14, v24
	v_ldexp_f32 v22, v23, v22
	v_cndmask_b32_e32 v22, v48, v22, vcc
	v_cmp_gt_f32_e32 vcc, s54, v22
	v_cndmask_b32_e32 v23, 1.0, v46, vcc
	v_mul_f32_e32 v22, v22, v23
	v_log_f32_e32 v22, v22
	v_rcp_f32_e32 v14, v14
	v_cndmask_b32_e32 v23, 0, v47, vcc
	v_cmp_gt_i32_e64 s[12:13], 0, v16
	v_mul_f32_e32 v25, 0x3f317217, v22
	v_fma_f32 v26, v22, s55, -v25
	v_fmac_f32_e32 v26, 0x3377d1cf, v22
	v_add_f32_e32 v25, v25, v26
	v_cmp_lt_f32_e64 vcc, |v22|, s50
	v_cndmask_b32_e32 v22, v22, v25, vcc
	v_sub_f32_e32 v23, v22, v23
	v_frexp_exp_i32_f32_e32 v22, v24
	v_frexp_exp_i32_f32_e32 v24, v3
	v_frexp_mant_f32_e32 v3, v3
	v_mul_f32_e32 v3, v3, v14
	v_sub_u32_e32 v14, v24, v22
	v_ldexp_f32 v3, v3, v14
	v_mul_f32_e32 v14, v3, v3
	v_mov_b32_e32 v22, 0xbc7a590c
	v_fmac_f32_e32 v22, 0x3b2d2a58, v14
	v_fma_f32 v22, v14, v22, v35
	v_fma_f32 v22, v14, v22, v36
	;; [unrolled: 1-line block ×6, first 2 shown]
	v_mul_f32_e32 v14, v14, v22
	v_fmac_f32_e32 v3, v3, v14
	v_sub_f32_e32 v14, 0x3fc90fdb, v3
	v_cndmask_b32_e64 v3, v3, v14, s[10:11]
	v_sub_f32_e32 v14, 0x40490fdb, v3
	v_cmp_gt_f32_e32 vcc, 0, v16
	v_cndmask_b32_e32 v3, v3, v14, vcc
	v_cndmask_b32_e64 v14, 0, v43, s[12:13]
	v_cmp_eq_f32_e64 s[12:13], 0, v17
	v_cndmask_b32_e64 v3, v3, v14, s[12:13]
	v_cmp_class_f32_e64 s[12:13], v16, s52
	v_cmp_class_f32_e64 s[34:35], v17, s52
	v_cndmask_b32_e32 v14, v44, v45, vcc
	s_and_b64 vcc, s[34:35], s[12:13]
	v_cndmask_b32_e32 v14, v3, v14, vcc
.LBB199_63:                             ;   in Loop: Header=BB199_4 Depth=1
	s_or_b64 exec, exec, s[30:31]
                                        ; implicit-def: $vgpr24
.LBB199_64:                             ;   in Loop: Header=BB199_4 Depth=1
	s_andn2_saveexec_b64 s[28:29], s[28:29]
	s_cbranch_execz .LBB199_70
; %bb.65:                               ;   in Loop: Header=BB199_4 Depth=1
	v_cmp_ngt_f32_e32 vcc, s56, v24
                                        ; implicit-def: $vgpr23
                                        ; implicit-def: $vgpr14
	s_and_saveexec_b64 s[12:13], vcc
	s_xor_b64 s[30:31], exec, s[12:13]
	s_cbranch_execz .LBB199_67
; %bb.66:                               ;   in Loop: Header=BB199_4 Depth=1
	v_pk_mul_f32 v[22:23], v[24:25], v[24:25]
	v_add_f32_e32 v25, 1.0, v22
	v_add_f32_e32 v23, -1.0, v25
	v_mov_b32_e32 v24, v23
	v_pk_add_f32 v[26:27], v[22:23], v[24:25] neg_lo:[0,1] neg_hi:[0,1]
	v_add_f32_e32 v3, 1.0, v27
	v_add_f32_e32 v3, v26, v3
	v_frexp_mant_f32_e32 v14, v25
	v_cvt_f64_f32_e32 v[26:27], v25
	v_frexp_exp_i32_f64_e32 v23, v[26:27]
	v_cmp_gt_f32_e32 vcc, s48, v14
	v_subbrev_co_u32_e32 v14, vcc, 0, v23, vcc
	v_sub_u32_e32 v23, 0, v14
	v_ldexp_f32 v24, v25, v23
	v_ldexp_f32 v3, v3, v23
	v_add_f32_e32 v23, -1.0, v24
	v_add_f32_e32 v25, 1.0, v23
	v_sub_f32_e32 v25, v24, v25
	v_add_f32_e32 v26, v3, v25
	v_add_f32_e32 v25, 1.0, v24
	v_add_f32_e32 v27, -1.0, v25
	v_sub_f32_e32 v24, v24, v27
	v_add_f32_e32 v3, v3, v24
	v_add_f32_e32 v49, v25, v3
	v_rcp_f32_e32 v50, v49
	v_sub_f32_e32 v24, v25, v49
	v_add_f32_e32 v25, v23, v26
	v_sub_f32_e32 v23, v23, v25
	v_mul_f32_e32 v51, v25, v50
	v_add_f32_e32 v23, v26, v23
	v_mul_f32_e32 v26, v49, v51
	v_add_f32_e32 v3, v3, v24
	v_fma_f32 v28, v51, v49, -v26
	v_fmac_f32_e32 v28, v51, v3
	v_add_f32_e32 v24, v26, v28
	v_sub_f32_e32 v27, v25, v24
	v_pk_add_f32 v[30:31], v[24:25], v[26:27] neg_lo:[0,1] neg_hi:[0,1]
	v_mov_b32_e32 v29, v24
	v_pk_add_f32 v[24:25], v[30:31], v[28:29] neg_lo:[0,1] neg_hi:[0,1]
	v_add_f32_e32 v23, v23, v25
	v_add_f32_e32 v23, v24, v23
	;; [unrolled: 1-line block ×3, first 2 shown]
	v_mul_f32_e32 v52, v50, v25
	v_mul_f32_e32 v26, v49, v52
	v_fma_f32 v28, v52, v49, -v26
	v_fmac_f32_e32 v28, v52, v3
	v_add_f32_e32 v24, v26, v28
	v_sub_f32_e32 v3, v27, v25
	v_sub_f32_e32 v27, v25, v24
	v_pk_add_f32 v[30:31], v[24:25], v[26:27] neg_lo:[0,1] neg_hi:[0,1]
	v_mov_b32_e32 v29, v24
	v_add_f32_e32 v3, v23, v3
	v_pk_add_f32 v[24:25], v[30:31], v[28:29] neg_lo:[0,1] neg_hi:[0,1]
	v_add_f32_e32 v3, v3, v25
	v_add_f32_e32 v3, v24, v3
	v_add_f32_e32 v23, v51, v52
	v_add_f32_e32 v3, v27, v3
	v_sub_f32_e32 v24, v23, v51
	v_mul_f32_e32 v3, v50, v3
	v_sub_f32_e32 v24, v52, v24
	v_add_f32_e32 v25, v24, v3
	v_add_f32_e32 v26, v23, v25
	v_cvt_f32_i32_e32 v24, v14
	v_mul_f32_e32 v28, v26, v26
	v_mov_b32_e32 v3, 0x3ecc95a3
	v_fmac_f32_e32 v3, 0x3e9b6dac, v28
	v_sub_f32_e32 v14, v26, v23
	v_fma_f32 v3, v28, v3, v34
	v_sub_f32_e32 v14, v25, v14
	v_mul_f32_e32 v25, v26, v28
	v_pk_mul_f32 v[28:29], v[24:25], v[2:3]
	v_ldexp_f32 v27, v26, 1
	v_fma_f32 v26, v24, s49, -v28
	v_fmac_f32_e32 v26, 0xb102e308, v24
	v_pk_add_f32 v[24:25], v[28:29], v[26:27]
	v_sub_f32_e32 v3, v25, v27
	v_ldexp_f32 v14, v14, 1
	v_sub_f32_e32 v3, v29, v3
	v_add_f32_e32 v31, v14, v3
	v_mov_b32_e32 v30, v28
	v_pk_add_f32 v[28:29], v[24:25], v[28:29] neg_lo:[0,1] neg_hi:[0,1]
	v_pk_add_f32 v[50:51], v[24:25], v[30:31]
	v_mov_b32_e32 v29, v51
	v_mov_b32_e32 v27, v24
	v_pk_add_f32 v[52:53], v[26:27], v[28:29] neg_lo:[0,1] neg_hi:[0,1]
	v_pk_add_f32 v[26:27], v[26:27], v[28:29]
	v_mov_b32_e32 v14, v27
	v_pk_add_f32 v[28:29], v[14:15], v[24:25] neg_lo:[0,1] neg_hi:[0,1]
	v_mov_b32_e32 v3, v28
	v_pk_add_f32 v[54:55], v[50:51], v[2:3] neg_lo:[0,1] neg_hi:[0,1]
	v_mov_b32_e32 v26, v51
	v_mov_b32_e32 v50, v25
	;; [unrolled: 1-line block ×4, first 2 shown]
	v_pk_add_f32 v[26:27], v[26:27], v[50:51] neg_lo:[0,1] neg_hi:[0,1]
	v_mov_b32_e32 v28, v31
	v_mov_b32_e32 v29, v24
	v_pk_add_f32 v[24:25], v[28:29], v[26:27] neg_lo:[0,1] neg_hi:[0,1]
	v_mov_b32_e32 v54, v52
	v_pk_add_f32 v[26:27], v[54:55], v[24:25]
	v_mov_b32_e32 v28, v27
	v_pk_add_f32 v[28:29], v[26:27], v[28:29]
	v_pk_add_f32 v[30:31], v[14:15], v[28:29]
	v_mov_b32_e32 v27, v30
	v_pk_add_f32 v[50:51], v[26:27], v[52:53] neg_lo:[0,1] neg_hi:[0,1]
	v_mov_b32_e32 v25, v28
	v_sub_f32_e32 v3, v26, v50
	v_pk_add_f32 v[24:25], v[24:25], v[50:51] neg_lo:[0,1] neg_hi:[0,1]
	v_sub_f32_e32 v3, v52, v3
	v_add_f32_e32 v3, v24, v3
	v_add_f32_e32 v3, v3, v25
	v_cmp_eq_f32_e32 vcc, s50, v22
	v_cmp_lt_f32_e64 s[12:13], |v22|, s51
	v_add_f32_e32 v3, v30, v3
	s_or_b64 vcc, vcc, s[12:13]
	v_cndmask_b32_e32 v3, v3, v22, vcc
	v_mul_f32_e32 v23, 0.5, v3
	v_max_f32_e64 v3, |v17|, |v17|
	v_max_f32_e64 v14, |v16|, |v16|
	v_min_f32_e32 v22, v14, v3
	v_max_f32_e32 v3, v14, v3
	v_frexp_mant_f32_e32 v14, v3
	v_rcp_f32_e32 v14, v14
	v_frexp_exp_i32_f32_e32 v3, v3
	v_frexp_exp_i32_f32_e32 v24, v22
	v_frexp_mant_f32_e32 v22, v22
	v_mul_f32_e32 v14, v22, v14
	v_sub_u32_e32 v3, v24, v3
	v_ldexp_f32 v3, v14, v3
	v_mul_f32_e32 v14, v3, v3
	v_mov_b32_e32 v22, 0xbc7a590c
	v_fmac_f32_e32 v22, 0x3b2d2a58, v14
	v_fma_f32 v22, v14, v22, v35
	v_fma_f32 v22, v14, v22, v36
	;; [unrolled: 1-line block ×6, first 2 shown]
	v_mul_f32_e32 v14, v14, v22
	v_fmac_f32_e32 v3, v3, v14
	v_sub_f32_e32 v14, 0x3fc90fdb, v3
	v_cndmask_b32_e64 v3, v3, v14, s[10:11]
	v_sub_f32_e32 v14, 0x40490fdb, v3
	v_cmp_gt_f32_e32 vcc, 0, v16
	v_cmp_gt_i32_e64 s[12:13], 0, v16
	v_cndmask_b32_e32 v3, v3, v14, vcc
	v_cndmask_b32_e64 v14, 0, v43, s[12:13]
	v_cmp_eq_f32_e64 s[12:13], 0, v17
	v_cndmask_b32_e64 v3, v3, v14, s[12:13]
	v_cmp_class_f32_e64 s[12:13], v16, s52
	v_cmp_class_f32_e64 s[34:35], v17, s52
	v_cndmask_b32_e32 v14, v44, v45, vcc
	s_and_b64 vcc, s[34:35], s[12:13]
	v_cndmask_b32_e32 v14, v3, v14, vcc
                                        ; implicit-def: $vgpr24
.LBB199_67:                             ;   in Loop: Header=BB199_4 Depth=1
	s_andn2_saveexec_b64 s[30:31], s[30:31]
	s_cbranch_execz .LBB199_69
; %bb.68:                               ;   in Loop: Header=BB199_4 Depth=1
	v_mul_f32_e32 v3, 0.5, v24
	v_mul_f32_e32 v23, v24, v3
	v_max_f32_e64 v3, |v17|, |v17|
	v_max_f32_e64 v14, |v16|, |v16|
	v_min_f32_e32 v22, v14, v3
	v_max_f32_e32 v3, v14, v3
	v_frexp_mant_f32_e32 v14, v3
	v_rcp_f32_e32 v14, v14
	v_frexp_exp_i32_f32_e32 v3, v3
	v_frexp_exp_i32_f32_e32 v24, v22
	v_frexp_mant_f32_e32 v22, v22
	v_mul_f32_e32 v14, v22, v14
	v_sub_u32_e32 v3, v24, v3
	v_ldexp_f32 v3, v14, v3
	v_mul_f32_e32 v14, v3, v3
	v_mov_b32_e32 v22, 0xbc7a590c
	v_fmac_f32_e32 v22, 0x3b2d2a58, v14
	v_fma_f32 v22, v14, v22, v35
	v_fma_f32 v22, v14, v22, v36
	;; [unrolled: 1-line block ×6, first 2 shown]
	v_mul_f32_e32 v14, v14, v22
	v_fmac_f32_e32 v3, v3, v14
	v_sub_f32_e32 v14, 0x3fc90fdb, v3
	v_cndmask_b32_e64 v3, v3, v14, s[10:11]
	v_sub_f32_e32 v14, 0x40490fdb, v3
	v_cmp_gt_f32_e32 vcc, 0, v16
	v_cmp_gt_i32_e64 s[12:13], 0, v16
	v_cndmask_b32_e32 v3, v3, v14, vcc
	v_cndmask_b32_e64 v14, 0, v43, s[12:13]
	v_cmp_eq_f32_e64 s[12:13], 0, v17
	v_cndmask_b32_e64 v3, v3, v14, s[12:13]
	v_cmp_class_f32_e64 s[12:13], v16, s52
	v_cmp_class_f32_e64 s[34:35], v17, s52
	v_cndmask_b32_e32 v14, v44, v45, vcc
	s_and_b64 vcc, s[34:35], s[12:13]
	v_cndmask_b32_e32 v14, v3, v14, vcc
.LBB199_69:                             ;   in Loop: Header=BB199_4 Depth=1
	s_or_b64 exec, exec, s[30:31]
.LBB199_70:                             ;   in Loop: Header=BB199_4 Depth=1
	s_or_b64 exec, exec, s[28:29]
.LBB199_71:                             ;   in Loop: Header=BB199_4 Depth=1
	s_andn2_saveexec_b64 s[26:27], s[26:27]
	s_cbranch_execz .LBB199_73
; %bb.72:                               ;   in Loop: Header=BB199_4 Depth=1
	v_div_scale_f32 v3, s[12:13], s57, s57, v16
	v_rcp_f32_e32 v14, v3
	v_div_scale_f32 v22, vcc, v16, s57, v16
	v_fma_f32 v23, -v3, v14, 1.0
	v_fmac_f32_e32 v14, v23, v14
	v_mul_f32_e32 v23, v22, v14
	v_fma_f32 v24, -v3, v23, v22
	v_fmac_f32_e32 v23, v24, v14
	v_fma_f32 v3, -v3, v23, v22
	v_div_scale_f32 v22, s[12:13], s57, s57, v17
	v_rcp_f32_e32 v24, v22
	v_div_fmas_f32 v3, v3, v14, v23
	v_div_fixup_f32 v3, v3, s57, v16
	v_fma_f32 v14, -v22, v24, 1.0
	v_fmac_f32_e32 v24, v14, v24
	v_div_scale_f32 v14, vcc, v17, s57, v17
	v_mul_f32_e32 v23, v14, v24
	v_fma_f32 v25, -v22, v23, v14
	v_fmac_f32_e32 v23, v25, v24
	v_fma_f32 v14, -v22, v23, v14
	v_div_fmas_f32 v14, v14, v24, v23
	v_div_fixup_f32 v14, v14, s57, v17
	v_max_f32_e64 v24, |v3|, |v14|
	v_cvt_f64_f32_e32 v[22:23], v24
	v_frexp_exp_i32_f64_e32 v22, v[22:23]
	v_sub_u32_e32 v23, 0, v22
	v_ldexp_f32 v14, |v14|, v23
	v_ldexp_f32 v3, |v3|, v23
	v_mul_f32_e32 v14, v14, v14
	v_fmac_f32_e32 v14, v3, v3
	v_sqrt_f32_e32 v3, v14
	v_cmp_neq_f32_e32 vcc, s50, v24
	v_ldexp_f32 v3, v3, v22
	v_cndmask_b32_e32 v3, v48, v3, vcc
	v_cmp_gt_f32_e32 vcc, s54, v3
	v_cndmask_b32_e32 v14, 1.0, v46, vcc
	v_mul_f32_e32 v3, v3, v14
	v_log_f32_e32 v3, v3
	v_mul_f32_e32 v14, 0x3f317217, v3
	v_fma_f32 v22, v3, s55, -v14
	v_fmac_f32_e32 v22, 0x3377d1cf, v3
	v_add_f32_e32 v14, v14, v22
	v_cmp_lt_f32_e64 s[12:13], |v3|, s50
	v_cndmask_b32_e64 v3, v3, v14, s[12:13]
	v_cndmask_b32_e32 v14, 0, v47, vcc
	v_sub_f32_e32 v3, v3, v14
	v_add_f32_e32 v23, 1.0, v3
	v_max_f32_e64 v3, |v17|, |v17|
	v_max_f32_e64 v14, |v16|, |v16|
	v_min_f32_e32 v22, v14, v3
	v_max_f32_e32 v3, v14, v3
	v_frexp_mant_f32_e32 v14, v3
	v_rcp_f32_e32 v14, v14
	v_frexp_exp_i32_f32_e32 v3, v3
	v_frexp_exp_i32_f32_e32 v24, v22
	v_frexp_mant_f32_e32 v22, v22
	v_mul_f32_e32 v14, v22, v14
	v_sub_u32_e32 v3, v24, v3
	v_ldexp_f32 v3, v14, v3
	v_mul_f32_e32 v14, v3, v3
	v_mov_b32_e32 v22, 0xbc7a590c
	v_fmac_f32_e32 v22, 0x3b2d2a58, v14
	v_fma_f32 v22, v14, v22, v35
	v_fma_f32 v22, v14, v22, v36
	;; [unrolled: 1-line block ×6, first 2 shown]
	v_mul_f32_e32 v14, v14, v22
	v_fmac_f32_e32 v3, v3, v14
	v_sub_f32_e32 v14, 0x3fc90fdb, v3
	v_cndmask_b32_e64 v3, v3, v14, s[10:11]
	v_sub_f32_e32 v14, 0x40490fdb, v3
	v_cmp_gt_f32_e32 vcc, 0, v16
	v_cmp_gt_i32_e64 s[10:11], 0, v16
	v_cndmask_b32_e32 v3, v3, v14, vcc
	v_cndmask_b32_e64 v14, 0, v43, s[10:11]
	v_cmp_eq_f32_e64 s[10:11], 0, v17
	v_cndmask_b32_e64 v3, v3, v14, s[10:11]
	v_cmp_class_f32_e64 s[10:11], v16, s52
	v_cmp_class_f32_e64 s[12:13], v17, s52
	v_cndmask_b32_e32 v14, v44, v45, vcc
	s_and_b64 vcc, s[12:13], s[10:11]
	v_cndmask_b32_e32 v14, v3, v14, vcc
.LBB199_73:                             ;   in Loop: Header=BB199_4 Depth=1
	s_or_b64 exec, exec, s[26:27]
.LBB199_74:                             ;   in Loop: Header=BB199_4 Depth=1
	s_andn2_saveexec_b64 s[10:11], s[24:25]
	s_cbranch_execz .LBB199_80
; %bb.75:                               ;   in Loop: Header=BB199_4 Depth=1
	v_cmp_nlt_f32_e64 s[12:13], |v16|, s58
	v_cmp_nlt_f32_e64 s[24:25], |v17|, s58
	s_or_b64 s[12:13], s[24:25], s[12:13]
                                        ; implicit-def: $vgpr3
	s_and_saveexec_b64 s[24:25], s[12:13]
	s_xor_b64 s[12:13], exec, s[24:25]
; %bb.76:                               ;   in Loop: Header=BB199_4 Depth=1
	v_pk_mul_f32 v[22:23], v[16:17], v[16:17]
	v_add_f32_e32 v3, v23, v22
; %bb.77:                               ;   in Loop: Header=BB199_4 Depth=1
	s_andn2_saveexec_b64 s[12:13], s[12:13]
; %bb.78:                               ;   in Loop: Header=BB199_4 Depth=1
	v_pk_mul_f32 v[22:23], v[16:17], 4.0 op_sel_hi:[1,0]
	v_pk_mul_f32 v[22:23], v[22:23], v[22:23]
	v_add_f32_e32 v3, v23, v22
	v_mul_f32_e32 v3, 0x3d800000, v3
; %bb.79:                               ;   in Loop: Header=BB199_4 Depth=1
	s_or_b64 exec, exec, s[12:13]
	v_cmp_gt_f32_e32 vcc, s54, v3
	v_cndmask_b32_e32 v14, 1.0, v46, vcc
	v_mul_f32_e32 v3, v3, v14
	v_log_f32_e32 v3, v3
	v_cndmask_b32_e32 v14, 0, v47, vcc
	v_mul_f32_e32 v16, 0x3f317217, v3
	v_fma_f32 v22, v3, s55, -v16
	v_fmac_f32_e32 v22, 0x3377d1cf, v3
	v_add_f32_e32 v16, v16, v22
	v_cmp_lt_f32_e64 vcc, |v3|, s50
	v_cndmask_b32_e32 v3, v3, v16, vcc
	v_sub_f32_e32 v23, v3, v14
	v_mov_b32_e32 v14, 0x7fc00000
.LBB199_80:                             ;   in Loop: Header=BB199_4 Depth=1
	s_or_b64 exec, exec, s[10:11]
	v_cmp_o_f32_e32 vcc, v5, v4
                                        ; implicit-def: $vgpr25
                                        ; implicit-def: $vgpr16
	s_and_saveexec_b64 s[10:11], vcc
	s_xor_b64 s[24:25], exec, s[10:11]
	s_cbranch_execz .LBB199_108
; %bb.81:                               ;   in Loop: Header=BB199_4 Depth=1
	v_cmp_lt_f32_e64 s[10:11], |v4|, |v5|
	v_cndmask_b32_e64 v3, v5, v4, s[10:11]
	v_cmp_ngt_f32_e64 s[12:13], |v3|, s45
                                        ; implicit-def: $vgpr25
                                        ; implicit-def: $vgpr16
	s_and_saveexec_b64 s[26:27], s[12:13]
	s_xor_b64 s[26:27], exec, s[26:27]
	s_cbranch_execz .LBB199_105
; %bb.82:                               ;   in Loop: Header=BB199_4 Depth=1
	v_cndmask_b32_e64 v16, v4, v5, s[10:11]
	v_and_b32_e32 v27, 0x7fffffff, v16
	v_and_b32_e32 v26, 0x7fffffff, v3
	v_cmp_neq_f32_e32 vcc, 1.0, v27
                                        ; implicit-def: $vgpr25
                                        ; implicit-def: $vgpr16
	s_and_saveexec_b64 s[12:13], vcc
	s_xor_b64 s[28:29], exec, s[12:13]
	s_cbranch_execz .LBB199_98
; %bb.83:                               ;   in Loop: Header=BB199_4 Depth=1
	v_max_f32_e32 v3, v26, v26
	v_max_f32_e32 v16, v27, v27
	v_min_f32_e32 v22, v16, v3
	v_max_f32_e32 v3, v16, v3
	v_cmp_ngt_f32_e32 vcc, s46, v22
	v_cmp_nlt_f32_e64 s[12:13], s47, v3
	s_and_b64 s[12:13], s[12:13], vcc
                                        ; implicit-def: $vgpr25
                                        ; implicit-def: $vgpr16
	s_and_saveexec_b64 s[30:31], s[12:13]
	s_xor_b64 s[30:31], exec, s[30:31]
	s_cbranch_execz .LBB199_95
; %bb.84:                               ;   in Loop: Header=BB199_4 Depth=1
	v_cmp_le_f32_e32 vcc, 1.0, v27
                                        ; implicit-def: $vgpr25
                                        ; implicit-def: $vgpr16
	s_and_saveexec_b64 s[12:13], vcc
	s_xor_b64 s[34:35], exec, s[12:13]
	s_cbranch_execz .LBB199_86
; %bb.85:                               ;   in Loop: Header=BB199_4 Depth=1
	v_pk_add_f32 v[24:25], v[26:27], s[20:21] op_sel:[1,0]
	v_mov_b32_e32 v16, v25
	v_pk_mul_f32 v[24:25], v[24:25], v[16:17]
	v_pk_fma_f32 v[24:25], v[26:27], v[26:27], v[24:25]
	v_add_f32_e32 v27, 1.0, v24
	v_add_f32_e32 v25, -1.0, v27
	v_mov_b32_e32 v26, v25
	v_pk_add_f32 v[28:29], v[24:25], v[26:27] neg_lo:[0,1] neg_hi:[0,1]
	v_add_f32_e32 v3, 1.0, v29
	v_add_f32_e32 v3, v28, v3
	v_frexp_mant_f32_e32 v16, v27
	v_cvt_f64_f32_e32 v[28:29], v27
	v_frexp_exp_i32_f64_e32 v22, v[28:29]
	v_cmp_gt_f32_e32 vcc, s48, v16
	v_subbrev_co_u32_e32 v16, vcc, 0, v22, vcc
	v_sub_u32_e32 v22, 0, v16
	v_ldexp_f32 v25, v27, v22
	v_ldexp_f32 v3, v3, v22
	v_add_f32_e32 v22, -1.0, v25
	v_add_f32_e32 v27, 1.0, v25
	v_add_f32_e32 v26, 1.0, v22
	v_add_f32_e32 v28, -1.0, v27
	v_sub_f32_e32 v26, v25, v26
	v_sub_f32_e32 v25, v25, v28
	v_add_f32_e32 v26, v3, v26
	v_add_f32_e32 v3, v3, v25
	;; [unrolled: 1-line block ×3, first 2 shown]
	v_rcp_f32_e32 v49, v25
	v_sub_f32_e32 v27, v25, v27
	v_sub_f32_e32 v3, v3, v27
	v_add_f32_e32 v27, v22, v26
	v_mul_f32_e32 v52, v27, v49
	v_mul_f32_e32 v28, v25, v52
	v_fma_f32 v30, v52, v25, -v28
	v_sub_f32_e32 v22, v27, v22
	v_fmac_f32_e32 v30, v52, v3
	v_sub_f32_e32 v22, v26, v22
	v_add_f32_e32 v26, v28, v30
	v_sub_f32_e32 v29, v27, v26
	v_pk_add_f32 v[50:51], v[26:27], v[28:29] neg_lo:[0,1] neg_hi:[0,1]
	v_mov_b32_e32 v31, v26
	v_pk_add_f32 v[26:27], v[50:51], v[30:31] neg_lo:[0,1] neg_hi:[0,1]
	v_add_f32_e32 v22, v22, v27
	v_add_f32_e32 v22, v26, v22
	v_add_f32_e32 v27, v29, v22
	v_mul_f32_e32 v53, v49, v27
	v_mul_f32_e32 v28, v25, v53
	v_fma_f32 v30, v53, v25, -v28
	v_fmac_f32_e32 v30, v53, v3
	v_add_f32_e32 v26, v28, v30
	v_sub_f32_e32 v3, v29, v27
	v_sub_f32_e32 v29, v27, v26
	v_pk_add_f32 v[50:51], v[26:27], v[28:29] neg_lo:[0,1] neg_hi:[0,1]
	v_mov_b32_e32 v31, v26
	v_add_f32_e32 v3, v22, v3
	v_pk_add_f32 v[26:27], v[50:51], v[30:31] neg_lo:[0,1] neg_hi:[0,1]
	v_add_f32_e32 v3, v3, v27
	v_add_f32_e32 v3, v26, v3
	;; [unrolled: 1-line block ×4, first 2 shown]
	v_sub_f32_e32 v25, v22, v52
	v_mul_f32_e32 v3, v49, v3
	v_sub_f32_e32 v25, v53, v25
	v_add_f32_e32 v25, v25, v3
	v_add_f32_e32 v27, v22, v25
	v_cvt_f32_i32_e32 v26, v16
	v_mul_f32_e32 v28, v27, v27
	v_mov_b32_e32 v3, 0x3ecc95a3
	v_fmac_f32_e32 v3, 0x3e9b6dac, v28
	v_fma_f32 v3, v28, v3, v34
	v_sub_f32_e32 v16, v27, v22
	v_ldexp_f32 v29, v27, 1
	v_mul_f32_e32 v27, v27, v28
	v_pk_mul_f32 v[30:31], v[26:27], v[2:3]
	v_fma_f32 v28, v26, s49, -v30
	v_fmac_f32_e32 v28, 0xb102e308, v26
	v_pk_add_f32 v[26:27], v[30:31], v[28:29]
	v_sub_f32_e32 v16, v25, v16
	v_sub_f32_e32 v3, v27, v29
	v_ldexp_f32 v16, v16, 1
	v_sub_f32_e32 v3, v31, v3
	v_add_f32_e32 v51, v16, v3
	v_mov_b32_e32 v50, v30
	v_pk_add_f32 v[30:31], v[26:27], v[30:31] neg_lo:[0,1] neg_hi:[0,1]
	v_pk_add_f32 v[52:53], v[26:27], v[50:51]
	v_mov_b32_e32 v31, v53
	v_mov_b32_e32 v29, v26
	v_pk_add_f32 v[54:55], v[28:29], v[30:31] neg_lo:[0,1] neg_hi:[0,1]
	v_pk_add_f32 v[28:29], v[28:29], v[30:31]
	v_mov_b32_e32 v16, v29
	v_pk_add_f32 v[30:31], v[16:17], v[26:27] neg_lo:[0,1] neg_hi:[0,1]
	v_mov_b32_e32 v3, v30
	v_pk_add_f32 v[56:57], v[52:53], v[2:3] neg_lo:[0,1] neg_hi:[0,1]
	v_mov_b32_e32 v28, v53
	v_mov_b32_e32 v52, v27
	v_mov_b32_e32 v53, v30
	v_mov_b32_e32 v55, v29
	v_pk_add_f32 v[28:29], v[28:29], v[52:53] neg_lo:[0,1] neg_hi:[0,1]
	v_mov_b32_e32 v30, v51
	v_mov_b32_e32 v31, v26
	v_pk_add_f32 v[26:27], v[30:31], v[28:29] neg_lo:[0,1] neg_hi:[0,1]
	v_mov_b32_e32 v56, v54
	v_pk_add_f32 v[28:29], v[56:57], v[26:27]
	v_mov_b32_e32 v22, v29
	v_pk_add_f32 v[30:31], v[28:29], v[22:23]
	v_pk_add_f32 v[50:51], v[16:17], v[30:31]
	v_mov_b32_e32 v29, v50
	v_pk_add_f32 v[52:53], v[28:29], v[54:55] neg_lo:[0,1] neg_hi:[0,1]
	v_mov_b32_e32 v27, v30
	v_sub_f32_e32 v3, v28, v52
	v_pk_add_f32 v[26:27], v[26:27], v[52:53] neg_lo:[0,1] neg_hi:[0,1]
	v_sub_f32_e32 v3, v54, v3
	v_add_f32_e32 v3, v26, v3
	v_add_f32_e32 v3, v3, v27
	;; [unrolled: 1-line block ×3, first 2 shown]
	v_cmp_eq_f32_e32 vcc, s50, v24
	v_cndmask_b32_e32 v3, v3, v24, vcc
	v_cmp_ngt_f32_e32 vcc, -1.0, v24
	v_cndmask_b32_e32 v3, v41, v3, vcc
	v_cmp_neq_f32_e32 vcc, -1.0, v24
	v_cndmask_b32_e32 v3, v42, v3, vcc
	v_cmp_lt_f32_e64 vcc, |v24|, s51
	v_cndmask_b32_e32 v3, v3, v24, vcc
	v_mul_f32_e32 v25, 0.5, v3
	v_max_f32_e64 v3, |v5|, |v5|
	v_max_f32_e64 v16, |v4|, |v4|
	v_min_f32_e32 v22, v16, v3
	v_max_f32_e32 v3, v16, v3
	v_frexp_mant_f32_e32 v16, v3
	v_rcp_f32_e32 v16, v16
	v_frexp_exp_i32_f32_e32 v3, v3
	v_frexp_exp_i32_f32_e32 v24, v22
	v_frexp_mant_f32_e32 v22, v22
	v_mul_f32_e32 v16, v22, v16
	v_sub_u32_e32 v3, v24, v3
	v_ldexp_f32 v3, v16, v3
	v_mul_f32_e32 v16, v3, v3
	v_mov_b32_e32 v22, 0xbc7a590c
	v_fmac_f32_e32 v22, 0x3b2d2a58, v16
	v_fma_f32 v22, v16, v22, v35
	v_fma_f32 v22, v16, v22, v36
	;; [unrolled: 1-line block ×6, first 2 shown]
	v_mul_f32_e32 v16, v16, v22
	v_fmac_f32_e32 v3, v3, v16
	v_sub_f32_e32 v16, 0x3fc90fdb, v3
	v_cndmask_b32_e64 v3, v3, v16, s[10:11]
	v_sub_f32_e32 v16, 0x40490fdb, v3
	v_cmp_gt_f32_e32 vcc, 0, v4
	v_cmp_gt_i32_e64 s[12:13], 0, v4
	v_cndmask_b32_e32 v3, v3, v16, vcc
	v_cndmask_b32_e64 v16, 0, v43, s[12:13]
	v_cmp_eq_f32_e64 s[12:13], 0, v5
	v_cndmask_b32_e64 v3, v3, v16, s[12:13]
	v_cmp_class_f32_e64 s[12:13], v4, s52
	v_cmp_class_f32_e64 s[36:37], v5, s52
	v_cndmask_b32_e32 v16, v44, v45, vcc
	s_and_b64 vcc, s[36:37], s[12:13]
	v_cndmask_b32_e32 v16, v3, v16, vcc
                                        ; implicit-def: $vgpr26_vgpr27
.LBB199_86:                             ;   in Loop: Header=BB199_4 Depth=1
	s_andn2_saveexec_b64 s[34:35], s[34:35]
	s_cbranch_execz .LBB199_94
; %bb.87:                               ;   in Loop: Header=BB199_4 Depth=1
	v_pk_mul_f32 v[24:25], v[26:27], v[26:27]
	v_add_f32_e32 v3, v25, v24
	v_cmp_ge_f32_e32 vcc, s53, v3
                                        ; implicit-def: $vgpr25
                                        ; implicit-def: $vgpr16
	s_and_saveexec_b64 s[12:13], vcc
	s_xor_b64 s[36:37], exec, s[12:13]
	s_cbranch_execz .LBB199_89
; %bb.88:                               ;   in Loop: Header=BB199_4 Depth=1
	v_cmp_gt_f32_e32 vcc, s54, v3
	v_cndmask_b32_e32 v16, 1.0, v46, vcc
	v_mul_f32_e32 v3, v3, v16
	v_log_f32_e32 v3, v3
	v_cndmask_b32_e32 v16, 0, v47, vcc
	v_cmp_gt_i32_e64 s[12:13], 0, v4
	v_cmp_class_f32_e64 s[38:39], v5, s52
	v_mul_f32_e32 v22, 0x3f317217, v3
	v_fma_f32 v24, v3, s55, -v22
	v_fmac_f32_e32 v24, 0x3377d1cf, v3
	v_add_f32_e32 v22, v22, v24
	v_cmp_lt_f32_e64 vcc, |v3|, s50
	v_cndmask_b32_e32 v3, v3, v22, vcc
	v_sub_f32_e32 v3, v3, v16
	v_mul_f32_e32 v25, 0.5, v3
	v_max_f32_e64 v3, |v5|, |v5|
	v_max_f32_e64 v16, |v4|, |v4|
	v_min_f32_e32 v22, v16, v3
	v_max_f32_e32 v3, v16, v3
	v_frexp_mant_f32_e32 v16, v3
	v_rcp_f32_e32 v16, v16
	v_frexp_exp_i32_f32_e32 v3, v3
	v_frexp_exp_i32_f32_e32 v24, v22
	v_frexp_mant_f32_e32 v22, v22
	v_mul_f32_e32 v16, v22, v16
	v_sub_u32_e32 v3, v24, v3
	v_ldexp_f32 v3, v16, v3
	v_mul_f32_e32 v16, v3, v3
	v_mov_b32_e32 v22, 0xbc7a590c
	v_fmac_f32_e32 v22, 0x3b2d2a58, v16
	v_fma_f32 v22, v16, v22, v35
	v_fma_f32 v22, v16, v22, v36
	;; [unrolled: 1-line block ×6, first 2 shown]
	v_mul_f32_e32 v16, v16, v22
	v_fmac_f32_e32 v3, v3, v16
	v_sub_f32_e32 v16, 0x3fc90fdb, v3
	v_cndmask_b32_e64 v3, v3, v16, s[10:11]
	v_sub_f32_e32 v16, 0x40490fdb, v3
	v_cmp_gt_f32_e32 vcc, 0, v4
	v_cndmask_b32_e32 v3, v3, v16, vcc
	v_cndmask_b32_e64 v16, 0, v43, s[12:13]
	v_cmp_eq_f32_e64 s[12:13], 0, v5
	v_cndmask_b32_e64 v3, v3, v16, s[12:13]
	v_cmp_class_f32_e64 s[12:13], v4, s52
	v_cndmask_b32_e32 v16, v44, v45, vcc
	s_and_b64 vcc, s[38:39], s[12:13]
	v_cndmask_b32_e32 v16, v3, v16, vcc
                                        ; implicit-def: $vgpr26_vgpr27
.LBB199_89:                             ;   in Loop: Header=BB199_4 Depth=1
	s_andn2_saveexec_b64 s[36:37], s[36:37]
	s_cbranch_execz .LBB199_93
; %bb.90:                               ;   in Loop: Header=BB199_4 Depth=1
	v_and_b32_e32 v29, 0x7fff0000, v26
	v_and_b32_e32 v28, 0x7fff0000, v27
	v_pk_add_f32 v[24:25], v[26:27], v[28:29] op_sel:[1,0] op_sel_hi:[0,1] neg_lo:[0,1] neg_hi:[0,1]
	v_and_b32_e32 v51, 0xffff0000, v25
	v_and_b32_e32 v50, 0xffff0000, v24
	v_pk_add_f32 v[52:53], v[24:25], v[50:51] neg_lo:[0,1] neg_hi:[0,1]
	v_pk_mul_f32 v[24:25], v[28:29], v[28:29]
	v_add_f32_e32 v22, v28, v28
	v_add_f32_e32 v28, v29, v29
	v_mul_f32_e32 v16, v22, v50
	v_mul_f32_e32 v3, v28, v51
	;; [unrolled: 1-line block ×4, first 2 shown]
	v_add_f32_e32 v28, v50, v50
	v_mul_f32_e32 v31, v28, v52
	v_add_f32_e32 v28, v51, v51
	v_pk_mul_f32 v[26:27], v[50:51], v[50:51]
	v_mul_f32_e32 v49, v28, v53
	v_pk_mul_f32 v[28:29], v[52:53], v[52:53]
	s_mov_b64 s[38:39], 0
.LBB199_91:                             ;   Parent Loop BB199_4 Depth=1
                                        ; =>  This Inner Loop Header: Depth=2
	v_cmp_nlt_f32_e32 vcc, v24, v25
	v_cndmask_b32_e32 v50, v24, v25, vcc
	v_cmp_nlt_f32_e64 s[12:13], v50, v16
	v_cndmask_b32_e64 v51, v50, v16, s[12:13]
	v_cndmask_b32_e32 v24, v25, v24, vcc
	s_and_b64 s[60:61], vcc, s[12:13]
	v_cmp_nlt_f32_e32 vcc, v51, v3
	v_cndmask_b32_e64 v25, v16, v50, s[12:13]
	v_cndmask_b32_e32 v50, v51, v3, vcc
	v_cmp_nlt_f32_e64 s[12:13], v50, v26
	v_cndmask_b32_e32 v16, v3, v51, vcc
	v_cndmask_b32_e64 v51, v50, v26, s[12:13]
	s_and_b64 s[62:63], vcc, s[12:13]
	v_cmp_nlt_f32_e32 vcc, v51, v27
	v_cndmask_b32_e64 v3, v26, v50, s[12:13]
	v_cndmask_b32_e32 v50, v51, v27, vcc
	v_cmp_nlt_f32_e64 s[12:13], v50, v30
	v_cndmask_b32_e32 v26, v27, v51, vcc
	v_cndmask_b32_e64 v51, v50, v30, s[12:13]
	v_cndmask_b32_e64 v27, v30, v50, s[12:13]
	s_and_b64 s[12:13], vcc, s[12:13]
	v_cmp_nlt_f32_e32 vcc, v51, v22
	v_cndmask_b32_e32 v50, v51, v22, vcc
	v_cndmask_b32_e32 v30, v22, v51, vcc
	s_and_b64 s[12:13], s[12:13], vcc
	v_cmp_nlt_f32_e32 vcc, v50, v31
	v_cndmask_b32_e32 v51, v50, v31, vcc
	v_cndmask_b32_e32 v22, v31, v50, vcc
	s_and_b64 s[12:13], s[12:13], vcc
	;; [unrolled: 4-line block ×4, first 2 shown]
	v_cmp_nlt_f32_e32 vcc, v51, v29
	s_and_b64 s[12:13], s[12:13], vcc
	s_and_b64 s[12:13], s[12:13], s[62:63]
	s_and_b64 s[12:13], s[12:13], s[60:61]
	s_and_b64 s[12:13], exec, s[12:13]
	v_cndmask_b32_e32 v28, v29, v51, vcc
	s_or_b64 s[38:39], s[12:13], s[38:39]
	v_cndmask_b32_e32 v29, v51, v29, vcc
	s_andn2_b64 exec, exec, s[38:39]
	s_cbranch_execnz .LBB199_91
; %bb.92:                               ;   in Loop: Header=BB199_4 Depth=1
	s_or_b64 exec, exec, s[38:39]
	v_add_f32_e32 v24, -1.0, v24
	v_add_f32_e32 v24, v24, v25
	v_add_f32_e32 v16, v24, v16
	;; [unrolled: 1-line block ×11, first 2 shown]
	v_add_f32_e32 v27, 1.0, v24
	v_add_f32_e32 v25, -1.0, v27
	v_mov_b32_e32 v26, v25
	v_pk_add_f32 v[28:29], v[24:25], v[26:27] neg_lo:[0,1] neg_hi:[0,1]
	v_add_f32_e32 v3, 1.0, v29
	v_add_f32_e32 v3, v28, v3
	v_frexp_mant_f32_e32 v16, v27
	v_cvt_f64_f32_e32 v[28:29], v27
	v_frexp_exp_i32_f64_e32 v22, v[28:29]
	v_cmp_gt_f32_e32 vcc, s48, v16
	v_subbrev_co_u32_e32 v16, vcc, 0, v22, vcc
	v_sub_u32_e32 v22, 0, v16
	v_ldexp_f32 v25, v27, v22
	v_ldexp_f32 v3, v3, v22
	v_add_f32_e32 v22, -1.0, v25
	v_add_f32_e32 v27, 1.0, v25
	v_add_f32_e32 v26, 1.0, v22
	v_add_f32_e32 v28, -1.0, v27
	v_sub_f32_e32 v26, v25, v26
	v_sub_f32_e32 v25, v25, v28
	v_add_f32_e32 v26, v3, v26
	v_add_f32_e32 v3, v3, v25
	;; [unrolled: 1-line block ×3, first 2 shown]
	v_rcp_f32_e32 v49, v25
	v_sub_f32_e32 v27, v25, v27
	v_sub_f32_e32 v3, v3, v27
	v_add_f32_e32 v27, v22, v26
	v_mul_f32_e32 v52, v27, v49
	v_mul_f32_e32 v28, v25, v52
	v_fma_f32 v30, v52, v25, -v28
	v_sub_f32_e32 v22, v27, v22
	v_fmac_f32_e32 v30, v52, v3
	v_sub_f32_e32 v22, v26, v22
	v_add_f32_e32 v26, v28, v30
	v_sub_f32_e32 v29, v27, v26
	v_pk_add_f32 v[50:51], v[26:27], v[28:29] neg_lo:[0,1] neg_hi:[0,1]
	v_mov_b32_e32 v31, v26
	v_pk_add_f32 v[26:27], v[50:51], v[30:31] neg_lo:[0,1] neg_hi:[0,1]
	v_add_f32_e32 v22, v22, v27
	v_add_f32_e32 v22, v26, v22
	;; [unrolled: 1-line block ×3, first 2 shown]
	v_mul_f32_e32 v53, v49, v27
	v_mul_f32_e32 v28, v25, v53
	v_fma_f32 v30, v53, v25, -v28
	v_fmac_f32_e32 v30, v53, v3
	v_add_f32_e32 v26, v28, v30
	v_sub_f32_e32 v3, v29, v27
	v_sub_f32_e32 v29, v27, v26
	v_pk_add_f32 v[50:51], v[26:27], v[28:29] neg_lo:[0,1] neg_hi:[0,1]
	v_mov_b32_e32 v31, v26
	v_add_f32_e32 v3, v22, v3
	v_pk_add_f32 v[26:27], v[50:51], v[30:31] neg_lo:[0,1] neg_hi:[0,1]
	v_add_f32_e32 v3, v3, v27
	v_add_f32_e32 v3, v26, v3
	;; [unrolled: 1-line block ×4, first 2 shown]
	v_sub_f32_e32 v25, v22, v52
	v_mul_f32_e32 v3, v49, v3
	v_sub_f32_e32 v25, v53, v25
	v_add_f32_e32 v25, v25, v3
	v_add_f32_e32 v27, v22, v25
	v_cvt_f32_i32_e32 v26, v16
	v_mul_f32_e32 v28, v27, v27
	v_mov_b32_e32 v3, 0x3ecc95a3
	v_fmac_f32_e32 v3, 0x3e9b6dac, v28
	v_fma_f32 v3, v28, v3, v34
	v_sub_f32_e32 v16, v27, v22
	v_ldexp_f32 v29, v27, 1
	v_mul_f32_e32 v27, v27, v28
	v_pk_mul_f32 v[30:31], v[26:27], v[2:3]
	v_fma_f32 v28, v26, s49, -v30
	v_fmac_f32_e32 v28, 0xb102e308, v26
	v_pk_add_f32 v[26:27], v[30:31], v[28:29]
	v_sub_f32_e32 v16, v25, v16
	v_sub_f32_e32 v3, v27, v29
	v_ldexp_f32 v16, v16, 1
	v_sub_f32_e32 v3, v31, v3
	v_add_f32_e32 v51, v16, v3
	v_mov_b32_e32 v50, v30
	v_pk_add_f32 v[30:31], v[26:27], v[30:31] neg_lo:[0,1] neg_hi:[0,1]
	v_pk_add_f32 v[52:53], v[26:27], v[50:51]
	v_mov_b32_e32 v31, v53
	v_mov_b32_e32 v29, v26
	v_pk_add_f32 v[54:55], v[28:29], v[30:31] neg_lo:[0,1] neg_hi:[0,1]
	v_pk_add_f32 v[28:29], v[28:29], v[30:31]
	v_mov_b32_e32 v16, v29
	v_pk_add_f32 v[30:31], v[16:17], v[26:27] neg_lo:[0,1] neg_hi:[0,1]
	v_mov_b32_e32 v3, v30
	v_pk_add_f32 v[56:57], v[52:53], v[2:3] neg_lo:[0,1] neg_hi:[0,1]
	v_mov_b32_e32 v28, v53
	v_mov_b32_e32 v52, v27
	v_mov_b32_e32 v53, v30
	v_mov_b32_e32 v55, v29
	v_pk_add_f32 v[28:29], v[28:29], v[52:53] neg_lo:[0,1] neg_hi:[0,1]
	v_mov_b32_e32 v30, v51
	v_mov_b32_e32 v31, v26
	v_pk_add_f32 v[26:27], v[30:31], v[28:29] neg_lo:[0,1] neg_hi:[0,1]
	v_mov_b32_e32 v56, v54
	v_pk_add_f32 v[28:29], v[56:57], v[26:27]
	v_mov_b32_e32 v22, v29
	v_pk_add_f32 v[30:31], v[28:29], v[22:23]
	v_pk_add_f32 v[50:51], v[16:17], v[30:31]
	v_mov_b32_e32 v29, v50
	v_pk_add_f32 v[52:53], v[28:29], v[54:55] neg_lo:[0,1] neg_hi:[0,1]
	v_mov_b32_e32 v27, v30
	v_sub_f32_e32 v3, v28, v52
	v_pk_add_f32 v[26:27], v[26:27], v[52:53] neg_lo:[0,1] neg_hi:[0,1]
	v_sub_f32_e32 v3, v54, v3
	v_add_f32_e32 v3, v26, v3
	v_add_f32_e32 v3, v3, v27
	v_add_f32_e32 v3, v50, v3
	v_cmp_eq_f32_e32 vcc, s50, v24
	v_cndmask_b32_e32 v3, v3, v24, vcc
	v_cmp_ngt_f32_e32 vcc, -1.0, v24
	v_cndmask_b32_e32 v3, v41, v3, vcc
	v_cmp_neq_f32_e32 vcc, -1.0, v24
	v_cndmask_b32_e32 v3, v42, v3, vcc
	v_cmp_lt_f32_e64 vcc, |v24|, s51
	v_cndmask_b32_e32 v3, v3, v24, vcc
	v_mul_f32_e32 v25, 0.5, v3
	v_max_f32_e64 v3, |v5|, |v5|
	v_max_f32_e64 v16, |v4|, |v4|
	v_min_f32_e32 v22, v16, v3
	v_max_f32_e32 v3, v16, v3
	v_frexp_mant_f32_e32 v16, v3
	v_rcp_f32_e32 v16, v16
	v_frexp_exp_i32_f32_e32 v3, v3
	v_frexp_exp_i32_f32_e32 v24, v22
	v_frexp_mant_f32_e32 v22, v22
	v_mul_f32_e32 v16, v22, v16
	v_sub_u32_e32 v3, v24, v3
	v_ldexp_f32 v3, v16, v3
	v_mul_f32_e32 v16, v3, v3
	v_mov_b32_e32 v22, 0xbc7a590c
	v_fmac_f32_e32 v22, 0x3b2d2a58, v16
	v_fma_f32 v22, v16, v22, v35
	v_fma_f32 v22, v16, v22, v36
	;; [unrolled: 1-line block ×6, first 2 shown]
	v_mul_f32_e32 v16, v16, v22
	v_fmac_f32_e32 v3, v3, v16
	v_sub_f32_e32 v16, 0x3fc90fdb, v3
	v_cndmask_b32_e64 v3, v3, v16, s[10:11]
	v_sub_f32_e32 v16, 0x40490fdb, v3
	v_cmp_gt_f32_e32 vcc, 0, v4
	v_cmp_gt_i32_e64 s[12:13], 0, v4
	v_cndmask_b32_e32 v3, v3, v16, vcc
	v_cndmask_b32_e64 v16, 0, v43, s[12:13]
	v_cmp_eq_f32_e64 s[12:13], 0, v5
	v_cndmask_b32_e64 v3, v3, v16, s[12:13]
	v_cmp_class_f32_e64 s[12:13], v4, s52
	v_cmp_class_f32_e64 s[38:39], v5, s52
	v_cndmask_b32_e32 v16, v44, v45, vcc
	s_and_b64 vcc, s[38:39], s[12:13]
	v_cndmask_b32_e32 v16, v3, v16, vcc
.LBB199_93:                             ;   in Loop: Header=BB199_4 Depth=1
	s_or_b64 exec, exec, s[36:37]
.LBB199_94:                             ;   in Loop: Header=BB199_4 Depth=1
	s_or_b64 exec, exec, s[34:35]
.LBB199_95:                             ;   in Loop: Header=BB199_4 Depth=1
	s_andn2_saveexec_b64 s[30:31], s[30:31]
	s_cbranch_execz .LBB199_97
; %bb.96:                               ;   in Loop: Header=BB199_4 Depth=1
	v_max_f32_e64 v3, |v5|, |v5|
	v_max_f32_e64 v16, |v4|, |v4|
	v_max_f32_e32 v22, v16, v3
	v_cvt_f64_f32_e32 v[24:25], v22
	v_frexp_exp_i32_f64_e32 v24, v[24:25]
	v_sub_u32_e32 v25, 0, v24
	v_ldexp_f32 v26, |v4|, v25
	v_ldexp_f32 v25, |v5|, v25
	v_mul_f32_e32 v25, v25, v25
	v_fmac_f32_e32 v25, v26, v26
	v_sqrt_f32_e32 v25, v25
	v_cmp_neq_f32_e32 vcc, s50, v22
	v_min_f32_e32 v3, v16, v3
	v_frexp_mant_f32_e32 v16, v22
	v_ldexp_f32 v24, v25, v24
	v_cndmask_b32_e32 v24, v48, v24, vcc
	v_cmp_gt_f32_e32 vcc, s54, v24
	v_cndmask_b32_e32 v25, 1.0, v46, vcc
	v_mul_f32_e32 v24, v24, v25
	v_log_f32_e32 v24, v24
	v_rcp_f32_e32 v16, v16
	v_cndmask_b32_e32 v25, 0, v47, vcc
	v_frexp_exp_i32_f32_e32 v22, v22
	v_mul_f32_e32 v26, 0x3f317217, v24
	v_fma_f32 v27, v24, s55, -v26
	v_fmac_f32_e32 v27, 0x3377d1cf, v24
	v_add_f32_e32 v26, v26, v27
	v_cmp_lt_f32_e64 vcc, |v24|, s50
	v_cndmask_b32_e32 v24, v24, v26, vcc
	v_sub_f32_e32 v25, v24, v25
	v_frexp_exp_i32_f32_e32 v24, v3
	v_frexp_mant_f32_e32 v3, v3
	v_mul_f32_e32 v3, v3, v16
	v_sub_u32_e32 v16, v24, v22
	v_ldexp_f32 v3, v3, v16
	v_mul_f32_e32 v16, v3, v3
	v_mov_b32_e32 v22, 0xbc7a590c
	v_fmac_f32_e32 v22, 0x3b2d2a58, v16
	v_fma_f32 v22, v16, v22, v35
	v_fma_f32 v22, v16, v22, v36
	;; [unrolled: 1-line block ×6, first 2 shown]
	v_mul_f32_e32 v16, v16, v22
	v_fmac_f32_e32 v3, v3, v16
	v_sub_f32_e32 v16, 0x3fc90fdb, v3
	v_cndmask_b32_e64 v3, v3, v16, s[10:11]
	v_sub_f32_e32 v16, 0x40490fdb, v3
	v_cmp_gt_f32_e32 vcc, 0, v4
	v_cmp_gt_i32_e64 s[12:13], 0, v4
	v_cndmask_b32_e32 v3, v3, v16, vcc
	v_cndmask_b32_e64 v16, 0, v43, s[12:13]
	v_cmp_eq_f32_e64 s[12:13], 0, v5
	v_cndmask_b32_e64 v3, v3, v16, s[12:13]
	v_cmp_class_f32_e64 s[12:13], v4, s52
	v_cmp_class_f32_e64 s[34:35], v5, s52
	v_cndmask_b32_e32 v16, v44, v45, vcc
	s_and_b64 vcc, s[34:35], s[12:13]
	v_cndmask_b32_e32 v16, v3, v16, vcc
.LBB199_97:                             ;   in Loop: Header=BB199_4 Depth=1
	s_or_b64 exec, exec, s[30:31]
                                        ; implicit-def: $vgpr26
.LBB199_98:                             ;   in Loop: Header=BB199_4 Depth=1
	s_andn2_saveexec_b64 s[28:29], s[28:29]
	s_cbranch_execz .LBB199_104
; %bb.99:                               ;   in Loop: Header=BB199_4 Depth=1
	v_cmp_ngt_f32_e32 vcc, s56, v26
                                        ; implicit-def: $vgpr25
                                        ; implicit-def: $vgpr16
	s_and_saveexec_b64 s[12:13], vcc
	s_xor_b64 s[30:31], exec, s[12:13]
	s_cbranch_execz .LBB199_101
; %bb.100:                              ;   in Loop: Header=BB199_4 Depth=1
	v_pk_mul_f32 v[24:25], v[26:27], v[26:27]
	v_add_f32_e32 v27, 1.0, v24
	v_add_f32_e32 v25, -1.0, v27
	v_mov_b32_e32 v26, v25
	v_pk_add_f32 v[28:29], v[24:25], v[26:27] neg_lo:[0,1] neg_hi:[0,1]
	v_add_f32_e32 v3, 1.0, v29
	v_add_f32_e32 v3, v28, v3
	v_frexp_mant_f32_e32 v16, v27
	v_cvt_f64_f32_e32 v[28:29], v27
	v_frexp_exp_i32_f64_e32 v22, v[28:29]
	v_cmp_gt_f32_e32 vcc, s48, v16
	v_subbrev_co_u32_e32 v16, vcc, 0, v22, vcc
	v_sub_u32_e32 v22, 0, v16
	v_ldexp_f32 v25, v27, v22
	v_ldexp_f32 v3, v3, v22
	v_add_f32_e32 v22, -1.0, v25
	v_add_f32_e32 v27, 1.0, v25
	v_add_f32_e32 v26, 1.0, v22
	v_add_f32_e32 v28, -1.0, v27
	v_sub_f32_e32 v26, v25, v26
	v_sub_f32_e32 v25, v25, v28
	v_add_f32_e32 v26, v3, v26
	v_add_f32_e32 v3, v3, v25
	;; [unrolled: 1-line block ×3, first 2 shown]
	v_rcp_f32_e32 v49, v25
	v_sub_f32_e32 v27, v27, v25
	v_add_f32_e32 v3, v3, v27
	v_add_f32_e32 v27, v22, v26
	v_mul_f32_e32 v52, v27, v49
	v_mul_f32_e32 v28, v25, v52
	v_fma_f32 v30, v52, v25, -v28
	v_sub_f32_e32 v22, v22, v27
	v_fmac_f32_e32 v30, v52, v3
	v_add_f32_e32 v22, v26, v22
	v_add_f32_e32 v26, v28, v30
	v_sub_f32_e32 v29, v27, v26
	v_pk_add_f32 v[50:51], v[26:27], v[28:29] neg_lo:[0,1] neg_hi:[0,1]
	v_mov_b32_e32 v31, v26
	v_pk_add_f32 v[26:27], v[50:51], v[30:31] neg_lo:[0,1] neg_hi:[0,1]
	v_add_f32_e32 v22, v22, v27
	v_add_f32_e32 v22, v26, v22
	;; [unrolled: 1-line block ×3, first 2 shown]
	v_mul_f32_e32 v53, v49, v27
	v_mul_f32_e32 v28, v25, v53
	v_fma_f32 v30, v53, v25, -v28
	v_fmac_f32_e32 v30, v53, v3
	v_add_f32_e32 v26, v28, v30
	v_sub_f32_e32 v3, v29, v27
	v_sub_f32_e32 v29, v27, v26
	v_pk_add_f32 v[50:51], v[26:27], v[28:29] neg_lo:[0,1] neg_hi:[0,1]
	v_mov_b32_e32 v31, v26
	v_add_f32_e32 v3, v22, v3
	v_pk_add_f32 v[26:27], v[50:51], v[30:31] neg_lo:[0,1] neg_hi:[0,1]
	v_add_f32_e32 v3, v3, v27
	v_add_f32_e32 v3, v26, v3
	;; [unrolled: 1-line block ×4, first 2 shown]
	v_sub_f32_e32 v25, v22, v52
	v_mul_f32_e32 v3, v49, v3
	v_sub_f32_e32 v25, v53, v25
	v_add_f32_e32 v25, v25, v3
	v_add_f32_e32 v27, v22, v25
	v_cvt_f32_i32_e32 v26, v16
	v_mul_f32_e32 v28, v27, v27
	v_mov_b32_e32 v3, 0x3ecc95a3
	v_fmac_f32_e32 v3, 0x3e9b6dac, v28
	v_fma_f32 v3, v28, v3, v34
	v_sub_f32_e32 v16, v27, v22
	v_ldexp_f32 v29, v27, 1
	v_mul_f32_e32 v27, v27, v28
	v_pk_mul_f32 v[30:31], v[26:27], v[2:3]
	v_fma_f32 v28, v26, s49, -v30
	v_fmac_f32_e32 v28, 0xb102e308, v26
	v_pk_add_f32 v[26:27], v[30:31], v[28:29]
	v_sub_f32_e32 v16, v25, v16
	v_sub_f32_e32 v3, v27, v29
	v_ldexp_f32 v16, v16, 1
	v_sub_f32_e32 v3, v31, v3
	v_add_f32_e32 v51, v16, v3
	v_mov_b32_e32 v50, v30
	v_pk_add_f32 v[30:31], v[26:27], v[30:31] neg_lo:[0,1] neg_hi:[0,1]
	v_pk_add_f32 v[52:53], v[26:27], v[50:51]
	v_mov_b32_e32 v31, v53
	v_mov_b32_e32 v29, v26
	v_pk_add_f32 v[54:55], v[28:29], v[30:31] neg_lo:[0,1] neg_hi:[0,1]
	v_pk_add_f32 v[28:29], v[28:29], v[30:31]
	v_mov_b32_e32 v16, v29
	v_pk_add_f32 v[30:31], v[16:17], v[26:27] neg_lo:[0,1] neg_hi:[0,1]
	v_mov_b32_e32 v3, v30
	v_pk_add_f32 v[56:57], v[52:53], v[2:3] neg_lo:[0,1] neg_hi:[0,1]
	v_mov_b32_e32 v28, v53
	v_mov_b32_e32 v52, v27
	;; [unrolled: 1-line block ×4, first 2 shown]
	v_pk_add_f32 v[28:29], v[28:29], v[52:53] neg_lo:[0,1] neg_hi:[0,1]
	v_mov_b32_e32 v30, v51
	v_mov_b32_e32 v31, v26
	v_pk_add_f32 v[26:27], v[30:31], v[28:29] neg_lo:[0,1] neg_hi:[0,1]
	v_mov_b32_e32 v56, v54
	v_pk_add_f32 v[28:29], v[56:57], v[26:27]
	v_mov_b32_e32 v22, v29
	v_pk_add_f32 v[30:31], v[28:29], v[22:23]
	v_pk_add_f32 v[50:51], v[16:17], v[30:31]
	v_mov_b32_e32 v29, v50
	v_pk_add_f32 v[52:53], v[28:29], v[54:55] neg_lo:[0,1] neg_hi:[0,1]
	v_mov_b32_e32 v27, v30
	v_sub_f32_e32 v3, v28, v52
	v_pk_add_f32 v[26:27], v[26:27], v[52:53] neg_lo:[0,1] neg_hi:[0,1]
	v_sub_f32_e32 v3, v54, v3
	v_add_f32_e32 v3, v26, v3
	v_add_f32_e32 v3, v3, v27
	v_cmp_eq_f32_e32 vcc, s50, v24
	v_cmp_lt_f32_e64 s[12:13], |v24|, s51
	v_add_f32_e32 v3, v50, v3
	s_or_b64 vcc, vcc, s[12:13]
	v_cndmask_b32_e32 v3, v3, v24, vcc
	v_mul_f32_e32 v25, 0.5, v3
	v_max_f32_e64 v3, |v5|, |v5|
	v_max_f32_e64 v16, |v4|, |v4|
	v_min_f32_e32 v22, v16, v3
	v_max_f32_e32 v3, v16, v3
	v_frexp_mant_f32_e32 v16, v3
	v_rcp_f32_e32 v16, v16
	v_frexp_exp_i32_f32_e32 v3, v3
	v_frexp_exp_i32_f32_e32 v24, v22
	v_frexp_mant_f32_e32 v22, v22
	v_mul_f32_e32 v16, v22, v16
	v_sub_u32_e32 v3, v24, v3
	v_ldexp_f32 v3, v16, v3
	v_mul_f32_e32 v16, v3, v3
	v_mov_b32_e32 v22, 0xbc7a590c
	v_fmac_f32_e32 v22, 0x3b2d2a58, v16
	v_fma_f32 v22, v16, v22, v35
	v_fma_f32 v22, v16, v22, v36
	;; [unrolled: 1-line block ×6, first 2 shown]
	v_mul_f32_e32 v16, v16, v22
	v_fmac_f32_e32 v3, v3, v16
	v_sub_f32_e32 v16, 0x3fc90fdb, v3
	v_cndmask_b32_e64 v3, v3, v16, s[10:11]
	v_sub_f32_e32 v16, 0x40490fdb, v3
	v_cmp_gt_f32_e32 vcc, 0, v4
	v_cmp_gt_i32_e64 s[12:13], 0, v4
	v_cndmask_b32_e32 v3, v3, v16, vcc
	v_cndmask_b32_e64 v16, 0, v43, s[12:13]
	v_cmp_eq_f32_e64 s[12:13], 0, v5
	v_cndmask_b32_e64 v3, v3, v16, s[12:13]
	v_cmp_class_f32_e64 s[12:13], v4, s52
	v_cmp_class_f32_e64 s[34:35], v5, s52
	v_cndmask_b32_e32 v16, v44, v45, vcc
	s_and_b64 vcc, s[34:35], s[12:13]
	v_cndmask_b32_e32 v16, v3, v16, vcc
                                        ; implicit-def: $vgpr26
.LBB199_101:                            ;   in Loop: Header=BB199_4 Depth=1
	s_andn2_saveexec_b64 s[30:31], s[30:31]
	s_cbranch_execz .LBB199_103
; %bb.102:                              ;   in Loop: Header=BB199_4 Depth=1
	v_mul_f32_e32 v3, 0.5, v26
	v_mul_f32_e32 v25, v26, v3
	v_max_f32_e64 v3, |v5|, |v5|
	v_max_f32_e64 v16, |v4|, |v4|
	v_min_f32_e32 v22, v16, v3
	v_max_f32_e32 v3, v16, v3
	v_frexp_mant_f32_e32 v16, v3
	v_rcp_f32_e32 v16, v16
	v_frexp_exp_i32_f32_e32 v3, v3
	v_frexp_exp_i32_f32_e32 v24, v22
	v_frexp_mant_f32_e32 v22, v22
	v_mul_f32_e32 v16, v22, v16
	v_sub_u32_e32 v3, v24, v3
	v_ldexp_f32 v3, v16, v3
	v_mul_f32_e32 v16, v3, v3
	v_mov_b32_e32 v22, 0xbc7a590c
	v_fmac_f32_e32 v22, 0x3b2d2a58, v16
	v_fma_f32 v22, v16, v22, v35
	v_fma_f32 v22, v16, v22, v36
	;; [unrolled: 1-line block ×6, first 2 shown]
	v_mul_f32_e32 v16, v16, v22
	v_fmac_f32_e32 v3, v3, v16
	v_sub_f32_e32 v16, 0x3fc90fdb, v3
	v_cndmask_b32_e64 v3, v3, v16, s[10:11]
	v_sub_f32_e32 v16, 0x40490fdb, v3
	v_cmp_gt_f32_e32 vcc, 0, v4
	v_cmp_gt_i32_e64 s[12:13], 0, v4
	v_cndmask_b32_e32 v3, v3, v16, vcc
	v_cndmask_b32_e64 v16, 0, v43, s[12:13]
	v_cmp_eq_f32_e64 s[12:13], 0, v5
	v_cndmask_b32_e64 v3, v3, v16, s[12:13]
	v_cmp_class_f32_e64 s[12:13], v4, s52
	v_cmp_class_f32_e64 s[34:35], v5, s52
	v_cndmask_b32_e32 v16, v44, v45, vcc
	s_and_b64 vcc, s[34:35], s[12:13]
	v_cndmask_b32_e32 v16, v3, v16, vcc
.LBB199_103:                            ;   in Loop: Header=BB199_4 Depth=1
	s_or_b64 exec, exec, s[30:31]
.LBB199_104:                            ;   in Loop: Header=BB199_4 Depth=1
	s_or_b64 exec, exec, s[28:29]
.LBB199_105:                            ;   in Loop: Header=BB199_4 Depth=1
	s_andn2_saveexec_b64 s[26:27], s[26:27]
	s_cbranch_execz .LBB199_107
; %bb.106:                              ;   in Loop: Header=BB199_4 Depth=1
	v_div_scale_f32 v3, s[12:13], s57, s57, v4
	v_rcp_f32_e32 v16, v3
	v_div_scale_f32 v22, vcc, v4, s57, v4
	v_fma_f32 v24, -v3, v16, 1.0
	v_fmac_f32_e32 v16, v24, v16
	v_mul_f32_e32 v24, v22, v16
	v_fma_f32 v25, -v3, v24, v22
	v_fmac_f32_e32 v24, v25, v16
	v_fma_f32 v3, -v3, v24, v22
	v_div_scale_f32 v22, s[12:13], s57, s57, v5
	v_rcp_f32_e32 v25, v22
	v_div_fmas_f32 v3, v3, v16, v24
	v_div_fixup_f32 v3, v3, s57, v4
	v_fma_f32 v16, -v22, v25, 1.0
	v_fmac_f32_e32 v25, v16, v25
	v_div_scale_f32 v16, vcc, v5, s57, v5
	v_mul_f32_e32 v24, v16, v25
	v_fma_f32 v26, -v22, v24, v16
	v_fmac_f32_e32 v24, v26, v25
	v_fma_f32 v16, -v22, v24, v16
	v_div_fmas_f32 v16, v16, v25, v24
	v_div_fixup_f32 v16, v16, s57, v5
	v_max_f32_e64 v22, |v3|, |v16|
	v_cvt_f64_f32_e32 v[24:25], v22
	v_frexp_exp_i32_f64_e32 v24, v[24:25]
	v_sub_u32_e32 v25, 0, v24
	v_ldexp_f32 v16, |v16|, v25
	v_ldexp_f32 v3, |v3|, v25
	v_mul_f32_e32 v16, v16, v16
	v_fmac_f32_e32 v16, v3, v3
	v_sqrt_f32_e32 v3, v16
	v_cmp_neq_f32_e32 vcc, s50, v22
	v_ldexp_f32 v3, v3, v24
	v_cndmask_b32_e32 v3, v48, v3, vcc
	v_cmp_gt_f32_e32 vcc, s54, v3
	v_cndmask_b32_e32 v16, 1.0, v46, vcc
	v_mul_f32_e32 v3, v3, v16
	v_log_f32_e32 v3, v3
	v_mul_f32_e32 v16, 0x3f317217, v3
	v_fma_f32 v22, v3, s55, -v16
	v_fmac_f32_e32 v22, 0x3377d1cf, v3
	v_add_f32_e32 v16, v16, v22
	v_cmp_lt_f32_e64 s[12:13], |v3|, s50
	v_cndmask_b32_e64 v3, v3, v16, s[12:13]
	v_cndmask_b32_e32 v16, 0, v47, vcc
	v_sub_f32_e32 v3, v3, v16
	v_add_f32_e32 v25, 1.0, v3
	v_max_f32_e64 v3, |v5|, |v5|
	v_max_f32_e64 v16, |v4|, |v4|
	v_min_f32_e32 v22, v16, v3
	v_max_f32_e32 v3, v16, v3
	v_frexp_mant_f32_e32 v16, v3
	v_rcp_f32_e32 v16, v16
	v_frexp_exp_i32_f32_e32 v3, v3
	v_frexp_exp_i32_f32_e32 v24, v22
	v_frexp_mant_f32_e32 v22, v22
	v_mul_f32_e32 v16, v22, v16
	v_sub_u32_e32 v3, v24, v3
	v_ldexp_f32 v3, v16, v3
	v_mul_f32_e32 v16, v3, v3
	v_mov_b32_e32 v22, 0xbc7a590c
	v_fmac_f32_e32 v22, 0x3b2d2a58, v16
	v_fma_f32 v22, v16, v22, v35
	v_fma_f32 v22, v16, v22, v36
	;; [unrolled: 1-line block ×6, first 2 shown]
	v_mul_f32_e32 v16, v16, v22
	v_fmac_f32_e32 v3, v3, v16
	v_sub_f32_e32 v16, 0x3fc90fdb, v3
	v_cndmask_b32_e64 v3, v3, v16, s[10:11]
	v_sub_f32_e32 v16, 0x40490fdb, v3
	v_cmp_gt_f32_e32 vcc, 0, v4
	v_cmp_gt_i32_e64 s[10:11], 0, v4
	v_cndmask_b32_e32 v3, v3, v16, vcc
	v_cndmask_b32_e64 v16, 0, v43, s[10:11]
	v_cmp_eq_f32_e64 s[10:11], 0, v5
	v_cndmask_b32_e64 v3, v3, v16, s[10:11]
	v_cmp_class_f32_e64 s[10:11], v4, s52
	v_cmp_class_f32_e64 s[12:13], v5, s52
	v_cndmask_b32_e32 v16, v44, v45, vcc
	s_and_b64 vcc, s[12:13], s[10:11]
	v_cndmask_b32_e32 v16, v3, v16, vcc
.LBB199_107:                            ;   in Loop: Header=BB199_4 Depth=1
	s_or_b64 exec, exec, s[26:27]
.LBB199_108:                            ;   in Loop: Header=BB199_4 Depth=1
	s_andn2_saveexec_b64 s[10:11], s[24:25]
	s_cbranch_execz .LBB199_114
; %bb.109:                              ;   in Loop: Header=BB199_4 Depth=1
	v_cmp_nlt_f32_e64 s[12:13], |v4|, s58
	v_cmp_nlt_f32_e64 s[24:25], |v5|, s58
	s_or_b64 s[12:13], s[24:25], s[12:13]
                                        ; implicit-def: $vgpr3
	s_and_saveexec_b64 s[24:25], s[12:13]
	s_xor_b64 s[12:13], exec, s[24:25]
; %bb.110:                              ;   in Loop: Header=BB199_4 Depth=1
	v_pk_mul_f32 v[24:25], v[4:5], v[4:5]
	v_add_f32_e32 v3, v25, v24
; %bb.111:                              ;   in Loop: Header=BB199_4 Depth=1
	s_andn2_saveexec_b64 s[12:13], s[12:13]
; %bb.112:                              ;   in Loop: Header=BB199_4 Depth=1
	v_pk_mul_f32 v[24:25], v[4:5], 4.0 op_sel_hi:[1,0]
	v_pk_mul_f32 v[24:25], v[24:25], v[24:25]
	v_add_f32_e32 v3, v25, v24
	v_mul_f32_e32 v3, 0x3d800000, v3
; %bb.113:                              ;   in Loop: Header=BB199_4 Depth=1
	s_or_b64 exec, exec, s[12:13]
	v_cmp_gt_f32_e32 vcc, s54, v3
	v_cndmask_b32_e32 v4, 1.0, v46, vcc
	v_mul_f32_e32 v3, v3, v4
	v_log_f32_e32 v3, v3
	v_cndmask_b32_e32 v4, 0, v47, vcc
	v_mul_f32_e32 v16, 0x3f317217, v3
	v_fma_f32 v22, v3, s55, -v16
	v_fmac_f32_e32 v22, 0x3377d1cf, v3
	v_add_f32_e32 v16, v16, v22
	v_cmp_lt_f32_e64 vcc, |v3|, s50
	v_cndmask_b32_e32 v3, v3, v16, vcc
	v_sub_f32_e32 v25, v3, v4
	v_mov_b32_e32 v16, 0x7fc00000
.LBB199_114:                            ;   in Loop: Header=BB199_4 Depth=1
	s_or_b64 exec, exec, s[10:11]
	v_cmp_o_f32_e32 vcc, v19, v18
                                        ; implicit-def: $vgpr27
                                        ; implicit-def: $vgpr3
	s_and_saveexec_b64 s[10:11], vcc
	s_xor_b64 s[24:25], exec, s[10:11]
	s_cbranch_execnz .LBB199_120
; %bb.115:                              ;   in Loop: Header=BB199_4 Depth=1
	s_andn2_saveexec_b64 s[10:11], s[24:25]
	s_cbranch_execnz .LBB199_147
.LBB199_116:                            ;   in Loop: Header=BB199_4 Depth=1
	s_or_b64 exec, exec, s[10:11]
	s_and_saveexec_b64 s[10:11], s[0:1]
	s_xor_b64 s[0:1], exec, s[10:11]
	s_cbranch_execnz .LBB199_152
.LBB199_117:                            ;   in Loop: Header=BB199_4 Depth=1
	s_or_b64 exec, exec, s[0:1]
	s_and_saveexec_b64 s[0:1], s[2:3]
	s_cbranch_execnz .LBB199_153
.LBB199_118:                            ;   in Loop: Header=BB199_4 Depth=1
	s_or_b64 exec, exec, s[0:1]
	s_and_saveexec_b64 s[0:1], s[6:7]
	s_cbranch_execnz .LBB199_154
.LBB199_119:                            ;   in Loop: Header=BB199_4 Depth=1
	s_or_b64 exec, exec, s[0:1]
	s_and_saveexec_b64 s[0:1], s[8:9]
	s_cbranch_execz .LBB199_3
	s_branch .LBB199_155
.LBB199_120:                            ;   in Loop: Header=BB199_4 Depth=1
	v_cmp_lt_f32_e64 s[10:11], |v18|, |v19|
	v_cndmask_b32_e64 v4, v19, v18, s[10:11]
	v_cmp_ngt_f32_e64 s[12:13], |v4|, s45
                                        ; implicit-def: $vgpr27
                                        ; implicit-def: $vgpr3
	s_and_saveexec_b64 s[26:27], s[12:13]
	s_xor_b64 s[26:27], exec, s[26:27]
	s_cbranch_execz .LBB199_144
; %bb.121:                              ;   in Loop: Header=BB199_4 Depth=1
	v_cndmask_b32_e64 v3, v18, v19, s[10:11]
	v_and_b32_e32 v29, 0x7fffffff, v3
	v_and_b32_e32 v28, 0x7fffffff, v4
	v_cmp_neq_f32_e32 vcc, 1.0, v29
                                        ; implicit-def: $vgpr27
                                        ; implicit-def: $vgpr3
	s_and_saveexec_b64 s[12:13], vcc
	s_xor_b64 s[28:29], exec, s[12:13]
	s_cbranch_execz .LBB199_137
; %bb.122:                              ;   in Loop: Header=BB199_4 Depth=1
	v_max_f32_e32 v3, v28, v28
	v_max_f32_e32 v4, v29, v29
	v_min_f32_e32 v22, v4, v3
	v_max_f32_e32 v3, v4, v3
	v_cmp_ngt_f32_e32 vcc, s46, v22
	v_cmp_nlt_f32_e64 s[12:13], s47, v3
	s_and_b64 s[12:13], s[12:13], vcc
                                        ; implicit-def: $vgpr27
                                        ; implicit-def: $vgpr3
	s_and_saveexec_b64 s[30:31], s[12:13]
	s_xor_b64 s[30:31], exec, s[30:31]
	s_cbranch_execz .LBB199_134
; %bb.123:                              ;   in Loop: Header=BB199_4 Depth=1
	v_cmp_le_f32_e32 vcc, 1.0, v29
                                        ; implicit-def: $vgpr27
                                        ; implicit-def: $vgpr3
	s_and_saveexec_b64 s[12:13], vcc
	s_xor_b64 s[34:35], exec, s[12:13]
	s_cbranch_execz .LBB199_125
; %bb.124:                              ;   in Loop: Header=BB199_4 Depth=1
	v_pk_add_f32 v[26:27], v[28:29], s[20:21] op_sel:[1,0]
	v_mov_b32_e32 v4, v27
	v_pk_mul_f32 v[26:27], v[26:27], v[4:5]
	v_pk_fma_f32 v[26:27], v[28:29], v[28:29], v[26:27]
	v_add_f32_e32 v29, 1.0, v26
	v_add_f32_e32 v27, -1.0, v29
	v_mov_b32_e32 v28, v27
	v_pk_add_f32 v[30:31], v[26:27], v[28:29] neg_lo:[0,1] neg_hi:[0,1]
	v_add_f32_e32 v3, 1.0, v31
	v_add_f32_e32 v3, v30, v3
	v_frexp_mant_f32_e32 v4, v29
	v_cvt_f64_f32_e32 v[30:31], v29
	v_frexp_exp_i32_f64_e32 v22, v[30:31]
	v_cmp_gt_f32_e32 vcc, s48, v4
	v_subbrev_co_u32_e32 v4, vcc, 0, v22, vcc
	v_sub_u32_e32 v22, 0, v4
	v_ldexp_f32 v24, v29, v22
	v_ldexp_f32 v3, v3, v22
	v_add_f32_e32 v22, -1.0, v24
	v_add_f32_e32 v28, 1.0, v24
	v_add_f32_e32 v27, 1.0, v22
	v_add_f32_e32 v29, -1.0, v28
	v_sub_f32_e32 v27, v24, v27
	v_sub_f32_e32 v24, v24, v29
	v_add_f32_e32 v27, v3, v27
	v_add_f32_e32 v3, v3, v24
	v_add_f32_e32 v24, v28, v3
	v_rcp_f32_e32 v49, v24
	v_add_f32_e32 v29, v22, v27
	v_sub_f32_e32 v22, v29, v22
	v_sub_f32_e32 v22, v27, v22
	v_mul_f32_e32 v27, v29, v49
	v_sub_f32_e32 v28, v24, v28
	v_mul_f32_e32 v30, v24, v27
	v_sub_f32_e32 v3, v3, v28
	v_fma_f32 v50, v27, v24, -v30
	v_fmac_f32_e32 v50, v27, v3
	v_add_f32_e32 v28, v30, v50
	v_sub_f32_e32 v31, v29, v28
	v_pk_add_f32 v[52:53], v[28:29], v[30:31] neg_lo:[0,1] neg_hi:[0,1]
	v_mov_b32_e32 v51, v28
	v_pk_add_f32 v[28:29], v[52:53], v[50:51] neg_lo:[0,1] neg_hi:[0,1]
	v_add_f32_e32 v22, v22, v29
	v_add_f32_e32 v22, v28, v22
	;; [unrolled: 1-line block ×3, first 2 shown]
	v_mul_f32_e32 v54, v49, v29
	v_mul_f32_e32 v30, v24, v54
	v_fma_f32 v50, v54, v24, -v30
	v_fmac_f32_e32 v50, v54, v3
	v_add_f32_e32 v28, v30, v50
	v_sub_f32_e32 v3, v31, v29
	v_sub_f32_e32 v31, v29, v28
	v_pk_add_f32 v[52:53], v[28:29], v[30:31] neg_lo:[0,1] neg_hi:[0,1]
	v_mov_b32_e32 v51, v28
	v_add_f32_e32 v3, v22, v3
	v_pk_add_f32 v[28:29], v[52:53], v[50:51] neg_lo:[0,1] neg_hi:[0,1]
	v_add_f32_e32 v3, v3, v29
	v_add_f32_e32 v3, v28, v3
	;; [unrolled: 1-line block ×4, first 2 shown]
	v_sub_f32_e32 v24, v22, v27
	v_mul_f32_e32 v3, v49, v3
	v_sub_f32_e32 v24, v54, v24
	v_add_f32_e32 v24, v24, v3
	v_add_f32_e32 v27, v22, v24
	v_cvt_f32_i32_e32 v28, v4
	v_mul_f32_e32 v29, v27, v27
	v_mov_b32_e32 v3, 0x3ecc95a3
	v_fmac_f32_e32 v3, 0x3e9b6dac, v29
	v_fma_f32 v3, v29, v3, v34
	v_mul_f32_e32 v29, v27, v29
	v_pk_mul_f32 v[50:51], v[28:29], v[2:3]
	v_fma_f32 v30, v28, s49, -v50
	v_ldexp_f32 v31, v27, 1
	v_fmac_f32_e32 v30, 0xb102e308, v28
	v_sub_f32_e32 v4, v27, v22
	v_pk_add_f32 v[28:29], v[50:51], v[30:31]
	v_sub_f32_e32 v4, v24, v4
	v_sub_f32_e32 v3, v29, v31
	v_ldexp_f32 v4, v4, 1
	v_sub_f32_e32 v3, v51, v3
	v_add_f32_e32 v53, v4, v3
	v_mov_b32_e32 v52, v50
	v_pk_add_f32 v[50:51], v[28:29], v[50:51] neg_lo:[0,1] neg_hi:[0,1]
	v_pk_add_f32 v[54:55], v[28:29], v[52:53]
	v_mov_b32_e32 v51, v55
	v_mov_b32_e32 v31, v28
	v_pk_add_f32 v[56:57], v[30:31], v[50:51] neg_lo:[0,1] neg_hi:[0,1]
	v_pk_add_f32 v[30:31], v[30:31], v[50:51]
	v_mov_b32_e32 v4, v31
	v_pk_add_f32 v[50:51], v[4:5], v[28:29] neg_lo:[0,1] neg_hi:[0,1]
	v_mov_b32_e32 v3, v50
	v_pk_add_f32 v[58:59], v[54:55], v[2:3] neg_lo:[0,1] neg_hi:[0,1]
	v_mov_b32_e32 v30, v55
	v_mov_b32_e32 v54, v29
	;; [unrolled: 1-line block ×4, first 2 shown]
	v_pk_add_f32 v[30:31], v[30:31], v[54:55] neg_lo:[0,1] neg_hi:[0,1]
	v_mov_b32_e32 v50, v53
	v_mov_b32_e32 v51, v28
	v_pk_add_f32 v[28:29], v[50:51], v[30:31] neg_lo:[0,1] neg_hi:[0,1]
	v_mov_b32_e32 v58, v56
	v_pk_add_f32 v[30:31], v[58:59], v[28:29]
	v_mov_b32_e32 v22, v31
	v_pk_add_f32 v[50:51], v[30:31], v[22:23]
	v_pk_add_f32 v[52:53], v[4:5], v[50:51]
	v_mov_b32_e32 v31, v52
	v_pk_add_f32 v[54:55], v[30:31], v[56:57] neg_lo:[0,1] neg_hi:[0,1]
	v_mov_b32_e32 v29, v50
	v_sub_f32_e32 v3, v30, v54
	v_pk_add_f32 v[28:29], v[28:29], v[54:55] neg_lo:[0,1] neg_hi:[0,1]
	v_sub_f32_e32 v3, v56, v3
	v_add_f32_e32 v3, v28, v3
	v_add_f32_e32 v3, v3, v29
	v_add_f32_e32 v3, v52, v3
	v_cmp_eq_f32_e32 vcc, s50, v26
	v_cndmask_b32_e32 v3, v3, v26, vcc
	v_cmp_ngt_f32_e32 vcc, -1.0, v26
	v_cndmask_b32_e32 v3, v41, v3, vcc
	v_cmp_neq_f32_e32 vcc, -1.0, v26
	v_cndmask_b32_e32 v3, v42, v3, vcc
	v_cmp_lt_f32_e64 vcc, |v26|, s51
	v_cndmask_b32_e32 v3, v3, v26, vcc
	v_mul_f32_e32 v27, 0.5, v3
	v_max_f32_e64 v3, |v19|, |v19|
	v_max_f32_e64 v4, |v18|, |v18|
	v_min_f32_e32 v22, v4, v3
	v_max_f32_e32 v3, v4, v3
	v_frexp_mant_f32_e32 v4, v3
	v_rcp_f32_e32 v4, v4
	v_frexp_exp_i32_f32_e32 v3, v3
	v_frexp_exp_i32_f32_e32 v24, v22
	v_frexp_mant_f32_e32 v22, v22
	v_mul_f32_e32 v4, v22, v4
	v_sub_u32_e32 v3, v24, v3
	v_ldexp_f32 v3, v4, v3
	v_mul_f32_e32 v4, v3, v3
	v_mov_b32_e32 v22, 0xbc7a590c
	v_fmac_f32_e32 v22, 0x3b2d2a58, v4
	v_fma_f32 v22, v4, v22, v35
	v_fma_f32 v22, v4, v22, v36
	;; [unrolled: 1-line block ×6, first 2 shown]
	v_mul_f32_e32 v4, v4, v22
	v_fmac_f32_e32 v3, v3, v4
	v_sub_f32_e32 v4, 0x3fc90fdb, v3
	v_cndmask_b32_e64 v3, v3, v4, s[10:11]
	v_sub_f32_e32 v4, 0x40490fdb, v3
	v_cmp_gt_f32_e32 vcc, 0, v18
	v_cmp_gt_i32_e64 s[12:13], 0, v18
	v_cndmask_b32_e32 v3, v3, v4, vcc
	v_cndmask_b32_e64 v4, 0, v43, s[12:13]
	v_cmp_eq_f32_e64 s[12:13], 0, v19
	v_cndmask_b32_e64 v3, v3, v4, s[12:13]
	v_cmp_class_f32_e64 s[12:13], v18, s52
	v_cmp_class_f32_e64 s[36:37], v19, s52
	v_cndmask_b32_e32 v4, v44, v45, vcc
	s_and_b64 vcc, s[36:37], s[12:13]
	v_cndmask_b32_e32 v3, v3, v4, vcc
                                        ; implicit-def: $vgpr28_vgpr29
.LBB199_125:                            ;   in Loop: Header=BB199_4 Depth=1
	s_andn2_saveexec_b64 s[34:35], s[34:35]
	s_cbranch_execz .LBB199_133
; %bb.126:                              ;   in Loop: Header=BB199_4 Depth=1
	v_pk_mul_f32 v[26:27], v[28:29], v[28:29]
	v_add_f32_e32 v4, v27, v26
	v_cmp_ge_f32_e32 vcc, s53, v4
                                        ; implicit-def: $vgpr27
                                        ; implicit-def: $vgpr3
	s_and_saveexec_b64 s[12:13], vcc
	s_xor_b64 s[36:37], exec, s[12:13]
	s_cbranch_execz .LBB199_128
; %bb.127:                              ;   in Loop: Header=BB199_4 Depth=1
	v_cmp_gt_f32_e32 vcc, s54, v4
	v_cndmask_b32_e32 v3, 1.0, v46, vcc
	v_mul_f32_e32 v3, v4, v3
	v_log_f32_e32 v3, v3
	v_cndmask_b32_e32 v4, 0, v47, vcc
	v_cmp_gt_i32_e64 s[12:13], 0, v18
	v_cmp_class_f32_e64 s[38:39], v19, s52
	v_mul_f32_e32 v22, 0x3f317217, v3
	v_fma_f32 v24, v3, s55, -v22
	v_fmac_f32_e32 v24, 0x3377d1cf, v3
	v_add_f32_e32 v22, v22, v24
	v_cmp_lt_f32_e64 vcc, |v3|, s50
	v_cndmask_b32_e32 v3, v3, v22, vcc
	v_sub_f32_e32 v3, v3, v4
	v_mul_f32_e32 v27, 0.5, v3
	v_max_f32_e64 v3, |v19|, |v19|
	v_max_f32_e64 v4, |v18|, |v18|
	v_min_f32_e32 v22, v4, v3
	v_max_f32_e32 v3, v4, v3
	v_frexp_mant_f32_e32 v4, v3
	v_rcp_f32_e32 v4, v4
	v_frexp_exp_i32_f32_e32 v3, v3
	v_frexp_exp_i32_f32_e32 v24, v22
	v_frexp_mant_f32_e32 v22, v22
	v_mul_f32_e32 v4, v22, v4
	v_sub_u32_e32 v3, v24, v3
	v_ldexp_f32 v3, v4, v3
	v_mul_f32_e32 v4, v3, v3
	v_mov_b32_e32 v22, 0xbc7a590c
	v_fmac_f32_e32 v22, 0x3b2d2a58, v4
	v_fma_f32 v22, v4, v22, v35
	v_fma_f32 v22, v4, v22, v36
	;; [unrolled: 1-line block ×6, first 2 shown]
	v_mul_f32_e32 v4, v4, v22
	v_fmac_f32_e32 v3, v3, v4
	v_sub_f32_e32 v4, 0x3fc90fdb, v3
	v_cndmask_b32_e64 v3, v3, v4, s[10:11]
	v_sub_f32_e32 v4, 0x40490fdb, v3
	v_cmp_gt_f32_e32 vcc, 0, v18
	v_cndmask_b32_e32 v3, v3, v4, vcc
	v_cndmask_b32_e64 v4, 0, v43, s[12:13]
	v_cmp_eq_f32_e64 s[12:13], 0, v19
	v_cndmask_b32_e64 v3, v3, v4, s[12:13]
	v_cmp_class_f32_e64 s[12:13], v18, s52
	v_cndmask_b32_e32 v4, v44, v45, vcc
	s_and_b64 vcc, s[38:39], s[12:13]
	v_cndmask_b32_e32 v3, v3, v4, vcc
                                        ; implicit-def: $vgpr28_vgpr29
.LBB199_128:                            ;   in Loop: Header=BB199_4 Depth=1
	s_andn2_saveexec_b64 s[36:37], s[36:37]
	s_cbranch_execz .LBB199_132
; %bb.129:                              ;   in Loop: Header=BB199_4 Depth=1
	v_and_b32_e32 v31, 0x7fff0000, v28
	v_and_b32_e32 v30, 0x7fff0000, v29
	v_pk_add_f32 v[26:27], v[28:29], v[30:31] op_sel:[1,0] op_sel_hi:[0,1] neg_lo:[0,1] neg_hi:[0,1]
	v_and_b32_e32 v51, 0xffff0000, v27
	v_and_b32_e32 v50, 0xffff0000, v26
	v_pk_add_f32 v[52:53], v[26:27], v[50:51] neg_lo:[0,1] neg_hi:[0,1]
	v_pk_mul_f32 v[26:27], v[30:31], v[30:31]
	v_add_f32_e32 v22, v30, v30
	v_add_f32_e32 v30, v31, v31
	v_mul_f32_e32 v4, v22, v50
	v_mul_f32_e32 v3, v30, v51
	;; [unrolled: 1-line block ×4, first 2 shown]
	v_add_f32_e32 v30, v50, v50
	v_mul_f32_e32 v49, v30, v52
	v_add_f32_e32 v30, v51, v51
	v_pk_mul_f32 v[28:29], v[50:51], v[50:51]
	v_mul_f32_e32 v50, v30, v53
	v_pk_mul_f32 v[30:31], v[52:53], v[52:53]
	s_mov_b64 s[38:39], 0
.LBB199_130:                            ;   Parent Loop BB199_4 Depth=1
                                        ; =>  This Inner Loop Header: Depth=2
	v_cmp_nlt_f32_e32 vcc, v26, v27
	v_cndmask_b32_e32 v51, v26, v27, vcc
	v_cmp_nlt_f32_e64 s[12:13], v51, v4
	v_cndmask_b32_e64 v52, v51, v4, s[12:13]
	v_cndmask_b32_e32 v26, v27, v26, vcc
	s_and_b64 s[60:61], vcc, s[12:13]
	v_cmp_nlt_f32_e32 vcc, v52, v3
	v_cndmask_b32_e64 v27, v4, v51, s[12:13]
	v_cndmask_b32_e32 v51, v52, v3, vcc
	v_cmp_nlt_f32_e64 s[12:13], v51, v28
	v_cndmask_b32_e32 v4, v3, v52, vcc
	v_cndmask_b32_e64 v52, v51, v28, s[12:13]
	s_and_b64 s[62:63], vcc, s[12:13]
	v_cmp_nlt_f32_e32 vcc, v52, v29
	v_cndmask_b32_e64 v3, v28, v51, s[12:13]
	v_cndmask_b32_e32 v51, v52, v29, vcc
	v_cmp_nlt_f32_e64 s[12:13], v51, v24
	v_cndmask_b32_e32 v28, v29, v52, vcc
	v_cndmask_b32_e64 v52, v51, v24, s[12:13]
	v_cndmask_b32_e64 v29, v24, v51, s[12:13]
	s_and_b64 s[12:13], vcc, s[12:13]
	v_cmp_nlt_f32_e32 vcc, v52, v22
	v_cndmask_b32_e32 v51, v52, v22, vcc
	v_cndmask_b32_e32 v24, v22, v52, vcc
	s_and_b64 s[12:13], s[12:13], vcc
	v_cmp_nlt_f32_e32 vcc, v51, v49
	v_cndmask_b32_e32 v52, v51, v49, vcc
	v_cndmask_b32_e32 v22, v49, v51, vcc
	s_and_b64 s[12:13], s[12:13], vcc
	;; [unrolled: 4-line block ×4, first 2 shown]
	v_cmp_nlt_f32_e32 vcc, v52, v31
	s_and_b64 s[12:13], s[12:13], vcc
	s_and_b64 s[12:13], s[12:13], s[62:63]
	s_and_b64 s[12:13], s[12:13], s[60:61]
	s_and_b64 s[12:13], exec, s[12:13]
	v_cndmask_b32_e32 v30, v31, v52, vcc
	s_or_b64 s[38:39], s[12:13], s[38:39]
	v_cndmask_b32_e32 v31, v52, v31, vcc
	s_andn2_b64 exec, exec, s[38:39]
	s_cbranch_execnz .LBB199_130
; %bb.131:                              ;   in Loop: Header=BB199_4 Depth=1
	s_or_b64 exec, exec, s[38:39]
	v_add_f32_e32 v26, -1.0, v26
	v_add_f32_e32 v26, v26, v27
	v_add_f32_e32 v4, v26, v4
	v_add_f32_e32 v3, v4, v3
	v_add_f32_e32 v3, v3, v28
	v_add_f32_e32 v3, v3, v29
	v_add_f32_e32 v3, v3, v24
	v_add_f32_e32 v3, v3, v22
	v_add_f32_e32 v3, v3, v49
	v_add_f32_e32 v3, v3, v50
	v_add_f32_e32 v3, v3, v30
	v_add_f32_e32 v26, v31, v3
	v_add_f32_e32 v29, 1.0, v26
	v_add_f32_e32 v27, -1.0, v29
	v_mov_b32_e32 v28, v27
	v_pk_add_f32 v[30:31], v[26:27], v[28:29] neg_lo:[0,1] neg_hi:[0,1]
	v_add_f32_e32 v3, 1.0, v31
	v_add_f32_e32 v3, v30, v3
	v_frexp_mant_f32_e32 v4, v29
	v_cvt_f64_f32_e32 v[30:31], v29
	v_frexp_exp_i32_f64_e32 v22, v[30:31]
	v_cmp_gt_f32_e32 vcc, s48, v4
	v_subbrev_co_u32_e32 v4, vcc, 0, v22, vcc
	v_sub_u32_e32 v22, 0, v4
	v_ldexp_f32 v24, v29, v22
	v_ldexp_f32 v3, v3, v22
	v_add_f32_e32 v22, -1.0, v24
	v_add_f32_e32 v28, 1.0, v24
	v_add_f32_e32 v27, 1.0, v22
	v_add_f32_e32 v29, -1.0, v28
	v_sub_f32_e32 v27, v24, v27
	v_sub_f32_e32 v24, v24, v29
	v_add_f32_e32 v27, v3, v27
	v_add_f32_e32 v3, v3, v24
	;; [unrolled: 1-line block ×3, first 2 shown]
	v_rcp_f32_e32 v49, v24
	v_add_f32_e32 v29, v22, v27
	v_sub_f32_e32 v22, v29, v22
	v_sub_f32_e32 v22, v27, v22
	v_mul_f32_e32 v27, v29, v49
	v_sub_f32_e32 v28, v24, v28
	v_mul_f32_e32 v30, v24, v27
	v_sub_f32_e32 v3, v3, v28
	v_fma_f32 v50, v27, v24, -v30
	v_fmac_f32_e32 v50, v27, v3
	v_add_f32_e32 v28, v30, v50
	v_sub_f32_e32 v31, v29, v28
	v_pk_add_f32 v[52:53], v[28:29], v[30:31] neg_lo:[0,1] neg_hi:[0,1]
	v_mov_b32_e32 v51, v28
	v_pk_add_f32 v[28:29], v[52:53], v[50:51] neg_lo:[0,1] neg_hi:[0,1]
	v_add_f32_e32 v22, v22, v29
	v_add_f32_e32 v22, v28, v22
	;; [unrolled: 1-line block ×3, first 2 shown]
	v_mul_f32_e32 v54, v49, v29
	v_mul_f32_e32 v30, v24, v54
	v_fma_f32 v50, v54, v24, -v30
	v_fmac_f32_e32 v50, v54, v3
	v_add_f32_e32 v28, v30, v50
	v_sub_f32_e32 v3, v31, v29
	v_sub_f32_e32 v31, v29, v28
	v_pk_add_f32 v[52:53], v[28:29], v[30:31] neg_lo:[0,1] neg_hi:[0,1]
	v_mov_b32_e32 v51, v28
	v_add_f32_e32 v3, v22, v3
	v_pk_add_f32 v[28:29], v[52:53], v[50:51] neg_lo:[0,1] neg_hi:[0,1]
	v_add_f32_e32 v3, v3, v29
	v_add_f32_e32 v3, v28, v3
	;; [unrolled: 1-line block ×4, first 2 shown]
	v_sub_f32_e32 v24, v22, v27
	v_mul_f32_e32 v3, v49, v3
	v_sub_f32_e32 v24, v54, v24
	v_add_f32_e32 v24, v24, v3
	v_add_f32_e32 v27, v22, v24
	v_cvt_f32_i32_e32 v28, v4
	v_mul_f32_e32 v29, v27, v27
	v_mov_b32_e32 v3, 0x3ecc95a3
	v_fmac_f32_e32 v3, 0x3e9b6dac, v29
	v_fma_f32 v3, v29, v3, v34
	v_mul_f32_e32 v29, v27, v29
	v_pk_mul_f32 v[50:51], v[28:29], v[2:3]
	v_fma_f32 v30, v28, s49, -v50
	v_ldexp_f32 v31, v27, 1
	v_fmac_f32_e32 v30, 0xb102e308, v28
	v_sub_f32_e32 v4, v27, v22
	v_pk_add_f32 v[28:29], v[50:51], v[30:31]
	v_sub_f32_e32 v4, v24, v4
	v_sub_f32_e32 v3, v29, v31
	v_ldexp_f32 v4, v4, 1
	v_sub_f32_e32 v3, v51, v3
	v_add_f32_e32 v53, v4, v3
	v_mov_b32_e32 v52, v50
	v_pk_add_f32 v[50:51], v[28:29], v[50:51] neg_lo:[0,1] neg_hi:[0,1]
	v_pk_add_f32 v[54:55], v[28:29], v[52:53]
	v_mov_b32_e32 v51, v55
	v_mov_b32_e32 v31, v28
	v_pk_add_f32 v[56:57], v[30:31], v[50:51] neg_lo:[0,1] neg_hi:[0,1]
	v_pk_add_f32 v[30:31], v[30:31], v[50:51]
	v_mov_b32_e32 v4, v31
	v_pk_add_f32 v[50:51], v[4:5], v[28:29] neg_lo:[0,1] neg_hi:[0,1]
	v_mov_b32_e32 v3, v50
	v_pk_add_f32 v[58:59], v[54:55], v[2:3] neg_lo:[0,1] neg_hi:[0,1]
	v_mov_b32_e32 v30, v55
	v_mov_b32_e32 v54, v29
	;; [unrolled: 1-line block ×4, first 2 shown]
	v_pk_add_f32 v[30:31], v[30:31], v[54:55] neg_lo:[0,1] neg_hi:[0,1]
	v_mov_b32_e32 v50, v53
	v_mov_b32_e32 v51, v28
	v_pk_add_f32 v[28:29], v[50:51], v[30:31] neg_lo:[0,1] neg_hi:[0,1]
	v_mov_b32_e32 v58, v56
	v_pk_add_f32 v[30:31], v[58:59], v[28:29]
	v_mov_b32_e32 v22, v31
	v_pk_add_f32 v[50:51], v[30:31], v[22:23]
	v_pk_add_f32 v[52:53], v[4:5], v[50:51]
	v_mov_b32_e32 v31, v52
	v_pk_add_f32 v[54:55], v[30:31], v[56:57] neg_lo:[0,1] neg_hi:[0,1]
	v_mov_b32_e32 v29, v50
	v_sub_f32_e32 v3, v30, v54
	v_pk_add_f32 v[28:29], v[28:29], v[54:55] neg_lo:[0,1] neg_hi:[0,1]
	v_sub_f32_e32 v3, v56, v3
	v_add_f32_e32 v3, v28, v3
	v_add_f32_e32 v3, v3, v29
	;; [unrolled: 1-line block ×3, first 2 shown]
	v_cmp_eq_f32_e32 vcc, s50, v26
	v_cndmask_b32_e32 v3, v3, v26, vcc
	v_cmp_ngt_f32_e32 vcc, -1.0, v26
	v_cndmask_b32_e32 v3, v41, v3, vcc
	v_cmp_neq_f32_e32 vcc, -1.0, v26
	v_cndmask_b32_e32 v3, v42, v3, vcc
	v_cmp_lt_f32_e64 vcc, |v26|, s51
	v_cndmask_b32_e32 v3, v3, v26, vcc
	v_mul_f32_e32 v27, 0.5, v3
	v_max_f32_e64 v3, |v19|, |v19|
	v_max_f32_e64 v4, |v18|, |v18|
	v_min_f32_e32 v22, v4, v3
	v_max_f32_e32 v3, v4, v3
	v_frexp_mant_f32_e32 v4, v3
	v_rcp_f32_e32 v4, v4
	v_frexp_exp_i32_f32_e32 v3, v3
	v_frexp_exp_i32_f32_e32 v24, v22
	v_frexp_mant_f32_e32 v22, v22
	v_mul_f32_e32 v4, v22, v4
	v_sub_u32_e32 v3, v24, v3
	v_ldexp_f32 v3, v4, v3
	v_mul_f32_e32 v4, v3, v3
	v_mov_b32_e32 v22, 0xbc7a590c
	v_fmac_f32_e32 v22, 0x3b2d2a58, v4
	v_fma_f32 v22, v4, v22, v35
	v_fma_f32 v22, v4, v22, v36
	;; [unrolled: 1-line block ×6, first 2 shown]
	v_mul_f32_e32 v4, v4, v22
	v_fmac_f32_e32 v3, v3, v4
	v_sub_f32_e32 v4, 0x3fc90fdb, v3
	v_cndmask_b32_e64 v3, v3, v4, s[10:11]
	v_sub_f32_e32 v4, 0x40490fdb, v3
	v_cmp_gt_f32_e32 vcc, 0, v18
	v_cmp_gt_i32_e64 s[12:13], 0, v18
	v_cndmask_b32_e32 v3, v3, v4, vcc
	v_cndmask_b32_e64 v4, 0, v43, s[12:13]
	v_cmp_eq_f32_e64 s[12:13], 0, v19
	v_cndmask_b32_e64 v3, v3, v4, s[12:13]
	v_cmp_class_f32_e64 s[12:13], v18, s52
	v_cmp_class_f32_e64 s[38:39], v19, s52
	v_cndmask_b32_e32 v4, v44, v45, vcc
	s_and_b64 vcc, s[38:39], s[12:13]
	v_cndmask_b32_e32 v3, v3, v4, vcc
.LBB199_132:                            ;   in Loop: Header=BB199_4 Depth=1
	s_or_b64 exec, exec, s[36:37]
.LBB199_133:                            ;   in Loop: Header=BB199_4 Depth=1
	s_or_b64 exec, exec, s[34:35]
.LBB199_134:                            ;   in Loop: Header=BB199_4 Depth=1
	s_andn2_saveexec_b64 s[30:31], s[30:31]
	s_cbranch_execz .LBB199_136
; %bb.135:                              ;   in Loop: Header=BB199_4 Depth=1
	v_max_f32_e64 v3, |v19|, |v19|
	v_max_f32_e64 v4, |v18|, |v18|
	v_max_f32_e32 v22, v4, v3
	v_cvt_f64_f32_e32 v[26:27], v22
	v_frexp_exp_i32_f64_e32 v24, v[26:27]
	v_sub_u32_e32 v26, 0, v24
	v_ldexp_f32 v27, |v18|, v26
	v_ldexp_f32 v26, |v19|, v26
	v_mul_f32_e32 v26, v26, v26
	v_fmac_f32_e32 v26, v27, v27
	v_sqrt_f32_e32 v26, v26
	v_cmp_neq_f32_e32 vcc, s50, v22
	v_min_f32_e32 v3, v4, v3
	v_frexp_mant_f32_e32 v4, v22
	v_ldexp_f32 v24, v26, v24
	v_cndmask_b32_e32 v24, v48, v24, vcc
	v_cmp_gt_f32_e32 vcc, s54, v24
	v_cndmask_b32_e32 v26, 1.0, v46, vcc
	v_mul_f32_e32 v24, v24, v26
	v_log_f32_e32 v24, v24
	v_rcp_f32_e32 v4, v4
	v_cndmask_b32_e32 v26, 0, v47, vcc
	v_frexp_exp_i32_f32_e32 v22, v22
	v_mul_f32_e32 v27, 0x3f317217, v24
	v_fma_f32 v28, v24, s55, -v27
	v_fmac_f32_e32 v28, 0x3377d1cf, v24
	v_add_f32_e32 v27, v27, v28
	v_cmp_lt_f32_e64 vcc, |v24|, s50
	v_cndmask_b32_e32 v24, v24, v27, vcc
	v_sub_f32_e32 v27, v24, v26
	v_frexp_exp_i32_f32_e32 v24, v3
	v_frexp_mant_f32_e32 v3, v3
	v_mul_f32_e32 v3, v3, v4
	v_sub_u32_e32 v4, v24, v22
	v_ldexp_f32 v3, v3, v4
	v_mul_f32_e32 v4, v3, v3
	v_mov_b32_e32 v22, 0xbc7a590c
	v_fmac_f32_e32 v22, 0x3b2d2a58, v4
	v_fma_f32 v22, v4, v22, v35
	v_fma_f32 v22, v4, v22, v36
	;; [unrolled: 1-line block ×6, first 2 shown]
	v_mul_f32_e32 v4, v4, v22
	v_fmac_f32_e32 v3, v3, v4
	v_sub_f32_e32 v4, 0x3fc90fdb, v3
	v_cndmask_b32_e64 v3, v3, v4, s[10:11]
	v_sub_f32_e32 v4, 0x40490fdb, v3
	v_cmp_gt_f32_e32 vcc, 0, v18
	v_cmp_gt_i32_e64 s[12:13], 0, v18
	v_cndmask_b32_e32 v3, v3, v4, vcc
	v_cndmask_b32_e64 v4, 0, v43, s[12:13]
	v_cmp_eq_f32_e64 s[12:13], 0, v19
	v_cndmask_b32_e64 v3, v3, v4, s[12:13]
	v_cmp_class_f32_e64 s[12:13], v18, s52
	v_cmp_class_f32_e64 s[34:35], v19, s52
	v_cndmask_b32_e32 v4, v44, v45, vcc
	s_and_b64 vcc, s[34:35], s[12:13]
	v_cndmask_b32_e32 v3, v3, v4, vcc
.LBB199_136:                            ;   in Loop: Header=BB199_4 Depth=1
	s_or_b64 exec, exec, s[30:31]
                                        ; implicit-def: $vgpr28
.LBB199_137:                            ;   in Loop: Header=BB199_4 Depth=1
	s_andn2_saveexec_b64 s[28:29], s[28:29]
	s_cbranch_execz .LBB199_143
; %bb.138:                              ;   in Loop: Header=BB199_4 Depth=1
	v_cmp_ngt_f32_e32 vcc, s56, v28
                                        ; implicit-def: $vgpr27
                                        ; implicit-def: $vgpr3
	s_and_saveexec_b64 s[12:13], vcc
	s_xor_b64 s[30:31], exec, s[12:13]
	s_cbranch_execz .LBB199_140
; %bb.139:                              ;   in Loop: Header=BB199_4 Depth=1
	v_pk_mul_f32 v[26:27], v[28:29], v[28:29]
	v_add_f32_e32 v29, 1.0, v26
	v_add_f32_e32 v27, -1.0, v29
	v_mov_b32_e32 v28, v27
	v_pk_add_f32 v[30:31], v[26:27], v[28:29] neg_lo:[0,1] neg_hi:[0,1]
	v_add_f32_e32 v3, 1.0, v31
	v_add_f32_e32 v3, v30, v3
	v_frexp_mant_f32_e32 v4, v29
	v_cvt_f64_f32_e32 v[30:31], v29
	v_frexp_exp_i32_f64_e32 v22, v[30:31]
	v_cmp_gt_f32_e32 vcc, s48, v4
	v_subbrev_co_u32_e32 v4, vcc, 0, v22, vcc
	v_sub_u32_e32 v22, 0, v4
	v_ldexp_f32 v24, v29, v22
	v_ldexp_f32 v3, v3, v22
	v_add_f32_e32 v22, -1.0, v24
	v_add_f32_e32 v28, 1.0, v24
	v_add_f32_e32 v27, 1.0, v22
	v_add_f32_e32 v29, -1.0, v28
	v_sub_f32_e32 v27, v24, v27
	v_sub_f32_e32 v24, v24, v29
	v_add_f32_e32 v27, v3, v27
	v_add_f32_e32 v3, v3, v24
	v_add_f32_e32 v24, v28, v3
	v_rcp_f32_e32 v49, v24
	v_add_f32_e32 v29, v22, v27
	v_sub_f32_e32 v22, v22, v29
	v_add_f32_e32 v22, v27, v22
	v_mul_f32_e32 v27, v29, v49
	v_sub_f32_e32 v28, v28, v24
	v_mul_f32_e32 v30, v24, v27
	v_add_f32_e32 v3, v3, v28
	v_fma_f32 v50, v27, v24, -v30
	v_fmac_f32_e32 v50, v27, v3
	v_add_f32_e32 v28, v30, v50
	v_sub_f32_e32 v31, v29, v28
	v_pk_add_f32 v[52:53], v[28:29], v[30:31] neg_lo:[0,1] neg_hi:[0,1]
	v_mov_b32_e32 v51, v28
	v_pk_add_f32 v[28:29], v[52:53], v[50:51] neg_lo:[0,1] neg_hi:[0,1]
	v_add_f32_e32 v22, v22, v29
	v_add_f32_e32 v22, v28, v22
	;; [unrolled: 1-line block ×3, first 2 shown]
	v_mul_f32_e32 v54, v49, v29
	v_mul_f32_e32 v30, v24, v54
	v_fma_f32 v50, v54, v24, -v30
	v_fmac_f32_e32 v50, v54, v3
	v_add_f32_e32 v28, v30, v50
	v_sub_f32_e32 v3, v31, v29
	v_sub_f32_e32 v31, v29, v28
	v_pk_add_f32 v[52:53], v[28:29], v[30:31] neg_lo:[0,1] neg_hi:[0,1]
	v_mov_b32_e32 v51, v28
	v_add_f32_e32 v3, v22, v3
	v_pk_add_f32 v[28:29], v[52:53], v[50:51] neg_lo:[0,1] neg_hi:[0,1]
	v_add_f32_e32 v3, v3, v29
	v_add_f32_e32 v3, v28, v3
	;; [unrolled: 1-line block ×4, first 2 shown]
	v_sub_f32_e32 v24, v22, v27
	v_mul_f32_e32 v3, v49, v3
	v_sub_f32_e32 v24, v54, v24
	v_add_f32_e32 v24, v24, v3
	v_add_f32_e32 v27, v22, v24
	v_cvt_f32_i32_e32 v28, v4
	v_mul_f32_e32 v29, v27, v27
	v_mov_b32_e32 v3, 0x3ecc95a3
	v_fmac_f32_e32 v3, 0x3e9b6dac, v29
	v_fma_f32 v3, v29, v3, v34
	v_mul_f32_e32 v29, v27, v29
	v_pk_mul_f32 v[50:51], v[28:29], v[2:3]
	v_fma_f32 v30, v28, s49, -v50
	v_ldexp_f32 v31, v27, 1
	v_fmac_f32_e32 v30, 0xb102e308, v28
	v_sub_f32_e32 v4, v27, v22
	v_pk_add_f32 v[28:29], v[50:51], v[30:31]
	v_sub_f32_e32 v4, v24, v4
	v_sub_f32_e32 v3, v29, v31
	v_ldexp_f32 v4, v4, 1
	v_sub_f32_e32 v3, v51, v3
	v_add_f32_e32 v53, v4, v3
	v_mov_b32_e32 v52, v50
	v_pk_add_f32 v[50:51], v[28:29], v[50:51] neg_lo:[0,1] neg_hi:[0,1]
	v_pk_add_f32 v[54:55], v[28:29], v[52:53]
	v_mov_b32_e32 v51, v55
	v_mov_b32_e32 v31, v28
	v_pk_add_f32 v[56:57], v[30:31], v[50:51] neg_lo:[0,1] neg_hi:[0,1]
	v_pk_add_f32 v[30:31], v[30:31], v[50:51]
	v_mov_b32_e32 v4, v31
	v_pk_add_f32 v[50:51], v[4:5], v[28:29] neg_lo:[0,1] neg_hi:[0,1]
	v_mov_b32_e32 v3, v50
	v_pk_add_f32 v[58:59], v[54:55], v[2:3] neg_lo:[0,1] neg_hi:[0,1]
	v_mov_b32_e32 v30, v55
	v_mov_b32_e32 v54, v29
	;; [unrolled: 1-line block ×4, first 2 shown]
	v_pk_add_f32 v[30:31], v[30:31], v[54:55] neg_lo:[0,1] neg_hi:[0,1]
	v_mov_b32_e32 v50, v53
	v_mov_b32_e32 v51, v28
	v_pk_add_f32 v[28:29], v[50:51], v[30:31] neg_lo:[0,1] neg_hi:[0,1]
	v_mov_b32_e32 v58, v56
	v_pk_add_f32 v[30:31], v[58:59], v[28:29]
	v_mov_b32_e32 v22, v31
	v_pk_add_f32 v[50:51], v[30:31], v[22:23]
	v_pk_add_f32 v[52:53], v[4:5], v[50:51]
	v_mov_b32_e32 v31, v52
	v_pk_add_f32 v[54:55], v[30:31], v[56:57] neg_lo:[0,1] neg_hi:[0,1]
	v_mov_b32_e32 v29, v50
	v_sub_f32_e32 v3, v30, v54
	v_pk_add_f32 v[28:29], v[28:29], v[54:55] neg_lo:[0,1] neg_hi:[0,1]
	v_sub_f32_e32 v3, v56, v3
	v_add_f32_e32 v3, v28, v3
	v_add_f32_e32 v3, v3, v29
	v_cmp_eq_f32_e32 vcc, s50, v26
	v_cmp_lt_f32_e64 s[12:13], |v26|, s51
	v_add_f32_e32 v3, v52, v3
	s_or_b64 vcc, vcc, s[12:13]
	v_cndmask_b32_e32 v3, v3, v26, vcc
	v_mul_f32_e32 v27, 0.5, v3
	v_max_f32_e64 v3, |v19|, |v19|
	v_max_f32_e64 v4, |v18|, |v18|
	v_min_f32_e32 v22, v4, v3
	v_max_f32_e32 v3, v4, v3
	v_frexp_mant_f32_e32 v4, v3
	v_rcp_f32_e32 v4, v4
	v_frexp_exp_i32_f32_e32 v3, v3
	v_frexp_exp_i32_f32_e32 v24, v22
	v_frexp_mant_f32_e32 v22, v22
	v_mul_f32_e32 v4, v22, v4
	v_sub_u32_e32 v3, v24, v3
	v_ldexp_f32 v3, v4, v3
	v_mul_f32_e32 v4, v3, v3
	v_mov_b32_e32 v22, 0xbc7a590c
	v_fmac_f32_e32 v22, 0x3b2d2a58, v4
	v_fma_f32 v22, v4, v22, v35
	v_fma_f32 v22, v4, v22, v36
	;; [unrolled: 1-line block ×6, first 2 shown]
	v_mul_f32_e32 v4, v4, v22
	v_fmac_f32_e32 v3, v3, v4
	v_sub_f32_e32 v4, 0x3fc90fdb, v3
	v_cndmask_b32_e64 v3, v3, v4, s[10:11]
	v_sub_f32_e32 v4, 0x40490fdb, v3
	v_cmp_gt_f32_e32 vcc, 0, v18
	v_cmp_gt_i32_e64 s[12:13], 0, v18
	v_cndmask_b32_e32 v3, v3, v4, vcc
	v_cndmask_b32_e64 v4, 0, v43, s[12:13]
	v_cmp_eq_f32_e64 s[12:13], 0, v19
	v_cndmask_b32_e64 v3, v3, v4, s[12:13]
	v_cmp_class_f32_e64 s[12:13], v18, s52
	v_cmp_class_f32_e64 s[34:35], v19, s52
	v_cndmask_b32_e32 v4, v44, v45, vcc
	s_and_b64 vcc, s[34:35], s[12:13]
	v_cndmask_b32_e32 v3, v3, v4, vcc
                                        ; implicit-def: $vgpr28
.LBB199_140:                            ;   in Loop: Header=BB199_4 Depth=1
	s_andn2_saveexec_b64 s[30:31], s[30:31]
	s_cbranch_execz .LBB199_142
; %bb.141:                              ;   in Loop: Header=BB199_4 Depth=1
	v_mul_f32_e32 v3, 0.5, v28
	v_mul_f32_e32 v27, v28, v3
	v_max_f32_e64 v3, |v19|, |v19|
	v_max_f32_e64 v4, |v18|, |v18|
	v_min_f32_e32 v22, v4, v3
	v_max_f32_e32 v3, v4, v3
	v_frexp_mant_f32_e32 v4, v3
	v_rcp_f32_e32 v4, v4
	v_frexp_exp_i32_f32_e32 v3, v3
	v_frexp_exp_i32_f32_e32 v24, v22
	v_frexp_mant_f32_e32 v22, v22
	v_mul_f32_e32 v4, v22, v4
	v_sub_u32_e32 v3, v24, v3
	v_ldexp_f32 v3, v4, v3
	v_mul_f32_e32 v4, v3, v3
	v_mov_b32_e32 v22, 0xbc7a590c
	v_fmac_f32_e32 v22, 0x3b2d2a58, v4
	v_fma_f32 v22, v4, v22, v35
	v_fma_f32 v22, v4, v22, v36
	v_fma_f32 v22, v4, v22, v37
	v_fma_f32 v22, v4, v22, v38
	v_fma_f32 v22, v4, v22, v39
	v_fma_f32 v22, v4, v22, v40
	v_mul_f32_e32 v4, v4, v22
	v_fmac_f32_e32 v3, v3, v4
	v_sub_f32_e32 v4, 0x3fc90fdb, v3
	v_cndmask_b32_e64 v3, v3, v4, s[10:11]
	v_sub_f32_e32 v4, 0x40490fdb, v3
	v_cmp_gt_f32_e32 vcc, 0, v18
	v_cmp_gt_i32_e64 s[12:13], 0, v18
	v_cndmask_b32_e32 v3, v3, v4, vcc
	v_cndmask_b32_e64 v4, 0, v43, s[12:13]
	v_cmp_eq_f32_e64 s[12:13], 0, v19
	v_cndmask_b32_e64 v3, v3, v4, s[12:13]
	v_cmp_class_f32_e64 s[12:13], v18, s52
	v_cmp_class_f32_e64 s[34:35], v19, s52
	v_cndmask_b32_e32 v4, v44, v45, vcc
	s_and_b64 vcc, s[34:35], s[12:13]
	v_cndmask_b32_e32 v3, v3, v4, vcc
.LBB199_142:                            ;   in Loop: Header=BB199_4 Depth=1
	s_or_b64 exec, exec, s[30:31]
.LBB199_143:                            ;   in Loop: Header=BB199_4 Depth=1
	s_or_b64 exec, exec, s[28:29]
.LBB199_144:                            ;   in Loop: Header=BB199_4 Depth=1
	s_andn2_saveexec_b64 s[26:27], s[26:27]
	s_cbranch_execz .LBB199_146
; %bb.145:                              ;   in Loop: Header=BB199_4 Depth=1
	v_div_scale_f32 v3, s[12:13], s57, s57, v18
	v_rcp_f32_e32 v4, v3
	v_div_scale_f32 v22, vcc, v18, s57, v18
	v_fma_f32 v24, -v3, v4, 1.0
	v_fmac_f32_e32 v4, v24, v4
	v_mul_f32_e32 v24, v22, v4
	v_fma_f32 v26, -v3, v24, v22
	v_fmac_f32_e32 v24, v26, v4
	v_fma_f32 v3, -v3, v24, v22
	v_div_scale_f32 v22, s[12:13], s57, s57, v19
	v_rcp_f32_e32 v26, v22
	v_div_fmas_f32 v3, v3, v4, v24
	v_div_fixup_f32 v3, v3, s57, v18
	v_fma_f32 v4, -v22, v26, 1.0
	v_fmac_f32_e32 v26, v4, v26
	v_div_scale_f32 v4, vcc, v19, s57, v19
	v_mul_f32_e32 v24, v4, v26
	v_fma_f32 v27, -v22, v24, v4
	v_fmac_f32_e32 v24, v27, v26
	v_fma_f32 v4, -v22, v24, v4
	v_div_fmas_f32 v4, v4, v26, v24
	v_div_fixup_f32 v4, v4, s57, v19
	v_max_f32_e64 v22, |v3|, |v4|
	v_cvt_f64_f32_e32 v[26:27], v22
	v_frexp_exp_i32_f64_e32 v24, v[26:27]
	v_sub_u32_e32 v26, 0, v24
	v_ldexp_f32 v4, |v4|, v26
	v_ldexp_f32 v3, |v3|, v26
	v_mul_f32_e32 v4, v4, v4
	v_fmac_f32_e32 v4, v3, v3
	v_sqrt_f32_e32 v3, v4
	v_cmp_neq_f32_e32 vcc, s50, v22
	v_ldexp_f32 v3, v3, v24
	v_cndmask_b32_e32 v3, v48, v3, vcc
	v_cmp_gt_f32_e32 vcc, s54, v3
	v_cndmask_b32_e32 v4, 1.0, v46, vcc
	v_mul_f32_e32 v3, v3, v4
	v_log_f32_e32 v3, v3
	v_mul_f32_e32 v4, 0x3f317217, v3
	v_fma_f32 v22, v3, s55, -v4
	v_fmac_f32_e32 v22, 0x3377d1cf, v3
	v_add_f32_e32 v4, v4, v22
	v_cmp_lt_f32_e64 s[12:13], |v3|, s50
	v_cndmask_b32_e64 v3, v3, v4, s[12:13]
	v_cndmask_b32_e32 v4, 0, v47, vcc
	v_sub_f32_e32 v3, v3, v4
	v_add_f32_e32 v27, 1.0, v3
	v_max_f32_e64 v3, |v19|, |v19|
	v_max_f32_e64 v4, |v18|, |v18|
	v_min_f32_e32 v22, v4, v3
	v_max_f32_e32 v3, v4, v3
	v_frexp_mant_f32_e32 v4, v3
	v_rcp_f32_e32 v4, v4
	v_frexp_exp_i32_f32_e32 v3, v3
	v_frexp_exp_i32_f32_e32 v24, v22
	v_frexp_mant_f32_e32 v22, v22
	v_mul_f32_e32 v4, v22, v4
	v_sub_u32_e32 v3, v24, v3
	v_ldexp_f32 v3, v4, v3
	v_mul_f32_e32 v4, v3, v3
	v_mov_b32_e32 v22, 0xbc7a590c
	v_fmac_f32_e32 v22, 0x3b2d2a58, v4
	v_fma_f32 v22, v4, v22, v35
	v_fma_f32 v22, v4, v22, v36
	;; [unrolled: 1-line block ×6, first 2 shown]
	v_mul_f32_e32 v4, v4, v22
	v_fmac_f32_e32 v3, v3, v4
	v_sub_f32_e32 v4, 0x3fc90fdb, v3
	v_cndmask_b32_e64 v3, v3, v4, s[10:11]
	v_sub_f32_e32 v4, 0x40490fdb, v3
	v_cmp_gt_f32_e32 vcc, 0, v18
	v_cmp_gt_i32_e64 s[10:11], 0, v18
	v_cndmask_b32_e32 v3, v3, v4, vcc
	v_cndmask_b32_e64 v4, 0, v43, s[10:11]
	v_cmp_eq_f32_e64 s[10:11], 0, v19
	v_cndmask_b32_e64 v3, v3, v4, s[10:11]
	v_cmp_class_f32_e64 s[10:11], v18, s52
	v_cmp_class_f32_e64 s[12:13], v19, s52
	v_cndmask_b32_e32 v4, v44, v45, vcc
	s_and_b64 vcc, s[12:13], s[10:11]
	v_cndmask_b32_e32 v3, v3, v4, vcc
.LBB199_146:                            ;   in Loop: Header=BB199_4 Depth=1
	s_or_b64 exec, exec, s[26:27]
	s_andn2_saveexec_b64 s[10:11], s[24:25]
	s_cbranch_execz .LBB199_116
.LBB199_147:                            ;   in Loop: Header=BB199_4 Depth=1
	v_cmp_nlt_f32_e64 s[12:13], |v18|, s58
	v_cmp_nlt_f32_e64 s[24:25], |v19|, s58
	s_or_b64 s[12:13], s[24:25], s[12:13]
                                        ; implicit-def: $vgpr3
	s_and_saveexec_b64 s[24:25], s[12:13]
	s_xor_b64 s[12:13], exec, s[24:25]
; %bb.148:                              ;   in Loop: Header=BB199_4 Depth=1
	v_pk_mul_f32 v[26:27], v[18:19], v[18:19]
	v_add_f32_e32 v3, v27, v26
; %bb.149:                              ;   in Loop: Header=BB199_4 Depth=1
	s_andn2_saveexec_b64 s[12:13], s[12:13]
; %bb.150:                              ;   in Loop: Header=BB199_4 Depth=1
	v_pk_mul_f32 v[26:27], v[18:19], 4.0 op_sel_hi:[1,0]
	v_pk_mul_f32 v[26:27], v[26:27], v[26:27]
	v_add_f32_e32 v3, v27, v26
	v_mul_f32_e32 v3, 0x3d800000, v3
; %bb.151:                              ;   in Loop: Header=BB199_4 Depth=1
	s_or_b64 exec, exec, s[12:13]
	v_cmp_gt_f32_e32 vcc, s54, v3
	v_cndmask_b32_e32 v4, 1.0, v46, vcc
	v_mul_f32_e32 v3, v3, v4
	v_log_f32_e32 v3, v3
	v_cndmask_b32_e32 v4, 0, v47, vcc
	v_mul_f32_e32 v18, 0x3f317217, v3
	v_fma_f32 v22, v3, s55, -v18
	v_fmac_f32_e32 v22, 0x3377d1cf, v3
	v_add_f32_e32 v18, v18, v22
	v_cmp_lt_f32_e64 vcc, |v3|, s50
	v_cndmask_b32_e32 v3, v3, v18, vcc
	v_sub_f32_e32 v27, v3, v4
	v_mov_b32_e32 v3, 0x7fc00000
	s_or_b64 exec, exec, s[10:11]
	s_and_saveexec_b64 s[10:11], s[0:1]
	s_xor_b64 s[0:1], exec, s[10:11]
	s_cbranch_execz .LBB199_117
.LBB199_152:                            ;   in Loop: Header=BB199_4 Depth=1
	v_bfi_b32 v20, s44, v20, v15
	v_mov_b32_e32 v28, v21
	v_mov_b32_e32 v29, v20
	v_pk_fma_f32 v[30:31], v[20:21], 0, v[28:29] op_sel_hi:[1,0,1]
	v_pk_fma_f32 v[20:21], v[20:21], 0, v[28:29] op_sel_hi:[1,0,1] neg_lo:[1,0,0] neg_hi:[1,0,0]
	v_mov_b32_e32 v31, v21
	v_mov_b32_e32 v4, s23
	v_add_co_u32_e32 v6, vcc, s33, v6
	v_pk_mul_f32 v[20:21], v[30:31], s[22:23] op_sel_hi:[1,0]
	v_addc_co_u32_e32 v7, vcc, v4, v7, vcc
	global_store_dwordx2 v[6:7], v[20:21], off
	s_or_b64 exec, exec, s[0:1]
	s_and_saveexec_b64 s[0:1], s[2:3]
	s_cbranch_execz .LBB199_118
.LBB199_153:                            ;   in Loop: Header=BB199_4 Depth=1
	v_bfi_b32 v22, s44, v14, v17
	v_mov_b32_e32 v6, v23
	v_mov_b32_e32 v7, v22
	v_pk_fma_f32 v[14:15], v[22:23], 0, v[6:7] op_sel_hi:[1,0,1]
	v_pk_fma_f32 v[6:7], v[22:23], 0, v[6:7] op_sel_hi:[1,0,1] neg_lo:[1,0,0] neg_hi:[1,0,0]
	v_mov_b32_e32 v15, v7
	v_mov_b32_e32 v4, s23
	v_add_co_u32_e32 v8, vcc, s33, v8
	v_pk_mul_f32 v[6:7], v[14:15], s[22:23] op_sel_hi:[1,0]
	v_addc_co_u32_e32 v9, vcc, v4, v9, vcc
	global_store_dwordx2 v[8:9], v[6:7], off
	s_or_b64 exec, exec, s[0:1]
	s_and_saveexec_b64 s[0:1], s[6:7]
	s_cbranch_execz .LBB199_119
.LBB199_154:                            ;   in Loop: Header=BB199_4 Depth=1
	v_bfi_b32 v24, s44, v16, v5
	v_mov_b32_e32 v4, v25
	v_mov_b32_e32 v5, v24
	v_pk_fma_f32 v[6:7], v[24:25], 0, v[4:5] op_sel_hi:[1,0,1]
	v_pk_fma_f32 v[4:5], v[24:25], 0, v[4:5] op_sel_hi:[1,0,1] neg_lo:[1,0,0] neg_hi:[1,0,0]
	v_mov_b32_e32 v7, v5
	v_pk_mul_f32 v[4:5], v[6:7], s[22:23] op_sel_hi:[1,0]
	v_mov_b32_e32 v7, s23
	v_add_co_u32_e32 v6, vcc, s33, v10
	v_addc_co_u32_e32 v7, vcc, v7, v11, vcc
	global_store_dwordx2 v[6:7], v[4:5], off
	s_or_b64 exec, exec, s[0:1]
	s_and_saveexec_b64 s[0:1], s[8:9]
	s_cbranch_execz .LBB199_3
.LBB199_155:                            ;   in Loop: Header=BB199_4 Depth=1
	v_bfi_b32 v26, s44, v3, v19
	v_mov_b32_e32 v4, v27
	v_mov_b32_e32 v5, v26
	v_pk_fma_f32 v[6:7], v[26:27], 0, v[4:5] op_sel_hi:[1,0,1]
	v_pk_fma_f32 v[4:5], v[26:27], 0, v[4:5] op_sel_hi:[1,0,1] neg_lo:[1,0,0] neg_hi:[1,0,0]
	v_mov_b32_e32 v7, v5
	v_pk_mul_f32 v[4:5], v[6:7], s[22:23] op_sel_hi:[1,0]
	v_mov_b32_e32 v3, s23
	v_add_co_u32_e32 v6, vcc, s33, v12
	v_addc_co_u32_e32 v7, vcc, v3, v13, vcc
	global_store_dwordx2 v[6:7], v[4:5], off
	s_branch .LBB199_3
.LBB199_156:
	s_cbranch_execz .LBB199_158
	s_branch .LBB199_297
.LBB199_157:
.LBB199_158:
	v_mov_b32_e32 v3, 0
	v_lshlrev_b32_e32 v2, 2, v0
	s_mov_b32 s9, 0
	v_cmp_gt_i64_e32 vcc, s[14:15], v[2:3]
	s_and_saveexec_b64 s[0:1], vcc
	s_cbranch_execz .LBB199_297
; %bb.159:
	s_load_dword s0, s[4:5], 0xd3c
	s_mov_b32 s6, -1.0
	v_mov_b32_e32 v1, v3
	s_mov_b64 s[4:5], 0
	v_mov_b32_e32 v26, s23
	s_brev_b32 s28, -2
	s_waitcnt lgkmcnt(0)
	s_and_b32 s29, s0, 0xffff
	s_mov_b32 s30, 0x77f684df
	s_mov_b32 s7, 1.0
	s_mov_b32 s31, 0x358637bd
	s_mov_b32 s34, 0x49742400
	;; [unrolled: 1-line block ×3, first 2 shown]
	v_mov_b32_e32 v27, 0x3f2aaada
	s_mov_b32 s36, 0x3f317218
	s_mov_b32 s37, 0x7f800000
	;; [unrolled: 1-line block ×3, first 2 shown]
	v_mov_b32_e32 v28, 0x3d29fb3f
	v_mov_b32_e32 v29, 0xbd97d4d7
	;; [unrolled: 1-line block ×6, first 2 shown]
	s_movk_i32 s39, 0x204
	s_mov_b32 s40, 0x3f333333
	s_mov_b32 s41, 0x800000
	;; [unrolled: 1-line block ×5, first 2 shown]
	s_brev_b32 s45, 4
	s_mov_b32 s8, 0x3fb8aa3b
	s_mov_b64 s[10:11], 0xffff
	v_mov_b32_e32 v10, 0x3f317218
	v_mov_b32_e32 v34, 0x7fc00000
	;; [unrolled: 1-line block ×9, first 2 shown]
	s_branch .LBB199_162
.LBB199_160:                            ;   in Loop: Header=BB199_162 Depth=1
	s_or_b64 exec, exec, s[2:3]
	v_cmp_gt_f32_e32 vcc, s41, v2
	v_cndmask_b32_e32 v4, 1.0, v39, vcc
	v_mul_f32_e32 v2, v2, v4
	v_log_f32_e32 v2, v2
	v_cndmask_b32_e32 v4, 0, v40, vcc
	v_mul_f32_e32 v11, 0x3f317217, v2
	v_fma_f32 v16, v2, s42, -v11
	v_fmac_f32_e32 v16, 0x3377d1cf, v2
	v_add_f32_e32 v11, v11, v16
	v_cmp_lt_f32_e64 vcc, |v2|, s37
	v_cndmask_b32_e32 v2, v2, v11, vcc
	v_sub_f32_e32 v21, v2, v4
	v_mov_b32_e32 v2, 0x7fc00000
.LBB199_161:                            ;   in Loop: Header=BB199_162 Depth=1
	s_or_b64 exec, exec, s[0:1]
	v_bfi_b32 v20, s28, v2, v5
	v_bfi_b32 v18, s28, v8, v3
	v_mov_b32_e32 v2, v21
	v_mov_b32_e32 v3, v20
	v_pk_fma_f32 v[4:5], v[20:21], 0, v[2:3] op_sel_hi:[1,0,1]
	v_pk_fma_f32 v[2:3], v[20:21], 0, v[2:3] op_sel_hi:[1,0,1] neg_lo:[1,0,0] neg_hi:[1,0,0]
	v_mov_b32_e32 v2, s9
	v_add_co_u32_e32 v0, vcc, s29, v0
	v_addc_co_u32_e32 v1, vcc, v1, v2, vcc
	v_bfi_b32 v16, s28, v6, v9
	v_bfi_b32 v14, s28, v14, v7
	v_mov_b32_e32 v5, v3
	v_lshlrev_b64 v[2:3], 2, v[0:1]
	v_mov_b32_e32 v22, v19
	v_mov_b32_e32 v23, v18
	;; [unrolled: 1-line block ×6, first 2 shown]
	v_cmp_le_i64_e32 vcc, s[14:15], v[2:3]
	v_cmp_lt_u64_e64 s[0:1], s[10:11], v[2:3]
	v_pk_fma_f32 v[24:25], v[18:19], 0, v[22:23] op_sel_hi:[1,0,1]
	v_pk_fma_f32 v[18:19], v[18:19], 0, v[22:23] op_sel_hi:[1,0,1] neg_lo:[1,0,0] neg_hi:[1,0,0]
	v_pk_fma_f32 v[22:23], v[16:17], 0, v[8:9] op_sel_hi:[1,0,1]
	v_pk_fma_f32 v[8:9], v[16:17], 0, v[8:9] op_sel_hi:[1,0,1] neg_lo:[1,0,0] neg_hi:[1,0,0]
	;; [unrolled: 2-line block ×3, first 2 shown]
	s_or_b64 s[0:1], vcc, s[0:1]
	v_mov_b32_e32 v25, v19
	v_mov_b32_e32 v23, v9
	;; [unrolled: 1-line block ×3, first 2 shown]
	s_and_b64 s[0:1], exec, s[0:1]
	v_pk_mul_f32 v[18:19], v[24:25], s[8:9] op_sel_hi:[1,0]
	v_pk_mul_f32 v[8:9], v[22:23], s[8:9] op_sel_hi:[1,0]
	;; [unrolled: 1-line block ×4, first 2 shown]
	s_or_b64 s[4:5], s[0:1], s[4:5]
	global_store_dwordx4 v[12:13], v[6:9], off
	global_store_dwordx4 v[12:13], v[18:21], off offset:16
	s_andn2_b64 exec, exec, s[4:5]
	s_cbranch_execz .LBB199_297
.LBB199_162:                            ; =>This Loop Header: Depth=1
                                        ;     Child Loop BB199_173 Depth 2
                                        ;     Child Loop BB199_207 Depth 2
	;; [unrolled: 1-line block ×4, first 2 shown]
	v_lshlrev_b64 v[2:3], 5, v[0:1]
	v_add_co_u32_e32 v12, vcc, s33, v2
	v_addc_co_u32_e32 v13, vcc, v26, v3, vcc
	global_load_dwordx4 v[6:9], v[12:13], off
	global_load_dwordx4 v[2:5], v[12:13], off offset:16
                                        ; implicit-def: $vgpr15
                                        ; implicit-def: $vgpr14
	s_waitcnt vmcnt(1)
	v_cmp_o_f32_e32 vcc, v7, v6
	s_and_saveexec_b64 s[0:1], vcc
	s_xor_b64 s[12:13], exec, s[0:1]
	s_cbranch_execz .LBB199_190
; %bb.163:                              ;   in Loop: Header=BB199_162 Depth=1
	v_cmp_lt_f32_e64 s[0:1], |v6|, |v7|
	v_cndmask_b32_e64 v11, v7, v6, s[0:1]
	v_cmp_ngt_f32_e64 s[2:3], |v11|, s30
                                        ; implicit-def: $vgpr15
                                        ; implicit-def: $vgpr14
	s_and_saveexec_b64 s[16:17], s[2:3]
	s_xor_b64 s[16:17], exec, s[16:17]
	s_cbranch_execz .LBB199_187
; %bb.164:                              ;   in Loop: Header=BB199_162 Depth=1
	v_cndmask_b32_e64 v14, v6, v7, s[0:1]
	v_and_b32_e32 v17, 0x7fffffff, v14
	v_and_b32_e32 v16, 0x7fffffff, v11
	v_cmp_neq_f32_e32 vcc, 1.0, v17
                                        ; implicit-def: $vgpr15
                                        ; implicit-def: $vgpr14
	s_and_saveexec_b64 s[2:3], vcc
	s_xor_b64 s[18:19], exec, s[2:3]
	s_cbranch_execz .LBB199_180
; %bb.165:                              ;   in Loop: Header=BB199_162 Depth=1
	v_max_f32_e32 v11, v16, v16
	v_max_f32_e32 v14, v17, v17
	v_min_f32_e32 v15, v14, v11
	v_max_f32_e32 v11, v14, v11
	v_cmp_ngt_f32_e32 vcc, s31, v15
	v_cmp_nlt_f32_e64 s[2:3], s34, v11
	s_and_b64 s[2:3], s[2:3], vcc
                                        ; implicit-def: $vgpr15
                                        ; implicit-def: $vgpr14
	s_and_saveexec_b64 s[20:21], s[2:3]
	s_xor_b64 s[20:21], exec, s[20:21]
	s_cbranch_execz .LBB199_177
; %bb.166:                              ;   in Loop: Header=BB199_162 Depth=1
	v_cmp_le_f32_e32 vcc, 1.0, v17
                                        ; implicit-def: $vgpr15
                                        ; implicit-def: $vgpr14
	s_and_saveexec_b64 s[2:3], vcc
	s_xor_b64 s[22:23], exec, s[2:3]
	s_cbranch_execz .LBB199_168
; %bb.167:                              ;   in Loop: Header=BB199_162 Depth=1
	v_pk_add_f32 v[14:15], v[16:17], s[6:7] op_sel:[1,0]
	v_mov_b32_e32 v18, v15
	v_pk_mul_f32 v[14:15], v[14:15], v[18:19]
	v_pk_fma_f32 v[14:15], v[16:17], v[16:17], v[14:15]
	v_add_f32_e32 v17, 1.0, v14
	v_add_f32_e32 v15, -1.0, v17
	v_mov_b32_e32 v16, v15
	v_pk_add_f32 v[18:19], v[14:15], v[16:17] neg_lo:[0,1] neg_hi:[0,1]
	v_add_f32_e32 v11, 1.0, v19
	v_add_f32_e32 v11, v18, v11
	v_frexp_mant_f32_e32 v15, v17
	v_cvt_f64_f32_e32 v[18:19], v17
	v_frexp_exp_i32_f64_e32 v16, v[18:19]
	v_cmp_gt_f32_e32 vcc, s35, v15
	v_subbrev_co_u32_e32 v15, vcc, 0, v16, vcc
	v_sub_u32_e32 v16, 0, v15
	v_ldexp_f32 v17, v17, v16
	v_ldexp_f32 v11, v11, v16
	v_add_f32_e32 v16, -1.0, v17
	v_add_f32_e32 v19, 1.0, v17
	v_add_f32_e32 v18, 1.0, v16
	v_add_f32_e32 v20, -1.0, v19
	v_sub_f32_e32 v18, v17, v18
	v_sub_f32_e32 v17, v17, v20
	v_add_f32_e32 v18, v11, v18
	v_add_f32_e32 v11, v11, v17
	;; [unrolled: 1-line block ×3, first 2 shown]
	v_rcp_f32_e32 v25, v24
	v_sub_f32_e32 v17, v24, v19
	v_sub_f32_e32 v11, v11, v17
	v_add_f32_e32 v17, v16, v18
	v_sub_f32_e32 v16, v17, v16
	v_mul_f32_e32 v43, v17, v25
	v_sub_f32_e32 v42, v18, v16
	v_mul_f32_e32 v18, v24, v43
	v_fma_f32 v20, v43, v24, -v18
	v_fmac_f32_e32 v20, v43, v11
	v_add_f32_e32 v16, v18, v20
	v_sub_f32_e32 v19, v17, v16
	v_pk_add_f32 v[22:23], v[16:17], v[18:19] neg_lo:[0,1] neg_hi:[0,1]
	v_mov_b32_e32 v21, v16
	v_pk_add_f32 v[16:17], v[22:23], v[20:21] neg_lo:[0,1] neg_hi:[0,1]
	v_add_f32_e32 v17, v42, v17
	v_add_f32_e32 v16, v16, v17
	v_add_f32_e32 v17, v19, v16
	v_mul_f32_e32 v42, v25, v17
	v_mul_f32_e32 v18, v24, v42
	v_fma_f32 v20, v42, v24, -v18
	v_fmac_f32_e32 v20, v42, v11
	v_sub_f32_e32 v11, v19, v17
	v_add_f32_e32 v11, v16, v11
	v_add_f32_e32 v16, v18, v20
	v_sub_f32_e32 v19, v17, v16
	v_pk_add_f32 v[22:23], v[16:17], v[18:19] neg_lo:[0,1] neg_hi:[0,1]
	v_mov_b32_e32 v21, v16
	v_pk_add_f32 v[16:17], v[22:23], v[20:21] neg_lo:[0,1] neg_hi:[0,1]
	v_add_f32_e32 v11, v11, v17
	v_add_f32_e32 v11, v16, v11
	v_add_f32_e32 v17, v43, v42
	v_add_f32_e32 v11, v19, v11
	v_sub_f32_e32 v16, v17, v43
	v_mul_f32_e32 v11, v25, v11
	v_sub_f32_e32 v16, v42, v16
	v_add_f32_e32 v18, v16, v11
	v_add_f32_e32 v20, v17, v18
	v_cvt_f32_i32_e32 v16, v15
	v_mul_f32_e32 v21, v20, v20
	v_mov_b32_e32 v11, 0x3ecc95a3
	v_fmac_f32_e32 v11, 0x3e9b6dac, v21
	v_fma_f32 v11, v21, v11, v27
	v_sub_f32_e32 v15, v20, v17
	v_mul_f32_e32 v17, v20, v21
	v_ldexp_f32 v19, v20, 1
	v_pk_mul_f32 v[20:21], v[16:17], v[10:11]
	v_sub_f32_e32 v15, v18, v15
	v_fma_f32 v18, v16, s36, -v20
	v_fmac_f32_e32 v18, 0xb102e308, v16
	v_pk_add_f32 v[16:17], v[20:21], v[18:19]
	v_sub_f32_e32 v11, v17, v19
	v_ldexp_f32 v15, v15, 1
	v_sub_f32_e32 v11, v21, v11
	v_add_f32_e32 v23, v15, v11
	v_mov_b32_e32 v22, v20
	v_pk_add_f32 v[20:21], v[16:17], v[20:21] neg_lo:[0,1] neg_hi:[0,1]
	v_pk_add_f32 v[24:25], v[16:17], v[22:23]
	v_mov_b32_e32 v21, v25
	v_mov_b32_e32 v19, v16
	v_pk_add_f32 v[42:43], v[18:19], v[20:21] neg_lo:[0,1] neg_hi:[0,1]
	v_pk_add_f32 v[18:19], v[18:19], v[20:21]
	v_mov_b32_e32 v20, v19
	v_pk_add_f32 v[44:45], v[20:21], v[16:17] neg_lo:[0,1] neg_hi:[0,1]
	v_mov_b32_e32 v11, v44
	v_pk_add_f32 v[46:47], v[24:25], v[10:11] neg_lo:[0,1] neg_hi:[0,1]
	v_mov_b32_e32 v18, v25
	v_mov_b32_e32 v24, v17
	;; [unrolled: 1-line block ×4, first 2 shown]
	v_pk_add_f32 v[18:19], v[18:19], v[24:25] neg_lo:[0,1] neg_hi:[0,1]
	v_mov_b32_e32 v22, v23
	v_mov_b32_e32 v23, v16
	v_pk_add_f32 v[16:17], v[22:23], v[18:19] neg_lo:[0,1] neg_hi:[0,1]
	v_mov_b32_e32 v46, v42
	v_pk_add_f32 v[18:19], v[46:47], v[16:17]
	v_mov_b32_e32 v22, v19
	v_pk_add_f32 v[22:23], v[18:19], v[22:23]
	v_pk_add_f32 v[20:21], v[20:21], v[22:23]
	v_mov_b32_e32 v19, v20
	v_pk_add_f32 v[24:25], v[18:19], v[42:43] neg_lo:[0,1] neg_hi:[0,1]
	v_mov_b32_e32 v17, v22
	v_sub_f32_e32 v11, v18, v24
	v_pk_add_f32 v[16:17], v[16:17], v[24:25] neg_lo:[0,1] neg_hi:[0,1]
	v_sub_f32_e32 v11, v42, v11
	v_add_f32_e32 v11, v16, v11
	v_add_f32_e32 v11, v11, v17
	;; [unrolled: 1-line block ×3, first 2 shown]
	v_cmp_eq_f32_e32 vcc, s37, v14
	v_cndmask_b32_e32 v11, v11, v14, vcc
	v_cmp_ngt_f32_e32 vcc, -1.0, v14
	v_cndmask_b32_e32 v11, v34, v11, vcc
	v_cmp_neq_f32_e32 vcc, -1.0, v14
	v_cndmask_b32_e32 v11, v35, v11, vcc
	v_cmp_lt_f32_e64 vcc, |v14|, s38
	v_cndmask_b32_e32 v11, v11, v14, vcc
	v_mul_f32_e32 v15, 0.5, v11
	v_max_f32_e64 v11, |v7|, |v7|
	v_max_f32_e64 v14, |v6|, |v6|
	v_min_f32_e32 v16, v14, v11
	v_max_f32_e32 v11, v14, v11
	v_frexp_mant_f32_e32 v14, v11
	v_rcp_f32_e32 v14, v14
	v_frexp_exp_i32_f32_e32 v11, v11
	v_frexp_exp_i32_f32_e32 v17, v16
	v_frexp_mant_f32_e32 v16, v16
	v_mul_f32_e32 v14, v16, v14
	v_sub_u32_e32 v11, v17, v11
	v_ldexp_f32 v11, v14, v11
	v_mul_f32_e32 v14, v11, v11
	v_mov_b32_e32 v16, 0xbc7a590c
	v_fmac_f32_e32 v16, 0x3b2d2a58, v14
	v_fma_f32 v16, v14, v16, v28
	v_fma_f32 v16, v14, v16, v29
	;; [unrolled: 1-line block ×6, first 2 shown]
	v_mul_f32_e32 v14, v14, v16
	v_fmac_f32_e32 v11, v11, v14
	v_sub_f32_e32 v14, 0x3fc90fdb, v11
	v_cndmask_b32_e64 v11, v11, v14, s[0:1]
	v_sub_f32_e32 v14, 0x40490fdb, v11
	v_cmp_gt_f32_e32 vcc, 0, v6
	v_cmp_gt_i32_e64 s[2:3], 0, v6
	v_cndmask_b32_e32 v11, v11, v14, vcc
	v_cndmask_b32_e64 v14, 0, v36, s[2:3]
	v_cmp_eq_f32_e64 s[2:3], 0, v7
	v_cndmask_b32_e64 v11, v11, v14, s[2:3]
	v_cmp_class_f32_e64 s[2:3], v6, s39
	v_cmp_class_f32_e64 s[24:25], v7, s39
	v_cndmask_b32_e32 v14, v37, v38, vcc
	s_and_b64 vcc, s[2:3], s[24:25]
	v_cndmask_b32_e32 v14, v11, v14, vcc
                                        ; implicit-def: $vgpr16_vgpr17
.LBB199_168:                            ;   in Loop: Header=BB199_162 Depth=1
	s_andn2_saveexec_b64 s[22:23], s[22:23]
	s_cbranch_execz .LBB199_176
; %bb.169:                              ;   in Loop: Header=BB199_162 Depth=1
	v_pk_mul_f32 v[14:15], v[16:17], v[16:17]
	v_add_f32_e32 v11, v15, v14
	v_cmp_ge_f32_e32 vcc, s40, v11
                                        ; implicit-def: $vgpr15
                                        ; implicit-def: $vgpr14
	s_and_saveexec_b64 s[2:3], vcc
	s_xor_b64 s[24:25], exec, s[2:3]
	s_cbranch_execz .LBB199_171
; %bb.170:                              ;   in Loop: Header=BB199_162 Depth=1
	v_cmp_gt_f32_e32 vcc, s41, v11
	v_cndmask_b32_e32 v14, 1.0, v39, vcc
	v_mul_f32_e32 v11, v11, v14
	v_log_f32_e32 v11, v11
	v_cndmask_b32_e32 v14, 0, v40, vcc
	v_cmp_gt_i32_e64 s[2:3], 0, v6
	v_cmp_class_f32_e64 s[26:27], v7, s39
	v_mul_f32_e32 v15, 0x3f317217, v11
	v_fma_f32 v16, v11, s42, -v15
	v_fmac_f32_e32 v16, 0x3377d1cf, v11
	v_add_f32_e32 v15, v15, v16
	v_cmp_lt_f32_e64 vcc, |v11|, s37
	v_cndmask_b32_e32 v11, v11, v15, vcc
	v_sub_f32_e32 v11, v11, v14
	v_mul_f32_e32 v15, 0.5, v11
	v_max_f32_e64 v11, |v7|, |v7|
	v_max_f32_e64 v14, |v6|, |v6|
	v_min_f32_e32 v16, v14, v11
	v_max_f32_e32 v11, v14, v11
	v_frexp_mant_f32_e32 v14, v11
	v_rcp_f32_e32 v14, v14
	v_frexp_exp_i32_f32_e32 v11, v11
	v_frexp_exp_i32_f32_e32 v17, v16
	v_frexp_mant_f32_e32 v16, v16
	v_mul_f32_e32 v14, v16, v14
	v_sub_u32_e32 v11, v17, v11
	v_ldexp_f32 v11, v14, v11
	v_mul_f32_e32 v14, v11, v11
	v_mov_b32_e32 v16, 0xbc7a590c
	v_fmac_f32_e32 v16, 0x3b2d2a58, v14
	v_fma_f32 v16, v14, v16, v28
	v_fma_f32 v16, v14, v16, v29
	;; [unrolled: 1-line block ×6, first 2 shown]
	v_mul_f32_e32 v14, v14, v16
	v_fmac_f32_e32 v11, v11, v14
	v_sub_f32_e32 v14, 0x3fc90fdb, v11
	v_cndmask_b32_e64 v11, v11, v14, s[0:1]
	v_sub_f32_e32 v14, 0x40490fdb, v11
	v_cmp_gt_f32_e32 vcc, 0, v6
	v_cndmask_b32_e32 v11, v11, v14, vcc
	v_cndmask_b32_e64 v14, 0, v36, s[2:3]
	v_cmp_eq_f32_e64 s[2:3], 0, v7
	v_cndmask_b32_e64 v11, v11, v14, s[2:3]
	v_cmp_class_f32_e64 s[2:3], v6, s39
	v_cndmask_b32_e32 v14, v37, v38, vcc
	s_and_b64 vcc, s[2:3], s[26:27]
	v_cndmask_b32_e32 v14, v11, v14, vcc
                                        ; implicit-def: $vgpr16_vgpr17
.LBB199_171:                            ;   in Loop: Header=BB199_162 Depth=1
	s_andn2_saveexec_b64 s[24:25], s[24:25]
	s_cbranch_execz .LBB199_175
; %bb.172:                              ;   in Loop: Header=BB199_162 Depth=1
	v_and_b32_e32 v19, 0x7fff0000, v16
	v_and_b32_e32 v18, 0x7fff0000, v17
	v_pk_add_f32 v[14:15], v[16:17], v[18:19] op_sel:[1,0] op_sel_hi:[0,1] neg_lo:[0,1] neg_hi:[0,1]
	v_and_b32_e32 v25, 0xffff0000, v15
	v_and_b32_e32 v24, 0xffff0000, v14
	v_pk_add_f32 v[42:43], v[14:15], v[24:25] neg_lo:[0,1] neg_hi:[0,1]
	v_pk_mul_f32 v[14:15], v[18:19], v[18:19]
	v_add_f32_e32 v18, v18, v18
	v_mul_f32_e32 v20, v18, v24
	v_mul_f32_e32 v22, v18, v42
	v_add_f32_e32 v18, v24, v24
	v_add_f32_e32 v19, v19, v19
	v_mul_f32_e32 v23, v18, v42
	v_add_f32_e32 v18, v25, v25
	v_mul_f32_e32 v11, v19, v25
	v_pk_mul_f32 v[16:17], v[24:25], v[24:25]
	v_mul_f32_e32 v21, v19, v43
	v_mul_f32_e32 v24, v18, v43
	v_pk_mul_f32 v[18:19], v[42:43], v[42:43]
	s_mov_b64 s[26:27], 0
.LBB199_173:                            ;   Parent Loop BB199_162 Depth=1
                                        ; =>  This Inner Loop Header: Depth=2
	v_cmp_nlt_f32_e32 vcc, v14, v15
	v_cndmask_b32_e32 v25, v14, v15, vcc
	v_cmp_nlt_f32_e64 s[2:3], v25, v20
	v_cndmask_b32_e64 v42, v25, v20, s[2:3]
	v_cndmask_b32_e32 v14, v15, v14, vcc
	s_and_b64 s[46:47], vcc, s[2:3]
	v_cmp_nlt_f32_e32 vcc, v42, v11
	v_cndmask_b32_e64 v15, v20, v25, s[2:3]
	v_cndmask_b32_e32 v25, v42, v11, vcc
	v_cmp_nlt_f32_e64 s[2:3], v25, v16
	v_cndmask_b32_e32 v20, v11, v42, vcc
	v_cndmask_b32_e64 v42, v25, v16, s[2:3]
	s_and_b64 s[48:49], vcc, s[2:3]
	v_cmp_nlt_f32_e32 vcc, v42, v17
	v_cndmask_b32_e64 v11, v16, v25, s[2:3]
	v_cndmask_b32_e32 v25, v42, v17, vcc
	v_cmp_nlt_f32_e64 s[2:3], v25, v22
	v_cndmask_b32_e32 v16, v17, v42, vcc
	v_cndmask_b32_e64 v42, v25, v22, s[2:3]
	v_cndmask_b32_e64 v17, v22, v25, s[2:3]
	s_and_b64 s[2:3], vcc, s[2:3]
	v_cmp_nlt_f32_e32 vcc, v42, v21
	v_cndmask_b32_e32 v25, v42, v21, vcc
	v_cndmask_b32_e32 v22, v21, v42, vcc
	s_and_b64 s[2:3], s[2:3], vcc
	v_cmp_nlt_f32_e32 vcc, v25, v23
	v_cndmask_b32_e32 v42, v25, v23, vcc
	v_cndmask_b32_e32 v21, v23, v25, vcc
	s_and_b64 s[2:3], s[2:3], vcc
	v_cmp_nlt_f32_e32 vcc, v42, v24
	v_cndmask_b32_e32 v25, v42, v24, vcc
	v_cndmask_b32_e32 v23, v24, v42, vcc
	s_and_b64 s[2:3], s[2:3], vcc
	v_cmp_nlt_f32_e32 vcc, v25, v18
	v_cndmask_b32_e32 v42, v25, v18, vcc
	v_cndmask_b32_e32 v24, v18, v25, vcc
	s_and_b64 s[2:3], s[2:3], vcc
	v_cmp_nlt_f32_e32 vcc, v42, v19
	s_and_b64 s[2:3], s[2:3], vcc
	s_and_b64 s[2:3], s[2:3], s[48:49]
	s_and_b64 s[2:3], s[2:3], s[46:47]
	s_and_b64 s[2:3], exec, s[2:3]
	v_cndmask_b32_e32 v18, v19, v42, vcc
	s_or_b64 s[26:27], s[2:3], s[26:27]
	v_cndmask_b32_e32 v19, v42, v19, vcc
	s_andn2_b64 exec, exec, s[26:27]
	s_cbranch_execnz .LBB199_173
; %bb.174:                              ;   in Loop: Header=BB199_162 Depth=1
	s_or_b64 exec, exec, s[26:27]
	v_add_f32_e32 v14, -1.0, v14
	v_add_f32_e32 v14, v14, v15
	v_add_f32_e32 v14, v14, v20
	;; [unrolled: 1-line block ×11, first 2 shown]
	v_add_f32_e32 v17, 1.0, v14
	v_add_f32_e32 v15, -1.0, v17
	v_mov_b32_e32 v16, v15
	v_pk_add_f32 v[18:19], v[14:15], v[16:17] neg_lo:[0,1] neg_hi:[0,1]
	v_add_f32_e32 v11, 1.0, v19
	v_add_f32_e32 v11, v18, v11
	v_frexp_mant_f32_e32 v15, v17
	v_cvt_f64_f32_e32 v[18:19], v17
	v_frexp_exp_i32_f64_e32 v16, v[18:19]
	v_cmp_gt_f32_e32 vcc, s35, v15
	v_subbrev_co_u32_e32 v15, vcc, 0, v16, vcc
	v_sub_u32_e32 v16, 0, v15
	v_ldexp_f32 v17, v17, v16
	v_ldexp_f32 v11, v11, v16
	v_add_f32_e32 v16, -1.0, v17
	v_add_f32_e32 v19, 1.0, v17
	v_add_f32_e32 v18, 1.0, v16
	v_add_f32_e32 v20, -1.0, v19
	v_sub_f32_e32 v18, v17, v18
	v_sub_f32_e32 v17, v17, v20
	v_add_f32_e32 v18, v11, v18
	v_add_f32_e32 v11, v11, v17
	;; [unrolled: 1-line block ×3, first 2 shown]
	v_rcp_f32_e32 v25, v24
	v_sub_f32_e32 v17, v24, v19
	v_sub_f32_e32 v11, v11, v17
	v_add_f32_e32 v17, v16, v18
	v_sub_f32_e32 v16, v17, v16
	v_mul_f32_e32 v43, v17, v25
	v_sub_f32_e32 v42, v18, v16
	v_mul_f32_e32 v18, v24, v43
	v_fma_f32 v20, v43, v24, -v18
	v_fmac_f32_e32 v20, v43, v11
	v_add_f32_e32 v16, v18, v20
	v_sub_f32_e32 v19, v17, v16
	v_pk_add_f32 v[22:23], v[16:17], v[18:19] neg_lo:[0,1] neg_hi:[0,1]
	v_mov_b32_e32 v21, v16
	v_pk_add_f32 v[16:17], v[22:23], v[20:21] neg_lo:[0,1] neg_hi:[0,1]
	v_add_f32_e32 v17, v42, v17
	v_add_f32_e32 v16, v16, v17
	;; [unrolled: 1-line block ×3, first 2 shown]
	v_mul_f32_e32 v42, v25, v17
	v_mul_f32_e32 v18, v24, v42
	v_fma_f32 v20, v42, v24, -v18
	v_fmac_f32_e32 v20, v42, v11
	v_sub_f32_e32 v11, v19, v17
	v_add_f32_e32 v11, v16, v11
	v_add_f32_e32 v16, v18, v20
	v_sub_f32_e32 v19, v17, v16
	v_pk_add_f32 v[22:23], v[16:17], v[18:19] neg_lo:[0,1] neg_hi:[0,1]
	v_mov_b32_e32 v21, v16
	v_pk_add_f32 v[16:17], v[22:23], v[20:21] neg_lo:[0,1] neg_hi:[0,1]
	v_add_f32_e32 v11, v11, v17
	v_add_f32_e32 v11, v16, v11
	;; [unrolled: 1-line block ×4, first 2 shown]
	v_sub_f32_e32 v16, v17, v43
	v_mul_f32_e32 v11, v25, v11
	v_sub_f32_e32 v16, v42, v16
	v_add_f32_e32 v18, v16, v11
	v_add_f32_e32 v20, v17, v18
	v_cvt_f32_i32_e32 v16, v15
	v_mul_f32_e32 v21, v20, v20
	v_mov_b32_e32 v11, 0x3ecc95a3
	v_fmac_f32_e32 v11, 0x3e9b6dac, v21
	v_fma_f32 v11, v21, v11, v27
	v_sub_f32_e32 v15, v20, v17
	v_mul_f32_e32 v17, v20, v21
	v_ldexp_f32 v19, v20, 1
	v_pk_mul_f32 v[20:21], v[16:17], v[10:11]
	v_sub_f32_e32 v15, v18, v15
	v_fma_f32 v18, v16, s36, -v20
	v_fmac_f32_e32 v18, 0xb102e308, v16
	v_pk_add_f32 v[16:17], v[20:21], v[18:19]
	v_sub_f32_e32 v11, v17, v19
	v_ldexp_f32 v15, v15, 1
	v_sub_f32_e32 v11, v21, v11
	v_add_f32_e32 v23, v15, v11
	v_mov_b32_e32 v22, v20
	v_pk_add_f32 v[20:21], v[16:17], v[20:21] neg_lo:[0,1] neg_hi:[0,1]
	v_pk_add_f32 v[24:25], v[16:17], v[22:23]
	v_mov_b32_e32 v21, v25
	v_mov_b32_e32 v19, v16
	v_pk_add_f32 v[42:43], v[18:19], v[20:21] neg_lo:[0,1] neg_hi:[0,1]
	v_pk_add_f32 v[18:19], v[18:19], v[20:21]
	v_mov_b32_e32 v20, v19
	v_pk_add_f32 v[44:45], v[20:21], v[16:17] neg_lo:[0,1] neg_hi:[0,1]
	v_mov_b32_e32 v11, v44
	v_pk_add_f32 v[46:47], v[24:25], v[10:11] neg_lo:[0,1] neg_hi:[0,1]
	v_mov_b32_e32 v18, v25
	v_mov_b32_e32 v24, v17
	;; [unrolled: 1-line block ×4, first 2 shown]
	v_pk_add_f32 v[18:19], v[18:19], v[24:25] neg_lo:[0,1] neg_hi:[0,1]
	v_mov_b32_e32 v22, v23
	v_mov_b32_e32 v23, v16
	v_pk_add_f32 v[16:17], v[22:23], v[18:19] neg_lo:[0,1] neg_hi:[0,1]
	v_mov_b32_e32 v46, v42
	v_pk_add_f32 v[18:19], v[46:47], v[16:17]
	v_mov_b32_e32 v22, v19
	v_pk_add_f32 v[22:23], v[18:19], v[22:23]
	v_pk_add_f32 v[20:21], v[20:21], v[22:23]
	v_mov_b32_e32 v19, v20
	v_pk_add_f32 v[24:25], v[18:19], v[42:43] neg_lo:[0,1] neg_hi:[0,1]
	v_mov_b32_e32 v17, v22
	v_sub_f32_e32 v11, v18, v24
	v_pk_add_f32 v[16:17], v[16:17], v[24:25] neg_lo:[0,1] neg_hi:[0,1]
	v_sub_f32_e32 v11, v42, v11
	v_add_f32_e32 v11, v16, v11
	v_add_f32_e32 v11, v11, v17
	;; [unrolled: 1-line block ×3, first 2 shown]
	v_cmp_eq_f32_e32 vcc, s37, v14
	v_cndmask_b32_e32 v11, v11, v14, vcc
	v_cmp_ngt_f32_e32 vcc, -1.0, v14
	v_cndmask_b32_e32 v11, v34, v11, vcc
	v_cmp_neq_f32_e32 vcc, -1.0, v14
	v_cndmask_b32_e32 v11, v35, v11, vcc
	v_cmp_lt_f32_e64 vcc, |v14|, s38
	v_cndmask_b32_e32 v11, v11, v14, vcc
	v_mul_f32_e32 v15, 0.5, v11
	v_max_f32_e64 v11, |v7|, |v7|
	v_max_f32_e64 v14, |v6|, |v6|
	v_min_f32_e32 v16, v14, v11
	v_max_f32_e32 v11, v14, v11
	v_frexp_mant_f32_e32 v14, v11
	v_rcp_f32_e32 v14, v14
	v_frexp_exp_i32_f32_e32 v11, v11
	v_frexp_exp_i32_f32_e32 v17, v16
	v_frexp_mant_f32_e32 v16, v16
	v_mul_f32_e32 v14, v16, v14
	v_sub_u32_e32 v11, v17, v11
	v_ldexp_f32 v11, v14, v11
	v_mul_f32_e32 v14, v11, v11
	v_mov_b32_e32 v16, 0xbc7a590c
	v_fmac_f32_e32 v16, 0x3b2d2a58, v14
	v_fma_f32 v16, v14, v16, v28
	v_fma_f32 v16, v14, v16, v29
	;; [unrolled: 1-line block ×6, first 2 shown]
	v_mul_f32_e32 v14, v14, v16
	v_fmac_f32_e32 v11, v11, v14
	v_sub_f32_e32 v14, 0x3fc90fdb, v11
	v_cndmask_b32_e64 v11, v11, v14, s[0:1]
	v_sub_f32_e32 v14, 0x40490fdb, v11
	v_cmp_gt_f32_e32 vcc, 0, v6
	v_cmp_gt_i32_e64 s[2:3], 0, v6
	v_cndmask_b32_e32 v11, v11, v14, vcc
	v_cndmask_b32_e64 v14, 0, v36, s[2:3]
	v_cmp_eq_f32_e64 s[2:3], 0, v7
	v_cndmask_b32_e64 v11, v11, v14, s[2:3]
	v_cmp_class_f32_e64 s[2:3], v6, s39
	v_cmp_class_f32_e64 s[26:27], v7, s39
	v_cndmask_b32_e32 v14, v37, v38, vcc
	s_and_b64 vcc, s[2:3], s[26:27]
	v_cndmask_b32_e32 v14, v11, v14, vcc
.LBB199_175:                            ;   in Loop: Header=BB199_162 Depth=1
	s_or_b64 exec, exec, s[24:25]
.LBB199_176:                            ;   in Loop: Header=BB199_162 Depth=1
	s_or_b64 exec, exec, s[22:23]
.LBB199_177:                            ;   in Loop: Header=BB199_162 Depth=1
	s_andn2_saveexec_b64 s[20:21], s[20:21]
	s_cbranch_execz .LBB199_179
; %bb.178:                              ;   in Loop: Header=BB199_162 Depth=1
	v_max_f32_e64 v11, |v7|, |v7|
	v_max_f32_e64 v16, |v6|, |v6|
	v_max_f32_e32 v17, v16, v11
	v_cvt_f64_f32_e32 v[14:15], v17
	v_frexp_exp_i32_f64_e32 v14, v[14:15]
	v_sub_u32_e32 v15, 0, v14
	v_ldexp_f32 v18, |v6|, v15
	v_ldexp_f32 v15, |v7|, v15
	v_mul_f32_e32 v15, v15, v15
	v_fmac_f32_e32 v15, v18, v18
	v_sqrt_f32_e32 v15, v15
	v_cmp_neq_f32_e32 vcc, s37, v17
	v_min_f32_e32 v11, v16, v11
	v_frexp_exp_i32_f32_e32 v16, v17
	v_ldexp_f32 v14, v15, v14
	v_cndmask_b32_e32 v14, v41, v14, vcc
	v_cmp_gt_f32_e32 vcc, s41, v14
	v_cndmask_b32_e32 v15, 1.0, v39, vcc
	v_mul_f32_e32 v14, v14, v15
	v_log_f32_e32 v14, v14
	v_cndmask_b32_e32 v15, 0, v40, vcc
	v_cmp_gt_i32_e64 s[2:3], 0, v6
	v_cmp_class_f32_e64 s[22:23], v7, s39
	v_mul_f32_e32 v18, 0x3f317217, v14
	v_fma_f32 v19, v14, s42, -v18
	v_fmac_f32_e32 v19, 0x3377d1cf, v14
	v_add_f32_e32 v18, v18, v19
	v_cmp_lt_f32_e64 vcc, |v14|, s37
	v_cndmask_b32_e32 v14, v14, v18, vcc
	v_sub_f32_e32 v15, v14, v15
	v_frexp_mant_f32_e32 v14, v17
	v_rcp_f32_e32 v14, v14
	v_frexp_exp_i32_f32_e32 v17, v11
	v_frexp_mant_f32_e32 v11, v11
	v_cmp_gt_f32_e32 vcc, 0, v6
	v_mul_f32_e32 v11, v11, v14
	v_sub_u32_e32 v14, v17, v16
	v_ldexp_f32 v11, v11, v14
	v_mul_f32_e32 v14, v11, v11
	v_mov_b32_e32 v16, 0xbc7a590c
	v_fmac_f32_e32 v16, 0x3b2d2a58, v14
	v_fma_f32 v16, v14, v16, v28
	v_fma_f32 v16, v14, v16, v29
	;; [unrolled: 1-line block ×6, first 2 shown]
	v_mul_f32_e32 v14, v14, v16
	v_fmac_f32_e32 v11, v11, v14
	v_sub_f32_e32 v14, 0x3fc90fdb, v11
	v_cndmask_b32_e64 v11, v11, v14, s[0:1]
	v_sub_f32_e32 v14, 0x40490fdb, v11
	v_cndmask_b32_e32 v11, v11, v14, vcc
	v_cndmask_b32_e64 v14, 0, v36, s[2:3]
	v_cmp_eq_f32_e64 s[2:3], 0, v7
	v_cndmask_b32_e64 v11, v11, v14, s[2:3]
	v_cmp_class_f32_e64 s[2:3], v6, s39
	v_cndmask_b32_e32 v14, v37, v38, vcc
	s_and_b64 vcc, s[2:3], s[22:23]
	v_cndmask_b32_e32 v14, v11, v14, vcc
.LBB199_179:                            ;   in Loop: Header=BB199_162 Depth=1
	s_or_b64 exec, exec, s[20:21]
                                        ; implicit-def: $vgpr16
.LBB199_180:                            ;   in Loop: Header=BB199_162 Depth=1
	s_andn2_saveexec_b64 s[18:19], s[18:19]
	s_cbranch_execz .LBB199_186
; %bb.181:                              ;   in Loop: Header=BB199_162 Depth=1
	v_cmp_ngt_f32_e32 vcc, s43, v16
                                        ; implicit-def: $vgpr15
                                        ; implicit-def: $vgpr14
	s_and_saveexec_b64 s[2:3], vcc
	s_xor_b64 s[20:21], exec, s[2:3]
	s_cbranch_execz .LBB199_183
; %bb.182:                              ;   in Loop: Header=BB199_162 Depth=1
	v_pk_mul_f32 v[14:15], v[16:17], v[16:17]
	v_add_f32_e32 v17, 1.0, v14
	v_add_f32_e32 v15, -1.0, v17
	v_mov_b32_e32 v16, v15
	v_pk_add_f32 v[18:19], v[14:15], v[16:17] neg_lo:[0,1] neg_hi:[0,1]
	v_add_f32_e32 v11, 1.0, v19
	v_add_f32_e32 v11, v18, v11
	v_frexp_mant_f32_e32 v15, v17
	v_cvt_f64_f32_e32 v[18:19], v17
	v_frexp_exp_i32_f64_e32 v16, v[18:19]
	v_cmp_gt_f32_e32 vcc, s35, v15
	v_subbrev_co_u32_e32 v15, vcc, 0, v16, vcc
	v_sub_u32_e32 v16, 0, v15
	v_ldexp_f32 v17, v17, v16
	v_ldexp_f32 v11, v11, v16
	v_add_f32_e32 v16, -1.0, v17
	v_add_f32_e32 v19, 1.0, v17
	v_add_f32_e32 v18, 1.0, v16
	v_add_f32_e32 v20, -1.0, v19
	v_sub_f32_e32 v18, v17, v18
	v_sub_f32_e32 v17, v17, v20
	v_add_f32_e32 v18, v11, v18
	v_add_f32_e32 v11, v11, v17
	;; [unrolled: 1-line block ×3, first 2 shown]
	v_rcp_f32_e32 v25, v24
	v_sub_f32_e32 v17, v19, v24
	v_add_f32_e32 v11, v11, v17
	v_add_f32_e32 v17, v16, v18
	v_sub_f32_e32 v16, v16, v17
	v_mul_f32_e32 v43, v17, v25
	v_add_f32_e32 v42, v18, v16
	v_mul_f32_e32 v18, v24, v43
	v_fma_f32 v20, v43, v24, -v18
	v_fmac_f32_e32 v20, v43, v11
	v_add_f32_e32 v16, v18, v20
	v_sub_f32_e32 v19, v17, v16
	v_pk_add_f32 v[22:23], v[16:17], v[18:19] neg_lo:[0,1] neg_hi:[0,1]
	v_mov_b32_e32 v21, v16
	v_pk_add_f32 v[16:17], v[22:23], v[20:21] neg_lo:[0,1] neg_hi:[0,1]
	v_add_f32_e32 v17, v42, v17
	v_add_f32_e32 v16, v16, v17
	;; [unrolled: 1-line block ×3, first 2 shown]
	v_mul_f32_e32 v42, v25, v17
	v_mul_f32_e32 v18, v24, v42
	v_fma_f32 v20, v42, v24, -v18
	v_fmac_f32_e32 v20, v42, v11
	v_sub_f32_e32 v11, v19, v17
	v_add_f32_e32 v11, v16, v11
	v_add_f32_e32 v16, v18, v20
	v_sub_f32_e32 v19, v17, v16
	v_pk_add_f32 v[22:23], v[16:17], v[18:19] neg_lo:[0,1] neg_hi:[0,1]
	v_mov_b32_e32 v21, v16
	v_pk_add_f32 v[16:17], v[22:23], v[20:21] neg_lo:[0,1] neg_hi:[0,1]
	v_add_f32_e32 v11, v11, v17
	v_add_f32_e32 v11, v16, v11
	;; [unrolled: 1-line block ×4, first 2 shown]
	v_sub_f32_e32 v16, v17, v43
	v_mul_f32_e32 v11, v25, v11
	v_sub_f32_e32 v16, v42, v16
	v_add_f32_e32 v18, v16, v11
	v_add_f32_e32 v20, v17, v18
	v_cvt_f32_i32_e32 v16, v15
	v_mul_f32_e32 v21, v20, v20
	v_mov_b32_e32 v11, 0x3ecc95a3
	v_fmac_f32_e32 v11, 0x3e9b6dac, v21
	v_fma_f32 v11, v21, v11, v27
	v_sub_f32_e32 v15, v20, v17
	v_mul_f32_e32 v17, v20, v21
	v_ldexp_f32 v19, v20, 1
	v_pk_mul_f32 v[20:21], v[16:17], v[10:11]
	v_sub_f32_e32 v15, v18, v15
	v_fma_f32 v18, v16, s36, -v20
	v_fmac_f32_e32 v18, 0xb102e308, v16
	v_pk_add_f32 v[16:17], v[20:21], v[18:19]
	v_sub_f32_e32 v11, v17, v19
	v_ldexp_f32 v15, v15, 1
	v_sub_f32_e32 v11, v21, v11
	v_add_f32_e32 v23, v15, v11
	v_mov_b32_e32 v22, v20
	v_pk_add_f32 v[20:21], v[16:17], v[20:21] neg_lo:[0,1] neg_hi:[0,1]
	v_pk_add_f32 v[24:25], v[16:17], v[22:23]
	v_mov_b32_e32 v21, v25
	v_mov_b32_e32 v19, v16
	v_pk_add_f32 v[42:43], v[18:19], v[20:21] neg_lo:[0,1] neg_hi:[0,1]
	v_pk_add_f32 v[18:19], v[18:19], v[20:21]
	v_mov_b32_e32 v20, v19
	v_pk_add_f32 v[44:45], v[20:21], v[16:17] neg_lo:[0,1] neg_hi:[0,1]
	v_mov_b32_e32 v11, v44
	v_pk_add_f32 v[46:47], v[24:25], v[10:11] neg_lo:[0,1] neg_hi:[0,1]
	v_mov_b32_e32 v18, v25
	v_mov_b32_e32 v24, v17
	;; [unrolled: 1-line block ×4, first 2 shown]
	v_pk_add_f32 v[18:19], v[18:19], v[24:25] neg_lo:[0,1] neg_hi:[0,1]
	v_mov_b32_e32 v22, v23
	v_mov_b32_e32 v23, v16
	v_pk_add_f32 v[16:17], v[22:23], v[18:19] neg_lo:[0,1] neg_hi:[0,1]
	v_mov_b32_e32 v46, v42
	v_pk_add_f32 v[18:19], v[46:47], v[16:17]
	v_mov_b32_e32 v22, v19
	v_pk_add_f32 v[22:23], v[18:19], v[22:23]
	v_pk_add_f32 v[20:21], v[20:21], v[22:23]
	v_mov_b32_e32 v19, v20
	v_pk_add_f32 v[24:25], v[18:19], v[42:43] neg_lo:[0,1] neg_hi:[0,1]
	v_mov_b32_e32 v17, v22
	v_sub_f32_e32 v11, v18, v24
	v_pk_add_f32 v[16:17], v[16:17], v[24:25] neg_lo:[0,1] neg_hi:[0,1]
	v_sub_f32_e32 v11, v42, v11
	v_add_f32_e32 v11, v16, v11
	v_add_f32_e32 v11, v11, v17
	v_cmp_eq_f32_e32 vcc, s37, v14
	v_cmp_lt_f32_e64 s[2:3], |v14|, s38
	v_add_f32_e32 v11, v20, v11
	s_or_b64 vcc, vcc, s[2:3]
	v_cndmask_b32_e32 v11, v11, v14, vcc
	v_mul_f32_e32 v15, 0.5, v11
	v_max_f32_e64 v11, |v7|, |v7|
	v_max_f32_e64 v14, |v6|, |v6|
	v_min_f32_e32 v16, v14, v11
	v_max_f32_e32 v11, v14, v11
	v_frexp_mant_f32_e32 v14, v11
	v_rcp_f32_e32 v14, v14
	v_frexp_exp_i32_f32_e32 v11, v11
	v_frexp_exp_i32_f32_e32 v17, v16
	v_frexp_mant_f32_e32 v16, v16
	v_mul_f32_e32 v14, v16, v14
	v_sub_u32_e32 v11, v17, v11
	v_ldexp_f32 v11, v14, v11
	v_mul_f32_e32 v14, v11, v11
	v_mov_b32_e32 v16, 0xbc7a590c
	v_fmac_f32_e32 v16, 0x3b2d2a58, v14
	v_fma_f32 v16, v14, v16, v28
	v_fma_f32 v16, v14, v16, v29
	;; [unrolled: 1-line block ×6, first 2 shown]
	v_mul_f32_e32 v14, v14, v16
	v_fmac_f32_e32 v11, v11, v14
	v_sub_f32_e32 v14, 0x3fc90fdb, v11
	v_cndmask_b32_e64 v11, v11, v14, s[0:1]
	v_sub_f32_e32 v14, 0x40490fdb, v11
	v_cmp_gt_f32_e32 vcc, 0, v6
	v_cmp_gt_i32_e64 s[2:3], 0, v6
	v_cndmask_b32_e32 v11, v11, v14, vcc
	v_cndmask_b32_e64 v14, 0, v36, s[2:3]
	v_cmp_eq_f32_e64 s[2:3], 0, v7
	v_cndmask_b32_e64 v11, v11, v14, s[2:3]
	v_cmp_class_f32_e64 s[2:3], v6, s39
	v_cmp_class_f32_e64 s[22:23], v7, s39
	v_cndmask_b32_e32 v14, v37, v38, vcc
	s_and_b64 vcc, s[2:3], s[22:23]
	v_cndmask_b32_e32 v14, v11, v14, vcc
                                        ; implicit-def: $vgpr16
.LBB199_183:                            ;   in Loop: Header=BB199_162 Depth=1
	s_andn2_saveexec_b64 s[20:21], s[20:21]
	s_cbranch_execz .LBB199_185
; %bb.184:                              ;   in Loop: Header=BB199_162 Depth=1
	v_mul_f32_e32 v11, 0.5, v16
	v_mul_f32_e32 v15, v16, v11
	v_max_f32_e64 v11, |v7|, |v7|
	v_max_f32_e64 v14, |v6|, |v6|
	v_min_f32_e32 v16, v14, v11
	v_max_f32_e32 v11, v14, v11
	v_frexp_mant_f32_e32 v14, v11
	v_rcp_f32_e32 v14, v14
	v_frexp_exp_i32_f32_e32 v11, v11
	v_frexp_exp_i32_f32_e32 v17, v16
	v_frexp_mant_f32_e32 v16, v16
	v_mul_f32_e32 v14, v16, v14
	v_sub_u32_e32 v11, v17, v11
	v_ldexp_f32 v11, v14, v11
	v_mul_f32_e32 v14, v11, v11
	v_mov_b32_e32 v16, 0xbc7a590c
	v_fmac_f32_e32 v16, 0x3b2d2a58, v14
	v_fma_f32 v16, v14, v16, v28
	v_fma_f32 v16, v14, v16, v29
	;; [unrolled: 1-line block ×6, first 2 shown]
	v_mul_f32_e32 v14, v14, v16
	v_fmac_f32_e32 v11, v11, v14
	v_sub_f32_e32 v14, 0x3fc90fdb, v11
	v_cndmask_b32_e64 v11, v11, v14, s[0:1]
	v_sub_f32_e32 v14, 0x40490fdb, v11
	v_cmp_gt_f32_e32 vcc, 0, v6
	v_cmp_gt_i32_e64 s[2:3], 0, v6
	v_cndmask_b32_e32 v11, v11, v14, vcc
	v_cndmask_b32_e64 v14, 0, v36, s[2:3]
	v_cmp_eq_f32_e64 s[2:3], 0, v7
	v_cndmask_b32_e64 v11, v11, v14, s[2:3]
	v_cmp_class_f32_e64 s[2:3], v6, s39
	v_cmp_class_f32_e64 s[22:23], v7, s39
	v_cndmask_b32_e32 v14, v37, v38, vcc
	s_and_b64 vcc, s[2:3], s[22:23]
	v_cndmask_b32_e32 v14, v11, v14, vcc
.LBB199_185:                            ;   in Loop: Header=BB199_162 Depth=1
	s_or_b64 exec, exec, s[20:21]
.LBB199_186:                            ;   in Loop: Header=BB199_162 Depth=1
	s_or_b64 exec, exec, s[18:19]
.LBB199_187:                            ;   in Loop: Header=BB199_162 Depth=1
	s_andn2_saveexec_b64 s[16:17], s[16:17]
	s_cbranch_execz .LBB199_189
; %bb.188:                              ;   in Loop: Header=BB199_162 Depth=1
	v_div_scale_f32 v11, s[2:3], s44, s44, v6
	v_rcp_f32_e32 v14, v11
	v_div_scale_f32 v15, vcc, v6, s44, v6
	v_fma_f32 v16, -v11, v14, 1.0
	v_fmac_f32_e32 v14, v16, v14
	v_mul_f32_e32 v16, v15, v14
	v_fma_f32 v17, -v11, v16, v15
	v_fmac_f32_e32 v16, v17, v14
	v_fma_f32 v11, -v11, v16, v15
	v_div_scale_f32 v15, s[2:3], s44, s44, v7
	v_rcp_f32_e32 v17, v15
	v_div_fmas_f32 v11, v11, v14, v16
	v_div_fixup_f32 v11, v11, s44, v6
	v_fma_f32 v14, -v15, v17, 1.0
	v_fmac_f32_e32 v17, v14, v17
	v_div_scale_f32 v14, vcc, v7, s44, v7
	v_mul_f32_e32 v16, v14, v17
	v_fma_f32 v18, -v15, v16, v14
	v_fmac_f32_e32 v16, v18, v17
	v_fma_f32 v14, -v15, v16, v14
	v_div_fmas_f32 v14, v14, v17, v16
	v_div_fixup_f32 v16, v14, s44, v7
	v_max_f32_e64 v17, |v11|, |v16|
	v_cvt_f64_f32_e32 v[14:15], v17
	v_frexp_exp_i32_f64_e32 v14, v[14:15]
	v_sub_u32_e32 v15, 0, v14
	v_ldexp_f32 v11, |v11|, v15
	v_ldexp_f32 v15, |v16|, v15
	v_mul_f32_e32 v15, v15, v15
	v_fmac_f32_e32 v15, v11, v11
	v_sqrt_f32_e32 v11, v15
	v_cmp_neq_f32_e32 vcc, s37, v17
	v_ldexp_f32 v11, v11, v14
	v_cndmask_b32_e32 v11, v41, v11, vcc
	v_cmp_gt_f32_e32 vcc, s41, v11
	v_cndmask_b32_e32 v14, 1.0, v39, vcc
	v_mul_f32_e32 v11, v11, v14
	v_log_f32_e32 v11, v11
	v_mul_f32_e32 v14, 0x3f317217, v11
	v_fma_f32 v15, v11, s42, -v14
	v_fmac_f32_e32 v15, 0x3377d1cf, v11
	v_add_f32_e32 v14, v14, v15
	v_cmp_lt_f32_e64 s[2:3], |v11|, s37
	v_cndmask_b32_e64 v11, v11, v14, s[2:3]
	v_cndmask_b32_e32 v14, 0, v40, vcc
	v_sub_f32_e32 v11, v11, v14
	v_add_f32_e32 v15, 1.0, v11
	v_max_f32_e64 v11, |v7|, |v7|
	v_max_f32_e64 v14, |v6|, |v6|
	v_min_f32_e32 v16, v14, v11
	v_max_f32_e32 v11, v14, v11
	v_frexp_mant_f32_e32 v14, v11
	v_rcp_f32_e32 v14, v14
	v_frexp_exp_i32_f32_e32 v11, v11
	v_frexp_exp_i32_f32_e32 v17, v16
	v_frexp_mant_f32_e32 v16, v16
	v_mul_f32_e32 v14, v16, v14
	v_sub_u32_e32 v11, v17, v11
	v_ldexp_f32 v11, v14, v11
	v_mul_f32_e32 v14, v11, v11
	v_mov_b32_e32 v16, 0xbc7a590c
	v_fmac_f32_e32 v16, 0x3b2d2a58, v14
	v_fma_f32 v16, v14, v16, v28
	v_fma_f32 v16, v14, v16, v29
	;; [unrolled: 1-line block ×6, first 2 shown]
	v_mul_f32_e32 v14, v14, v16
	v_fmac_f32_e32 v11, v11, v14
	v_sub_f32_e32 v14, 0x3fc90fdb, v11
	v_cndmask_b32_e64 v11, v11, v14, s[0:1]
	v_sub_f32_e32 v14, 0x40490fdb, v11
	v_cmp_gt_f32_e32 vcc, 0, v6
	v_cmp_gt_i32_e64 s[0:1], 0, v6
	v_cndmask_b32_e32 v11, v11, v14, vcc
	v_cndmask_b32_e64 v14, 0, v36, s[0:1]
	v_cmp_eq_f32_e64 s[0:1], 0, v7
	v_cndmask_b32_e64 v11, v11, v14, s[0:1]
	v_cmp_class_f32_e64 s[0:1], v6, s39
	v_cmp_class_f32_e64 s[2:3], v7, s39
	v_cndmask_b32_e32 v14, v37, v38, vcc
	s_and_b64 vcc, s[0:1], s[2:3]
	v_cndmask_b32_e32 v14, v11, v14, vcc
.LBB199_189:                            ;   in Loop: Header=BB199_162 Depth=1
	s_or_b64 exec, exec, s[16:17]
.LBB199_190:                            ;   in Loop: Header=BB199_162 Depth=1
	s_andn2_saveexec_b64 s[0:1], s[12:13]
	s_cbranch_execz .LBB199_196
; %bb.191:                              ;   in Loop: Header=BB199_162 Depth=1
	v_cmp_nlt_f32_e64 s[2:3], |v6|, s45
	v_cmp_nlt_f32_e64 s[12:13], |v7|, s45
	s_or_b64 s[2:3], s[2:3], s[12:13]
                                        ; implicit-def: $vgpr11
	s_and_saveexec_b64 s[12:13], s[2:3]
	s_xor_b64 s[2:3], exec, s[12:13]
; %bb.192:                              ;   in Loop: Header=BB199_162 Depth=1
	v_pk_mul_f32 v[14:15], v[6:7], v[6:7]
	v_add_f32_e32 v11, v14, v15
; %bb.193:                              ;   in Loop: Header=BB199_162 Depth=1
	s_andn2_saveexec_b64 s[2:3], s[2:3]
; %bb.194:                              ;   in Loop: Header=BB199_162 Depth=1
	v_pk_mul_f32 v[14:15], v[6:7], 4.0 op_sel_hi:[1,0]
	v_pk_mul_f32 v[14:15], v[14:15], v[14:15]
	v_add_f32_e32 v6, v14, v15
	v_mul_f32_e32 v11, 0x3d800000, v6
; %bb.195:                              ;   in Loop: Header=BB199_162 Depth=1
	s_or_b64 exec, exec, s[2:3]
	v_cmp_gt_f32_e32 vcc, s41, v11
	v_cndmask_b32_e32 v6, 1.0, v39, vcc
	v_mul_f32_e32 v6, v11, v6
	v_log_f32_e32 v6, v6
	v_cndmask_b32_e32 v11, 0, v40, vcc
	v_mul_f32_e32 v14, 0x3f317217, v6
	v_fma_f32 v15, v6, s42, -v14
	v_fmac_f32_e32 v15, 0x3377d1cf, v6
	v_add_f32_e32 v14, v14, v15
	v_cmp_lt_f32_e64 vcc, |v6|, s37
	v_cndmask_b32_e32 v6, v6, v14, vcc
	v_sub_f32_e32 v15, v6, v11
	v_mov_b32_e32 v14, 0x7fc00000
.LBB199_196:                            ;   in Loop: Header=BB199_162 Depth=1
	s_or_b64 exec, exec, s[0:1]
	v_cmp_o_f32_e32 vcc, v9, v8
                                        ; implicit-def: $vgpr17
                                        ; implicit-def: $vgpr6
	s_and_saveexec_b64 s[0:1], vcc
	s_xor_b64 s[12:13], exec, s[0:1]
	s_cbranch_execz .LBB199_224
; %bb.197:                              ;   in Loop: Header=BB199_162 Depth=1
	v_cmp_lt_f32_e64 s[0:1], |v8|, |v9|
	v_cndmask_b32_e64 v11, v9, v8, s[0:1]
	v_cmp_ngt_f32_e64 s[2:3], |v11|, s30
                                        ; implicit-def: $vgpr17
                                        ; implicit-def: $vgpr6
	s_and_saveexec_b64 s[16:17], s[2:3]
	s_xor_b64 s[16:17], exec, s[16:17]
	s_cbranch_execz .LBB199_221
; %bb.198:                              ;   in Loop: Header=BB199_162 Depth=1
	v_cndmask_b32_e64 v6, v8, v9, s[0:1]
	v_and_b32_e32 v19, 0x7fffffff, v6
	v_and_b32_e32 v18, 0x7fffffff, v11
	v_cmp_neq_f32_e32 vcc, 1.0, v19
                                        ; implicit-def: $vgpr17
                                        ; implicit-def: $vgpr6
	s_and_saveexec_b64 s[2:3], vcc
	s_xor_b64 s[18:19], exec, s[2:3]
	s_cbranch_execz .LBB199_214
; %bb.199:                              ;   in Loop: Header=BB199_162 Depth=1
	v_max_f32_e32 v6, v18, v18
	v_max_f32_e32 v11, v19, v19
	v_min_f32_e32 v16, v11, v6
	v_max_f32_e32 v6, v11, v6
	v_cmp_ngt_f32_e32 vcc, s31, v16
	v_cmp_nlt_f32_e64 s[2:3], s34, v6
	s_and_b64 s[2:3], s[2:3], vcc
                                        ; implicit-def: $vgpr17
                                        ; implicit-def: $vgpr6
	s_and_saveexec_b64 s[20:21], s[2:3]
	s_xor_b64 s[20:21], exec, s[20:21]
	s_cbranch_execz .LBB199_211
; %bb.200:                              ;   in Loop: Header=BB199_162 Depth=1
	v_cmp_le_f32_e32 vcc, 1.0, v19
                                        ; implicit-def: $vgpr17
                                        ; implicit-def: $vgpr6
	s_and_saveexec_b64 s[2:3], vcc
	s_xor_b64 s[22:23], exec, s[2:3]
	s_cbranch_execz .LBB199_202
; %bb.201:                              ;   in Loop: Header=BB199_162 Depth=1
	v_pk_add_f32 v[16:17], v[18:19], s[6:7] op_sel:[1,0]
	v_mov_b32_e32 v6, v17
	v_pk_mul_f32 v[16:17], v[16:17], v[6:7]
	v_pk_fma_f32 v[16:17], v[18:19], v[18:19], v[16:17]
	v_add_f32_e32 v19, 1.0, v16
	v_add_f32_e32 v17, -1.0, v19
	v_mov_b32_e32 v18, v17
	v_pk_add_f32 v[20:21], v[16:17], v[18:19] neg_lo:[0,1] neg_hi:[0,1]
	v_add_f32_e32 v6, 1.0, v21
	v_add_f32_e32 v6, v20, v6
	v_frexp_mant_f32_e32 v11, v19
	v_cvt_f64_f32_e32 v[20:21], v19
	v_frexp_exp_i32_f64_e32 v17, v[20:21]
	v_cmp_gt_f32_e32 vcc, s35, v11
	v_subbrev_co_u32_e32 v17, vcc, 0, v17, vcc
	v_sub_u32_e32 v11, 0, v17
	v_ldexp_f32 v18, v19, v11
	v_ldexp_f32 v6, v6, v11
	v_add_f32_e32 v11, -1.0, v18
	v_add_f32_e32 v19, 1.0, v11
	v_sub_f32_e32 v19, v18, v19
	v_add_f32_e32 v20, v6, v19
	v_add_f32_e32 v19, 1.0, v18
	v_add_f32_e32 v21, -1.0, v19
	v_sub_f32_e32 v18, v18, v21
	v_add_f32_e32 v6, v6, v18
	v_add_f32_e32 v42, v19, v6
	v_rcp_f32_e32 v43, v42
	v_sub_f32_e32 v18, v42, v19
	v_add_f32_e32 v19, v11, v20
	v_sub_f32_e32 v11, v19, v11
	v_mul_f32_e32 v44, v19, v43
	v_sub_f32_e32 v11, v20, v11
	v_mul_f32_e32 v20, v42, v44
	v_sub_f32_e32 v6, v6, v18
	v_fma_f32 v22, v44, v42, -v20
	v_fmac_f32_e32 v22, v44, v6
	v_add_f32_e32 v18, v20, v22
	v_sub_f32_e32 v21, v19, v18
	v_pk_add_f32 v[24:25], v[18:19], v[20:21] neg_lo:[0,1] neg_hi:[0,1]
	v_mov_b32_e32 v23, v18
	v_pk_add_f32 v[18:19], v[24:25], v[22:23] neg_lo:[0,1] neg_hi:[0,1]
	v_add_f32_e32 v11, v11, v19
	v_add_f32_e32 v11, v18, v11
	;; [unrolled: 1-line block ×3, first 2 shown]
	v_mul_f32_e32 v45, v43, v19
	v_mul_f32_e32 v20, v42, v45
	v_fma_f32 v22, v45, v42, -v20
	v_fmac_f32_e32 v22, v45, v6
	v_add_f32_e32 v18, v20, v22
	v_sub_f32_e32 v6, v21, v19
	v_sub_f32_e32 v21, v19, v18
	v_pk_add_f32 v[24:25], v[18:19], v[20:21] neg_lo:[0,1] neg_hi:[0,1]
	v_mov_b32_e32 v23, v18
	v_add_f32_e32 v6, v11, v6
	v_pk_add_f32 v[18:19], v[24:25], v[22:23] neg_lo:[0,1] neg_hi:[0,1]
	v_add_f32_e32 v6, v6, v19
	v_add_f32_e32 v6, v18, v6
	;; [unrolled: 1-line block ×4, first 2 shown]
	v_sub_f32_e32 v11, v19, v44
	v_mul_f32_e32 v6, v43, v6
	v_sub_f32_e32 v11, v45, v11
	v_add_f32_e32 v6, v11, v6
	v_add_f32_e32 v20, v19, v6
	v_cvt_f32_i32_e32 v18, v17
	v_mul_f32_e32 v22, v20, v20
	v_mov_b32_e32 v11, 0x3ecc95a3
	v_fmac_f32_e32 v11, 0x3e9b6dac, v22
	v_fma_f32 v11, v22, v11, v27
	v_sub_f32_e32 v17, v20, v19
	v_mul_f32_e32 v19, v20, v22
	v_pk_mul_f32 v[22:23], v[18:19], v[10:11]
	v_ldexp_f32 v21, v20, 1
	v_fma_f32 v20, v18, s36, -v22
	v_fmac_f32_e32 v20, 0xb102e308, v18
	v_pk_add_f32 v[18:19], v[22:23], v[20:21]
	v_sub_f32_e32 v6, v6, v17
	v_sub_f32_e32 v11, v19, v21
	v_ldexp_f32 v6, v6, 1
	v_sub_f32_e32 v11, v23, v11
	v_add_f32_e32 v25, v6, v11
	v_mov_b32_e32 v24, v22
	v_pk_add_f32 v[22:23], v[18:19], v[22:23] neg_lo:[0,1] neg_hi:[0,1]
	v_pk_add_f32 v[42:43], v[18:19], v[24:25]
	v_mov_b32_e32 v23, v43
	v_mov_b32_e32 v21, v18
	v_pk_add_f32 v[44:45], v[20:21], v[22:23] neg_lo:[0,1] neg_hi:[0,1]
	v_pk_add_f32 v[20:21], v[20:21], v[22:23]
	v_mov_b32_e32 v6, v21
	v_pk_add_f32 v[22:23], v[6:7], v[18:19] neg_lo:[0,1] neg_hi:[0,1]
	v_mov_b32_e32 v11, v22
	v_pk_add_f32 v[46:47], v[42:43], v[10:11] neg_lo:[0,1] neg_hi:[0,1]
	v_mov_b32_e32 v20, v43
	v_mov_b32_e32 v42, v19
	;; [unrolled: 1-line block ×4, first 2 shown]
	v_pk_add_f32 v[20:21], v[20:21], v[42:43] neg_lo:[0,1] neg_hi:[0,1]
	v_mov_b32_e32 v22, v25
	v_mov_b32_e32 v23, v18
	v_pk_add_f32 v[18:19], v[22:23], v[20:21] neg_lo:[0,1] neg_hi:[0,1]
	v_mov_b32_e32 v46, v44
	v_pk_add_f32 v[20:21], v[46:47], v[18:19]
	v_mov_b32_e32 v22, v21
	v_pk_add_f32 v[22:23], v[20:21], v[22:23]
	v_pk_add_f32 v[24:25], v[6:7], v[22:23]
	v_mov_b32_e32 v21, v24
	v_pk_add_f32 v[42:43], v[20:21], v[44:45] neg_lo:[0,1] neg_hi:[0,1]
	v_mov_b32_e32 v19, v22
	v_sub_f32_e32 v6, v20, v42
	v_pk_add_f32 v[18:19], v[18:19], v[42:43] neg_lo:[0,1] neg_hi:[0,1]
	v_sub_f32_e32 v6, v44, v6
	v_add_f32_e32 v6, v18, v6
	v_add_f32_e32 v6, v6, v19
	;; [unrolled: 1-line block ×3, first 2 shown]
	v_cmp_eq_f32_e32 vcc, s37, v16
	v_cndmask_b32_e32 v6, v6, v16, vcc
	v_cmp_ngt_f32_e32 vcc, -1.0, v16
	v_cndmask_b32_e32 v6, v34, v6, vcc
	v_cmp_neq_f32_e32 vcc, -1.0, v16
	v_cndmask_b32_e32 v6, v35, v6, vcc
	v_cmp_lt_f32_e64 vcc, |v16|, s38
	v_cndmask_b32_e32 v6, v6, v16, vcc
	v_mul_f32_e32 v17, 0.5, v6
	v_max_f32_e64 v6, |v9|, |v9|
	v_max_f32_e64 v11, |v8|, |v8|
	v_min_f32_e32 v16, v11, v6
	v_max_f32_e32 v6, v11, v6
	v_frexp_mant_f32_e32 v11, v6
	v_rcp_f32_e32 v11, v11
	v_frexp_exp_i32_f32_e32 v6, v6
	v_frexp_exp_i32_f32_e32 v18, v16
	v_frexp_mant_f32_e32 v16, v16
	v_mul_f32_e32 v11, v16, v11
	v_sub_u32_e32 v6, v18, v6
	v_ldexp_f32 v6, v11, v6
	v_mul_f32_e32 v11, v6, v6
	v_mov_b32_e32 v16, 0xbc7a590c
	v_fmac_f32_e32 v16, 0x3b2d2a58, v11
	v_fma_f32 v16, v11, v16, v28
	v_fma_f32 v16, v11, v16, v29
	;; [unrolled: 1-line block ×6, first 2 shown]
	v_mul_f32_e32 v11, v11, v16
	v_fmac_f32_e32 v6, v6, v11
	v_sub_f32_e32 v11, 0x3fc90fdb, v6
	v_cndmask_b32_e64 v6, v6, v11, s[0:1]
	v_sub_f32_e32 v11, 0x40490fdb, v6
	v_cmp_gt_f32_e32 vcc, 0, v8
	v_cmp_gt_i32_e64 s[2:3], 0, v8
	v_cndmask_b32_e32 v6, v6, v11, vcc
	v_cndmask_b32_e64 v11, 0, v36, s[2:3]
	v_cmp_eq_f32_e64 s[2:3], 0, v9
	v_cndmask_b32_e64 v6, v6, v11, s[2:3]
	v_cmp_class_f32_e64 s[2:3], v8, s39
	v_cmp_class_f32_e64 s[24:25], v9, s39
	v_cndmask_b32_e32 v11, v37, v38, vcc
	s_and_b64 vcc, s[2:3], s[24:25]
	v_cndmask_b32_e32 v6, v6, v11, vcc
                                        ; implicit-def: $vgpr18_vgpr19
.LBB199_202:                            ;   in Loop: Header=BB199_162 Depth=1
	s_andn2_saveexec_b64 s[22:23], s[22:23]
	s_cbranch_execz .LBB199_210
; %bb.203:                              ;   in Loop: Header=BB199_162 Depth=1
	v_pk_mul_f32 v[16:17], v[18:19], v[18:19]
	v_add_f32_e32 v11, v17, v16
	v_cmp_ge_f32_e32 vcc, s40, v11
                                        ; implicit-def: $vgpr17
                                        ; implicit-def: $vgpr6
	s_and_saveexec_b64 s[2:3], vcc
	s_xor_b64 s[24:25], exec, s[2:3]
	s_cbranch_execz .LBB199_205
; %bb.204:                              ;   in Loop: Header=BB199_162 Depth=1
	v_cmp_gt_f32_e32 vcc, s41, v11
	v_cndmask_b32_e32 v6, 1.0, v39, vcc
	v_mul_f32_e32 v6, v11, v6
	v_log_f32_e32 v6, v6
	v_cndmask_b32_e32 v11, 0, v40, vcc
	v_cmp_gt_i32_e64 s[2:3], 0, v8
	v_cmp_class_f32_e64 s[26:27], v9, s39
	v_mul_f32_e32 v16, 0x3f317217, v6
	v_fma_f32 v17, v6, s42, -v16
	v_fmac_f32_e32 v17, 0x3377d1cf, v6
	v_add_f32_e32 v16, v16, v17
	v_cmp_lt_f32_e64 vcc, |v6|, s37
	v_cndmask_b32_e32 v6, v6, v16, vcc
	v_sub_f32_e32 v6, v6, v11
	v_mul_f32_e32 v17, 0.5, v6
	v_max_f32_e64 v6, |v9|, |v9|
	v_max_f32_e64 v11, |v8|, |v8|
	v_min_f32_e32 v16, v11, v6
	v_max_f32_e32 v6, v11, v6
	v_frexp_mant_f32_e32 v11, v6
	v_rcp_f32_e32 v11, v11
	v_frexp_exp_i32_f32_e32 v6, v6
	v_frexp_exp_i32_f32_e32 v18, v16
	v_frexp_mant_f32_e32 v16, v16
	v_mul_f32_e32 v11, v16, v11
	v_sub_u32_e32 v6, v18, v6
	v_ldexp_f32 v6, v11, v6
	v_mul_f32_e32 v11, v6, v6
	v_mov_b32_e32 v16, 0xbc7a590c
	v_fmac_f32_e32 v16, 0x3b2d2a58, v11
	v_fma_f32 v16, v11, v16, v28
	v_fma_f32 v16, v11, v16, v29
	;; [unrolled: 1-line block ×6, first 2 shown]
	v_mul_f32_e32 v11, v11, v16
	v_fmac_f32_e32 v6, v6, v11
	v_sub_f32_e32 v11, 0x3fc90fdb, v6
	v_cndmask_b32_e64 v6, v6, v11, s[0:1]
	v_sub_f32_e32 v11, 0x40490fdb, v6
	v_cmp_gt_f32_e32 vcc, 0, v8
	v_cndmask_b32_e32 v6, v6, v11, vcc
	v_cndmask_b32_e64 v11, 0, v36, s[2:3]
	v_cmp_eq_f32_e64 s[2:3], 0, v9
	v_cndmask_b32_e64 v6, v6, v11, s[2:3]
	v_cmp_class_f32_e64 s[2:3], v8, s39
	v_cndmask_b32_e32 v11, v37, v38, vcc
	s_and_b64 vcc, s[2:3], s[26:27]
	v_cndmask_b32_e32 v6, v6, v11, vcc
                                        ; implicit-def: $vgpr18_vgpr19
.LBB199_205:                            ;   in Loop: Header=BB199_162 Depth=1
	s_andn2_saveexec_b64 s[24:25], s[24:25]
	s_cbranch_execz .LBB199_209
; %bb.206:                              ;   in Loop: Header=BB199_162 Depth=1
	v_and_b32_e32 v21, 0x7fff0000, v18
	v_and_b32_e32 v20, 0x7fff0000, v19
	v_pk_add_f32 v[16:17], v[18:19], v[20:21] op_sel:[1,0] op_sel_hi:[0,1] neg_lo:[0,1] neg_hi:[0,1]
	v_and_b32_e32 v25, 0xffff0000, v17
	v_and_b32_e32 v24, 0xffff0000, v16
	v_pk_add_f32 v[42:43], v[16:17], v[24:25] neg_lo:[0,1] neg_hi:[0,1]
	v_pk_mul_f32 v[16:17], v[20:21], v[20:21]
	v_add_f32_e32 v20, v20, v20
	v_mul_f32_e32 v11, v20, v24
	v_mul_f32_e32 v23, v20, v42
	v_add_f32_e32 v20, v24, v24
	v_add_f32_e32 v21, v21, v21
	v_pk_mul_f32 v[18:19], v[24:25], v[24:25]
	v_mul_f32_e32 v24, v20, v42
	v_add_f32_e32 v20, v25, v25
	v_mul_f32_e32 v6, v21, v25
	v_mul_f32_e32 v22, v21, v43
	;; [unrolled: 1-line block ×3, first 2 shown]
	v_pk_mul_f32 v[20:21], v[42:43], v[42:43]
	s_mov_b64 s[26:27], 0
.LBB199_207:                            ;   Parent Loop BB199_162 Depth=1
                                        ; =>  This Inner Loop Header: Depth=2
	v_cmp_nlt_f32_e32 vcc, v16, v17
	v_cndmask_b32_e32 v42, v16, v17, vcc
	v_cmp_nlt_f32_e64 s[2:3], v42, v11
	v_cndmask_b32_e64 v43, v42, v11, s[2:3]
	v_cndmask_b32_e32 v16, v17, v16, vcc
	s_and_b64 s[46:47], vcc, s[2:3]
	v_cmp_nlt_f32_e32 vcc, v43, v6
	v_cndmask_b32_e64 v17, v11, v42, s[2:3]
	v_cndmask_b32_e32 v42, v43, v6, vcc
	v_cmp_nlt_f32_e64 s[2:3], v42, v18
	v_cndmask_b32_e32 v11, v6, v43, vcc
	v_cndmask_b32_e64 v43, v42, v18, s[2:3]
	s_and_b64 s[48:49], vcc, s[2:3]
	v_cmp_nlt_f32_e32 vcc, v43, v19
	v_cndmask_b32_e64 v6, v18, v42, s[2:3]
	v_cndmask_b32_e32 v42, v43, v19, vcc
	v_cmp_nlt_f32_e64 s[2:3], v42, v23
	v_cndmask_b32_e32 v18, v19, v43, vcc
	v_cndmask_b32_e64 v43, v42, v23, s[2:3]
	v_cndmask_b32_e64 v19, v23, v42, s[2:3]
	s_and_b64 s[2:3], vcc, s[2:3]
	v_cmp_nlt_f32_e32 vcc, v43, v22
	v_cndmask_b32_e32 v42, v43, v22, vcc
	v_cndmask_b32_e32 v23, v22, v43, vcc
	s_and_b64 s[2:3], s[2:3], vcc
	v_cmp_nlt_f32_e32 vcc, v42, v24
	v_cndmask_b32_e32 v43, v42, v24, vcc
	v_cndmask_b32_e32 v22, v24, v42, vcc
	s_and_b64 s[2:3], s[2:3], vcc
	;; [unrolled: 4-line block ×4, first 2 shown]
	v_cmp_nlt_f32_e32 vcc, v43, v21
	s_and_b64 s[2:3], s[2:3], vcc
	s_and_b64 s[2:3], s[2:3], s[48:49]
	s_and_b64 s[2:3], s[2:3], s[46:47]
	s_and_b64 s[2:3], exec, s[2:3]
	v_cndmask_b32_e32 v20, v21, v43, vcc
	s_or_b64 s[26:27], s[2:3], s[26:27]
	v_cndmask_b32_e32 v21, v43, v21, vcc
	s_andn2_b64 exec, exec, s[26:27]
	s_cbranch_execnz .LBB199_207
; %bb.208:                              ;   in Loop: Header=BB199_162 Depth=1
	s_or_b64 exec, exec, s[26:27]
	v_add_f32_e32 v16, -1.0, v16
	v_add_f32_e32 v16, v16, v17
	v_add_f32_e32 v11, v16, v11
	;; [unrolled: 1-line block ×11, first 2 shown]
	v_add_f32_e32 v19, 1.0, v16
	v_add_f32_e32 v17, -1.0, v19
	v_mov_b32_e32 v18, v17
	v_pk_add_f32 v[20:21], v[16:17], v[18:19] neg_lo:[0,1] neg_hi:[0,1]
	v_add_f32_e32 v6, 1.0, v21
	v_add_f32_e32 v6, v20, v6
	v_frexp_mant_f32_e32 v11, v19
	v_cvt_f64_f32_e32 v[20:21], v19
	v_frexp_exp_i32_f64_e32 v17, v[20:21]
	v_cmp_gt_f32_e32 vcc, s35, v11
	v_subbrev_co_u32_e32 v17, vcc, 0, v17, vcc
	v_sub_u32_e32 v11, 0, v17
	v_ldexp_f32 v18, v19, v11
	v_ldexp_f32 v6, v6, v11
	v_add_f32_e32 v11, -1.0, v18
	v_add_f32_e32 v19, 1.0, v11
	v_sub_f32_e32 v19, v18, v19
	v_add_f32_e32 v20, v6, v19
	v_add_f32_e32 v19, 1.0, v18
	v_add_f32_e32 v21, -1.0, v19
	v_sub_f32_e32 v18, v18, v21
	v_add_f32_e32 v6, v6, v18
	v_add_f32_e32 v42, v19, v6
	v_rcp_f32_e32 v43, v42
	v_sub_f32_e32 v18, v42, v19
	v_add_f32_e32 v19, v11, v20
	v_sub_f32_e32 v11, v19, v11
	v_mul_f32_e32 v44, v19, v43
	v_sub_f32_e32 v11, v20, v11
	v_mul_f32_e32 v20, v42, v44
	v_sub_f32_e32 v6, v6, v18
	v_fma_f32 v22, v44, v42, -v20
	v_fmac_f32_e32 v22, v44, v6
	v_add_f32_e32 v18, v20, v22
	v_sub_f32_e32 v21, v19, v18
	v_pk_add_f32 v[24:25], v[18:19], v[20:21] neg_lo:[0,1] neg_hi:[0,1]
	v_mov_b32_e32 v23, v18
	v_pk_add_f32 v[18:19], v[24:25], v[22:23] neg_lo:[0,1] neg_hi:[0,1]
	v_add_f32_e32 v11, v11, v19
	v_add_f32_e32 v11, v18, v11
	;; [unrolled: 1-line block ×3, first 2 shown]
	v_mul_f32_e32 v45, v43, v19
	v_mul_f32_e32 v20, v42, v45
	v_fma_f32 v22, v45, v42, -v20
	v_fmac_f32_e32 v22, v45, v6
	v_add_f32_e32 v18, v20, v22
	v_sub_f32_e32 v6, v21, v19
	v_sub_f32_e32 v21, v19, v18
	v_pk_add_f32 v[24:25], v[18:19], v[20:21] neg_lo:[0,1] neg_hi:[0,1]
	v_mov_b32_e32 v23, v18
	v_add_f32_e32 v6, v11, v6
	v_pk_add_f32 v[18:19], v[24:25], v[22:23] neg_lo:[0,1] neg_hi:[0,1]
	v_add_f32_e32 v6, v6, v19
	v_add_f32_e32 v6, v18, v6
	;; [unrolled: 1-line block ×4, first 2 shown]
	v_sub_f32_e32 v11, v19, v44
	v_mul_f32_e32 v6, v43, v6
	v_sub_f32_e32 v11, v45, v11
	v_add_f32_e32 v6, v11, v6
	v_add_f32_e32 v20, v19, v6
	v_cvt_f32_i32_e32 v18, v17
	v_mul_f32_e32 v22, v20, v20
	v_mov_b32_e32 v11, 0x3ecc95a3
	v_fmac_f32_e32 v11, 0x3e9b6dac, v22
	v_fma_f32 v11, v22, v11, v27
	v_sub_f32_e32 v17, v20, v19
	v_mul_f32_e32 v19, v20, v22
	v_pk_mul_f32 v[22:23], v[18:19], v[10:11]
	v_ldexp_f32 v21, v20, 1
	v_fma_f32 v20, v18, s36, -v22
	v_fmac_f32_e32 v20, 0xb102e308, v18
	v_pk_add_f32 v[18:19], v[22:23], v[20:21]
	v_sub_f32_e32 v6, v6, v17
	v_sub_f32_e32 v11, v19, v21
	v_ldexp_f32 v6, v6, 1
	v_sub_f32_e32 v11, v23, v11
	v_add_f32_e32 v25, v6, v11
	v_mov_b32_e32 v24, v22
	v_pk_add_f32 v[22:23], v[18:19], v[22:23] neg_lo:[0,1] neg_hi:[0,1]
	v_pk_add_f32 v[42:43], v[18:19], v[24:25]
	v_mov_b32_e32 v23, v43
	v_mov_b32_e32 v21, v18
	v_pk_add_f32 v[44:45], v[20:21], v[22:23] neg_lo:[0,1] neg_hi:[0,1]
	v_pk_add_f32 v[20:21], v[20:21], v[22:23]
	v_mov_b32_e32 v6, v21
	v_pk_add_f32 v[22:23], v[6:7], v[18:19] neg_lo:[0,1] neg_hi:[0,1]
	v_mov_b32_e32 v11, v22
	v_pk_add_f32 v[46:47], v[42:43], v[10:11] neg_lo:[0,1] neg_hi:[0,1]
	v_mov_b32_e32 v20, v43
	v_mov_b32_e32 v42, v19
	;; [unrolled: 1-line block ×4, first 2 shown]
	v_pk_add_f32 v[20:21], v[20:21], v[42:43] neg_lo:[0,1] neg_hi:[0,1]
	v_mov_b32_e32 v22, v25
	v_mov_b32_e32 v23, v18
	v_pk_add_f32 v[18:19], v[22:23], v[20:21] neg_lo:[0,1] neg_hi:[0,1]
	v_mov_b32_e32 v46, v44
	v_pk_add_f32 v[20:21], v[46:47], v[18:19]
	v_mov_b32_e32 v22, v21
	v_pk_add_f32 v[22:23], v[20:21], v[22:23]
	v_pk_add_f32 v[24:25], v[6:7], v[22:23]
	v_mov_b32_e32 v21, v24
	v_pk_add_f32 v[42:43], v[20:21], v[44:45] neg_lo:[0,1] neg_hi:[0,1]
	v_mov_b32_e32 v19, v22
	v_sub_f32_e32 v6, v20, v42
	v_pk_add_f32 v[18:19], v[18:19], v[42:43] neg_lo:[0,1] neg_hi:[0,1]
	v_sub_f32_e32 v6, v44, v6
	v_add_f32_e32 v6, v18, v6
	v_add_f32_e32 v6, v6, v19
	;; [unrolled: 1-line block ×3, first 2 shown]
	v_cmp_eq_f32_e32 vcc, s37, v16
	v_cndmask_b32_e32 v6, v6, v16, vcc
	v_cmp_ngt_f32_e32 vcc, -1.0, v16
	v_cndmask_b32_e32 v6, v34, v6, vcc
	v_cmp_neq_f32_e32 vcc, -1.0, v16
	v_cndmask_b32_e32 v6, v35, v6, vcc
	v_cmp_lt_f32_e64 vcc, |v16|, s38
	v_cndmask_b32_e32 v6, v6, v16, vcc
	v_mul_f32_e32 v17, 0.5, v6
	v_max_f32_e64 v6, |v9|, |v9|
	v_max_f32_e64 v11, |v8|, |v8|
	v_min_f32_e32 v16, v11, v6
	v_max_f32_e32 v6, v11, v6
	v_frexp_mant_f32_e32 v11, v6
	v_rcp_f32_e32 v11, v11
	v_frexp_exp_i32_f32_e32 v6, v6
	v_frexp_exp_i32_f32_e32 v18, v16
	v_frexp_mant_f32_e32 v16, v16
	v_mul_f32_e32 v11, v16, v11
	v_sub_u32_e32 v6, v18, v6
	v_ldexp_f32 v6, v11, v6
	v_mul_f32_e32 v11, v6, v6
	v_mov_b32_e32 v16, 0xbc7a590c
	v_fmac_f32_e32 v16, 0x3b2d2a58, v11
	v_fma_f32 v16, v11, v16, v28
	v_fma_f32 v16, v11, v16, v29
	;; [unrolled: 1-line block ×6, first 2 shown]
	v_mul_f32_e32 v11, v11, v16
	v_fmac_f32_e32 v6, v6, v11
	v_sub_f32_e32 v11, 0x3fc90fdb, v6
	v_cndmask_b32_e64 v6, v6, v11, s[0:1]
	v_sub_f32_e32 v11, 0x40490fdb, v6
	v_cmp_gt_f32_e32 vcc, 0, v8
	v_cmp_gt_i32_e64 s[2:3], 0, v8
	v_cndmask_b32_e32 v6, v6, v11, vcc
	v_cndmask_b32_e64 v11, 0, v36, s[2:3]
	v_cmp_eq_f32_e64 s[2:3], 0, v9
	v_cndmask_b32_e64 v6, v6, v11, s[2:3]
	v_cmp_class_f32_e64 s[2:3], v8, s39
	v_cmp_class_f32_e64 s[26:27], v9, s39
	v_cndmask_b32_e32 v11, v37, v38, vcc
	s_and_b64 vcc, s[2:3], s[26:27]
	v_cndmask_b32_e32 v6, v6, v11, vcc
.LBB199_209:                            ;   in Loop: Header=BB199_162 Depth=1
	s_or_b64 exec, exec, s[24:25]
.LBB199_210:                            ;   in Loop: Header=BB199_162 Depth=1
	s_or_b64 exec, exec, s[22:23]
.LBB199_211:                            ;   in Loop: Header=BB199_162 Depth=1
	s_andn2_saveexec_b64 s[20:21], s[20:21]
	s_cbranch_execz .LBB199_213
; %bb.212:                              ;   in Loop: Header=BB199_162 Depth=1
	v_max_f32_e64 v6, |v9|, |v9|
	v_max_f32_e64 v11, |v8|, |v8|
	v_max_f32_e32 v18, v11, v6
	v_cvt_f64_f32_e32 v[16:17], v18
	v_frexp_exp_i32_f64_e32 v16, v[16:17]
	v_sub_u32_e32 v17, 0, v16
	v_ldexp_f32 v19, |v8|, v17
	v_ldexp_f32 v17, |v9|, v17
	v_mul_f32_e32 v17, v17, v17
	v_fmac_f32_e32 v17, v19, v19
	v_sqrt_f32_e32 v17, v17
	v_cmp_neq_f32_e32 vcc, s37, v18
	v_min_f32_e32 v6, v11, v6
	v_frexp_mant_f32_e32 v11, v18
	v_ldexp_f32 v16, v17, v16
	v_cndmask_b32_e32 v16, v41, v16, vcc
	v_cmp_gt_f32_e32 vcc, s41, v16
	v_cndmask_b32_e32 v17, 1.0, v39, vcc
	v_mul_f32_e32 v16, v16, v17
	v_log_f32_e32 v16, v16
	v_rcp_f32_e32 v11, v11
	v_cndmask_b32_e32 v17, 0, v40, vcc
	v_cmp_gt_i32_e64 s[2:3], 0, v8
	v_mul_f32_e32 v19, 0x3f317217, v16
	v_fma_f32 v20, v16, s42, -v19
	v_fmac_f32_e32 v20, 0x3377d1cf, v16
	v_add_f32_e32 v19, v19, v20
	v_cmp_lt_f32_e64 vcc, |v16|, s37
	v_cndmask_b32_e32 v16, v16, v19, vcc
	v_sub_f32_e32 v17, v16, v17
	v_frexp_exp_i32_f32_e32 v16, v18
	v_frexp_exp_i32_f32_e32 v18, v6
	v_frexp_mant_f32_e32 v6, v6
	v_mul_f32_e32 v6, v6, v11
	v_sub_u32_e32 v11, v18, v16
	v_ldexp_f32 v6, v6, v11
	v_mul_f32_e32 v11, v6, v6
	v_mov_b32_e32 v16, 0xbc7a590c
	v_fmac_f32_e32 v16, 0x3b2d2a58, v11
	v_fma_f32 v16, v11, v16, v28
	v_fma_f32 v16, v11, v16, v29
	;; [unrolled: 1-line block ×6, first 2 shown]
	v_mul_f32_e32 v11, v11, v16
	v_fmac_f32_e32 v6, v6, v11
	v_sub_f32_e32 v11, 0x3fc90fdb, v6
	v_cndmask_b32_e64 v6, v6, v11, s[0:1]
	v_sub_f32_e32 v11, 0x40490fdb, v6
	v_cmp_gt_f32_e32 vcc, 0, v8
	v_cndmask_b32_e32 v6, v6, v11, vcc
	v_cndmask_b32_e64 v11, 0, v36, s[2:3]
	v_cmp_eq_f32_e64 s[2:3], 0, v9
	v_cndmask_b32_e64 v6, v6, v11, s[2:3]
	v_cmp_class_f32_e64 s[2:3], v8, s39
	v_cmp_class_f32_e64 s[22:23], v9, s39
	v_cndmask_b32_e32 v11, v37, v38, vcc
	s_and_b64 vcc, s[2:3], s[22:23]
	v_cndmask_b32_e32 v6, v6, v11, vcc
.LBB199_213:                            ;   in Loop: Header=BB199_162 Depth=1
	s_or_b64 exec, exec, s[20:21]
                                        ; implicit-def: $vgpr18
.LBB199_214:                            ;   in Loop: Header=BB199_162 Depth=1
	s_andn2_saveexec_b64 s[18:19], s[18:19]
	s_cbranch_execz .LBB199_220
; %bb.215:                              ;   in Loop: Header=BB199_162 Depth=1
	v_cmp_ngt_f32_e32 vcc, s43, v18
                                        ; implicit-def: $vgpr17
                                        ; implicit-def: $vgpr6
	s_and_saveexec_b64 s[2:3], vcc
	s_xor_b64 s[20:21], exec, s[2:3]
	s_cbranch_execz .LBB199_217
; %bb.216:                              ;   in Loop: Header=BB199_162 Depth=1
	v_pk_mul_f32 v[16:17], v[18:19], v[18:19]
	v_add_f32_e32 v19, 1.0, v16
	v_add_f32_e32 v17, -1.0, v19
	v_mov_b32_e32 v18, v17
	v_pk_add_f32 v[20:21], v[16:17], v[18:19] neg_lo:[0,1] neg_hi:[0,1]
	v_add_f32_e32 v6, 1.0, v21
	v_add_f32_e32 v6, v20, v6
	v_frexp_mant_f32_e32 v11, v19
	v_cvt_f64_f32_e32 v[20:21], v19
	v_frexp_exp_i32_f64_e32 v17, v[20:21]
	v_cmp_gt_f32_e32 vcc, s35, v11
	v_subbrev_co_u32_e32 v17, vcc, 0, v17, vcc
	v_sub_u32_e32 v11, 0, v17
	v_ldexp_f32 v18, v19, v11
	v_ldexp_f32 v6, v6, v11
	v_add_f32_e32 v11, -1.0, v18
	v_add_f32_e32 v19, 1.0, v11
	v_sub_f32_e32 v19, v18, v19
	v_add_f32_e32 v20, v6, v19
	v_add_f32_e32 v19, 1.0, v18
	v_add_f32_e32 v21, -1.0, v19
	v_sub_f32_e32 v18, v18, v21
	v_add_f32_e32 v6, v6, v18
	v_add_f32_e32 v42, v19, v6
	v_rcp_f32_e32 v43, v42
	v_sub_f32_e32 v18, v19, v42
	v_add_f32_e32 v19, v11, v20
	v_sub_f32_e32 v11, v11, v19
	v_mul_f32_e32 v44, v19, v43
	v_add_f32_e32 v11, v20, v11
	v_mul_f32_e32 v20, v42, v44
	v_add_f32_e32 v6, v6, v18
	v_fma_f32 v22, v44, v42, -v20
	v_fmac_f32_e32 v22, v44, v6
	v_add_f32_e32 v18, v20, v22
	v_sub_f32_e32 v21, v19, v18
	v_pk_add_f32 v[24:25], v[18:19], v[20:21] neg_lo:[0,1] neg_hi:[0,1]
	v_mov_b32_e32 v23, v18
	v_pk_add_f32 v[18:19], v[24:25], v[22:23] neg_lo:[0,1] neg_hi:[0,1]
	v_add_f32_e32 v11, v11, v19
	v_add_f32_e32 v11, v18, v11
	;; [unrolled: 1-line block ×3, first 2 shown]
	v_mul_f32_e32 v45, v43, v19
	v_mul_f32_e32 v20, v42, v45
	v_fma_f32 v22, v45, v42, -v20
	v_fmac_f32_e32 v22, v45, v6
	v_add_f32_e32 v18, v20, v22
	v_sub_f32_e32 v6, v21, v19
	v_sub_f32_e32 v21, v19, v18
	v_pk_add_f32 v[24:25], v[18:19], v[20:21] neg_lo:[0,1] neg_hi:[0,1]
	v_mov_b32_e32 v23, v18
	v_add_f32_e32 v6, v11, v6
	v_pk_add_f32 v[18:19], v[24:25], v[22:23] neg_lo:[0,1] neg_hi:[0,1]
	v_add_f32_e32 v6, v6, v19
	v_add_f32_e32 v6, v18, v6
	;; [unrolled: 1-line block ×4, first 2 shown]
	v_sub_f32_e32 v11, v19, v44
	v_mul_f32_e32 v6, v43, v6
	v_sub_f32_e32 v11, v45, v11
	v_add_f32_e32 v6, v11, v6
	v_add_f32_e32 v20, v19, v6
	v_cvt_f32_i32_e32 v18, v17
	v_mul_f32_e32 v22, v20, v20
	v_mov_b32_e32 v11, 0x3ecc95a3
	v_fmac_f32_e32 v11, 0x3e9b6dac, v22
	v_fma_f32 v11, v22, v11, v27
	v_sub_f32_e32 v17, v20, v19
	v_mul_f32_e32 v19, v20, v22
	v_pk_mul_f32 v[22:23], v[18:19], v[10:11]
	v_ldexp_f32 v21, v20, 1
	v_fma_f32 v20, v18, s36, -v22
	v_fmac_f32_e32 v20, 0xb102e308, v18
	v_pk_add_f32 v[18:19], v[22:23], v[20:21]
	v_sub_f32_e32 v6, v6, v17
	v_sub_f32_e32 v11, v19, v21
	v_ldexp_f32 v6, v6, 1
	v_sub_f32_e32 v11, v23, v11
	v_add_f32_e32 v25, v6, v11
	v_mov_b32_e32 v24, v22
	v_pk_add_f32 v[22:23], v[18:19], v[22:23] neg_lo:[0,1] neg_hi:[0,1]
	v_pk_add_f32 v[42:43], v[18:19], v[24:25]
	v_mov_b32_e32 v23, v43
	v_mov_b32_e32 v21, v18
	v_pk_add_f32 v[44:45], v[20:21], v[22:23] neg_lo:[0,1] neg_hi:[0,1]
	v_pk_add_f32 v[20:21], v[20:21], v[22:23]
	v_mov_b32_e32 v6, v21
	v_pk_add_f32 v[22:23], v[6:7], v[18:19] neg_lo:[0,1] neg_hi:[0,1]
	v_mov_b32_e32 v11, v22
	v_pk_add_f32 v[46:47], v[42:43], v[10:11] neg_lo:[0,1] neg_hi:[0,1]
	v_mov_b32_e32 v20, v43
	v_mov_b32_e32 v42, v19
	;; [unrolled: 1-line block ×4, first 2 shown]
	v_pk_add_f32 v[20:21], v[20:21], v[42:43] neg_lo:[0,1] neg_hi:[0,1]
	v_mov_b32_e32 v22, v25
	v_mov_b32_e32 v23, v18
	v_pk_add_f32 v[18:19], v[22:23], v[20:21] neg_lo:[0,1] neg_hi:[0,1]
	v_mov_b32_e32 v46, v44
	v_pk_add_f32 v[20:21], v[46:47], v[18:19]
	v_mov_b32_e32 v22, v21
	v_pk_add_f32 v[22:23], v[20:21], v[22:23]
	v_pk_add_f32 v[24:25], v[6:7], v[22:23]
	v_mov_b32_e32 v21, v24
	v_pk_add_f32 v[42:43], v[20:21], v[44:45] neg_lo:[0,1] neg_hi:[0,1]
	v_mov_b32_e32 v19, v22
	v_sub_f32_e32 v6, v20, v42
	v_pk_add_f32 v[18:19], v[18:19], v[42:43] neg_lo:[0,1] neg_hi:[0,1]
	v_sub_f32_e32 v6, v44, v6
	v_add_f32_e32 v6, v18, v6
	v_add_f32_e32 v6, v6, v19
	v_cmp_eq_f32_e32 vcc, s37, v16
	v_cmp_lt_f32_e64 s[2:3], |v16|, s38
	v_add_f32_e32 v6, v24, v6
	s_or_b64 vcc, vcc, s[2:3]
	v_cndmask_b32_e32 v6, v6, v16, vcc
	v_mul_f32_e32 v17, 0.5, v6
	v_max_f32_e64 v6, |v9|, |v9|
	v_max_f32_e64 v11, |v8|, |v8|
	v_min_f32_e32 v16, v11, v6
	v_max_f32_e32 v6, v11, v6
	v_frexp_mant_f32_e32 v11, v6
	v_rcp_f32_e32 v11, v11
	v_frexp_exp_i32_f32_e32 v6, v6
	v_frexp_exp_i32_f32_e32 v18, v16
	v_frexp_mant_f32_e32 v16, v16
	v_mul_f32_e32 v11, v16, v11
	v_sub_u32_e32 v6, v18, v6
	v_ldexp_f32 v6, v11, v6
	v_mul_f32_e32 v11, v6, v6
	v_mov_b32_e32 v16, 0xbc7a590c
	v_fmac_f32_e32 v16, 0x3b2d2a58, v11
	v_fma_f32 v16, v11, v16, v28
	v_fma_f32 v16, v11, v16, v29
	v_fma_f32 v16, v11, v16, v30
	v_fma_f32 v16, v11, v16, v31
	v_fma_f32 v16, v11, v16, v32
	v_fma_f32 v16, v11, v16, v33
	v_mul_f32_e32 v11, v11, v16
	v_fmac_f32_e32 v6, v6, v11
	v_sub_f32_e32 v11, 0x3fc90fdb, v6
	v_cndmask_b32_e64 v6, v6, v11, s[0:1]
	v_sub_f32_e32 v11, 0x40490fdb, v6
	v_cmp_gt_f32_e32 vcc, 0, v8
	v_cmp_gt_i32_e64 s[2:3], 0, v8
	v_cndmask_b32_e32 v6, v6, v11, vcc
	v_cndmask_b32_e64 v11, 0, v36, s[2:3]
	v_cmp_eq_f32_e64 s[2:3], 0, v9
	v_cndmask_b32_e64 v6, v6, v11, s[2:3]
	v_cmp_class_f32_e64 s[2:3], v8, s39
	v_cmp_class_f32_e64 s[22:23], v9, s39
	v_cndmask_b32_e32 v11, v37, v38, vcc
	s_and_b64 vcc, s[2:3], s[22:23]
	v_cndmask_b32_e32 v6, v6, v11, vcc
                                        ; implicit-def: $vgpr18
.LBB199_217:                            ;   in Loop: Header=BB199_162 Depth=1
	s_andn2_saveexec_b64 s[20:21], s[20:21]
	s_cbranch_execz .LBB199_219
; %bb.218:                              ;   in Loop: Header=BB199_162 Depth=1
	v_mul_f32_e32 v6, 0.5, v18
	v_mul_f32_e32 v17, v18, v6
	v_max_f32_e64 v6, |v9|, |v9|
	v_max_f32_e64 v11, |v8|, |v8|
	v_min_f32_e32 v16, v11, v6
	v_max_f32_e32 v6, v11, v6
	v_frexp_mant_f32_e32 v11, v6
	v_rcp_f32_e32 v11, v11
	v_frexp_exp_i32_f32_e32 v6, v6
	v_frexp_exp_i32_f32_e32 v18, v16
	v_frexp_mant_f32_e32 v16, v16
	v_mul_f32_e32 v11, v16, v11
	v_sub_u32_e32 v6, v18, v6
	v_ldexp_f32 v6, v11, v6
	v_mul_f32_e32 v11, v6, v6
	v_mov_b32_e32 v16, 0xbc7a590c
	v_fmac_f32_e32 v16, 0x3b2d2a58, v11
	v_fma_f32 v16, v11, v16, v28
	v_fma_f32 v16, v11, v16, v29
	v_fma_f32 v16, v11, v16, v30
	v_fma_f32 v16, v11, v16, v31
	v_fma_f32 v16, v11, v16, v32
	v_fma_f32 v16, v11, v16, v33
	v_mul_f32_e32 v11, v11, v16
	v_fmac_f32_e32 v6, v6, v11
	v_sub_f32_e32 v11, 0x3fc90fdb, v6
	v_cndmask_b32_e64 v6, v6, v11, s[0:1]
	v_sub_f32_e32 v11, 0x40490fdb, v6
	v_cmp_gt_f32_e32 vcc, 0, v8
	v_cmp_gt_i32_e64 s[2:3], 0, v8
	v_cndmask_b32_e32 v6, v6, v11, vcc
	v_cndmask_b32_e64 v11, 0, v36, s[2:3]
	v_cmp_eq_f32_e64 s[2:3], 0, v9
	v_cndmask_b32_e64 v6, v6, v11, s[2:3]
	v_cmp_class_f32_e64 s[2:3], v8, s39
	v_cmp_class_f32_e64 s[22:23], v9, s39
	v_cndmask_b32_e32 v11, v37, v38, vcc
	s_and_b64 vcc, s[2:3], s[22:23]
	v_cndmask_b32_e32 v6, v6, v11, vcc
.LBB199_219:                            ;   in Loop: Header=BB199_162 Depth=1
	s_or_b64 exec, exec, s[20:21]
.LBB199_220:                            ;   in Loop: Header=BB199_162 Depth=1
	s_or_b64 exec, exec, s[18:19]
.LBB199_221:                            ;   in Loop: Header=BB199_162 Depth=1
	s_andn2_saveexec_b64 s[16:17], s[16:17]
	s_cbranch_execz .LBB199_223
; %bb.222:                              ;   in Loop: Header=BB199_162 Depth=1
	v_div_scale_f32 v6, s[2:3], s44, s44, v8
	v_rcp_f32_e32 v11, v6
	v_div_scale_f32 v16, vcc, v8, s44, v8
	v_fma_f32 v17, -v6, v11, 1.0
	v_fmac_f32_e32 v11, v17, v11
	v_mul_f32_e32 v17, v16, v11
	v_fma_f32 v18, -v6, v17, v16
	v_fmac_f32_e32 v17, v18, v11
	v_fma_f32 v6, -v6, v17, v16
	v_div_scale_f32 v16, s[2:3], s44, s44, v9
	v_rcp_f32_e32 v18, v16
	v_div_fmas_f32 v6, v6, v11, v17
	v_div_fixup_f32 v6, v6, s44, v8
	v_fma_f32 v11, -v16, v18, 1.0
	v_fmac_f32_e32 v18, v11, v18
	v_div_scale_f32 v11, vcc, v9, s44, v9
	v_mul_f32_e32 v17, v11, v18
	v_fma_f32 v19, -v16, v17, v11
	v_fmac_f32_e32 v17, v19, v18
	v_fma_f32 v11, -v16, v17, v11
	v_div_fmas_f32 v11, v11, v18, v17
	v_div_fixup_f32 v11, v11, s44, v9
	v_max_f32_e64 v18, |v6|, |v11|
	v_cvt_f64_f32_e32 v[16:17], v18
	v_frexp_exp_i32_f64_e32 v16, v[16:17]
	v_sub_u32_e32 v17, 0, v16
	v_ldexp_f32 v11, |v11|, v17
	v_ldexp_f32 v6, |v6|, v17
	v_mul_f32_e32 v11, v11, v11
	v_fmac_f32_e32 v11, v6, v6
	v_sqrt_f32_e32 v6, v11
	v_cmp_neq_f32_e32 vcc, s37, v18
	v_ldexp_f32 v6, v6, v16
	v_cndmask_b32_e32 v6, v41, v6, vcc
	v_cmp_gt_f32_e32 vcc, s41, v6
	v_cndmask_b32_e32 v11, 1.0, v39, vcc
	v_mul_f32_e32 v6, v6, v11
	v_log_f32_e32 v6, v6
	v_mul_f32_e32 v11, 0x3f317217, v6
	v_fma_f32 v16, v6, s42, -v11
	v_fmac_f32_e32 v16, 0x3377d1cf, v6
	v_add_f32_e32 v11, v11, v16
	v_cmp_lt_f32_e64 s[2:3], |v6|, s37
	v_cndmask_b32_e64 v6, v6, v11, s[2:3]
	v_cndmask_b32_e32 v11, 0, v40, vcc
	v_sub_f32_e32 v6, v6, v11
	v_add_f32_e32 v17, 1.0, v6
	v_max_f32_e64 v6, |v9|, |v9|
	v_max_f32_e64 v11, |v8|, |v8|
	v_min_f32_e32 v16, v11, v6
	v_max_f32_e32 v6, v11, v6
	v_frexp_mant_f32_e32 v11, v6
	v_rcp_f32_e32 v11, v11
	v_frexp_exp_i32_f32_e32 v6, v6
	v_frexp_exp_i32_f32_e32 v18, v16
	v_frexp_mant_f32_e32 v16, v16
	v_mul_f32_e32 v11, v16, v11
	v_sub_u32_e32 v6, v18, v6
	v_ldexp_f32 v6, v11, v6
	v_mul_f32_e32 v11, v6, v6
	v_mov_b32_e32 v16, 0xbc7a590c
	v_fmac_f32_e32 v16, 0x3b2d2a58, v11
	v_fma_f32 v16, v11, v16, v28
	v_fma_f32 v16, v11, v16, v29
	;; [unrolled: 1-line block ×6, first 2 shown]
	v_mul_f32_e32 v11, v11, v16
	v_fmac_f32_e32 v6, v6, v11
	v_sub_f32_e32 v11, 0x3fc90fdb, v6
	v_cndmask_b32_e64 v6, v6, v11, s[0:1]
	v_sub_f32_e32 v11, 0x40490fdb, v6
	v_cmp_gt_f32_e32 vcc, 0, v8
	v_cmp_gt_i32_e64 s[0:1], 0, v8
	v_cndmask_b32_e32 v6, v6, v11, vcc
	v_cndmask_b32_e64 v11, 0, v36, s[0:1]
	v_cmp_eq_f32_e64 s[0:1], 0, v9
	v_cndmask_b32_e64 v6, v6, v11, s[0:1]
	v_cmp_class_f32_e64 s[0:1], v8, s39
	v_cmp_class_f32_e64 s[2:3], v9, s39
	v_cndmask_b32_e32 v11, v37, v38, vcc
	s_and_b64 vcc, s[0:1], s[2:3]
	v_cndmask_b32_e32 v6, v6, v11, vcc
.LBB199_223:                            ;   in Loop: Header=BB199_162 Depth=1
	s_or_b64 exec, exec, s[16:17]
.LBB199_224:                            ;   in Loop: Header=BB199_162 Depth=1
	s_andn2_saveexec_b64 s[0:1], s[12:13]
	s_cbranch_execz .LBB199_230
; %bb.225:                              ;   in Loop: Header=BB199_162 Depth=1
	v_cmp_nlt_f32_e64 s[2:3], |v8|, s45
	v_cmp_nlt_f32_e64 s[12:13], |v9|, s45
	s_or_b64 s[2:3], s[2:3], s[12:13]
                                        ; implicit-def: $vgpr6
	s_and_saveexec_b64 s[12:13], s[2:3]
	s_xor_b64 s[2:3], exec, s[12:13]
; %bb.226:                              ;   in Loop: Header=BB199_162 Depth=1
	v_pk_mul_f32 v[16:17], v[8:9], v[8:9]
	v_add_f32_e32 v6, v16, v17
; %bb.227:                              ;   in Loop: Header=BB199_162 Depth=1
	s_andn2_saveexec_b64 s[2:3], s[2:3]
; %bb.228:                              ;   in Loop: Header=BB199_162 Depth=1
	v_pk_mul_f32 v[16:17], v[8:9], 4.0 op_sel_hi:[1,0]
	v_pk_mul_f32 v[16:17], v[16:17], v[16:17]
	v_add_f32_e32 v6, v16, v17
	v_mul_f32_e32 v6, 0x3d800000, v6
; %bb.229:                              ;   in Loop: Header=BB199_162 Depth=1
	s_or_b64 exec, exec, s[2:3]
	v_cmp_gt_f32_e32 vcc, s41, v6
	v_cndmask_b32_e32 v8, 1.0, v39, vcc
	v_mul_f32_e32 v6, v6, v8
	v_log_f32_e32 v6, v6
	v_cndmask_b32_e32 v8, 0, v40, vcc
	v_mul_f32_e32 v11, 0x3f317217, v6
	v_fma_f32 v16, v6, s42, -v11
	v_fmac_f32_e32 v16, 0x3377d1cf, v6
	v_add_f32_e32 v11, v11, v16
	v_cmp_lt_f32_e64 vcc, |v6|, s37
	v_cndmask_b32_e32 v6, v6, v11, vcc
	v_sub_f32_e32 v17, v6, v8
	v_mov_b32_e32 v6, 0x7fc00000
.LBB199_230:                            ;   in Loop: Header=BB199_162 Depth=1
	s_or_b64 exec, exec, s[0:1]
	s_waitcnt vmcnt(0)
	v_cmp_o_f32_e32 vcc, v3, v2
                                        ; implicit-def: $vgpr19
                                        ; implicit-def: $vgpr8
	s_and_saveexec_b64 s[0:1], vcc
	s_xor_b64 s[12:13], exec, s[0:1]
	s_cbranch_execz .LBB199_258
; %bb.231:                              ;   in Loop: Header=BB199_162 Depth=1
	v_cmp_lt_f32_e64 s[0:1], |v2|, |v3|
	v_cndmask_b32_e64 v11, v3, v2, s[0:1]
	v_cmp_ngt_f32_e64 s[2:3], |v11|, s30
                                        ; implicit-def: $vgpr19
                                        ; implicit-def: $vgpr8
	s_and_saveexec_b64 s[16:17], s[2:3]
	s_xor_b64 s[16:17], exec, s[16:17]
	s_cbranch_execz .LBB199_255
; %bb.232:                              ;   in Loop: Header=BB199_162 Depth=1
	v_cndmask_b32_e64 v8, v2, v3, s[0:1]
	v_and_b32_e32 v21, 0x7fffffff, v8
	v_and_b32_e32 v20, 0x7fffffff, v11
	v_cmp_neq_f32_e32 vcc, 1.0, v21
                                        ; implicit-def: $vgpr19
                                        ; implicit-def: $vgpr8
	s_and_saveexec_b64 s[2:3], vcc
	s_xor_b64 s[18:19], exec, s[2:3]
	s_cbranch_execz .LBB199_248
; %bb.233:                              ;   in Loop: Header=BB199_162 Depth=1
	v_max_f32_e32 v8, v20, v20
	v_max_f32_e32 v11, v21, v21
	v_min_f32_e32 v16, v11, v8
	v_max_f32_e32 v8, v11, v8
	v_cmp_ngt_f32_e32 vcc, s31, v16
	v_cmp_nlt_f32_e64 s[2:3], s34, v8
	s_and_b64 s[2:3], s[2:3], vcc
                                        ; implicit-def: $vgpr19
                                        ; implicit-def: $vgpr8
	s_and_saveexec_b64 s[20:21], s[2:3]
	s_xor_b64 s[20:21], exec, s[20:21]
	s_cbranch_execz .LBB199_245
; %bb.234:                              ;   in Loop: Header=BB199_162 Depth=1
	v_cmp_le_f32_e32 vcc, 1.0, v21
                                        ; implicit-def: $vgpr19
                                        ; implicit-def: $vgpr8
	s_and_saveexec_b64 s[2:3], vcc
	s_xor_b64 s[22:23], exec, s[2:3]
	s_cbranch_execz .LBB199_236
; %bb.235:                              ;   in Loop: Header=BB199_162 Depth=1
	v_pk_add_f32 v[18:19], v[20:21], s[6:7] op_sel:[1,0]
	v_mov_b32_e32 v8, v19
	v_pk_mul_f32 v[18:19], v[18:19], v[8:9]
	v_pk_fma_f32 v[18:19], v[20:21], v[20:21], v[18:19]
	v_add_f32_e32 v21, 1.0, v18
	v_add_f32_e32 v19, -1.0, v21
	v_mov_b32_e32 v20, v19
	v_pk_add_f32 v[22:23], v[18:19], v[20:21] neg_lo:[0,1] neg_hi:[0,1]
	v_add_f32_e32 v8, 1.0, v23
	v_add_f32_e32 v8, v22, v8
	v_frexp_mant_f32_e32 v11, v21
	v_cvt_f64_f32_e32 v[22:23], v21
	v_frexp_exp_i32_f64_e32 v16, v[22:23]
	v_cmp_gt_f32_e32 vcc, s35, v11
	v_subbrev_co_u32_e32 v16, vcc, 0, v16, vcc
	v_sub_u32_e32 v11, 0, v16
	v_ldexp_f32 v19, v21, v11
	v_ldexp_f32 v8, v8, v11
	v_add_f32_e32 v11, -1.0, v19
	v_add_f32_e32 v21, 1.0, v19
	v_add_f32_e32 v20, 1.0, v11
	v_add_f32_e32 v22, -1.0, v21
	v_sub_f32_e32 v20, v19, v20
	v_sub_f32_e32 v19, v19, v22
	v_add_f32_e32 v20, v8, v20
	v_add_f32_e32 v8, v8, v19
	;; [unrolled: 1-line block ×3, first 2 shown]
	v_rcp_f32_e32 v44, v19
	v_sub_f32_e32 v21, v19, v21
	v_sub_f32_e32 v8, v8, v21
	v_add_f32_e32 v21, v11, v20
	v_mul_f32_e32 v45, v21, v44
	v_mul_f32_e32 v22, v19, v45
	v_fma_f32 v24, v45, v19, -v22
	v_sub_f32_e32 v11, v21, v11
	v_fmac_f32_e32 v24, v45, v8
	v_sub_f32_e32 v11, v20, v11
	v_add_f32_e32 v20, v22, v24
	v_sub_f32_e32 v23, v21, v20
	v_pk_add_f32 v[42:43], v[20:21], v[22:23] neg_lo:[0,1] neg_hi:[0,1]
	v_mov_b32_e32 v25, v20
	v_pk_add_f32 v[20:21], v[42:43], v[24:25] neg_lo:[0,1] neg_hi:[0,1]
	v_add_f32_e32 v11, v11, v21
	v_add_f32_e32 v11, v20, v11
	v_add_f32_e32 v21, v23, v11
	v_mul_f32_e32 v46, v44, v21
	v_mul_f32_e32 v22, v19, v46
	v_fma_f32 v24, v46, v19, -v22
	v_fmac_f32_e32 v24, v46, v8
	v_add_f32_e32 v20, v22, v24
	v_sub_f32_e32 v8, v23, v21
	v_sub_f32_e32 v23, v21, v20
	v_pk_add_f32 v[42:43], v[20:21], v[22:23] neg_lo:[0,1] neg_hi:[0,1]
	v_mov_b32_e32 v25, v20
	v_add_f32_e32 v8, v11, v8
	v_pk_add_f32 v[20:21], v[42:43], v[24:25] neg_lo:[0,1] neg_hi:[0,1]
	v_add_f32_e32 v8, v8, v21
	v_add_f32_e32 v8, v20, v8
	;; [unrolled: 1-line block ×4, first 2 shown]
	v_sub_f32_e32 v11, v19, v45
	v_mul_f32_e32 v8, v44, v8
	v_sub_f32_e32 v11, v46, v11
	v_add_f32_e32 v8, v11, v8
	v_add_f32_e32 v21, v19, v8
	v_cvt_f32_i32_e32 v20, v16
	v_mul_f32_e32 v22, v21, v21
	v_mov_b32_e32 v11, 0x3ecc95a3
	v_fmac_f32_e32 v11, 0x3e9b6dac, v22
	v_fma_f32 v11, v22, v11, v27
	v_sub_f32_e32 v16, v21, v19
	v_ldexp_f32 v23, v21, 1
	v_mul_f32_e32 v21, v21, v22
	v_pk_mul_f32 v[24:25], v[20:21], v[10:11]
	v_fma_f32 v22, v20, s36, -v24
	v_fmac_f32_e32 v22, 0xb102e308, v20
	v_pk_add_f32 v[20:21], v[24:25], v[22:23]
	v_sub_f32_e32 v8, v8, v16
	v_sub_f32_e32 v11, v21, v23
	v_ldexp_f32 v8, v8, 1
	v_sub_f32_e32 v11, v25, v11
	v_add_f32_e32 v43, v8, v11
	v_mov_b32_e32 v42, v24
	v_pk_add_f32 v[24:25], v[20:21], v[24:25] neg_lo:[0,1] neg_hi:[0,1]
	v_pk_add_f32 v[44:45], v[20:21], v[42:43]
	v_mov_b32_e32 v25, v45
	v_mov_b32_e32 v23, v20
	v_pk_add_f32 v[46:47], v[22:23], v[24:25] neg_lo:[0,1] neg_hi:[0,1]
	v_pk_add_f32 v[22:23], v[22:23], v[24:25]
	v_mov_b32_e32 v8, v23
	v_pk_add_f32 v[24:25], v[8:9], v[20:21] neg_lo:[0,1] neg_hi:[0,1]
	v_mov_b32_e32 v11, v24
	v_pk_add_f32 v[48:49], v[44:45], v[10:11] neg_lo:[0,1] neg_hi:[0,1]
	v_mov_b32_e32 v22, v45
	v_mov_b32_e32 v44, v21
	;; [unrolled: 1-line block ×4, first 2 shown]
	v_pk_add_f32 v[22:23], v[22:23], v[44:45] neg_lo:[0,1] neg_hi:[0,1]
	v_mov_b32_e32 v24, v43
	v_mov_b32_e32 v25, v20
	v_pk_add_f32 v[20:21], v[24:25], v[22:23] neg_lo:[0,1] neg_hi:[0,1]
	v_mov_b32_e32 v48, v46
	v_pk_add_f32 v[22:23], v[48:49], v[20:21]
	v_mov_b32_e32 v16, v23
	v_pk_add_f32 v[24:25], v[22:23], v[16:17]
	v_pk_add_f32 v[42:43], v[8:9], v[24:25]
	v_mov_b32_e32 v23, v42
	v_pk_add_f32 v[44:45], v[22:23], v[46:47] neg_lo:[0,1] neg_hi:[0,1]
	v_mov_b32_e32 v21, v24
	v_sub_f32_e32 v8, v22, v44
	v_pk_add_f32 v[20:21], v[20:21], v[44:45] neg_lo:[0,1] neg_hi:[0,1]
	v_sub_f32_e32 v8, v46, v8
	v_add_f32_e32 v8, v20, v8
	v_add_f32_e32 v8, v8, v21
	;; [unrolled: 1-line block ×3, first 2 shown]
	v_cmp_eq_f32_e32 vcc, s37, v18
	v_cndmask_b32_e32 v8, v8, v18, vcc
	v_cmp_ngt_f32_e32 vcc, -1.0, v18
	v_cndmask_b32_e32 v8, v34, v8, vcc
	v_cmp_neq_f32_e32 vcc, -1.0, v18
	v_cndmask_b32_e32 v8, v35, v8, vcc
	v_cmp_lt_f32_e64 vcc, |v18|, s38
	v_cndmask_b32_e32 v8, v8, v18, vcc
	v_mul_f32_e32 v19, 0.5, v8
	v_max_f32_e64 v8, |v3|, |v3|
	v_max_f32_e64 v11, |v2|, |v2|
	v_min_f32_e32 v16, v11, v8
	v_max_f32_e32 v8, v11, v8
	v_frexp_mant_f32_e32 v11, v8
	v_rcp_f32_e32 v11, v11
	v_frexp_exp_i32_f32_e32 v8, v8
	v_frexp_exp_i32_f32_e32 v18, v16
	v_frexp_mant_f32_e32 v16, v16
	v_mul_f32_e32 v11, v16, v11
	v_sub_u32_e32 v8, v18, v8
	v_ldexp_f32 v8, v11, v8
	v_mul_f32_e32 v11, v8, v8
	v_mov_b32_e32 v16, 0xbc7a590c
	v_fmac_f32_e32 v16, 0x3b2d2a58, v11
	v_fma_f32 v16, v11, v16, v28
	v_fma_f32 v16, v11, v16, v29
	;; [unrolled: 1-line block ×6, first 2 shown]
	v_mul_f32_e32 v11, v11, v16
	v_fmac_f32_e32 v8, v8, v11
	v_sub_f32_e32 v11, 0x3fc90fdb, v8
	v_cndmask_b32_e64 v8, v8, v11, s[0:1]
	v_sub_f32_e32 v11, 0x40490fdb, v8
	v_cmp_gt_f32_e32 vcc, 0, v2
	v_cmp_gt_i32_e64 s[2:3], 0, v2
	v_cndmask_b32_e32 v8, v8, v11, vcc
	v_cndmask_b32_e64 v11, 0, v36, s[2:3]
	v_cmp_eq_f32_e64 s[2:3], 0, v3
	v_cndmask_b32_e64 v8, v8, v11, s[2:3]
	v_cmp_class_f32_e64 s[2:3], v2, s39
	v_cmp_class_f32_e64 s[24:25], v3, s39
	v_cndmask_b32_e32 v11, v37, v38, vcc
	s_and_b64 vcc, s[2:3], s[24:25]
	v_cndmask_b32_e32 v8, v8, v11, vcc
                                        ; implicit-def: $vgpr20_vgpr21
.LBB199_236:                            ;   in Loop: Header=BB199_162 Depth=1
	s_andn2_saveexec_b64 s[22:23], s[22:23]
	s_cbranch_execz .LBB199_244
; %bb.237:                              ;   in Loop: Header=BB199_162 Depth=1
	v_pk_mul_f32 v[18:19], v[20:21], v[20:21]
	v_add_f32_e32 v11, v19, v18
	v_cmp_ge_f32_e32 vcc, s40, v11
                                        ; implicit-def: $vgpr19
                                        ; implicit-def: $vgpr8
	s_and_saveexec_b64 s[2:3], vcc
	s_xor_b64 s[24:25], exec, s[2:3]
	s_cbranch_execz .LBB199_239
; %bb.238:                              ;   in Loop: Header=BB199_162 Depth=1
	v_cmp_gt_f32_e32 vcc, s41, v11
	v_cndmask_b32_e32 v8, 1.0, v39, vcc
	v_mul_f32_e32 v8, v11, v8
	v_log_f32_e32 v8, v8
	v_cndmask_b32_e32 v11, 0, v40, vcc
	v_cmp_gt_i32_e64 s[2:3], 0, v2
	v_cmp_class_f32_e64 s[26:27], v3, s39
	v_mul_f32_e32 v16, 0x3f317217, v8
	v_fma_f32 v18, v8, s42, -v16
	v_fmac_f32_e32 v18, 0x3377d1cf, v8
	v_add_f32_e32 v16, v16, v18
	v_cmp_lt_f32_e64 vcc, |v8|, s37
	v_cndmask_b32_e32 v8, v8, v16, vcc
	v_sub_f32_e32 v8, v8, v11
	v_mul_f32_e32 v19, 0.5, v8
	v_max_f32_e64 v8, |v3|, |v3|
	v_max_f32_e64 v11, |v2|, |v2|
	v_min_f32_e32 v16, v11, v8
	v_max_f32_e32 v8, v11, v8
	v_frexp_mant_f32_e32 v11, v8
	v_rcp_f32_e32 v11, v11
	v_frexp_exp_i32_f32_e32 v8, v8
	v_frexp_exp_i32_f32_e32 v18, v16
	v_frexp_mant_f32_e32 v16, v16
	v_mul_f32_e32 v11, v16, v11
	v_sub_u32_e32 v8, v18, v8
	v_ldexp_f32 v8, v11, v8
	v_mul_f32_e32 v11, v8, v8
	v_mov_b32_e32 v16, 0xbc7a590c
	v_fmac_f32_e32 v16, 0x3b2d2a58, v11
	v_fma_f32 v16, v11, v16, v28
	v_fma_f32 v16, v11, v16, v29
	;; [unrolled: 1-line block ×6, first 2 shown]
	v_mul_f32_e32 v11, v11, v16
	v_fmac_f32_e32 v8, v8, v11
	v_sub_f32_e32 v11, 0x3fc90fdb, v8
	v_cndmask_b32_e64 v8, v8, v11, s[0:1]
	v_sub_f32_e32 v11, 0x40490fdb, v8
	v_cmp_gt_f32_e32 vcc, 0, v2
	v_cndmask_b32_e32 v8, v8, v11, vcc
	v_cndmask_b32_e64 v11, 0, v36, s[2:3]
	v_cmp_eq_f32_e64 s[2:3], 0, v3
	v_cndmask_b32_e64 v8, v8, v11, s[2:3]
	v_cmp_class_f32_e64 s[2:3], v2, s39
	v_cndmask_b32_e32 v11, v37, v38, vcc
	s_and_b64 vcc, s[2:3], s[26:27]
	v_cndmask_b32_e32 v8, v8, v11, vcc
                                        ; implicit-def: $vgpr20_vgpr21
.LBB199_239:                            ;   in Loop: Header=BB199_162 Depth=1
	s_andn2_saveexec_b64 s[24:25], s[24:25]
	s_cbranch_execz .LBB199_243
; %bb.240:                              ;   in Loop: Header=BB199_162 Depth=1
	v_and_b32_e32 v23, 0x7fff0000, v20
	v_and_b32_e32 v22, 0x7fff0000, v21
	v_pk_add_f32 v[18:19], v[20:21], v[22:23] op_sel:[1,0] op_sel_hi:[0,1] neg_lo:[0,1] neg_hi:[0,1]
	v_and_b32_e32 v43, 0xffff0000, v19
	v_and_b32_e32 v42, 0xffff0000, v18
	v_pk_add_f32 v[44:45], v[18:19], v[42:43] neg_lo:[0,1] neg_hi:[0,1]
	v_pk_mul_f32 v[18:19], v[22:23], v[22:23]
	v_add_f32_e32 v16, v22, v22
	v_add_f32_e32 v22, v23, v23
	v_mul_f32_e32 v11, v16, v42
	v_mul_f32_e32 v8, v22, v43
	;; [unrolled: 1-line block ×4, first 2 shown]
	v_add_f32_e32 v22, v42, v42
	v_mul_f32_e32 v25, v22, v44
	v_add_f32_e32 v22, v43, v43
	v_pk_mul_f32 v[20:21], v[42:43], v[42:43]
	v_mul_f32_e32 v42, v22, v45
	v_pk_mul_f32 v[22:23], v[44:45], v[44:45]
	s_mov_b64 s[26:27], 0
.LBB199_241:                            ;   Parent Loop BB199_162 Depth=1
                                        ; =>  This Inner Loop Header: Depth=2
	v_cmp_nlt_f32_e32 vcc, v18, v19
	v_cndmask_b32_e32 v43, v18, v19, vcc
	v_cmp_nlt_f32_e64 s[2:3], v43, v11
	v_cndmask_b32_e64 v44, v43, v11, s[2:3]
	v_cndmask_b32_e32 v18, v19, v18, vcc
	s_and_b64 s[46:47], vcc, s[2:3]
	v_cmp_nlt_f32_e32 vcc, v44, v8
	v_cndmask_b32_e64 v19, v11, v43, s[2:3]
	v_cndmask_b32_e32 v43, v44, v8, vcc
	v_cmp_nlt_f32_e64 s[2:3], v43, v20
	v_cndmask_b32_e32 v11, v8, v44, vcc
	v_cndmask_b32_e64 v44, v43, v20, s[2:3]
	s_and_b64 s[48:49], vcc, s[2:3]
	v_cmp_nlt_f32_e32 vcc, v44, v21
	v_cndmask_b32_e64 v8, v20, v43, s[2:3]
	v_cndmask_b32_e32 v43, v44, v21, vcc
	v_cmp_nlt_f32_e64 s[2:3], v43, v24
	v_cndmask_b32_e32 v20, v21, v44, vcc
	v_cndmask_b32_e64 v44, v43, v24, s[2:3]
	v_cndmask_b32_e64 v21, v24, v43, s[2:3]
	s_and_b64 s[2:3], vcc, s[2:3]
	v_cmp_nlt_f32_e32 vcc, v44, v16
	v_cndmask_b32_e32 v43, v44, v16, vcc
	v_cndmask_b32_e32 v24, v16, v44, vcc
	s_and_b64 s[2:3], s[2:3], vcc
	v_cmp_nlt_f32_e32 vcc, v43, v25
	v_cndmask_b32_e32 v44, v43, v25, vcc
	v_cndmask_b32_e32 v16, v25, v43, vcc
	s_and_b64 s[2:3], s[2:3], vcc
	;; [unrolled: 4-line block ×4, first 2 shown]
	v_cmp_nlt_f32_e32 vcc, v44, v23
	s_and_b64 s[2:3], s[2:3], vcc
	s_and_b64 s[2:3], s[2:3], s[48:49]
	s_and_b64 s[2:3], s[2:3], s[46:47]
	s_and_b64 s[2:3], exec, s[2:3]
	v_cndmask_b32_e32 v22, v23, v44, vcc
	s_or_b64 s[26:27], s[2:3], s[26:27]
	v_cndmask_b32_e32 v23, v44, v23, vcc
	s_andn2_b64 exec, exec, s[26:27]
	s_cbranch_execnz .LBB199_241
; %bb.242:                              ;   in Loop: Header=BB199_162 Depth=1
	s_or_b64 exec, exec, s[26:27]
	v_add_f32_e32 v18, -1.0, v18
	v_add_f32_e32 v18, v18, v19
	v_add_f32_e32 v11, v18, v11
	;; [unrolled: 1-line block ×11, first 2 shown]
	v_add_f32_e32 v21, 1.0, v18
	v_add_f32_e32 v19, -1.0, v21
	v_mov_b32_e32 v20, v19
	v_pk_add_f32 v[22:23], v[18:19], v[20:21] neg_lo:[0,1] neg_hi:[0,1]
	v_add_f32_e32 v8, 1.0, v23
	v_add_f32_e32 v8, v22, v8
	v_frexp_mant_f32_e32 v11, v21
	v_cvt_f64_f32_e32 v[22:23], v21
	v_frexp_exp_i32_f64_e32 v16, v[22:23]
	v_cmp_gt_f32_e32 vcc, s35, v11
	v_subbrev_co_u32_e32 v16, vcc, 0, v16, vcc
	v_sub_u32_e32 v11, 0, v16
	v_ldexp_f32 v19, v21, v11
	v_ldexp_f32 v8, v8, v11
	v_add_f32_e32 v11, -1.0, v19
	v_add_f32_e32 v21, 1.0, v19
	v_add_f32_e32 v20, 1.0, v11
	v_add_f32_e32 v22, -1.0, v21
	v_sub_f32_e32 v20, v19, v20
	v_sub_f32_e32 v19, v19, v22
	v_add_f32_e32 v20, v8, v20
	v_add_f32_e32 v8, v8, v19
	;; [unrolled: 1-line block ×3, first 2 shown]
	v_rcp_f32_e32 v44, v19
	v_sub_f32_e32 v21, v19, v21
	v_sub_f32_e32 v8, v8, v21
	v_add_f32_e32 v21, v11, v20
	v_mul_f32_e32 v45, v21, v44
	v_mul_f32_e32 v22, v19, v45
	v_fma_f32 v24, v45, v19, -v22
	v_sub_f32_e32 v11, v21, v11
	v_fmac_f32_e32 v24, v45, v8
	v_sub_f32_e32 v11, v20, v11
	v_add_f32_e32 v20, v22, v24
	v_sub_f32_e32 v23, v21, v20
	v_pk_add_f32 v[42:43], v[20:21], v[22:23] neg_lo:[0,1] neg_hi:[0,1]
	v_mov_b32_e32 v25, v20
	v_pk_add_f32 v[20:21], v[42:43], v[24:25] neg_lo:[0,1] neg_hi:[0,1]
	v_add_f32_e32 v11, v11, v21
	v_add_f32_e32 v11, v20, v11
	;; [unrolled: 1-line block ×3, first 2 shown]
	v_mul_f32_e32 v46, v44, v21
	v_mul_f32_e32 v22, v19, v46
	v_fma_f32 v24, v46, v19, -v22
	v_fmac_f32_e32 v24, v46, v8
	v_add_f32_e32 v20, v22, v24
	v_sub_f32_e32 v8, v23, v21
	v_sub_f32_e32 v23, v21, v20
	v_pk_add_f32 v[42:43], v[20:21], v[22:23] neg_lo:[0,1] neg_hi:[0,1]
	v_mov_b32_e32 v25, v20
	v_add_f32_e32 v8, v11, v8
	v_pk_add_f32 v[20:21], v[42:43], v[24:25] neg_lo:[0,1] neg_hi:[0,1]
	v_add_f32_e32 v8, v8, v21
	v_add_f32_e32 v8, v20, v8
	;; [unrolled: 1-line block ×4, first 2 shown]
	v_sub_f32_e32 v11, v19, v45
	v_mul_f32_e32 v8, v44, v8
	v_sub_f32_e32 v11, v46, v11
	v_add_f32_e32 v8, v11, v8
	v_add_f32_e32 v21, v19, v8
	v_cvt_f32_i32_e32 v20, v16
	v_mul_f32_e32 v22, v21, v21
	v_mov_b32_e32 v11, 0x3ecc95a3
	v_fmac_f32_e32 v11, 0x3e9b6dac, v22
	v_fma_f32 v11, v22, v11, v27
	v_sub_f32_e32 v16, v21, v19
	v_ldexp_f32 v23, v21, 1
	v_mul_f32_e32 v21, v21, v22
	v_pk_mul_f32 v[24:25], v[20:21], v[10:11]
	v_fma_f32 v22, v20, s36, -v24
	v_fmac_f32_e32 v22, 0xb102e308, v20
	v_pk_add_f32 v[20:21], v[24:25], v[22:23]
	v_sub_f32_e32 v8, v8, v16
	v_sub_f32_e32 v11, v21, v23
	v_ldexp_f32 v8, v8, 1
	v_sub_f32_e32 v11, v25, v11
	v_add_f32_e32 v43, v8, v11
	v_mov_b32_e32 v42, v24
	v_pk_add_f32 v[24:25], v[20:21], v[24:25] neg_lo:[0,1] neg_hi:[0,1]
	v_pk_add_f32 v[44:45], v[20:21], v[42:43]
	v_mov_b32_e32 v25, v45
	v_mov_b32_e32 v23, v20
	v_pk_add_f32 v[46:47], v[22:23], v[24:25] neg_lo:[0,1] neg_hi:[0,1]
	v_pk_add_f32 v[22:23], v[22:23], v[24:25]
	v_mov_b32_e32 v8, v23
	v_pk_add_f32 v[24:25], v[8:9], v[20:21] neg_lo:[0,1] neg_hi:[0,1]
	v_mov_b32_e32 v11, v24
	v_pk_add_f32 v[48:49], v[44:45], v[10:11] neg_lo:[0,1] neg_hi:[0,1]
	v_mov_b32_e32 v22, v45
	v_mov_b32_e32 v44, v21
	v_mov_b32_e32 v45, v24
	v_mov_b32_e32 v47, v23
	v_pk_add_f32 v[22:23], v[22:23], v[44:45] neg_lo:[0,1] neg_hi:[0,1]
	v_mov_b32_e32 v24, v43
	v_mov_b32_e32 v25, v20
	v_pk_add_f32 v[20:21], v[24:25], v[22:23] neg_lo:[0,1] neg_hi:[0,1]
	v_mov_b32_e32 v48, v46
	v_pk_add_f32 v[22:23], v[48:49], v[20:21]
	v_mov_b32_e32 v16, v23
	v_pk_add_f32 v[24:25], v[22:23], v[16:17]
	v_pk_add_f32 v[42:43], v[8:9], v[24:25]
	v_mov_b32_e32 v23, v42
	v_pk_add_f32 v[44:45], v[22:23], v[46:47] neg_lo:[0,1] neg_hi:[0,1]
	v_mov_b32_e32 v21, v24
	v_sub_f32_e32 v8, v22, v44
	v_pk_add_f32 v[20:21], v[20:21], v[44:45] neg_lo:[0,1] neg_hi:[0,1]
	v_sub_f32_e32 v8, v46, v8
	v_add_f32_e32 v8, v20, v8
	v_add_f32_e32 v8, v8, v21
	;; [unrolled: 1-line block ×3, first 2 shown]
	v_cmp_eq_f32_e32 vcc, s37, v18
	v_cndmask_b32_e32 v8, v8, v18, vcc
	v_cmp_ngt_f32_e32 vcc, -1.0, v18
	v_cndmask_b32_e32 v8, v34, v8, vcc
	v_cmp_neq_f32_e32 vcc, -1.0, v18
	v_cndmask_b32_e32 v8, v35, v8, vcc
	v_cmp_lt_f32_e64 vcc, |v18|, s38
	v_cndmask_b32_e32 v8, v8, v18, vcc
	v_mul_f32_e32 v19, 0.5, v8
	v_max_f32_e64 v8, |v3|, |v3|
	v_max_f32_e64 v11, |v2|, |v2|
	v_min_f32_e32 v16, v11, v8
	v_max_f32_e32 v8, v11, v8
	v_frexp_mant_f32_e32 v11, v8
	v_rcp_f32_e32 v11, v11
	v_frexp_exp_i32_f32_e32 v8, v8
	v_frexp_exp_i32_f32_e32 v18, v16
	v_frexp_mant_f32_e32 v16, v16
	v_mul_f32_e32 v11, v16, v11
	v_sub_u32_e32 v8, v18, v8
	v_ldexp_f32 v8, v11, v8
	v_mul_f32_e32 v11, v8, v8
	v_mov_b32_e32 v16, 0xbc7a590c
	v_fmac_f32_e32 v16, 0x3b2d2a58, v11
	v_fma_f32 v16, v11, v16, v28
	v_fma_f32 v16, v11, v16, v29
	;; [unrolled: 1-line block ×6, first 2 shown]
	v_mul_f32_e32 v11, v11, v16
	v_fmac_f32_e32 v8, v8, v11
	v_sub_f32_e32 v11, 0x3fc90fdb, v8
	v_cndmask_b32_e64 v8, v8, v11, s[0:1]
	v_sub_f32_e32 v11, 0x40490fdb, v8
	v_cmp_gt_f32_e32 vcc, 0, v2
	v_cmp_gt_i32_e64 s[2:3], 0, v2
	v_cndmask_b32_e32 v8, v8, v11, vcc
	v_cndmask_b32_e64 v11, 0, v36, s[2:3]
	v_cmp_eq_f32_e64 s[2:3], 0, v3
	v_cndmask_b32_e64 v8, v8, v11, s[2:3]
	v_cmp_class_f32_e64 s[2:3], v2, s39
	v_cmp_class_f32_e64 s[26:27], v3, s39
	v_cndmask_b32_e32 v11, v37, v38, vcc
	s_and_b64 vcc, s[2:3], s[26:27]
	v_cndmask_b32_e32 v8, v8, v11, vcc
.LBB199_243:                            ;   in Loop: Header=BB199_162 Depth=1
	s_or_b64 exec, exec, s[24:25]
.LBB199_244:                            ;   in Loop: Header=BB199_162 Depth=1
	s_or_b64 exec, exec, s[22:23]
.LBB199_245:                            ;   in Loop: Header=BB199_162 Depth=1
	s_andn2_saveexec_b64 s[20:21], s[20:21]
	s_cbranch_execz .LBB199_247
; %bb.246:                              ;   in Loop: Header=BB199_162 Depth=1
	v_max_f32_e64 v8, |v3|, |v3|
	v_max_f32_e64 v11, |v2|, |v2|
	v_max_f32_e32 v16, v11, v8
	v_cvt_f64_f32_e32 v[18:19], v16
	v_frexp_exp_i32_f64_e32 v18, v[18:19]
	v_sub_u32_e32 v19, 0, v18
	v_ldexp_f32 v20, |v2|, v19
	v_ldexp_f32 v19, |v3|, v19
	v_mul_f32_e32 v19, v19, v19
	v_fmac_f32_e32 v19, v20, v20
	v_sqrt_f32_e32 v19, v19
	v_cmp_neq_f32_e32 vcc, s37, v16
	v_min_f32_e32 v8, v11, v8
	v_frexp_mant_f32_e32 v11, v16
	v_ldexp_f32 v18, v19, v18
	v_cndmask_b32_e32 v18, v41, v18, vcc
	v_cmp_gt_f32_e32 vcc, s41, v18
	v_cndmask_b32_e32 v19, 1.0, v39, vcc
	v_mul_f32_e32 v18, v18, v19
	v_log_f32_e32 v18, v18
	v_rcp_f32_e32 v11, v11
	v_cndmask_b32_e32 v19, 0, v40, vcc
	v_frexp_exp_i32_f32_e32 v16, v16
	v_mul_f32_e32 v20, 0x3f317217, v18
	v_fma_f32 v21, v18, s42, -v20
	v_fmac_f32_e32 v21, 0x3377d1cf, v18
	v_add_f32_e32 v20, v20, v21
	v_cmp_lt_f32_e64 vcc, |v18|, s37
	v_cndmask_b32_e32 v18, v18, v20, vcc
	v_sub_f32_e32 v19, v18, v19
	v_frexp_exp_i32_f32_e32 v18, v8
	v_frexp_mant_f32_e32 v8, v8
	v_mul_f32_e32 v8, v8, v11
	v_sub_u32_e32 v11, v18, v16
	v_ldexp_f32 v8, v8, v11
	v_mul_f32_e32 v11, v8, v8
	v_mov_b32_e32 v16, 0xbc7a590c
	v_fmac_f32_e32 v16, 0x3b2d2a58, v11
	v_fma_f32 v16, v11, v16, v28
	v_fma_f32 v16, v11, v16, v29
	;; [unrolled: 1-line block ×6, first 2 shown]
	v_mul_f32_e32 v11, v11, v16
	v_fmac_f32_e32 v8, v8, v11
	v_sub_f32_e32 v11, 0x3fc90fdb, v8
	v_cndmask_b32_e64 v8, v8, v11, s[0:1]
	v_sub_f32_e32 v11, 0x40490fdb, v8
	v_cmp_gt_f32_e32 vcc, 0, v2
	v_cmp_gt_i32_e64 s[2:3], 0, v2
	v_cndmask_b32_e32 v8, v8, v11, vcc
	v_cndmask_b32_e64 v11, 0, v36, s[2:3]
	v_cmp_eq_f32_e64 s[2:3], 0, v3
	v_cndmask_b32_e64 v8, v8, v11, s[2:3]
	v_cmp_class_f32_e64 s[2:3], v2, s39
	v_cmp_class_f32_e64 s[22:23], v3, s39
	v_cndmask_b32_e32 v11, v37, v38, vcc
	s_and_b64 vcc, s[2:3], s[22:23]
	v_cndmask_b32_e32 v8, v8, v11, vcc
.LBB199_247:                            ;   in Loop: Header=BB199_162 Depth=1
	s_or_b64 exec, exec, s[20:21]
                                        ; implicit-def: $vgpr20
.LBB199_248:                            ;   in Loop: Header=BB199_162 Depth=1
	s_andn2_saveexec_b64 s[18:19], s[18:19]
	s_cbranch_execz .LBB199_254
; %bb.249:                              ;   in Loop: Header=BB199_162 Depth=1
	v_cmp_ngt_f32_e32 vcc, s43, v20
                                        ; implicit-def: $vgpr19
                                        ; implicit-def: $vgpr8
	s_and_saveexec_b64 s[2:3], vcc
	s_xor_b64 s[20:21], exec, s[2:3]
	s_cbranch_execz .LBB199_251
; %bb.250:                              ;   in Loop: Header=BB199_162 Depth=1
	v_pk_mul_f32 v[18:19], v[20:21], v[20:21]
	v_add_f32_e32 v21, 1.0, v18
	v_add_f32_e32 v19, -1.0, v21
	v_mov_b32_e32 v20, v19
	v_pk_add_f32 v[22:23], v[18:19], v[20:21] neg_lo:[0,1] neg_hi:[0,1]
	v_add_f32_e32 v8, 1.0, v23
	v_add_f32_e32 v8, v22, v8
	v_frexp_mant_f32_e32 v11, v21
	v_cvt_f64_f32_e32 v[22:23], v21
	v_frexp_exp_i32_f64_e32 v16, v[22:23]
	v_cmp_gt_f32_e32 vcc, s35, v11
	v_subbrev_co_u32_e32 v16, vcc, 0, v16, vcc
	v_sub_u32_e32 v11, 0, v16
	v_ldexp_f32 v19, v21, v11
	v_ldexp_f32 v8, v8, v11
	v_add_f32_e32 v11, -1.0, v19
	v_add_f32_e32 v21, 1.0, v19
	v_add_f32_e32 v20, 1.0, v11
	v_add_f32_e32 v22, -1.0, v21
	v_sub_f32_e32 v20, v19, v20
	v_sub_f32_e32 v19, v19, v22
	v_add_f32_e32 v20, v8, v20
	v_add_f32_e32 v8, v8, v19
	v_add_f32_e32 v19, v21, v8
	v_rcp_f32_e32 v44, v19
	v_sub_f32_e32 v21, v21, v19
	v_add_f32_e32 v8, v8, v21
	v_add_f32_e32 v21, v11, v20
	v_mul_f32_e32 v45, v21, v44
	v_mul_f32_e32 v22, v19, v45
	v_fma_f32 v24, v45, v19, -v22
	v_sub_f32_e32 v11, v11, v21
	v_fmac_f32_e32 v24, v45, v8
	v_add_f32_e32 v11, v20, v11
	v_add_f32_e32 v20, v22, v24
	v_sub_f32_e32 v23, v21, v20
	v_pk_add_f32 v[42:43], v[20:21], v[22:23] neg_lo:[0,1] neg_hi:[0,1]
	v_mov_b32_e32 v25, v20
	v_pk_add_f32 v[20:21], v[42:43], v[24:25] neg_lo:[0,1] neg_hi:[0,1]
	v_add_f32_e32 v11, v11, v21
	v_add_f32_e32 v11, v20, v11
	;; [unrolled: 1-line block ×3, first 2 shown]
	v_mul_f32_e32 v46, v44, v21
	v_mul_f32_e32 v22, v19, v46
	v_fma_f32 v24, v46, v19, -v22
	v_fmac_f32_e32 v24, v46, v8
	v_add_f32_e32 v20, v22, v24
	v_sub_f32_e32 v8, v23, v21
	v_sub_f32_e32 v23, v21, v20
	v_pk_add_f32 v[42:43], v[20:21], v[22:23] neg_lo:[0,1] neg_hi:[0,1]
	v_mov_b32_e32 v25, v20
	v_add_f32_e32 v8, v11, v8
	v_pk_add_f32 v[20:21], v[42:43], v[24:25] neg_lo:[0,1] neg_hi:[0,1]
	v_add_f32_e32 v8, v8, v21
	v_add_f32_e32 v8, v20, v8
	;; [unrolled: 1-line block ×4, first 2 shown]
	v_sub_f32_e32 v11, v19, v45
	v_mul_f32_e32 v8, v44, v8
	v_sub_f32_e32 v11, v46, v11
	v_add_f32_e32 v8, v11, v8
	v_add_f32_e32 v21, v19, v8
	v_cvt_f32_i32_e32 v20, v16
	v_mul_f32_e32 v22, v21, v21
	v_mov_b32_e32 v11, 0x3ecc95a3
	v_fmac_f32_e32 v11, 0x3e9b6dac, v22
	v_fma_f32 v11, v22, v11, v27
	v_sub_f32_e32 v16, v21, v19
	v_ldexp_f32 v23, v21, 1
	v_mul_f32_e32 v21, v21, v22
	v_pk_mul_f32 v[24:25], v[20:21], v[10:11]
	v_fma_f32 v22, v20, s36, -v24
	v_fmac_f32_e32 v22, 0xb102e308, v20
	v_pk_add_f32 v[20:21], v[24:25], v[22:23]
	v_sub_f32_e32 v8, v8, v16
	v_sub_f32_e32 v11, v21, v23
	v_ldexp_f32 v8, v8, 1
	v_sub_f32_e32 v11, v25, v11
	v_add_f32_e32 v43, v8, v11
	v_mov_b32_e32 v42, v24
	v_pk_add_f32 v[24:25], v[20:21], v[24:25] neg_lo:[0,1] neg_hi:[0,1]
	v_pk_add_f32 v[44:45], v[20:21], v[42:43]
	v_mov_b32_e32 v25, v45
	v_mov_b32_e32 v23, v20
	v_pk_add_f32 v[46:47], v[22:23], v[24:25] neg_lo:[0,1] neg_hi:[0,1]
	v_pk_add_f32 v[22:23], v[22:23], v[24:25]
	v_mov_b32_e32 v8, v23
	v_pk_add_f32 v[24:25], v[8:9], v[20:21] neg_lo:[0,1] neg_hi:[0,1]
	v_mov_b32_e32 v11, v24
	v_pk_add_f32 v[48:49], v[44:45], v[10:11] neg_lo:[0,1] neg_hi:[0,1]
	v_mov_b32_e32 v22, v45
	v_mov_b32_e32 v44, v21
	;; [unrolled: 1-line block ×4, first 2 shown]
	v_pk_add_f32 v[22:23], v[22:23], v[44:45] neg_lo:[0,1] neg_hi:[0,1]
	v_mov_b32_e32 v24, v43
	v_mov_b32_e32 v25, v20
	v_pk_add_f32 v[20:21], v[24:25], v[22:23] neg_lo:[0,1] neg_hi:[0,1]
	v_mov_b32_e32 v48, v46
	v_pk_add_f32 v[22:23], v[48:49], v[20:21]
	v_mov_b32_e32 v16, v23
	v_pk_add_f32 v[24:25], v[22:23], v[16:17]
	v_pk_add_f32 v[42:43], v[8:9], v[24:25]
	v_mov_b32_e32 v23, v42
	v_pk_add_f32 v[44:45], v[22:23], v[46:47] neg_lo:[0,1] neg_hi:[0,1]
	v_mov_b32_e32 v21, v24
	v_sub_f32_e32 v8, v22, v44
	v_pk_add_f32 v[20:21], v[20:21], v[44:45] neg_lo:[0,1] neg_hi:[0,1]
	v_sub_f32_e32 v8, v46, v8
	v_add_f32_e32 v8, v20, v8
	v_add_f32_e32 v8, v8, v21
	v_cmp_eq_f32_e32 vcc, s37, v18
	v_cmp_lt_f32_e64 s[2:3], |v18|, s38
	v_add_f32_e32 v8, v42, v8
	s_or_b64 vcc, vcc, s[2:3]
	v_cndmask_b32_e32 v8, v8, v18, vcc
	v_mul_f32_e32 v19, 0.5, v8
	v_max_f32_e64 v8, |v3|, |v3|
	v_max_f32_e64 v11, |v2|, |v2|
	v_min_f32_e32 v16, v11, v8
	v_max_f32_e32 v8, v11, v8
	v_frexp_mant_f32_e32 v11, v8
	v_rcp_f32_e32 v11, v11
	v_frexp_exp_i32_f32_e32 v8, v8
	v_frexp_exp_i32_f32_e32 v18, v16
	v_frexp_mant_f32_e32 v16, v16
	v_mul_f32_e32 v11, v16, v11
	v_sub_u32_e32 v8, v18, v8
	v_ldexp_f32 v8, v11, v8
	v_mul_f32_e32 v11, v8, v8
	v_mov_b32_e32 v16, 0xbc7a590c
	v_fmac_f32_e32 v16, 0x3b2d2a58, v11
	v_fma_f32 v16, v11, v16, v28
	v_fma_f32 v16, v11, v16, v29
	;; [unrolled: 1-line block ×6, first 2 shown]
	v_mul_f32_e32 v11, v11, v16
	v_fmac_f32_e32 v8, v8, v11
	v_sub_f32_e32 v11, 0x3fc90fdb, v8
	v_cndmask_b32_e64 v8, v8, v11, s[0:1]
	v_sub_f32_e32 v11, 0x40490fdb, v8
	v_cmp_gt_f32_e32 vcc, 0, v2
	v_cmp_gt_i32_e64 s[2:3], 0, v2
	v_cndmask_b32_e32 v8, v8, v11, vcc
	v_cndmask_b32_e64 v11, 0, v36, s[2:3]
	v_cmp_eq_f32_e64 s[2:3], 0, v3
	v_cndmask_b32_e64 v8, v8, v11, s[2:3]
	v_cmp_class_f32_e64 s[2:3], v2, s39
	v_cmp_class_f32_e64 s[22:23], v3, s39
	v_cndmask_b32_e32 v11, v37, v38, vcc
	s_and_b64 vcc, s[2:3], s[22:23]
	v_cndmask_b32_e32 v8, v8, v11, vcc
                                        ; implicit-def: $vgpr20
.LBB199_251:                            ;   in Loop: Header=BB199_162 Depth=1
	s_andn2_saveexec_b64 s[20:21], s[20:21]
	s_cbranch_execz .LBB199_253
; %bb.252:                              ;   in Loop: Header=BB199_162 Depth=1
	v_mul_f32_e32 v8, 0.5, v20
	v_mul_f32_e32 v19, v20, v8
	v_max_f32_e64 v8, |v3|, |v3|
	v_max_f32_e64 v11, |v2|, |v2|
	v_min_f32_e32 v16, v11, v8
	v_max_f32_e32 v8, v11, v8
	v_frexp_mant_f32_e32 v11, v8
	v_rcp_f32_e32 v11, v11
	v_frexp_exp_i32_f32_e32 v8, v8
	v_frexp_exp_i32_f32_e32 v18, v16
	v_frexp_mant_f32_e32 v16, v16
	v_mul_f32_e32 v11, v16, v11
	v_sub_u32_e32 v8, v18, v8
	v_ldexp_f32 v8, v11, v8
	v_mul_f32_e32 v11, v8, v8
	v_mov_b32_e32 v16, 0xbc7a590c
	v_fmac_f32_e32 v16, 0x3b2d2a58, v11
	v_fma_f32 v16, v11, v16, v28
	v_fma_f32 v16, v11, v16, v29
	;; [unrolled: 1-line block ×6, first 2 shown]
	v_mul_f32_e32 v11, v11, v16
	v_fmac_f32_e32 v8, v8, v11
	v_sub_f32_e32 v11, 0x3fc90fdb, v8
	v_cndmask_b32_e64 v8, v8, v11, s[0:1]
	v_sub_f32_e32 v11, 0x40490fdb, v8
	v_cmp_gt_f32_e32 vcc, 0, v2
	v_cmp_gt_i32_e64 s[2:3], 0, v2
	v_cndmask_b32_e32 v8, v8, v11, vcc
	v_cndmask_b32_e64 v11, 0, v36, s[2:3]
	v_cmp_eq_f32_e64 s[2:3], 0, v3
	v_cndmask_b32_e64 v8, v8, v11, s[2:3]
	v_cmp_class_f32_e64 s[2:3], v2, s39
	v_cmp_class_f32_e64 s[22:23], v3, s39
	v_cndmask_b32_e32 v11, v37, v38, vcc
	s_and_b64 vcc, s[2:3], s[22:23]
	v_cndmask_b32_e32 v8, v8, v11, vcc
.LBB199_253:                            ;   in Loop: Header=BB199_162 Depth=1
	s_or_b64 exec, exec, s[20:21]
.LBB199_254:                            ;   in Loop: Header=BB199_162 Depth=1
	s_or_b64 exec, exec, s[18:19]
.LBB199_255:                            ;   in Loop: Header=BB199_162 Depth=1
	s_andn2_saveexec_b64 s[16:17], s[16:17]
	s_cbranch_execz .LBB199_257
; %bb.256:                              ;   in Loop: Header=BB199_162 Depth=1
	v_div_scale_f32 v8, s[2:3], s44, s44, v2
	v_rcp_f32_e32 v11, v8
	v_div_scale_f32 v16, vcc, v2, s44, v2
	v_fma_f32 v18, -v8, v11, 1.0
	v_fmac_f32_e32 v11, v18, v11
	v_mul_f32_e32 v18, v16, v11
	v_fma_f32 v19, -v8, v18, v16
	v_fmac_f32_e32 v18, v19, v11
	v_fma_f32 v8, -v8, v18, v16
	v_div_scale_f32 v16, s[2:3], s44, s44, v3
	v_rcp_f32_e32 v19, v16
	v_div_fmas_f32 v8, v8, v11, v18
	v_div_fixup_f32 v8, v8, s44, v2
	v_fma_f32 v11, -v16, v19, 1.0
	v_fmac_f32_e32 v19, v11, v19
	v_div_scale_f32 v11, vcc, v3, s44, v3
	v_mul_f32_e32 v18, v11, v19
	v_fma_f32 v20, -v16, v18, v11
	v_fmac_f32_e32 v18, v20, v19
	v_fma_f32 v11, -v16, v18, v11
	v_div_fmas_f32 v11, v11, v19, v18
	v_div_fixup_f32 v11, v11, s44, v3
	v_max_f32_e64 v16, |v8|, |v11|
	v_cvt_f64_f32_e32 v[18:19], v16
	v_frexp_exp_i32_f64_e32 v18, v[18:19]
	v_sub_u32_e32 v19, 0, v18
	v_ldexp_f32 v11, |v11|, v19
	v_ldexp_f32 v8, |v8|, v19
	v_mul_f32_e32 v11, v11, v11
	v_fmac_f32_e32 v11, v8, v8
	v_sqrt_f32_e32 v8, v11
	v_cmp_neq_f32_e32 vcc, s37, v16
	v_ldexp_f32 v8, v8, v18
	v_cndmask_b32_e32 v8, v41, v8, vcc
	v_cmp_gt_f32_e32 vcc, s41, v8
	v_cndmask_b32_e32 v11, 1.0, v39, vcc
	v_mul_f32_e32 v8, v8, v11
	v_log_f32_e32 v8, v8
	v_mul_f32_e32 v11, 0x3f317217, v8
	v_fma_f32 v16, v8, s42, -v11
	v_fmac_f32_e32 v16, 0x3377d1cf, v8
	v_add_f32_e32 v11, v11, v16
	v_cmp_lt_f32_e64 s[2:3], |v8|, s37
	v_cndmask_b32_e64 v8, v8, v11, s[2:3]
	v_cndmask_b32_e32 v11, 0, v40, vcc
	v_sub_f32_e32 v8, v8, v11
	v_add_f32_e32 v19, 1.0, v8
	v_max_f32_e64 v8, |v3|, |v3|
	v_max_f32_e64 v11, |v2|, |v2|
	v_min_f32_e32 v16, v11, v8
	v_max_f32_e32 v8, v11, v8
	v_frexp_mant_f32_e32 v11, v8
	v_rcp_f32_e32 v11, v11
	v_frexp_exp_i32_f32_e32 v8, v8
	v_frexp_exp_i32_f32_e32 v18, v16
	v_frexp_mant_f32_e32 v16, v16
	v_mul_f32_e32 v11, v16, v11
	v_sub_u32_e32 v8, v18, v8
	v_ldexp_f32 v8, v11, v8
	v_mul_f32_e32 v11, v8, v8
	v_mov_b32_e32 v16, 0xbc7a590c
	v_fmac_f32_e32 v16, 0x3b2d2a58, v11
	v_fma_f32 v16, v11, v16, v28
	v_fma_f32 v16, v11, v16, v29
	;; [unrolled: 1-line block ×6, first 2 shown]
	v_mul_f32_e32 v11, v11, v16
	v_fmac_f32_e32 v8, v8, v11
	v_sub_f32_e32 v11, 0x3fc90fdb, v8
	v_cndmask_b32_e64 v8, v8, v11, s[0:1]
	v_sub_f32_e32 v11, 0x40490fdb, v8
	v_cmp_gt_f32_e32 vcc, 0, v2
	v_cmp_gt_i32_e64 s[0:1], 0, v2
	v_cndmask_b32_e32 v8, v8, v11, vcc
	v_cndmask_b32_e64 v11, 0, v36, s[0:1]
	v_cmp_eq_f32_e64 s[0:1], 0, v3
	v_cndmask_b32_e64 v8, v8, v11, s[0:1]
	v_cmp_class_f32_e64 s[0:1], v2, s39
	v_cmp_class_f32_e64 s[2:3], v3, s39
	v_cndmask_b32_e32 v11, v37, v38, vcc
	s_and_b64 vcc, s[0:1], s[2:3]
	v_cndmask_b32_e32 v8, v8, v11, vcc
.LBB199_257:                            ;   in Loop: Header=BB199_162 Depth=1
	s_or_b64 exec, exec, s[16:17]
.LBB199_258:                            ;   in Loop: Header=BB199_162 Depth=1
	s_andn2_saveexec_b64 s[0:1], s[12:13]
	s_cbranch_execz .LBB199_264
; %bb.259:                              ;   in Loop: Header=BB199_162 Depth=1
	v_cmp_nlt_f32_e64 s[2:3], |v2|, s45
	v_cmp_nlt_f32_e64 s[12:13], |v3|, s45
	s_or_b64 s[2:3], s[2:3], s[12:13]
                                        ; implicit-def: $vgpr8
	s_and_saveexec_b64 s[12:13], s[2:3]
	s_xor_b64 s[2:3], exec, s[12:13]
; %bb.260:                              ;   in Loop: Header=BB199_162 Depth=1
	v_pk_mul_f32 v[18:19], v[2:3], v[2:3]
	v_add_f32_e32 v8, v18, v19
; %bb.261:                              ;   in Loop: Header=BB199_162 Depth=1
	s_andn2_saveexec_b64 s[2:3], s[2:3]
; %bb.262:                              ;   in Loop: Header=BB199_162 Depth=1
	v_pk_mul_f32 v[18:19], v[2:3], 4.0 op_sel_hi:[1,0]
	v_pk_mul_f32 v[18:19], v[18:19], v[18:19]
	v_add_f32_e32 v2, v18, v19
	v_mul_f32_e32 v8, 0x3d800000, v2
; %bb.263:                              ;   in Loop: Header=BB199_162 Depth=1
	s_or_b64 exec, exec, s[2:3]
	v_cmp_gt_f32_e32 vcc, s41, v8
	v_cndmask_b32_e32 v2, 1.0, v39, vcc
	v_mul_f32_e32 v2, v8, v2
	v_log_f32_e32 v2, v2
	v_cndmask_b32_e32 v8, 0, v40, vcc
	v_mul_f32_e32 v11, 0x3f317217, v2
	v_fma_f32 v16, v2, s42, -v11
	v_fmac_f32_e32 v16, 0x3377d1cf, v2
	v_add_f32_e32 v11, v11, v16
	v_cmp_lt_f32_e64 vcc, |v2|, s37
	v_cndmask_b32_e32 v2, v2, v11, vcc
	v_sub_f32_e32 v19, v2, v8
	v_mov_b32_e32 v8, 0x7fc00000
.LBB199_264:                            ;   in Loop: Header=BB199_162 Depth=1
	s_or_b64 exec, exec, s[0:1]
	v_cmp_o_f32_e32 vcc, v5, v4
                                        ; implicit-def: $vgpr21
                                        ; implicit-def: $vgpr2
	s_and_saveexec_b64 s[0:1], vcc
	s_xor_b64 s[12:13], exec, s[0:1]
	s_cbranch_execz .LBB199_292
; %bb.265:                              ;   in Loop: Header=BB199_162 Depth=1
	v_cmp_lt_f32_e64 s[0:1], |v4|, |v5|
	v_cndmask_b32_e64 v11, v5, v4, s[0:1]
	v_cmp_ngt_f32_e64 s[2:3], |v11|, s30
                                        ; implicit-def: $vgpr21
                                        ; implicit-def: $vgpr2
	s_and_saveexec_b64 s[16:17], s[2:3]
	s_xor_b64 s[16:17], exec, s[16:17]
	s_cbranch_execz .LBB199_289
; %bb.266:                              ;   in Loop: Header=BB199_162 Depth=1
	v_cndmask_b32_e64 v2, v4, v5, s[0:1]
	v_and_b32_e32 v23, 0x7fffffff, v2
	v_and_b32_e32 v22, 0x7fffffff, v11
	v_cmp_neq_f32_e32 vcc, 1.0, v23
                                        ; implicit-def: $vgpr21
                                        ; implicit-def: $vgpr2
	s_and_saveexec_b64 s[2:3], vcc
	s_xor_b64 s[18:19], exec, s[2:3]
	s_cbranch_execz .LBB199_282
; %bb.267:                              ;   in Loop: Header=BB199_162 Depth=1
	v_max_f32_e32 v2, v22, v22
	v_max_f32_e32 v11, v23, v23
	v_min_f32_e32 v16, v11, v2
	v_max_f32_e32 v2, v11, v2
	v_cmp_ngt_f32_e32 vcc, s31, v16
	v_cmp_nlt_f32_e64 s[2:3], s34, v2
	s_and_b64 s[2:3], s[2:3], vcc
                                        ; implicit-def: $vgpr21
                                        ; implicit-def: $vgpr2
	s_and_saveexec_b64 s[20:21], s[2:3]
	s_xor_b64 s[20:21], exec, s[20:21]
	s_cbranch_execz .LBB199_279
; %bb.268:                              ;   in Loop: Header=BB199_162 Depth=1
	v_cmp_le_f32_e32 vcc, 1.0, v23
                                        ; implicit-def: $vgpr21
                                        ; implicit-def: $vgpr2
	s_and_saveexec_b64 s[2:3], vcc
	s_xor_b64 s[22:23], exec, s[2:3]
	s_cbranch_execz .LBB199_270
; %bb.269:                              ;   in Loop: Header=BB199_162 Depth=1
	v_pk_add_f32 v[20:21], v[22:23], s[6:7] op_sel:[1,0]
	v_mov_b32_e32 v2, v21
	v_pk_mul_f32 v[20:21], v[20:21], v[2:3]
	v_pk_fma_f32 v[20:21], v[22:23], v[22:23], v[20:21]
	v_add_f32_e32 v23, 1.0, v20
	v_add_f32_e32 v21, -1.0, v23
	v_mov_b32_e32 v22, v21
	v_pk_add_f32 v[24:25], v[20:21], v[22:23] neg_lo:[0,1] neg_hi:[0,1]
	v_add_f32_e32 v2, 1.0, v25
	v_add_f32_e32 v2, v24, v2
	v_frexp_mant_f32_e32 v11, v23
	v_cvt_f64_f32_e32 v[24:25], v23
	v_frexp_exp_i32_f64_e32 v16, v[24:25]
	v_cmp_gt_f32_e32 vcc, s35, v11
	v_subbrev_co_u32_e32 v16, vcc, 0, v16, vcc
	v_sub_u32_e32 v11, 0, v16
	v_ldexp_f32 v18, v23, v11
	v_ldexp_f32 v2, v2, v11
	v_add_f32_e32 v11, -1.0, v18
	v_add_f32_e32 v22, 1.0, v18
	v_add_f32_e32 v21, 1.0, v11
	v_add_f32_e32 v23, -1.0, v22
	v_sub_f32_e32 v21, v18, v21
	v_sub_f32_e32 v18, v18, v23
	v_add_f32_e32 v21, v2, v21
	v_add_f32_e32 v2, v2, v18
	;; [unrolled: 1-line block ×3, first 2 shown]
	v_rcp_f32_e32 v46, v18
	v_add_f32_e32 v23, v11, v21
	v_sub_f32_e32 v11, v23, v11
	v_sub_f32_e32 v11, v21, v11
	v_mul_f32_e32 v21, v23, v46
	v_sub_f32_e32 v22, v18, v22
	v_mul_f32_e32 v24, v18, v21
	v_sub_f32_e32 v2, v2, v22
	v_fma_f32 v42, v21, v18, -v24
	v_fmac_f32_e32 v42, v21, v2
	v_add_f32_e32 v22, v24, v42
	v_sub_f32_e32 v25, v23, v22
	v_pk_add_f32 v[44:45], v[22:23], v[24:25] neg_lo:[0,1] neg_hi:[0,1]
	v_mov_b32_e32 v43, v22
	v_pk_add_f32 v[22:23], v[44:45], v[42:43] neg_lo:[0,1] neg_hi:[0,1]
	v_add_f32_e32 v11, v11, v23
	v_add_f32_e32 v11, v22, v11
	;; [unrolled: 1-line block ×3, first 2 shown]
	v_mul_f32_e32 v47, v46, v23
	v_mul_f32_e32 v24, v18, v47
	v_fma_f32 v42, v47, v18, -v24
	v_fmac_f32_e32 v42, v47, v2
	v_add_f32_e32 v22, v24, v42
	v_sub_f32_e32 v2, v25, v23
	v_sub_f32_e32 v25, v23, v22
	v_pk_add_f32 v[44:45], v[22:23], v[24:25] neg_lo:[0,1] neg_hi:[0,1]
	v_mov_b32_e32 v43, v22
	v_add_f32_e32 v2, v11, v2
	v_pk_add_f32 v[22:23], v[44:45], v[42:43] neg_lo:[0,1] neg_hi:[0,1]
	v_add_f32_e32 v2, v2, v23
	v_add_f32_e32 v2, v22, v2
	;; [unrolled: 1-line block ×4, first 2 shown]
	v_sub_f32_e32 v11, v18, v21
	v_mul_f32_e32 v2, v46, v2
	v_sub_f32_e32 v11, v47, v11
	v_add_f32_e32 v2, v11, v2
	v_add_f32_e32 v21, v18, v2
	v_cvt_f32_i32_e32 v22, v16
	v_mul_f32_e32 v23, v21, v21
	v_mov_b32_e32 v11, 0x3ecc95a3
	v_fmac_f32_e32 v11, 0x3e9b6dac, v23
	v_fma_f32 v11, v23, v11, v27
	v_mul_f32_e32 v23, v21, v23
	v_pk_mul_f32 v[42:43], v[22:23], v[10:11]
	v_fma_f32 v24, v22, s36, -v42
	v_ldexp_f32 v25, v21, 1
	v_fmac_f32_e32 v24, 0xb102e308, v22
	v_sub_f32_e32 v16, v21, v18
	v_pk_add_f32 v[22:23], v[42:43], v[24:25]
	v_sub_f32_e32 v2, v2, v16
	v_sub_f32_e32 v11, v23, v25
	v_ldexp_f32 v2, v2, 1
	v_sub_f32_e32 v11, v43, v11
	v_add_f32_e32 v45, v2, v11
	v_mov_b32_e32 v44, v42
	v_pk_add_f32 v[42:43], v[22:23], v[42:43] neg_lo:[0,1] neg_hi:[0,1]
	v_pk_add_f32 v[46:47], v[22:23], v[44:45]
	v_mov_b32_e32 v43, v47
	v_mov_b32_e32 v25, v22
	v_pk_add_f32 v[48:49], v[24:25], v[42:43] neg_lo:[0,1] neg_hi:[0,1]
	v_pk_add_f32 v[24:25], v[24:25], v[42:43]
	v_mov_b32_e32 v2, v25
	v_pk_add_f32 v[42:43], v[2:3], v[22:23] neg_lo:[0,1] neg_hi:[0,1]
	v_mov_b32_e32 v11, v42
	v_pk_add_f32 v[50:51], v[46:47], v[10:11] neg_lo:[0,1] neg_hi:[0,1]
	v_mov_b32_e32 v24, v47
	v_mov_b32_e32 v46, v23
	;; [unrolled: 1-line block ×4, first 2 shown]
	v_pk_add_f32 v[24:25], v[24:25], v[46:47] neg_lo:[0,1] neg_hi:[0,1]
	v_mov_b32_e32 v42, v45
	v_mov_b32_e32 v43, v22
	v_pk_add_f32 v[22:23], v[42:43], v[24:25] neg_lo:[0,1] neg_hi:[0,1]
	v_mov_b32_e32 v50, v48
	v_pk_add_f32 v[24:25], v[50:51], v[22:23]
	v_mov_b32_e32 v16, v25
	v_pk_add_f32 v[42:43], v[24:25], v[16:17]
	v_pk_add_f32 v[44:45], v[2:3], v[42:43]
	v_mov_b32_e32 v25, v44
	v_pk_add_f32 v[46:47], v[24:25], v[48:49] neg_lo:[0,1] neg_hi:[0,1]
	v_mov_b32_e32 v23, v42
	v_sub_f32_e32 v2, v24, v46
	v_pk_add_f32 v[22:23], v[22:23], v[46:47] neg_lo:[0,1] neg_hi:[0,1]
	v_sub_f32_e32 v2, v48, v2
	v_add_f32_e32 v2, v22, v2
	v_add_f32_e32 v2, v2, v23
	;; [unrolled: 1-line block ×3, first 2 shown]
	v_cmp_eq_f32_e32 vcc, s37, v20
	v_cndmask_b32_e32 v2, v2, v20, vcc
	v_cmp_ngt_f32_e32 vcc, -1.0, v20
	v_cndmask_b32_e32 v2, v34, v2, vcc
	v_cmp_neq_f32_e32 vcc, -1.0, v20
	v_cndmask_b32_e32 v2, v35, v2, vcc
	v_cmp_lt_f32_e64 vcc, |v20|, s38
	v_cndmask_b32_e32 v2, v2, v20, vcc
	v_mul_f32_e32 v21, 0.5, v2
	v_max_f32_e64 v2, |v5|, |v5|
	v_max_f32_e64 v11, |v4|, |v4|
	v_min_f32_e32 v16, v11, v2
	v_max_f32_e32 v2, v11, v2
	v_frexp_mant_f32_e32 v11, v2
	v_rcp_f32_e32 v11, v11
	v_frexp_exp_i32_f32_e32 v2, v2
	v_frexp_exp_i32_f32_e32 v18, v16
	v_frexp_mant_f32_e32 v16, v16
	v_mul_f32_e32 v11, v16, v11
	v_sub_u32_e32 v2, v18, v2
	v_ldexp_f32 v2, v11, v2
	v_mul_f32_e32 v11, v2, v2
	v_mov_b32_e32 v16, 0xbc7a590c
	v_fmac_f32_e32 v16, 0x3b2d2a58, v11
	v_fma_f32 v16, v11, v16, v28
	v_fma_f32 v16, v11, v16, v29
	;; [unrolled: 1-line block ×6, first 2 shown]
	v_mul_f32_e32 v11, v11, v16
	v_fmac_f32_e32 v2, v2, v11
	v_sub_f32_e32 v11, 0x3fc90fdb, v2
	v_cndmask_b32_e64 v2, v2, v11, s[0:1]
	v_sub_f32_e32 v11, 0x40490fdb, v2
	v_cmp_gt_f32_e32 vcc, 0, v4
	v_cmp_gt_i32_e64 s[2:3], 0, v4
	v_cndmask_b32_e32 v2, v2, v11, vcc
	v_cndmask_b32_e64 v11, 0, v36, s[2:3]
	v_cmp_eq_f32_e64 s[2:3], 0, v5
	v_cndmask_b32_e64 v2, v2, v11, s[2:3]
	v_cmp_class_f32_e64 s[2:3], v4, s39
	v_cmp_class_f32_e64 s[24:25], v5, s39
	v_cndmask_b32_e32 v11, v37, v38, vcc
	s_and_b64 vcc, s[2:3], s[24:25]
	v_cndmask_b32_e32 v2, v2, v11, vcc
                                        ; implicit-def: $vgpr22_vgpr23
.LBB199_270:                            ;   in Loop: Header=BB199_162 Depth=1
	s_andn2_saveexec_b64 s[22:23], s[22:23]
	s_cbranch_execz .LBB199_278
; %bb.271:                              ;   in Loop: Header=BB199_162 Depth=1
	v_pk_mul_f32 v[20:21], v[22:23], v[22:23]
	v_add_f32_e32 v11, v21, v20
	v_cmp_ge_f32_e32 vcc, s40, v11
                                        ; implicit-def: $vgpr21
                                        ; implicit-def: $vgpr2
	s_and_saveexec_b64 s[2:3], vcc
	s_xor_b64 s[24:25], exec, s[2:3]
	s_cbranch_execz .LBB199_273
; %bb.272:                              ;   in Loop: Header=BB199_162 Depth=1
	v_cmp_gt_f32_e32 vcc, s41, v11
	v_cndmask_b32_e32 v2, 1.0, v39, vcc
	v_mul_f32_e32 v2, v11, v2
	v_log_f32_e32 v2, v2
	v_cndmask_b32_e32 v11, 0, v40, vcc
	v_cmp_gt_i32_e64 s[2:3], 0, v4
	v_cmp_class_f32_e64 s[26:27], v5, s39
	v_mul_f32_e32 v16, 0x3f317217, v2
	v_fma_f32 v18, v2, s42, -v16
	v_fmac_f32_e32 v18, 0x3377d1cf, v2
	v_add_f32_e32 v16, v16, v18
	v_cmp_lt_f32_e64 vcc, |v2|, s37
	v_cndmask_b32_e32 v2, v2, v16, vcc
	v_sub_f32_e32 v2, v2, v11
	v_mul_f32_e32 v21, 0.5, v2
	v_max_f32_e64 v2, |v5|, |v5|
	v_max_f32_e64 v11, |v4|, |v4|
	v_min_f32_e32 v16, v11, v2
	v_max_f32_e32 v2, v11, v2
	v_frexp_mant_f32_e32 v11, v2
	v_rcp_f32_e32 v11, v11
	v_frexp_exp_i32_f32_e32 v2, v2
	v_frexp_exp_i32_f32_e32 v18, v16
	v_frexp_mant_f32_e32 v16, v16
	v_mul_f32_e32 v11, v16, v11
	v_sub_u32_e32 v2, v18, v2
	v_ldexp_f32 v2, v11, v2
	v_mul_f32_e32 v11, v2, v2
	v_mov_b32_e32 v16, 0xbc7a590c
	v_fmac_f32_e32 v16, 0x3b2d2a58, v11
	v_fma_f32 v16, v11, v16, v28
	v_fma_f32 v16, v11, v16, v29
	;; [unrolled: 1-line block ×6, first 2 shown]
	v_mul_f32_e32 v11, v11, v16
	v_fmac_f32_e32 v2, v2, v11
	v_sub_f32_e32 v11, 0x3fc90fdb, v2
	v_cndmask_b32_e64 v2, v2, v11, s[0:1]
	v_sub_f32_e32 v11, 0x40490fdb, v2
	v_cmp_gt_f32_e32 vcc, 0, v4
	v_cndmask_b32_e32 v2, v2, v11, vcc
	v_cndmask_b32_e64 v11, 0, v36, s[2:3]
	v_cmp_eq_f32_e64 s[2:3], 0, v5
	v_cndmask_b32_e64 v2, v2, v11, s[2:3]
	v_cmp_class_f32_e64 s[2:3], v4, s39
	v_cndmask_b32_e32 v11, v37, v38, vcc
	s_and_b64 vcc, s[2:3], s[26:27]
	v_cndmask_b32_e32 v2, v2, v11, vcc
                                        ; implicit-def: $vgpr22_vgpr23
.LBB199_273:                            ;   in Loop: Header=BB199_162 Depth=1
	s_andn2_saveexec_b64 s[24:25], s[24:25]
	s_cbranch_execz .LBB199_277
; %bb.274:                              ;   in Loop: Header=BB199_162 Depth=1
	v_and_b32_e32 v25, 0x7fff0000, v22
	v_and_b32_e32 v24, 0x7fff0000, v23
	v_pk_add_f32 v[20:21], v[22:23], v[24:25] op_sel:[1,0] op_sel_hi:[0,1] neg_lo:[0,1] neg_hi:[0,1]
	v_and_b32_e32 v43, 0xffff0000, v21
	v_and_b32_e32 v42, 0xffff0000, v20
	v_pk_add_f32 v[44:45], v[20:21], v[42:43] neg_lo:[0,1] neg_hi:[0,1]
	v_pk_mul_f32 v[20:21], v[24:25], v[24:25]
	v_add_f32_e32 v16, v24, v24
	v_add_f32_e32 v24, v25, v25
	v_mul_f32_e32 v11, v16, v42
	v_mul_f32_e32 v2, v24, v43
	v_mul_f32_e32 v18, v16, v44
	v_mul_f32_e32 v16, v24, v45
	v_add_f32_e32 v24, v42, v42
	v_pk_mul_f32 v[22:23], v[42:43], v[42:43]
	v_mul_f32_e32 v42, v24, v44
	v_add_f32_e32 v24, v43, v43
	v_mul_f32_e32 v43, v24, v45
	v_pk_mul_f32 v[24:25], v[44:45], v[44:45]
	s_mov_b64 s[26:27], 0
.LBB199_275:                            ;   Parent Loop BB199_162 Depth=1
                                        ; =>  This Inner Loop Header: Depth=2
	v_cmp_nlt_f32_e32 vcc, v20, v21
	v_cndmask_b32_e32 v44, v20, v21, vcc
	v_cmp_nlt_f32_e64 s[2:3], v44, v11
	v_cndmask_b32_e64 v45, v44, v11, s[2:3]
	v_cndmask_b32_e32 v20, v21, v20, vcc
	s_and_b64 s[46:47], vcc, s[2:3]
	v_cmp_nlt_f32_e32 vcc, v45, v2
	v_cndmask_b32_e64 v21, v11, v44, s[2:3]
	v_cndmask_b32_e32 v44, v45, v2, vcc
	v_cmp_nlt_f32_e64 s[2:3], v44, v22
	v_cndmask_b32_e32 v11, v2, v45, vcc
	v_cndmask_b32_e64 v45, v44, v22, s[2:3]
	s_and_b64 s[48:49], vcc, s[2:3]
	v_cmp_nlt_f32_e32 vcc, v45, v23
	v_cndmask_b32_e64 v2, v22, v44, s[2:3]
	v_cndmask_b32_e32 v44, v45, v23, vcc
	v_cmp_nlt_f32_e64 s[2:3], v44, v18
	v_cndmask_b32_e32 v22, v23, v45, vcc
	v_cndmask_b32_e64 v45, v44, v18, s[2:3]
	v_cndmask_b32_e64 v23, v18, v44, s[2:3]
	s_and_b64 s[2:3], vcc, s[2:3]
	v_cmp_nlt_f32_e32 vcc, v45, v16
	v_cndmask_b32_e32 v44, v45, v16, vcc
	v_cndmask_b32_e32 v18, v16, v45, vcc
	s_and_b64 s[2:3], s[2:3], vcc
	v_cmp_nlt_f32_e32 vcc, v44, v42
	v_cndmask_b32_e32 v45, v44, v42, vcc
	v_cndmask_b32_e32 v16, v42, v44, vcc
	s_and_b64 s[2:3], s[2:3], vcc
	;; [unrolled: 4-line block ×4, first 2 shown]
	v_cmp_nlt_f32_e32 vcc, v45, v25
	s_and_b64 s[2:3], s[2:3], vcc
	s_and_b64 s[2:3], s[2:3], s[48:49]
	s_and_b64 s[2:3], s[2:3], s[46:47]
	s_and_b64 s[2:3], exec, s[2:3]
	v_cndmask_b32_e32 v24, v25, v45, vcc
	s_or_b64 s[26:27], s[2:3], s[26:27]
	v_cndmask_b32_e32 v25, v45, v25, vcc
	s_andn2_b64 exec, exec, s[26:27]
	s_cbranch_execnz .LBB199_275
; %bb.276:                              ;   in Loop: Header=BB199_162 Depth=1
	s_or_b64 exec, exec, s[26:27]
	v_add_f32_e32 v20, -1.0, v20
	v_add_f32_e32 v20, v20, v21
	v_add_f32_e32 v11, v20, v11
	v_add_f32_e32 v2, v11, v2
	v_add_f32_e32 v2, v2, v22
	v_add_f32_e32 v2, v2, v23
	v_add_f32_e32 v2, v2, v18
	v_add_f32_e32 v2, v2, v16
	v_add_f32_e32 v2, v2, v42
	v_add_f32_e32 v2, v2, v43
	v_add_f32_e32 v2, v2, v24
	v_add_f32_e32 v20, v25, v2
	v_add_f32_e32 v23, 1.0, v20
	v_add_f32_e32 v21, -1.0, v23
	v_mov_b32_e32 v22, v21
	v_pk_add_f32 v[24:25], v[20:21], v[22:23] neg_lo:[0,1] neg_hi:[0,1]
	v_add_f32_e32 v2, 1.0, v25
	v_add_f32_e32 v2, v24, v2
	v_frexp_mant_f32_e32 v11, v23
	v_cvt_f64_f32_e32 v[24:25], v23
	v_frexp_exp_i32_f64_e32 v16, v[24:25]
	v_cmp_gt_f32_e32 vcc, s35, v11
	v_subbrev_co_u32_e32 v16, vcc, 0, v16, vcc
	v_sub_u32_e32 v11, 0, v16
	v_ldexp_f32 v18, v23, v11
	v_ldexp_f32 v2, v2, v11
	v_add_f32_e32 v11, -1.0, v18
	v_add_f32_e32 v22, 1.0, v18
	v_add_f32_e32 v21, 1.0, v11
	v_add_f32_e32 v23, -1.0, v22
	v_sub_f32_e32 v21, v18, v21
	v_sub_f32_e32 v18, v18, v23
	v_add_f32_e32 v21, v2, v21
	v_add_f32_e32 v2, v2, v18
	;; [unrolled: 1-line block ×3, first 2 shown]
	v_rcp_f32_e32 v46, v18
	v_add_f32_e32 v23, v11, v21
	v_sub_f32_e32 v11, v23, v11
	v_sub_f32_e32 v11, v21, v11
	v_mul_f32_e32 v21, v23, v46
	v_sub_f32_e32 v22, v18, v22
	v_mul_f32_e32 v24, v18, v21
	v_sub_f32_e32 v2, v2, v22
	v_fma_f32 v42, v21, v18, -v24
	v_fmac_f32_e32 v42, v21, v2
	v_add_f32_e32 v22, v24, v42
	v_sub_f32_e32 v25, v23, v22
	v_pk_add_f32 v[44:45], v[22:23], v[24:25] neg_lo:[0,1] neg_hi:[0,1]
	v_mov_b32_e32 v43, v22
	v_pk_add_f32 v[22:23], v[44:45], v[42:43] neg_lo:[0,1] neg_hi:[0,1]
	v_add_f32_e32 v11, v11, v23
	v_add_f32_e32 v11, v22, v11
	;; [unrolled: 1-line block ×3, first 2 shown]
	v_mul_f32_e32 v47, v46, v23
	v_mul_f32_e32 v24, v18, v47
	v_fma_f32 v42, v47, v18, -v24
	v_fmac_f32_e32 v42, v47, v2
	v_add_f32_e32 v22, v24, v42
	v_sub_f32_e32 v2, v25, v23
	v_sub_f32_e32 v25, v23, v22
	v_pk_add_f32 v[44:45], v[22:23], v[24:25] neg_lo:[0,1] neg_hi:[0,1]
	v_mov_b32_e32 v43, v22
	v_add_f32_e32 v2, v11, v2
	v_pk_add_f32 v[22:23], v[44:45], v[42:43] neg_lo:[0,1] neg_hi:[0,1]
	v_add_f32_e32 v2, v2, v23
	v_add_f32_e32 v2, v22, v2
	;; [unrolled: 1-line block ×4, first 2 shown]
	v_sub_f32_e32 v11, v18, v21
	v_mul_f32_e32 v2, v46, v2
	v_sub_f32_e32 v11, v47, v11
	v_add_f32_e32 v2, v11, v2
	v_add_f32_e32 v21, v18, v2
	v_cvt_f32_i32_e32 v22, v16
	v_mul_f32_e32 v23, v21, v21
	v_mov_b32_e32 v11, 0x3ecc95a3
	v_fmac_f32_e32 v11, 0x3e9b6dac, v23
	v_fma_f32 v11, v23, v11, v27
	v_mul_f32_e32 v23, v21, v23
	v_pk_mul_f32 v[42:43], v[22:23], v[10:11]
	v_fma_f32 v24, v22, s36, -v42
	v_ldexp_f32 v25, v21, 1
	v_fmac_f32_e32 v24, 0xb102e308, v22
	v_sub_f32_e32 v16, v21, v18
	v_pk_add_f32 v[22:23], v[42:43], v[24:25]
	v_sub_f32_e32 v2, v2, v16
	v_sub_f32_e32 v11, v23, v25
	v_ldexp_f32 v2, v2, 1
	v_sub_f32_e32 v11, v43, v11
	v_add_f32_e32 v45, v2, v11
	v_mov_b32_e32 v44, v42
	v_pk_add_f32 v[42:43], v[22:23], v[42:43] neg_lo:[0,1] neg_hi:[0,1]
	v_pk_add_f32 v[46:47], v[22:23], v[44:45]
	v_mov_b32_e32 v43, v47
	v_mov_b32_e32 v25, v22
	v_pk_add_f32 v[48:49], v[24:25], v[42:43] neg_lo:[0,1] neg_hi:[0,1]
	v_pk_add_f32 v[24:25], v[24:25], v[42:43]
	v_mov_b32_e32 v2, v25
	v_pk_add_f32 v[42:43], v[2:3], v[22:23] neg_lo:[0,1] neg_hi:[0,1]
	v_mov_b32_e32 v11, v42
	v_pk_add_f32 v[50:51], v[46:47], v[10:11] neg_lo:[0,1] neg_hi:[0,1]
	v_mov_b32_e32 v24, v47
	v_mov_b32_e32 v46, v23
	;; [unrolled: 1-line block ×4, first 2 shown]
	v_pk_add_f32 v[24:25], v[24:25], v[46:47] neg_lo:[0,1] neg_hi:[0,1]
	v_mov_b32_e32 v42, v45
	v_mov_b32_e32 v43, v22
	v_pk_add_f32 v[22:23], v[42:43], v[24:25] neg_lo:[0,1] neg_hi:[0,1]
	v_mov_b32_e32 v50, v48
	v_pk_add_f32 v[24:25], v[50:51], v[22:23]
	v_mov_b32_e32 v16, v25
	v_pk_add_f32 v[42:43], v[24:25], v[16:17]
	v_pk_add_f32 v[44:45], v[2:3], v[42:43]
	v_mov_b32_e32 v25, v44
	v_pk_add_f32 v[46:47], v[24:25], v[48:49] neg_lo:[0,1] neg_hi:[0,1]
	v_mov_b32_e32 v23, v42
	v_sub_f32_e32 v2, v24, v46
	v_pk_add_f32 v[22:23], v[22:23], v[46:47] neg_lo:[0,1] neg_hi:[0,1]
	v_sub_f32_e32 v2, v48, v2
	v_add_f32_e32 v2, v22, v2
	v_add_f32_e32 v2, v2, v23
	;; [unrolled: 1-line block ×3, first 2 shown]
	v_cmp_eq_f32_e32 vcc, s37, v20
	v_cndmask_b32_e32 v2, v2, v20, vcc
	v_cmp_ngt_f32_e32 vcc, -1.0, v20
	v_cndmask_b32_e32 v2, v34, v2, vcc
	v_cmp_neq_f32_e32 vcc, -1.0, v20
	v_cndmask_b32_e32 v2, v35, v2, vcc
	v_cmp_lt_f32_e64 vcc, |v20|, s38
	v_cndmask_b32_e32 v2, v2, v20, vcc
	v_mul_f32_e32 v21, 0.5, v2
	v_max_f32_e64 v2, |v5|, |v5|
	v_max_f32_e64 v11, |v4|, |v4|
	v_min_f32_e32 v16, v11, v2
	v_max_f32_e32 v2, v11, v2
	v_frexp_mant_f32_e32 v11, v2
	v_rcp_f32_e32 v11, v11
	v_frexp_exp_i32_f32_e32 v2, v2
	v_frexp_exp_i32_f32_e32 v18, v16
	v_frexp_mant_f32_e32 v16, v16
	v_mul_f32_e32 v11, v16, v11
	v_sub_u32_e32 v2, v18, v2
	v_ldexp_f32 v2, v11, v2
	v_mul_f32_e32 v11, v2, v2
	v_mov_b32_e32 v16, 0xbc7a590c
	v_fmac_f32_e32 v16, 0x3b2d2a58, v11
	v_fma_f32 v16, v11, v16, v28
	v_fma_f32 v16, v11, v16, v29
	;; [unrolled: 1-line block ×6, first 2 shown]
	v_mul_f32_e32 v11, v11, v16
	v_fmac_f32_e32 v2, v2, v11
	v_sub_f32_e32 v11, 0x3fc90fdb, v2
	v_cndmask_b32_e64 v2, v2, v11, s[0:1]
	v_sub_f32_e32 v11, 0x40490fdb, v2
	v_cmp_gt_f32_e32 vcc, 0, v4
	v_cmp_gt_i32_e64 s[2:3], 0, v4
	v_cndmask_b32_e32 v2, v2, v11, vcc
	v_cndmask_b32_e64 v11, 0, v36, s[2:3]
	v_cmp_eq_f32_e64 s[2:3], 0, v5
	v_cndmask_b32_e64 v2, v2, v11, s[2:3]
	v_cmp_class_f32_e64 s[2:3], v4, s39
	v_cmp_class_f32_e64 s[26:27], v5, s39
	v_cndmask_b32_e32 v11, v37, v38, vcc
	s_and_b64 vcc, s[2:3], s[26:27]
	v_cndmask_b32_e32 v2, v2, v11, vcc
.LBB199_277:                            ;   in Loop: Header=BB199_162 Depth=1
	s_or_b64 exec, exec, s[24:25]
.LBB199_278:                            ;   in Loop: Header=BB199_162 Depth=1
	s_or_b64 exec, exec, s[22:23]
.LBB199_279:                            ;   in Loop: Header=BB199_162 Depth=1
	s_andn2_saveexec_b64 s[20:21], s[20:21]
	s_cbranch_execz .LBB199_281
; %bb.280:                              ;   in Loop: Header=BB199_162 Depth=1
	v_max_f32_e64 v2, |v5|, |v5|
	v_max_f32_e64 v11, |v4|, |v4|
	v_max_f32_e32 v16, v11, v2
	v_cvt_f64_f32_e32 v[20:21], v16
	v_frexp_exp_i32_f64_e32 v18, v[20:21]
	v_sub_u32_e32 v20, 0, v18
	v_ldexp_f32 v21, |v4|, v20
	v_ldexp_f32 v20, |v5|, v20
	v_mul_f32_e32 v20, v20, v20
	v_fmac_f32_e32 v20, v21, v21
	v_sqrt_f32_e32 v20, v20
	v_cmp_neq_f32_e32 vcc, s37, v16
	v_min_f32_e32 v2, v11, v2
	v_frexp_mant_f32_e32 v11, v16
	v_ldexp_f32 v18, v20, v18
	v_cndmask_b32_e32 v18, v41, v18, vcc
	v_cmp_gt_f32_e32 vcc, s41, v18
	v_cndmask_b32_e32 v20, 1.0, v39, vcc
	v_mul_f32_e32 v18, v18, v20
	v_log_f32_e32 v18, v18
	v_rcp_f32_e32 v11, v11
	v_cndmask_b32_e32 v20, 0, v40, vcc
	v_frexp_exp_i32_f32_e32 v16, v16
	v_mul_f32_e32 v21, 0x3f317217, v18
	v_fma_f32 v22, v18, s42, -v21
	v_fmac_f32_e32 v22, 0x3377d1cf, v18
	v_add_f32_e32 v21, v21, v22
	v_cmp_lt_f32_e64 vcc, |v18|, s37
	v_cndmask_b32_e32 v18, v18, v21, vcc
	v_sub_f32_e32 v21, v18, v20
	v_frexp_exp_i32_f32_e32 v18, v2
	v_frexp_mant_f32_e32 v2, v2
	v_mul_f32_e32 v2, v2, v11
	v_sub_u32_e32 v11, v18, v16
	v_ldexp_f32 v2, v2, v11
	v_mul_f32_e32 v11, v2, v2
	v_mov_b32_e32 v16, 0xbc7a590c
	v_fmac_f32_e32 v16, 0x3b2d2a58, v11
	v_fma_f32 v16, v11, v16, v28
	v_fma_f32 v16, v11, v16, v29
	;; [unrolled: 1-line block ×6, first 2 shown]
	v_mul_f32_e32 v11, v11, v16
	v_fmac_f32_e32 v2, v2, v11
	v_sub_f32_e32 v11, 0x3fc90fdb, v2
	v_cndmask_b32_e64 v2, v2, v11, s[0:1]
	v_sub_f32_e32 v11, 0x40490fdb, v2
	v_cmp_gt_f32_e32 vcc, 0, v4
	v_cmp_gt_i32_e64 s[2:3], 0, v4
	v_cndmask_b32_e32 v2, v2, v11, vcc
	v_cndmask_b32_e64 v11, 0, v36, s[2:3]
	v_cmp_eq_f32_e64 s[2:3], 0, v5
	v_cndmask_b32_e64 v2, v2, v11, s[2:3]
	v_cmp_class_f32_e64 s[2:3], v4, s39
	v_cmp_class_f32_e64 s[22:23], v5, s39
	v_cndmask_b32_e32 v11, v37, v38, vcc
	s_and_b64 vcc, s[2:3], s[22:23]
	v_cndmask_b32_e32 v2, v2, v11, vcc
.LBB199_281:                            ;   in Loop: Header=BB199_162 Depth=1
	s_or_b64 exec, exec, s[20:21]
                                        ; implicit-def: $vgpr22
.LBB199_282:                            ;   in Loop: Header=BB199_162 Depth=1
	s_andn2_saveexec_b64 s[18:19], s[18:19]
	s_cbranch_execz .LBB199_288
; %bb.283:                              ;   in Loop: Header=BB199_162 Depth=1
	v_cmp_ngt_f32_e32 vcc, s43, v22
                                        ; implicit-def: $vgpr21
                                        ; implicit-def: $vgpr2
	s_and_saveexec_b64 s[2:3], vcc
	s_xor_b64 s[20:21], exec, s[2:3]
	s_cbranch_execz .LBB199_285
; %bb.284:                              ;   in Loop: Header=BB199_162 Depth=1
	v_pk_mul_f32 v[20:21], v[22:23], v[22:23]
	v_add_f32_e32 v23, 1.0, v20
	v_add_f32_e32 v21, -1.0, v23
	v_mov_b32_e32 v22, v21
	v_pk_add_f32 v[24:25], v[20:21], v[22:23] neg_lo:[0,1] neg_hi:[0,1]
	v_add_f32_e32 v2, 1.0, v25
	v_add_f32_e32 v2, v24, v2
	v_frexp_mant_f32_e32 v11, v23
	v_cvt_f64_f32_e32 v[24:25], v23
	v_frexp_exp_i32_f64_e32 v16, v[24:25]
	v_cmp_gt_f32_e32 vcc, s35, v11
	v_subbrev_co_u32_e32 v16, vcc, 0, v16, vcc
	v_sub_u32_e32 v11, 0, v16
	v_ldexp_f32 v18, v23, v11
	v_ldexp_f32 v2, v2, v11
	v_add_f32_e32 v11, -1.0, v18
	v_add_f32_e32 v22, 1.0, v18
	v_add_f32_e32 v21, 1.0, v11
	v_add_f32_e32 v23, -1.0, v22
	v_sub_f32_e32 v21, v18, v21
	v_sub_f32_e32 v18, v18, v23
	v_add_f32_e32 v21, v2, v21
	v_add_f32_e32 v2, v2, v18
	;; [unrolled: 1-line block ×3, first 2 shown]
	v_rcp_f32_e32 v46, v18
	v_add_f32_e32 v23, v11, v21
	v_sub_f32_e32 v11, v11, v23
	v_add_f32_e32 v11, v21, v11
	v_mul_f32_e32 v21, v23, v46
	v_sub_f32_e32 v22, v22, v18
	v_mul_f32_e32 v24, v18, v21
	v_add_f32_e32 v2, v2, v22
	v_fma_f32 v42, v21, v18, -v24
	v_fmac_f32_e32 v42, v21, v2
	v_add_f32_e32 v22, v24, v42
	v_sub_f32_e32 v25, v23, v22
	v_pk_add_f32 v[44:45], v[22:23], v[24:25] neg_lo:[0,1] neg_hi:[0,1]
	v_mov_b32_e32 v43, v22
	v_pk_add_f32 v[22:23], v[44:45], v[42:43] neg_lo:[0,1] neg_hi:[0,1]
	v_add_f32_e32 v11, v11, v23
	v_add_f32_e32 v11, v22, v11
	v_add_f32_e32 v23, v25, v11
	v_mul_f32_e32 v47, v46, v23
	v_mul_f32_e32 v24, v18, v47
	v_fma_f32 v42, v47, v18, -v24
	v_fmac_f32_e32 v42, v47, v2
	v_add_f32_e32 v22, v24, v42
	v_sub_f32_e32 v2, v25, v23
	v_sub_f32_e32 v25, v23, v22
	v_pk_add_f32 v[44:45], v[22:23], v[24:25] neg_lo:[0,1] neg_hi:[0,1]
	v_mov_b32_e32 v43, v22
	v_add_f32_e32 v2, v11, v2
	v_pk_add_f32 v[22:23], v[44:45], v[42:43] neg_lo:[0,1] neg_hi:[0,1]
	v_add_f32_e32 v2, v2, v23
	v_add_f32_e32 v2, v22, v2
	;; [unrolled: 1-line block ×4, first 2 shown]
	v_sub_f32_e32 v11, v18, v21
	v_mul_f32_e32 v2, v46, v2
	v_sub_f32_e32 v11, v47, v11
	v_add_f32_e32 v2, v11, v2
	v_add_f32_e32 v21, v18, v2
	v_cvt_f32_i32_e32 v22, v16
	v_mul_f32_e32 v23, v21, v21
	v_mov_b32_e32 v11, 0x3ecc95a3
	v_fmac_f32_e32 v11, 0x3e9b6dac, v23
	v_fma_f32 v11, v23, v11, v27
	v_mul_f32_e32 v23, v21, v23
	v_pk_mul_f32 v[42:43], v[22:23], v[10:11]
	v_fma_f32 v24, v22, s36, -v42
	v_ldexp_f32 v25, v21, 1
	v_fmac_f32_e32 v24, 0xb102e308, v22
	v_sub_f32_e32 v16, v21, v18
	v_pk_add_f32 v[22:23], v[42:43], v[24:25]
	v_sub_f32_e32 v2, v2, v16
	v_sub_f32_e32 v11, v23, v25
	v_ldexp_f32 v2, v2, 1
	v_sub_f32_e32 v11, v43, v11
	v_add_f32_e32 v45, v2, v11
	v_mov_b32_e32 v44, v42
	v_pk_add_f32 v[42:43], v[22:23], v[42:43] neg_lo:[0,1] neg_hi:[0,1]
	v_pk_add_f32 v[46:47], v[22:23], v[44:45]
	v_mov_b32_e32 v43, v47
	v_mov_b32_e32 v25, v22
	v_pk_add_f32 v[48:49], v[24:25], v[42:43] neg_lo:[0,1] neg_hi:[0,1]
	v_pk_add_f32 v[24:25], v[24:25], v[42:43]
	v_mov_b32_e32 v2, v25
	v_pk_add_f32 v[42:43], v[2:3], v[22:23] neg_lo:[0,1] neg_hi:[0,1]
	v_mov_b32_e32 v11, v42
	v_pk_add_f32 v[50:51], v[46:47], v[10:11] neg_lo:[0,1] neg_hi:[0,1]
	v_mov_b32_e32 v24, v47
	v_mov_b32_e32 v46, v23
	;; [unrolled: 1-line block ×4, first 2 shown]
	v_pk_add_f32 v[24:25], v[24:25], v[46:47] neg_lo:[0,1] neg_hi:[0,1]
	v_mov_b32_e32 v42, v45
	v_mov_b32_e32 v43, v22
	v_pk_add_f32 v[22:23], v[42:43], v[24:25] neg_lo:[0,1] neg_hi:[0,1]
	v_mov_b32_e32 v50, v48
	v_pk_add_f32 v[24:25], v[50:51], v[22:23]
	v_mov_b32_e32 v16, v25
	v_pk_add_f32 v[42:43], v[24:25], v[16:17]
	v_pk_add_f32 v[44:45], v[2:3], v[42:43]
	v_mov_b32_e32 v25, v44
	v_pk_add_f32 v[46:47], v[24:25], v[48:49] neg_lo:[0,1] neg_hi:[0,1]
	v_mov_b32_e32 v23, v42
	v_sub_f32_e32 v2, v24, v46
	v_pk_add_f32 v[22:23], v[22:23], v[46:47] neg_lo:[0,1] neg_hi:[0,1]
	v_sub_f32_e32 v2, v48, v2
	v_add_f32_e32 v2, v22, v2
	v_add_f32_e32 v2, v2, v23
	v_cmp_eq_f32_e32 vcc, s37, v20
	v_cmp_lt_f32_e64 s[2:3], |v20|, s38
	v_add_f32_e32 v2, v44, v2
	s_or_b64 vcc, vcc, s[2:3]
	v_cndmask_b32_e32 v2, v2, v20, vcc
	v_mul_f32_e32 v21, 0.5, v2
	v_max_f32_e64 v2, |v5|, |v5|
	v_max_f32_e64 v11, |v4|, |v4|
	v_min_f32_e32 v16, v11, v2
	v_max_f32_e32 v2, v11, v2
	v_frexp_mant_f32_e32 v11, v2
	v_rcp_f32_e32 v11, v11
	v_frexp_exp_i32_f32_e32 v2, v2
	v_frexp_exp_i32_f32_e32 v18, v16
	v_frexp_mant_f32_e32 v16, v16
	v_mul_f32_e32 v11, v16, v11
	v_sub_u32_e32 v2, v18, v2
	v_ldexp_f32 v2, v11, v2
	v_mul_f32_e32 v11, v2, v2
	v_mov_b32_e32 v16, 0xbc7a590c
	v_fmac_f32_e32 v16, 0x3b2d2a58, v11
	v_fma_f32 v16, v11, v16, v28
	v_fma_f32 v16, v11, v16, v29
	;; [unrolled: 1-line block ×6, first 2 shown]
	v_mul_f32_e32 v11, v11, v16
	v_fmac_f32_e32 v2, v2, v11
	v_sub_f32_e32 v11, 0x3fc90fdb, v2
	v_cndmask_b32_e64 v2, v2, v11, s[0:1]
	v_sub_f32_e32 v11, 0x40490fdb, v2
	v_cmp_gt_f32_e32 vcc, 0, v4
	v_cmp_gt_i32_e64 s[2:3], 0, v4
	v_cndmask_b32_e32 v2, v2, v11, vcc
	v_cndmask_b32_e64 v11, 0, v36, s[2:3]
	v_cmp_eq_f32_e64 s[2:3], 0, v5
	v_cndmask_b32_e64 v2, v2, v11, s[2:3]
	v_cmp_class_f32_e64 s[2:3], v4, s39
	v_cmp_class_f32_e64 s[22:23], v5, s39
	v_cndmask_b32_e32 v11, v37, v38, vcc
	s_and_b64 vcc, s[2:3], s[22:23]
	v_cndmask_b32_e32 v2, v2, v11, vcc
                                        ; implicit-def: $vgpr22
.LBB199_285:                            ;   in Loop: Header=BB199_162 Depth=1
	s_andn2_saveexec_b64 s[20:21], s[20:21]
	s_cbranch_execz .LBB199_287
; %bb.286:                              ;   in Loop: Header=BB199_162 Depth=1
	v_mul_f32_e32 v2, 0.5, v22
	v_mul_f32_e32 v21, v22, v2
	v_max_f32_e64 v2, |v5|, |v5|
	v_max_f32_e64 v11, |v4|, |v4|
	v_min_f32_e32 v16, v11, v2
	v_max_f32_e32 v2, v11, v2
	v_frexp_mant_f32_e32 v11, v2
	v_rcp_f32_e32 v11, v11
	v_frexp_exp_i32_f32_e32 v2, v2
	v_frexp_exp_i32_f32_e32 v18, v16
	v_frexp_mant_f32_e32 v16, v16
	v_mul_f32_e32 v11, v16, v11
	v_sub_u32_e32 v2, v18, v2
	v_ldexp_f32 v2, v11, v2
	v_mul_f32_e32 v11, v2, v2
	v_mov_b32_e32 v16, 0xbc7a590c
	v_fmac_f32_e32 v16, 0x3b2d2a58, v11
	v_fma_f32 v16, v11, v16, v28
	v_fma_f32 v16, v11, v16, v29
	;; [unrolled: 1-line block ×6, first 2 shown]
	v_mul_f32_e32 v11, v11, v16
	v_fmac_f32_e32 v2, v2, v11
	v_sub_f32_e32 v11, 0x3fc90fdb, v2
	v_cndmask_b32_e64 v2, v2, v11, s[0:1]
	v_sub_f32_e32 v11, 0x40490fdb, v2
	v_cmp_gt_f32_e32 vcc, 0, v4
	v_cmp_gt_i32_e64 s[2:3], 0, v4
	v_cndmask_b32_e32 v2, v2, v11, vcc
	v_cndmask_b32_e64 v11, 0, v36, s[2:3]
	v_cmp_eq_f32_e64 s[2:3], 0, v5
	v_cndmask_b32_e64 v2, v2, v11, s[2:3]
	v_cmp_class_f32_e64 s[2:3], v4, s39
	v_cmp_class_f32_e64 s[22:23], v5, s39
	v_cndmask_b32_e32 v11, v37, v38, vcc
	s_and_b64 vcc, s[2:3], s[22:23]
	v_cndmask_b32_e32 v2, v2, v11, vcc
.LBB199_287:                            ;   in Loop: Header=BB199_162 Depth=1
	s_or_b64 exec, exec, s[20:21]
.LBB199_288:                            ;   in Loop: Header=BB199_162 Depth=1
	s_or_b64 exec, exec, s[18:19]
.LBB199_289:                            ;   in Loop: Header=BB199_162 Depth=1
	s_andn2_saveexec_b64 s[16:17], s[16:17]
	s_cbranch_execz .LBB199_291
; %bb.290:                              ;   in Loop: Header=BB199_162 Depth=1
	v_div_scale_f32 v2, s[2:3], s44, s44, v4
	v_rcp_f32_e32 v11, v2
	v_div_scale_f32 v16, vcc, v4, s44, v4
	v_fma_f32 v18, -v2, v11, 1.0
	v_fmac_f32_e32 v11, v18, v11
	v_mul_f32_e32 v18, v16, v11
	v_fma_f32 v20, -v2, v18, v16
	v_fmac_f32_e32 v18, v20, v11
	v_fma_f32 v2, -v2, v18, v16
	v_div_scale_f32 v16, s[2:3], s44, s44, v5
	v_rcp_f32_e32 v20, v16
	v_div_fmas_f32 v2, v2, v11, v18
	v_div_fixup_f32 v2, v2, s44, v4
	v_fma_f32 v11, -v16, v20, 1.0
	v_fmac_f32_e32 v20, v11, v20
	v_div_scale_f32 v11, vcc, v5, s44, v5
	v_mul_f32_e32 v18, v11, v20
	v_fma_f32 v21, -v16, v18, v11
	v_fmac_f32_e32 v18, v21, v20
	v_fma_f32 v11, -v16, v18, v11
	v_div_fmas_f32 v11, v11, v20, v18
	v_div_fixup_f32 v11, v11, s44, v5
	v_max_f32_e64 v16, |v2|, |v11|
	v_cvt_f64_f32_e32 v[20:21], v16
	v_frexp_exp_i32_f64_e32 v18, v[20:21]
	v_sub_u32_e32 v20, 0, v18
	v_ldexp_f32 v11, |v11|, v20
	v_ldexp_f32 v2, |v2|, v20
	v_mul_f32_e32 v11, v11, v11
	v_fmac_f32_e32 v11, v2, v2
	v_sqrt_f32_e32 v2, v11
	v_cmp_neq_f32_e32 vcc, s37, v16
	v_ldexp_f32 v2, v2, v18
	v_cndmask_b32_e32 v2, v41, v2, vcc
	v_cmp_gt_f32_e32 vcc, s41, v2
	v_cndmask_b32_e32 v11, 1.0, v39, vcc
	v_mul_f32_e32 v2, v2, v11
	v_log_f32_e32 v2, v2
	v_mul_f32_e32 v11, 0x3f317217, v2
	v_fma_f32 v16, v2, s42, -v11
	v_fmac_f32_e32 v16, 0x3377d1cf, v2
	v_add_f32_e32 v11, v11, v16
	v_cmp_lt_f32_e64 s[2:3], |v2|, s37
	v_cndmask_b32_e64 v2, v2, v11, s[2:3]
	v_cndmask_b32_e32 v11, 0, v40, vcc
	v_sub_f32_e32 v2, v2, v11
	v_add_f32_e32 v21, 1.0, v2
	v_max_f32_e64 v2, |v5|, |v5|
	v_max_f32_e64 v11, |v4|, |v4|
	v_min_f32_e32 v16, v11, v2
	v_max_f32_e32 v2, v11, v2
	v_frexp_mant_f32_e32 v11, v2
	v_rcp_f32_e32 v11, v11
	v_frexp_exp_i32_f32_e32 v2, v2
	v_frexp_exp_i32_f32_e32 v18, v16
	v_frexp_mant_f32_e32 v16, v16
	v_mul_f32_e32 v11, v16, v11
	v_sub_u32_e32 v2, v18, v2
	v_ldexp_f32 v2, v11, v2
	v_mul_f32_e32 v11, v2, v2
	v_mov_b32_e32 v16, 0xbc7a590c
	v_fmac_f32_e32 v16, 0x3b2d2a58, v11
	v_fma_f32 v16, v11, v16, v28
	v_fma_f32 v16, v11, v16, v29
	;; [unrolled: 1-line block ×6, first 2 shown]
	v_mul_f32_e32 v11, v11, v16
	v_fmac_f32_e32 v2, v2, v11
	v_sub_f32_e32 v11, 0x3fc90fdb, v2
	v_cndmask_b32_e64 v2, v2, v11, s[0:1]
	v_sub_f32_e32 v11, 0x40490fdb, v2
	v_cmp_gt_f32_e32 vcc, 0, v4
	v_cmp_gt_i32_e64 s[0:1], 0, v4
	v_cndmask_b32_e32 v2, v2, v11, vcc
	v_cndmask_b32_e64 v11, 0, v36, s[0:1]
	v_cmp_eq_f32_e64 s[0:1], 0, v5
	v_cndmask_b32_e64 v2, v2, v11, s[0:1]
	v_cmp_class_f32_e64 s[0:1], v4, s39
	v_cmp_class_f32_e64 s[2:3], v5, s39
	v_cndmask_b32_e32 v11, v37, v38, vcc
	s_and_b64 vcc, s[0:1], s[2:3]
	v_cndmask_b32_e32 v2, v2, v11, vcc
.LBB199_291:                            ;   in Loop: Header=BB199_162 Depth=1
	s_or_b64 exec, exec, s[16:17]
.LBB199_292:                            ;   in Loop: Header=BB199_162 Depth=1
	s_andn2_saveexec_b64 s[0:1], s[12:13]
	s_cbranch_execz .LBB199_161
; %bb.293:                              ;   in Loop: Header=BB199_162 Depth=1
	v_cmp_nlt_f32_e64 s[2:3], |v4|, s45
	v_cmp_nlt_f32_e64 s[12:13], |v5|, s45
	s_or_b64 s[2:3], s[2:3], s[12:13]
                                        ; implicit-def: $vgpr2
	s_and_saveexec_b64 s[12:13], s[2:3]
	s_xor_b64 s[2:3], exec, s[12:13]
; %bb.294:                              ;   in Loop: Header=BB199_162 Depth=1
	v_pk_mul_f32 v[20:21], v[4:5], v[4:5]
	v_add_f32_e32 v2, v20, v21
; %bb.295:                              ;   in Loop: Header=BB199_162 Depth=1
	s_andn2_saveexec_b64 s[2:3], s[2:3]
	s_cbranch_execz .LBB199_160
; %bb.296:                              ;   in Loop: Header=BB199_162 Depth=1
	v_pk_mul_f32 v[20:21], v[4:5], 4.0 op_sel_hi:[1,0]
	v_pk_mul_f32 v[20:21], v[20:21], v[20:21]
	v_add_f32_e32 v2, v20, v21
	v_mul_f32_e32 v2, 0x3d800000, v2
	s_branch .LBB199_160
.LBB199_297:
	s_endpgm
	.section	.rodata,"a",@progbits
	.p2align	6, 0x0
	.amdhsa_kernel _ZN2at6native12_GLOBAL__N_125multi_tensor_apply_kernelINS1_18TensorListMetadataILi1EEENS1_14UnaryOpFunctorIN3c107complexIfEELi1ELi1ELi0EEEJNS0_4Log2IS8_EEEEEvT_T0_DpT1_
		.amdhsa_group_segment_fixed_size 0
		.amdhsa_private_segment_fixed_size 0
		.amdhsa_kernarg_size 3632
		.amdhsa_user_sgpr_count 6
		.amdhsa_user_sgpr_private_segment_buffer 1
		.amdhsa_user_sgpr_dispatch_ptr 0
		.amdhsa_user_sgpr_queue_ptr 0
		.amdhsa_user_sgpr_kernarg_segment_ptr 1
		.amdhsa_user_sgpr_dispatch_id 0
		.amdhsa_user_sgpr_flat_scratch_init 0
		.amdhsa_user_sgpr_kernarg_preload_length 0
		.amdhsa_user_sgpr_kernarg_preload_offset 0
		.amdhsa_user_sgpr_private_segment_size 0
		.amdhsa_uses_dynamic_stack 0
		.amdhsa_system_sgpr_private_segment_wavefront_offset 0
		.amdhsa_system_sgpr_workgroup_id_x 1
		.amdhsa_system_sgpr_workgroup_id_y 0
		.amdhsa_system_sgpr_workgroup_id_z 0
		.amdhsa_system_sgpr_workgroup_info 0
		.amdhsa_system_vgpr_workitem_id 0
		.amdhsa_next_free_vgpr 60
		.amdhsa_next_free_sgpr 64
		.amdhsa_accum_offset 60
		.amdhsa_reserve_vcc 1
		.amdhsa_reserve_flat_scratch 0
		.amdhsa_float_round_mode_32 0
		.amdhsa_float_round_mode_16_64 0
		.amdhsa_float_denorm_mode_32 3
		.amdhsa_float_denorm_mode_16_64 3
		.amdhsa_dx10_clamp 1
		.amdhsa_ieee_mode 1
		.amdhsa_fp16_overflow 0
		.amdhsa_tg_split 0
		.amdhsa_exception_fp_ieee_invalid_op 0
		.amdhsa_exception_fp_denorm_src 0
		.amdhsa_exception_fp_ieee_div_zero 0
		.amdhsa_exception_fp_ieee_overflow 0
		.amdhsa_exception_fp_ieee_underflow 0
		.amdhsa_exception_fp_ieee_inexact 0
		.amdhsa_exception_int_div_zero 0
	.end_amdhsa_kernel
	.section	.text._ZN2at6native12_GLOBAL__N_125multi_tensor_apply_kernelINS1_18TensorListMetadataILi1EEENS1_14UnaryOpFunctorIN3c107complexIfEELi1ELi1ELi0EEEJNS0_4Log2IS8_EEEEEvT_T0_DpT1_,"axG",@progbits,_ZN2at6native12_GLOBAL__N_125multi_tensor_apply_kernelINS1_18TensorListMetadataILi1EEENS1_14UnaryOpFunctorIN3c107complexIfEELi1ELi1ELi0EEEJNS0_4Log2IS8_EEEEEvT_T0_DpT1_,comdat
.Lfunc_end199:
	.size	_ZN2at6native12_GLOBAL__N_125multi_tensor_apply_kernelINS1_18TensorListMetadataILi1EEENS1_14UnaryOpFunctorIN3c107complexIfEELi1ELi1ELi0EEEJNS0_4Log2IS8_EEEEEvT_T0_DpT1_, .Lfunc_end199-_ZN2at6native12_GLOBAL__N_125multi_tensor_apply_kernelINS1_18TensorListMetadataILi1EEENS1_14UnaryOpFunctorIN3c107complexIfEELi1ELi1ELi0EEEJNS0_4Log2IS8_EEEEEvT_T0_DpT1_
                                        ; -- End function
	.section	.AMDGPU.csdata,"",@progbits
; Kernel info:
; codeLenInByte = 39692
; NumSgprs: 68
; NumVgprs: 60
; NumAgprs: 0
; TotalNumVgprs: 60
; ScratchSize: 0
; MemoryBound: 1
; FloatMode: 240
; IeeeMode: 1
; LDSByteSize: 0 bytes/workgroup (compile time only)
; SGPRBlocks: 8
; VGPRBlocks: 7
; NumSGPRsForWavesPerEU: 68
; NumVGPRsForWavesPerEU: 60
; AccumOffset: 60
; Occupancy: 8
; WaveLimiterHint : 0
; COMPUTE_PGM_RSRC2:SCRATCH_EN: 0
; COMPUTE_PGM_RSRC2:USER_SGPR: 6
; COMPUTE_PGM_RSRC2:TRAP_HANDLER: 0
; COMPUTE_PGM_RSRC2:TGID_X_EN: 1
; COMPUTE_PGM_RSRC2:TGID_Y_EN: 0
; COMPUTE_PGM_RSRC2:TGID_Z_EN: 0
; COMPUTE_PGM_RSRC2:TIDIG_COMP_CNT: 0
; COMPUTE_PGM_RSRC3_GFX90A:ACCUM_OFFSET: 14
; COMPUTE_PGM_RSRC3_GFX90A:TG_SPLIT: 0
	.section	.text._ZN2at6native12_GLOBAL__N_125multi_tensor_apply_kernelINS1_18TensorListMetadataILi1EEENS1_14UnaryOpFunctorIN3c104HalfELi1ELi1ELi0EEEJNS0_4Log2IfEEEEEvT_T0_DpT1_,"axG",@progbits,_ZN2at6native12_GLOBAL__N_125multi_tensor_apply_kernelINS1_18TensorListMetadataILi1EEENS1_14UnaryOpFunctorIN3c104HalfELi1ELi1ELi0EEEJNS0_4Log2IfEEEEEvT_T0_DpT1_,comdat
	.globl	_ZN2at6native12_GLOBAL__N_125multi_tensor_apply_kernelINS1_18TensorListMetadataILi1EEENS1_14UnaryOpFunctorIN3c104HalfELi1ELi1ELi0EEEJNS0_4Log2IfEEEEEvT_T0_DpT1_ ; -- Begin function _ZN2at6native12_GLOBAL__N_125multi_tensor_apply_kernelINS1_18TensorListMetadataILi1EEENS1_14UnaryOpFunctorIN3c104HalfELi1ELi1ELi0EEEJNS0_4Log2IfEEEEEvT_T0_DpT1_
	.p2align	8
	.type	_ZN2at6native12_GLOBAL__N_125multi_tensor_apply_kernelINS1_18TensorListMetadataILi1EEENS1_14UnaryOpFunctorIN3c104HalfELi1ELi1ELi0EEEJNS0_4Log2IfEEEEEvT_T0_DpT1_,@function
_ZN2at6native12_GLOBAL__N_125multi_tensor_apply_kernelINS1_18TensorListMetadataILi1EEENS1_14UnaryOpFunctorIN3c104HalfELi1ELi1ELi0EEEJNS0_4Log2IfEEEEEvT_T0_DpT1_: ; @_ZN2at6native12_GLOBAL__N_125multi_tensor_apply_kernelINS1_18TensorListMetadataILi1EEENS1_14UnaryOpFunctorIN3c104HalfELi1ELi1ELi0EEEJNS0_4Log2IfEEEEEvT_T0_DpT1_
; %bb.0:
	v_mov_b32_e32 v1, s6
	global_load_ubyte v1, v1, s[4:5] offset:1760
	s_add_u32 s0, s4, s6
	s_mul_hi_u32 s1, s6, 3
	s_mul_i32 s6, s6, 3
	s_addc_u32 s2, s5, 0
	s_add_u32 s0, s0, s6
	s_addc_u32 s1, s2, s1
	s_load_dword s0, s[0:1], 0x820
	s_mov_b32 s7, 0
	s_waitcnt vmcnt(0)
	v_readfirstlane_b32 s2, v1
	s_lshl_b32 s1, s2, 3
	s_load_dwordx2 s[2:3], s[4:5], s1 offset:0x370
	s_load_dwordx2 s[12:13], s[4:5], s1 offset:0x0
	s_waitcnt lgkmcnt(0)
	s_ashr_i32 s1, s0, 31
	s_lshl_b64 s[14:15], s[0:1], 17
	s_lshl_b64 s[0:1], s[0:1], 16
	s_and_b32 s6, s12, 7
	s_sub_u32 s10, s2, s0
	s_subb_u32 s11, s3, s1
	s_and_b32 s0, s2, 3
	s_mov_b32 s1, s7
	s_or_b64 s[0:1], s[6:7], s[0:1]
	s_cmp_eq_u64 s[0:1], 0
	s_cbranch_scc1 .LBB200_21
; %bb.1:
	v_cmp_lt_i64_e64 s[0:1], s[10:11], 1
	s_and_b64 vcc, exec, s[0:1]
	s_cbranch_vccnz .LBB200_20
; %bb.2:
	s_load_dword s0, s[4:5], 0xd3c
	v_mov_b32_e32 v2, 0x10000
	v_mov_b32_e32 v3, 0
	v_cmp_lt_u64_e32 vcc, s[10:11], v[2:3]
	v_lshlrev_b32_e32 v1, 1, v0
	s_waitcnt lgkmcnt(0)
	s_and_b32 s2, s0, 0xffff
	s_and_b64 s[0:1], vcc, exec
	s_cselect_b32 s17, s11, 0
	s_cselect_b32 s16, s10, 0x10000
	s_lshl_b32 s3, s2, 1
	s_lshl_b32 s23, s2, 2
	s_add_u32 s6, s12, s14
	s_addc_u32 s7, s13, s15
	v_mov_b32_e32 v5, s7
	v_add_co_u32_e32 v4, vcc, s6, v1
	s_mul_i32 s0, s2, 3
	v_addc_co_u32_e32 v5, vcc, 0, v5, vcc
	v_add_co_u32_e32 v1, vcc, s0, v0
	v_addc_co_u32_e64 v10, s[0:1], 0, 0, vcc
	v_add_co_u32_e32 v11, vcc, s3, v0
	v_addc_co_u32_e64 v12, s[0:1], 0, 0, vcc
	v_add_co_u32_e32 v13, vcc, s2, v0
	v_lshlrev_b32_e32 v6, 1, v13
	s_mov_b32 s22, 0
	v_addc_co_u32_e64 v14, s[0:1], 0, 0, vcc
	v_mov_b32_e32 v7, s7
	v_add_co_u32_e32 v6, vcc, s6, v6
	s_lshl_b32 s24, s2, 3
	s_mul_i32 s25, s2, 6
	s_mov_b32 s26, s22
	v_addc_co_u32_e32 v7, vcc, 0, v7, vcc
	s_mov_b64 s[18:19], 0
	v_pk_mov_b32 v[8:9], s[10:11], s[10:11] op_sel:[0,1]
	v_mov_b32_e32 v15, s22
	s_branch .LBB200_4
.LBB200_3:                              ;   in Loop: Header=BB200_4 Depth=1
	s_or_b64 exec, exec, s[0:1]
	s_add_u32 s18, s18, s23
	s_addc_u32 s19, s19, 0
	v_cmp_lt_i64_e32 vcc, s[18:19], v[8:9]
	v_cmp_lt_u64_e64 s[0:1], s[18:19], v[2:3]
	s_and_b64 s[0:1], vcc, s[0:1]
	v_add_co_u32_e32 v4, vcc, s24, v4
	v_addc_co_u32_e32 v5, vcc, v5, v15, vcc
	v_add_co_u32_e32 v6, vcc, s24, v6
	v_addc_co_u32_e32 v7, vcc, v7, v15, vcc
	s_and_b64 vcc, exec, s[0:1]
	s_cbranch_vccz .LBB200_20
.LBB200_4:                              ; =>This Inner Loop Header: Depth=1
	s_waitcnt vmcnt(0)
	v_mov_b32_e32 v17, s19
	v_add_co_u32_e32 v16, vcc, s18, v0
	v_addc_co_u32_e32 v17, vcc, 0, v17, vcc
	v_cmp_gt_u64_e32 vcc, s[16:17], v[16:17]
	v_mov_b32_e32 v16, 0
	s_and_saveexec_b64 s[0:1], vcc
	s_cbranch_execz .LBB200_6
; %bb.5:                                ;   in Loop: Header=BB200_4 Depth=1
	global_load_ushort v16, v[4:5], off
.LBB200_6:                              ;   in Loop: Header=BB200_4 Depth=1
	s_or_b64 exec, exec, s[0:1]
	v_mov_b32_e32 v17, s19
	v_add_co_u32_e64 v18, s[0:1], s18, v13
	v_addc_co_u32_e64 v19, s[0:1], v14, v17, s[0:1]
	v_cmp_gt_u64_e64 s[0:1], s[16:17], v[18:19]
	v_mov_b32_e32 v18, 0
	s_and_saveexec_b64 s[2:3], s[0:1]
	s_cbranch_execz .LBB200_8
; %bb.7:                                ;   in Loop: Header=BB200_4 Depth=1
	global_load_ushort v18, v[6:7], off
.LBB200_8:                              ;   in Loop: Header=BB200_4 Depth=1
	s_or_b64 exec, exec, s[2:3]
	v_mov_b32_e32 v17, s19
	v_add_co_u32_e64 v20, s[2:3], s18, v11
	v_addc_co_u32_e64 v21, s[2:3], v12, v17, s[2:3]
	v_cmp_gt_u64_e64 s[2:3], s[16:17], v[20:21]
	v_mov_b32_e32 v17, 0
	v_mov_b32_e32 v19, 0
	s_and_saveexec_b64 s[8:9], s[2:3]
	s_cbranch_execz .LBB200_10
; %bb.9:                                ;   in Loop: Header=BB200_4 Depth=1
	v_mov_b32_e32 v19, s22
	v_add_co_u32_e64 v20, s[6:7], s23, v4
	v_addc_co_u32_e64 v21, s[6:7], v5, v19, s[6:7]
	global_load_ushort v19, v[20:21], off
.LBB200_10:                             ;   in Loop: Header=BB200_4 Depth=1
	s_or_b64 exec, exec, s[8:9]
	v_mov_b32_e32 v21, s19
	v_add_co_u32_e64 v20, s[6:7], s18, v1
	v_addc_co_u32_e64 v21, s[6:7], v10, v21, s[6:7]
	v_cmp_gt_u64_e64 s[6:7], s[16:17], v[20:21]
	s_and_saveexec_b64 s[20:21], s[6:7]
	s_cbranch_execnz .LBB200_15
; %bb.11:                               ;   in Loop: Header=BB200_4 Depth=1
	s_or_b64 exec, exec, s[20:21]
	s_and_saveexec_b64 s[8:9], vcc
	s_cbranch_execnz .LBB200_16
.LBB200_12:                             ;   in Loop: Header=BB200_4 Depth=1
	s_or_b64 exec, exec, s[8:9]
	s_and_saveexec_b64 s[8:9], s[0:1]
	s_cbranch_execnz .LBB200_17
.LBB200_13:                             ;   in Loop: Header=BB200_4 Depth=1
	s_or_b64 exec, exec, s[8:9]
	s_and_saveexec_b64 s[0:1], s[2:3]
	s_cbranch_execnz .LBB200_18
.LBB200_14:                             ;   in Loop: Header=BB200_4 Depth=1
	s_or_b64 exec, exec, s[0:1]
	s_and_saveexec_b64 s[0:1], s[6:7]
	s_cbranch_execz .LBB200_3
	s_branch .LBB200_19
.LBB200_15:                             ;   in Loop: Header=BB200_4 Depth=1
	v_mov_b32_e32 v17, s26
	v_add_co_u32_e64 v20, s[8:9], s25, v4
	v_addc_co_u32_e64 v21, s[8:9], v5, v17, s[8:9]
	global_load_ushort v17, v[20:21], off
	s_or_b64 exec, exec, s[20:21]
	s_and_saveexec_b64 s[8:9], vcc
	s_cbranch_execz .LBB200_12
.LBB200_16:                             ;   in Loop: Header=BB200_4 Depth=1
	s_waitcnt vmcnt(0)
	v_cvt_f32_f16_e32 v16, v16
	v_log_f32_e32 v16, v16
	v_cvt_f16_f32_e32 v16, v16
	global_store_short v[4:5], v16, off
	s_or_b64 exec, exec, s[8:9]
	s_and_saveexec_b64 s[8:9], s[0:1]
	s_cbranch_execz .LBB200_13
.LBB200_17:                             ;   in Loop: Header=BB200_4 Depth=1
	s_waitcnt vmcnt(0)
	v_cvt_f32_f16_e32 v16, v18
	v_log_f32_e32 v16, v16
	v_cvt_f16_f32_e32 v16, v16
	global_store_short v[6:7], v16, off
	s_or_b64 exec, exec, s[8:9]
	s_and_saveexec_b64 s[0:1], s[2:3]
	s_cbranch_execz .LBB200_14
.LBB200_18:                             ;   in Loop: Header=BB200_4 Depth=1
	s_waitcnt vmcnt(0)
	v_cvt_f32_f16_e32 v16, v19
	v_mov_b32_e32 v19, s22
	v_add_co_u32_e32 v18, vcc, s23, v4
	v_log_f32_e32 v16, v16
	v_addc_co_u32_e32 v19, vcc, v5, v19, vcc
	v_cvt_f16_f32_e32 v16, v16
	global_store_short v[18:19], v16, off
	s_or_b64 exec, exec, s[0:1]
	s_and_saveexec_b64 s[0:1], s[6:7]
	s_cbranch_execz .LBB200_3
.LBB200_19:                             ;   in Loop: Header=BB200_4 Depth=1
	s_waitcnt vmcnt(0)
	v_cvt_f32_f16_e32 v16, v17
	v_mov_b32_e32 v17, s26
	v_log_f32_e32 v16, v16
	v_cvt_f16_f32_e32 v18, v16
	v_add_co_u32_e32 v16, vcc, s25, v4
	v_addc_co_u32_e32 v17, vcc, v5, v17, vcc
	global_store_short v[16:17], v18, off
	s_branch .LBB200_3
.LBB200_20:
	s_cbranch_execz .LBB200_22
	s_branch .LBB200_25
.LBB200_21:
.LBB200_22:
	v_mov_b32_e32 v3, 0
	v_lshlrev_b32_e32 v2, 2, v0
	s_mov_b32 s0, 0
	v_cmp_gt_i64_e32 vcc, s[10:11], v[2:3]
	s_and_saveexec_b64 s[2:3], vcc
	s_cbranch_execz .LBB200_25
; %bb.23:
	s_load_dword s1, s[4:5], 0xd3c
	v_lshlrev_b32_e32 v1, 3, v0
	s_mov_b64 s[4:5], 0
	s_mov_b64 s[6:7], 0xffff
	v_mov_b32_e32 v5, s0
	s_waitcnt lgkmcnt(0)
	s_and_b32 s1, s1, 0xffff
	s_lshl_b32 s8, s1, 2
	s_add_u32 s2, s12, s14
	s_addc_u32 s3, s13, s15
	v_add_lshl_u32 v2, v0, s1, 2
	v_mov_b32_e32 v0, s3
	v_add_co_u32_e32 v1, vcc, s2, v1
	v_addc_co_u32_e32 v4, vcc, 0, v0, vcc
	v_add_co_u32_e32 v0, vcc, 4, v1
	v_addc_co_u32_e32 v1, vcc, 0, v4, vcc
	s_lshl_b32 s9, s1, 3
	v_mov_b32_e32 v4, s0
.LBB200_24:                             ; =>This Inner Loop Header: Depth=1
	global_load_dwordx2 v[6:7], v[0:1], off offset:-4
	v_cmp_le_i64_e32 vcc, s[10:11], v[2:3]
	v_cmp_lt_u64_e64 s[0:1], s[6:7], v[2:3]
	s_or_b64 s[0:1], vcc, s[0:1]
	v_add_co_u32_e64 v2, s[2:3], s8, v2
	s_and_b64 s[0:1], exec, s[0:1]
	v_addc_co_u32_e64 v3, s[2:3], v3, v4, s[2:3]
	s_or_b64 s[4:5], s[0:1], s[4:5]
	s_waitcnt vmcnt(0)
	v_cvt_f32_f16_e32 v8, v6
	v_cvt_f32_f16_e32 v9, v7
	v_cvt_f32_f16_sdwa v7, v7 dst_sel:DWORD dst_unused:UNUSED_PAD src0_sel:WORD_1
	v_cvt_f32_f16_sdwa v6, v6 dst_sel:DWORD dst_unused:UNUSED_PAD src0_sel:WORD_1
	v_log_f32_e32 v8, v8
	v_log_f32_e32 v9, v9
	;; [unrolled: 1-line block ×4, first 2 shown]
	v_cvt_f16_f32_e32 v8, v8
	v_cvt_f16_f32_e32 v9, v9
	;; [unrolled: 1-line block ×4, first 2 shown]
	v_pack_b32_f16 v7, v9, v7
	v_pack_b32_f16 v6, v8, v6
	global_store_dwordx2 v[0:1], v[6:7], off offset:-4
	v_add_co_u32_e32 v0, vcc, s9, v0
	v_addc_co_u32_e32 v1, vcc, v1, v5, vcc
	s_andn2_b64 exec, exec, s[4:5]
	s_cbranch_execnz .LBB200_24
.LBB200_25:
	s_endpgm
	.section	.rodata,"a",@progbits
	.p2align	6, 0x0
	.amdhsa_kernel _ZN2at6native12_GLOBAL__N_125multi_tensor_apply_kernelINS1_18TensorListMetadataILi1EEENS1_14UnaryOpFunctorIN3c104HalfELi1ELi1ELi0EEEJNS0_4Log2IfEEEEEvT_T0_DpT1_
		.amdhsa_group_segment_fixed_size 0
		.amdhsa_private_segment_fixed_size 0
		.amdhsa_kernarg_size 3632
		.amdhsa_user_sgpr_count 6
		.amdhsa_user_sgpr_private_segment_buffer 1
		.amdhsa_user_sgpr_dispatch_ptr 0
		.amdhsa_user_sgpr_queue_ptr 0
		.amdhsa_user_sgpr_kernarg_segment_ptr 1
		.amdhsa_user_sgpr_dispatch_id 0
		.amdhsa_user_sgpr_flat_scratch_init 0
		.amdhsa_user_sgpr_kernarg_preload_length 0
		.amdhsa_user_sgpr_kernarg_preload_offset 0
		.amdhsa_user_sgpr_private_segment_size 0
		.amdhsa_uses_dynamic_stack 0
		.amdhsa_system_sgpr_private_segment_wavefront_offset 0
		.amdhsa_system_sgpr_workgroup_id_x 1
		.amdhsa_system_sgpr_workgroup_id_y 0
		.amdhsa_system_sgpr_workgroup_id_z 0
		.amdhsa_system_sgpr_workgroup_info 0
		.amdhsa_system_vgpr_workitem_id 0
		.amdhsa_next_free_vgpr 22
		.amdhsa_next_free_sgpr 27
		.amdhsa_accum_offset 24
		.amdhsa_reserve_vcc 1
		.amdhsa_reserve_flat_scratch 0
		.amdhsa_float_round_mode_32 0
		.amdhsa_float_round_mode_16_64 0
		.amdhsa_float_denorm_mode_32 3
		.amdhsa_float_denorm_mode_16_64 3
		.amdhsa_dx10_clamp 1
		.amdhsa_ieee_mode 1
		.amdhsa_fp16_overflow 0
		.amdhsa_tg_split 0
		.amdhsa_exception_fp_ieee_invalid_op 0
		.amdhsa_exception_fp_denorm_src 0
		.amdhsa_exception_fp_ieee_div_zero 0
		.amdhsa_exception_fp_ieee_overflow 0
		.amdhsa_exception_fp_ieee_underflow 0
		.amdhsa_exception_fp_ieee_inexact 0
		.amdhsa_exception_int_div_zero 0
	.end_amdhsa_kernel
	.section	.text._ZN2at6native12_GLOBAL__N_125multi_tensor_apply_kernelINS1_18TensorListMetadataILi1EEENS1_14UnaryOpFunctorIN3c104HalfELi1ELi1ELi0EEEJNS0_4Log2IfEEEEEvT_T0_DpT1_,"axG",@progbits,_ZN2at6native12_GLOBAL__N_125multi_tensor_apply_kernelINS1_18TensorListMetadataILi1EEENS1_14UnaryOpFunctorIN3c104HalfELi1ELi1ELi0EEEJNS0_4Log2IfEEEEEvT_T0_DpT1_,comdat
.Lfunc_end200:
	.size	_ZN2at6native12_GLOBAL__N_125multi_tensor_apply_kernelINS1_18TensorListMetadataILi1EEENS1_14UnaryOpFunctorIN3c104HalfELi1ELi1ELi0EEEJNS0_4Log2IfEEEEEvT_T0_DpT1_, .Lfunc_end200-_ZN2at6native12_GLOBAL__N_125multi_tensor_apply_kernelINS1_18TensorListMetadataILi1EEENS1_14UnaryOpFunctorIN3c104HalfELi1ELi1ELi0EEEJNS0_4Log2IfEEEEEvT_T0_DpT1_
                                        ; -- End function
	.section	.AMDGPU.csdata,"",@progbits
; Kernel info:
; codeLenInByte = 1100
; NumSgprs: 31
; NumVgprs: 22
; NumAgprs: 0
; TotalNumVgprs: 22
; ScratchSize: 0
; MemoryBound: 0
; FloatMode: 240
; IeeeMode: 1
; LDSByteSize: 0 bytes/workgroup (compile time only)
; SGPRBlocks: 3
; VGPRBlocks: 2
; NumSGPRsForWavesPerEU: 31
; NumVGPRsForWavesPerEU: 22
; AccumOffset: 24
; Occupancy: 8
; WaveLimiterHint : 0
; COMPUTE_PGM_RSRC2:SCRATCH_EN: 0
; COMPUTE_PGM_RSRC2:USER_SGPR: 6
; COMPUTE_PGM_RSRC2:TRAP_HANDLER: 0
; COMPUTE_PGM_RSRC2:TGID_X_EN: 1
; COMPUTE_PGM_RSRC2:TGID_Y_EN: 0
; COMPUTE_PGM_RSRC2:TGID_Z_EN: 0
; COMPUTE_PGM_RSRC2:TIDIG_COMP_CNT: 0
; COMPUTE_PGM_RSRC3_GFX90A:ACCUM_OFFSET: 5
; COMPUTE_PGM_RSRC3_GFX90A:TG_SPLIT: 0
	.section	.text._ZN2at6native12_GLOBAL__N_125multi_tensor_apply_kernelINS1_18TensorListMetadataILi1EEENS1_14UnaryOpFunctorIN3c108BFloat16ELi1ELi1ELi0EEEJNS0_4Log2IfEEEEEvT_T0_DpT1_,"axG",@progbits,_ZN2at6native12_GLOBAL__N_125multi_tensor_apply_kernelINS1_18TensorListMetadataILi1EEENS1_14UnaryOpFunctorIN3c108BFloat16ELi1ELi1ELi0EEEJNS0_4Log2IfEEEEEvT_T0_DpT1_,comdat
	.globl	_ZN2at6native12_GLOBAL__N_125multi_tensor_apply_kernelINS1_18TensorListMetadataILi1EEENS1_14UnaryOpFunctorIN3c108BFloat16ELi1ELi1ELi0EEEJNS0_4Log2IfEEEEEvT_T0_DpT1_ ; -- Begin function _ZN2at6native12_GLOBAL__N_125multi_tensor_apply_kernelINS1_18TensorListMetadataILi1EEENS1_14UnaryOpFunctorIN3c108BFloat16ELi1ELi1ELi0EEEJNS0_4Log2IfEEEEEvT_T0_DpT1_
	.p2align	8
	.type	_ZN2at6native12_GLOBAL__N_125multi_tensor_apply_kernelINS1_18TensorListMetadataILi1EEENS1_14UnaryOpFunctorIN3c108BFloat16ELi1ELi1ELi0EEEJNS0_4Log2IfEEEEEvT_T0_DpT1_,@function
_ZN2at6native12_GLOBAL__N_125multi_tensor_apply_kernelINS1_18TensorListMetadataILi1EEENS1_14UnaryOpFunctorIN3c108BFloat16ELi1ELi1ELi0EEEJNS0_4Log2IfEEEEEvT_T0_DpT1_: ; @_ZN2at6native12_GLOBAL__N_125multi_tensor_apply_kernelINS1_18TensorListMetadataILi1EEENS1_14UnaryOpFunctorIN3c108BFloat16ELi1ELi1ELi0EEEJNS0_4Log2IfEEEEEvT_T0_DpT1_
; %bb.0:
	v_mov_b32_e32 v1, s6
	global_load_ubyte v1, v1, s[4:5] offset:1760
	s_add_u32 s0, s4, s6
	s_mul_hi_u32 s1, s6, 3
	s_mul_i32 s6, s6, 3
	s_addc_u32 s2, s5, 0
	s_add_u32 s0, s0, s6
	s_addc_u32 s1, s2, s1
	s_load_dword s0, s[0:1], 0x820
	s_mov_b32 s7, 0
	s_waitcnt vmcnt(0)
	v_readfirstlane_b32 s2, v1
	s_lshl_b32 s1, s2, 3
	s_load_dwordx2 s[2:3], s[4:5], s1 offset:0x370
	s_load_dwordx2 s[12:13], s[4:5], s1 offset:0x0
	s_waitcnt lgkmcnt(0)
	s_ashr_i32 s1, s0, 31
	s_lshl_b64 s[14:15], s[0:1], 17
	s_lshl_b64 s[0:1], s[0:1], 16
	s_and_b32 s6, s12, 7
	s_sub_u32 s10, s2, s0
	s_subb_u32 s11, s3, s1
	s_and_b32 s0, s2, 3
	s_mov_b32 s1, s7
	s_or_b64 s[0:1], s[6:7], s[0:1]
	s_cmp_eq_u64 s[0:1], 0
	s_cbranch_scc1 .LBB201_21
; %bb.1:
	v_cmp_lt_i64_e64 s[0:1], s[10:11], 1
	s_and_b64 vcc, exec, s[0:1]
	s_cbranch_vccnz .LBB201_20
; %bb.2:
	s_load_dword s0, s[4:5], 0xd3c
	v_mov_b32_e32 v2, 0x10000
	v_mov_b32_e32 v3, 0
	v_cmp_lt_u64_e32 vcc, s[10:11], v[2:3]
	v_lshlrev_b32_e32 v1, 1, v0
	s_waitcnt lgkmcnt(0)
	s_and_b32 s2, s0, 0xffff
	s_and_b64 s[0:1], vcc, exec
	s_cselect_b32 s17, s11, 0
	s_cselect_b32 s16, s10, 0x10000
	s_lshl_b32 s3, s2, 1
	s_lshl_b32 s23, s2, 2
	s_add_u32 s6, s12, s14
	s_addc_u32 s7, s13, s15
	v_mov_b32_e32 v5, s7
	v_add_co_u32_e32 v4, vcc, s6, v1
	s_mul_i32 s0, s2, 3
	v_addc_co_u32_e32 v5, vcc, 0, v5, vcc
	v_add_co_u32_e32 v1, vcc, s0, v0
	v_addc_co_u32_e64 v10, s[0:1], 0, 0, vcc
	v_add_co_u32_e32 v11, vcc, s3, v0
	v_addc_co_u32_e64 v12, s[0:1], 0, 0, vcc
	v_add_co_u32_e32 v13, vcc, s2, v0
	v_lshlrev_b32_e32 v6, 1, v13
	s_mov_b32 s22, 0
	v_addc_co_u32_e64 v14, s[0:1], 0, 0, vcc
	v_mov_b32_e32 v7, s7
	v_add_co_u32_e32 v6, vcc, s6, v6
	s_lshl_b32 s24, s2, 3
	s_mul_i32 s25, s2, 6
	s_mov_b32 s26, s22
	v_addc_co_u32_e32 v7, vcc, 0, v7, vcc
	s_mov_b64 s[18:19], 0
	s_mov_b32 s27, 0x800000
	s_movk_i32 s28, 0x7fff
	v_pk_mov_b32 v[8:9], s[10:11], s[10:11] op_sel:[0,1]
	v_mov_b32_e32 v15, s22
	v_mov_b32_e32 v16, 0x42000000
	;; [unrolled: 1-line block ×4, first 2 shown]
	s_branch .LBB201_4
.LBB201_3:                              ;   in Loop: Header=BB201_4 Depth=1
	s_or_b64 exec, exec, s[0:1]
	s_add_u32 s18, s18, s23
	s_addc_u32 s19, s19, 0
	v_cmp_lt_i64_e32 vcc, s[18:19], v[8:9]
	v_cmp_lt_u64_e64 s[0:1], s[18:19], v[2:3]
	s_and_b64 s[0:1], vcc, s[0:1]
	v_add_co_u32_e32 v4, vcc, s24, v4
	v_addc_co_u32_e32 v5, vcc, v5, v15, vcc
	v_add_co_u32_e32 v6, vcc, s24, v6
	v_addc_co_u32_e32 v7, vcc, v7, v15, vcc
	s_and_b64 vcc, exec, s[0:1]
	s_cbranch_vccz .LBB201_20
.LBB201_4:                              ; =>This Inner Loop Header: Depth=1
	s_waitcnt vmcnt(0)
	v_mov_b32_e32 v19, s19
	v_add_co_u32_e32 v20, vcc, s18, v0
	v_addc_co_u32_e32 v21, vcc, 0, v19, vcc
	v_cmp_gt_u64_e64 s[6:7], s[16:17], v[20:21]
	v_mov_b32_e32 v21, 0
	s_and_saveexec_b64 s[0:1], s[6:7]
	s_cbranch_execz .LBB201_6
; %bb.5:                                ;   in Loop: Header=BB201_4 Depth=1
	global_load_ushort v21, v[4:5], off
.LBB201_6:                              ;   in Loop: Header=BB201_4 Depth=1
	s_or_b64 exec, exec, s[0:1]
	v_mov_b32_e32 v19, s19
	v_add_co_u32_e32 v22, vcc, s18, v13
	v_addc_co_u32_e32 v23, vcc, v14, v19, vcc
	v_cmp_gt_u64_e64 s[2:3], s[16:17], v[22:23]
	v_mov_b32_e32 v20, 0
	s_and_saveexec_b64 s[0:1], s[2:3]
	s_cbranch_execz .LBB201_8
; %bb.7:                                ;   in Loop: Header=BB201_4 Depth=1
	global_load_ushort v20, v[6:7], off
.LBB201_8:                              ;   in Loop: Header=BB201_4 Depth=1
	s_or_b64 exec, exec, s[0:1]
	v_mov_b32_e32 v19, s19
	v_add_co_u32_e32 v22, vcc, s18, v11
	v_addc_co_u32_e32 v23, vcc, v12, v19, vcc
	v_cmp_gt_u64_e64 s[0:1], s[16:17], v[22:23]
	v_mov_b32_e32 v19, 0
	v_mov_b32_e32 v22, 0
	s_and_saveexec_b64 s[8:9], s[0:1]
	s_cbranch_execz .LBB201_10
; %bb.9:                                ;   in Loop: Header=BB201_4 Depth=1
	v_mov_b32_e32 v23, s22
	v_add_co_u32_e32 v22, vcc, s23, v4
	v_addc_co_u32_e32 v23, vcc, v5, v23, vcc
	global_load_ushort v22, v[22:23], off
.LBB201_10:                             ;   in Loop: Header=BB201_4 Depth=1
	s_or_b64 exec, exec, s[8:9]
	v_mov_b32_e32 v23, s19
	v_add_co_u32_e32 v24, vcc, s18, v1
	v_addc_co_u32_e32 v25, vcc, v10, v23, vcc
	v_cmp_gt_u64_e32 vcc, s[16:17], v[24:25]
	s_and_saveexec_b64 s[20:21], vcc
	s_cbranch_execnz .LBB201_15
; %bb.11:                               ;   in Loop: Header=BB201_4 Depth=1
	s_or_b64 exec, exec, s[20:21]
	s_and_saveexec_b64 s[8:9], s[6:7]
	s_cbranch_execnz .LBB201_16
.LBB201_12:                             ;   in Loop: Header=BB201_4 Depth=1
	s_or_b64 exec, exec, s[8:9]
	s_and_saveexec_b64 s[6:7], s[2:3]
	s_cbranch_execnz .LBB201_17
.LBB201_13:                             ;   in Loop: Header=BB201_4 Depth=1
	s_or_b64 exec, exec, s[6:7]
	s_and_saveexec_b64 s[2:3], s[0:1]
	s_cbranch_execnz .LBB201_18
.LBB201_14:                             ;   in Loop: Header=BB201_4 Depth=1
	s_or_b64 exec, exec, s[2:3]
	s_and_saveexec_b64 s[0:1], vcc
	s_cbranch_execz .LBB201_3
	s_branch .LBB201_19
.LBB201_15:                             ;   in Loop: Header=BB201_4 Depth=1
	v_mov_b32_e32 v19, s26
	v_add_co_u32_e64 v24, s[8:9], s25, v4
	v_addc_co_u32_e64 v25, s[8:9], v5, v19, s[8:9]
	global_load_ushort v19, v[24:25], off
	s_or_b64 exec, exec, s[20:21]
	s_and_saveexec_b64 s[8:9], s[6:7]
	s_cbranch_execz .LBB201_12
.LBB201_16:                             ;   in Loop: Header=BB201_4 Depth=1
	s_waitcnt vmcnt(0)
	v_lshlrev_b32_e32 v21, 16, v21
	v_cmp_gt_f32_e64 s[6:7], s27, v21
	v_cndmask_b32_e64 v24, 1.0, v17, s[6:7]
	v_mul_f32_e32 v21, v21, v24
	v_log_f32_e32 v21, v21
	v_cndmask_b32_e64 v23, 0, v16, s[6:7]
	v_sub_f32_e32 v21, v21, v23
	v_bfe_u32 v23, v21, 16, 1
	v_add3_u32 v23, v21, v23, s28
	v_lshrrev_b32_e32 v23, 16, v23
	v_cmp_o_f32_e64 s[6:7], v21, v21
	v_cndmask_b32_e64 v21, v18, v23, s[6:7]
	global_store_short v[4:5], v21, off
	s_or_b64 exec, exec, s[8:9]
	s_and_saveexec_b64 s[6:7], s[2:3]
	s_cbranch_execz .LBB201_13
.LBB201_17:                             ;   in Loop: Header=BB201_4 Depth=1
	s_waitcnt vmcnt(0)
	v_lshlrev_b32_e32 v20, 16, v20
	v_cmp_gt_f32_e64 s[2:3], s27, v20
	v_cndmask_b32_e64 v23, 1.0, v17, s[2:3]
	v_mul_f32_e32 v20, v20, v23
	v_log_f32_e32 v20, v20
	v_cndmask_b32_e64 v21, 0, v16, s[2:3]
	v_sub_f32_e32 v20, v20, v21
	v_bfe_u32 v21, v20, 16, 1
	v_add3_u32 v21, v20, v21, s28
	v_lshrrev_b32_e32 v21, 16, v21
	v_cmp_o_f32_e64 s[2:3], v20, v20
	v_cndmask_b32_e64 v20, v18, v21, s[2:3]
	global_store_short v[6:7], v20, off
	s_or_b64 exec, exec, s[6:7]
	s_and_saveexec_b64 s[2:3], s[0:1]
	s_cbranch_execz .LBB201_14
.LBB201_18:                             ;   in Loop: Header=BB201_4 Depth=1
	s_waitcnt vmcnt(0)
	v_lshlrev_b32_e32 v20, 16, v22
	v_cmp_gt_f32_e64 s[0:1], s27, v20
	v_cndmask_b32_e64 v22, 1.0, v17, s[0:1]
	v_mul_f32_e32 v20, v20, v22
	v_log_f32_e32 v20, v20
	v_cndmask_b32_e64 v21, 0, v16, s[0:1]
	v_mov_b32_e32 v22, s22
	v_sub_f32_e32 v20, v20, v21
	v_bfe_u32 v21, v20, 16, 1
	v_add3_u32 v21, v20, v21, s28
	v_lshrrev_b32_e32 v21, 16, v21
	v_cmp_o_f32_e64 s[0:1], v20, v20
	v_cndmask_b32_e64 v23, v18, v21, s[0:1]
	v_add_co_u32_e64 v20, s[0:1], s23, v4
	v_addc_co_u32_e64 v21, s[0:1], v5, v22, s[0:1]
	global_store_short v[20:21], v23, off
	s_or_b64 exec, exec, s[2:3]
	s_and_saveexec_b64 s[0:1], vcc
	s_cbranch_execz .LBB201_3
.LBB201_19:                             ;   in Loop: Header=BB201_4 Depth=1
	s_waitcnt vmcnt(0)
	v_lshlrev_b32_e32 v19, 16, v19
	v_cmp_gt_f32_e32 vcc, s27, v19
	v_cndmask_b32_e32 v21, 1.0, v17, vcc
	v_mul_f32_e32 v19, v19, v21
	v_log_f32_e32 v19, v19
	v_cndmask_b32_e32 v20, 0, v16, vcc
	v_mov_b32_e32 v21, s26
	v_sub_f32_e32 v19, v19, v20
	v_bfe_u32 v20, v19, 16, 1
	v_add3_u32 v20, v19, v20, s28
	v_lshrrev_b32_e32 v20, 16, v20
	v_cmp_o_f32_e32 vcc, v19, v19
	v_cndmask_b32_e32 v19, v18, v20, vcc
	v_add_co_u32_e32 v20, vcc, s25, v4
	v_addc_co_u32_e32 v21, vcc, v5, v21, vcc
	global_store_short v[20:21], v19, off
	s_branch .LBB201_3
.LBB201_20:
	s_cbranch_execz .LBB201_22
	s_branch .LBB201_25
.LBB201_21:
.LBB201_22:
	v_mov_b32_e32 v3, 0
	v_lshlrev_b32_e32 v2, 2, v0
	s_mov_b32 s0, 0
	v_cmp_gt_i64_e32 vcc, s[10:11], v[2:3]
	s_and_saveexec_b64 s[2:3], vcc
	s_cbranch_execz .LBB201_25
; %bb.23:
	s_load_dword s1, s[4:5], 0xd3c
	v_lshlrev_b32_e32 v1, 3, v0
	s_mov_b64 s[4:5], 0
	v_mov_b32_e32 v6, 0x7fc00000
	v_mov_b32_e32 v7, 0x7fc0
	s_waitcnt lgkmcnt(0)
	s_and_b32 s1, s1, 0xffff
	s_add_u32 s2, s12, s14
	s_addc_u32 s3, s13, s15
	v_mov_b32_e32 v2, s3
	v_add_co_u32_e32 v4, vcc, s2, v1
	v_addc_co_u32_e32 v5, vcc, 0, v2, vcc
	s_lshl_b32 s8, s1, 3
	v_add_lshl_u32 v2, v0, s1, 2
	s_lshl_b32 s9, s1, 2
	s_mov_b32 s12, 0x800000
	v_mov_b32_e32 v0, 0x4f800000
	v_mov_b32_e32 v1, 0x42000000
	s_movk_i32 s13, 0x7fff
	s_mov_b64 s[6:7], 0xffff
	v_mov_b32_e32 v8, s0
	v_mov_b32_e32 v9, s0
.LBB201_24:                             ; =>This Inner Loop Header: Depth=1
	global_load_dwordx2 v[10:11], v[4:5], off
	v_cmp_le_i64_e32 vcc, s[10:11], v[2:3]
	v_cmp_lt_u64_e64 s[0:1], s[6:7], v[2:3]
	s_or_b64 s[0:1], vcc, s[0:1]
	s_and_b64 s[0:1], exec, s[0:1]
	s_or_b64 s[4:5], s[0:1], s[4:5]
	s_waitcnt vmcnt(0)
	v_and_b32_e32 v12, 0xffff0000, v10
	v_lshlrev_b32_e32 v13, 16, v10
	v_alignbit_b32 v10, v11, v10, 16
	v_and_b32_e32 v11, 0xffff0000, v11
	v_cmp_gt_f32_e64 s[2:3], s12, v11
	v_cmp_gt_f32_e32 vcc, s12, v13
	v_cmp_gt_f32_e64 s[0:1], s12, v12
	v_cndmask_b32_e64 v16, 1.0, v0, s[2:3]
	v_cndmask_b32_e32 v14, 1.0, v0, vcc
	v_cndmask_b32_e64 v15, 1.0, v0, s[0:1]
	v_and_b32_e32 v10, 0xffff0000, v10
	v_mul_f32_e32 v11, v11, v16
	v_mul_f32_e32 v13, v13, v14
	v_cndmask_b32_e32 v14, 0, v1, vcc
	v_mul_f32_e32 v12, v12, v15
	v_cmp_gt_f32_e32 vcc, s12, v10
	v_log_f32_e32 v11, v11
	v_cndmask_b32_e32 v17, 1.0, v0, vcc
	v_log_f32_e32 v12, v12
	v_log_f32_e32 v13, v13
	v_mul_f32_e32 v10, v10, v17
	v_cndmask_b32_e64 v16, 0, v1, s[2:3]
	v_log_f32_e32 v10, v10
	v_cndmask_b32_e64 v15, 0, v1, s[0:1]
	v_sub_f32_e32 v11, v11, v16
	v_sub_f32_e32 v12, v12, v15
	v_bfe_u32 v16, v11, 16, 1
	v_cndmask_b32_e32 v17, 0, v1, vcc
	v_sub_f32_e32 v13, v13, v14
	v_bfe_u32 v15, v12, 16, 1
	v_add3_u32 v16, v11, v16, s13
	v_bfe_u32 v14, v13, 16, 1
	v_sub_f32_e32 v10, v10, v17
	v_add3_u32 v15, v12, v15, s13
	v_and_b32_e32 v16, 0xffff0000, v16
	v_cmp_o_f32_e32 vcc, v11, v11
	v_add3_u32 v14, v13, v14, s13
	v_bfe_u32 v17, v10, 16, 1
	v_and_b32_e32 v15, 0xffff0000, v15
	v_cndmask_b32_e32 v11, v6, v16, vcc
	v_cmp_o_f32_e32 vcc, v12, v12
	v_lshrrev_b32_e32 v14, 16, v14
	v_add3_u32 v17, v10, v17, s13
	v_cndmask_b32_e32 v12, v6, v15, vcc
	v_cmp_o_f32_e32 vcc, v13, v13
	v_lshrrev_b32_e32 v17, 16, v17
	v_cndmask_b32_e32 v13, v7, v14, vcc
	v_cmp_o_f32_e32 vcc, v10, v10
	v_cndmask_b32_e32 v10, v7, v17, vcc
	v_or_b32_e32 v12, v13, v12
	v_or3_b32 v11, 0, v10, v11
	v_or3_b32 v10, v12, 0, 0
	global_store_dwordx2 v[4:5], v[10:11], off
	v_add_co_u32_e32 v4, vcc, s8, v4
	v_addc_co_u32_e32 v5, vcc, v5, v8, vcc
	v_add_co_u32_e32 v2, vcc, s9, v2
	v_addc_co_u32_e32 v3, vcc, v3, v9, vcc
	s_andn2_b64 exec, exec, s[4:5]
	s_cbranch_execnz .LBB201_24
.LBB201_25:
	s_endpgm
	.section	.rodata,"a",@progbits
	.p2align	6, 0x0
	.amdhsa_kernel _ZN2at6native12_GLOBAL__N_125multi_tensor_apply_kernelINS1_18TensorListMetadataILi1EEENS1_14UnaryOpFunctorIN3c108BFloat16ELi1ELi1ELi0EEEJNS0_4Log2IfEEEEEvT_T0_DpT1_
		.amdhsa_group_segment_fixed_size 0
		.amdhsa_private_segment_fixed_size 0
		.amdhsa_kernarg_size 3632
		.amdhsa_user_sgpr_count 6
		.amdhsa_user_sgpr_private_segment_buffer 1
		.amdhsa_user_sgpr_dispatch_ptr 0
		.amdhsa_user_sgpr_queue_ptr 0
		.amdhsa_user_sgpr_kernarg_segment_ptr 1
		.amdhsa_user_sgpr_dispatch_id 0
		.amdhsa_user_sgpr_flat_scratch_init 0
		.amdhsa_user_sgpr_kernarg_preload_length 0
		.amdhsa_user_sgpr_kernarg_preload_offset 0
		.amdhsa_user_sgpr_private_segment_size 0
		.amdhsa_uses_dynamic_stack 0
		.amdhsa_system_sgpr_private_segment_wavefront_offset 0
		.amdhsa_system_sgpr_workgroup_id_x 1
		.amdhsa_system_sgpr_workgroup_id_y 0
		.amdhsa_system_sgpr_workgroup_id_z 0
		.amdhsa_system_sgpr_workgroup_info 0
		.amdhsa_system_vgpr_workitem_id 0
		.amdhsa_next_free_vgpr 26
		.amdhsa_next_free_sgpr 29
		.amdhsa_accum_offset 28
		.amdhsa_reserve_vcc 1
		.amdhsa_reserve_flat_scratch 0
		.amdhsa_float_round_mode_32 0
		.amdhsa_float_round_mode_16_64 0
		.amdhsa_float_denorm_mode_32 3
		.amdhsa_float_denorm_mode_16_64 3
		.amdhsa_dx10_clamp 1
		.amdhsa_ieee_mode 1
		.amdhsa_fp16_overflow 0
		.amdhsa_tg_split 0
		.amdhsa_exception_fp_ieee_invalid_op 0
		.amdhsa_exception_fp_denorm_src 0
		.amdhsa_exception_fp_ieee_div_zero 0
		.amdhsa_exception_fp_ieee_overflow 0
		.amdhsa_exception_fp_ieee_underflow 0
		.amdhsa_exception_fp_ieee_inexact 0
		.amdhsa_exception_int_div_zero 0
	.end_amdhsa_kernel
	.section	.text._ZN2at6native12_GLOBAL__N_125multi_tensor_apply_kernelINS1_18TensorListMetadataILi1EEENS1_14UnaryOpFunctorIN3c108BFloat16ELi1ELi1ELi0EEEJNS0_4Log2IfEEEEEvT_T0_DpT1_,"axG",@progbits,_ZN2at6native12_GLOBAL__N_125multi_tensor_apply_kernelINS1_18TensorListMetadataILi1EEENS1_14UnaryOpFunctorIN3c108BFloat16ELi1ELi1ELi0EEEJNS0_4Log2IfEEEEEvT_T0_DpT1_,comdat
.Lfunc_end201:
	.size	_ZN2at6native12_GLOBAL__N_125multi_tensor_apply_kernelINS1_18TensorListMetadataILi1EEENS1_14UnaryOpFunctorIN3c108BFloat16ELi1ELi1ELi0EEEJNS0_4Log2IfEEEEEvT_T0_DpT1_, .Lfunc_end201-_ZN2at6native12_GLOBAL__N_125multi_tensor_apply_kernelINS1_18TensorListMetadataILi1EEENS1_14UnaryOpFunctorIN3c108BFloat16ELi1ELi1ELi0EEEJNS0_4Log2IfEEEEEvT_T0_DpT1_
                                        ; -- End function
	.section	.AMDGPU.csdata,"",@progbits
; Kernel info:
; codeLenInByte = 1600
; NumSgprs: 33
; NumVgprs: 26
; NumAgprs: 0
; TotalNumVgprs: 26
; ScratchSize: 0
; MemoryBound: 0
; FloatMode: 240
; IeeeMode: 1
; LDSByteSize: 0 bytes/workgroup (compile time only)
; SGPRBlocks: 4
; VGPRBlocks: 3
; NumSGPRsForWavesPerEU: 33
; NumVGPRsForWavesPerEU: 26
; AccumOffset: 28
; Occupancy: 8
; WaveLimiterHint : 0
; COMPUTE_PGM_RSRC2:SCRATCH_EN: 0
; COMPUTE_PGM_RSRC2:USER_SGPR: 6
; COMPUTE_PGM_RSRC2:TRAP_HANDLER: 0
; COMPUTE_PGM_RSRC2:TGID_X_EN: 1
; COMPUTE_PGM_RSRC2:TGID_Y_EN: 0
; COMPUTE_PGM_RSRC2:TGID_Z_EN: 0
; COMPUTE_PGM_RSRC2:TIDIG_COMP_CNT: 0
; COMPUTE_PGM_RSRC3_GFX90A:ACCUM_OFFSET: 6
; COMPUTE_PGM_RSRC3_GFX90A:TG_SPLIT: 0
	.section	.text._ZN2at6native12_GLOBAL__N_125multi_tensor_apply_kernelINS1_18TensorListMetadataILi2EEENS1_14UnaryOpFunctorIdLi2ELi1ELi1EEEJNS0_5Log1pIdEEEEEvT_T0_DpT1_,"axG",@progbits,_ZN2at6native12_GLOBAL__N_125multi_tensor_apply_kernelINS1_18TensorListMetadataILi2EEENS1_14UnaryOpFunctorIdLi2ELi1ELi1EEEJNS0_5Log1pIdEEEEEvT_T0_DpT1_,comdat
	.globl	_ZN2at6native12_GLOBAL__N_125multi_tensor_apply_kernelINS1_18TensorListMetadataILi2EEENS1_14UnaryOpFunctorIdLi2ELi1ELi1EEEJNS0_5Log1pIdEEEEEvT_T0_DpT1_ ; -- Begin function _ZN2at6native12_GLOBAL__N_125multi_tensor_apply_kernelINS1_18TensorListMetadataILi2EEENS1_14UnaryOpFunctorIdLi2ELi1ELi1EEEJNS0_5Log1pIdEEEEEvT_T0_DpT1_
	.p2align	8
	.type	_ZN2at6native12_GLOBAL__N_125multi_tensor_apply_kernelINS1_18TensorListMetadataILi2EEENS1_14UnaryOpFunctorIdLi2ELi1ELi1EEEJNS0_5Log1pIdEEEEEvT_T0_DpT1_,@function
_ZN2at6native12_GLOBAL__N_125multi_tensor_apply_kernelINS1_18TensorListMetadataILi2EEENS1_14UnaryOpFunctorIdLi2ELi1ELi1EEEJNS0_5Log1pIdEEEEEvT_T0_DpT1_: ; @_ZN2at6native12_GLOBAL__N_125multi_tensor_apply_kernelINS1_18TensorListMetadataILi2EEENS1_14UnaryOpFunctorIdLi2ELi1ELi1EEEJNS0_5Log1pIdEEEEEvT_T0_DpT1_
; %bb.0:
	v_mov_b32_e32 v1, s6
	global_load_ubyte v1, v1, s[4:5] offset:1536
	s_add_u32 s0, s4, s6
	s_mul_hi_u32 s3, s6, 3
	s_mul_i32 s6, s6, 3
	s_addc_u32 s7, s5, 0
	s_add_u32 s2, s0, s6
	s_addc_u32 s3, s7, s3
	s_load_dword s14, s[2:3], 0x740
	s_mov_b32 s1, 0
	s_mov_b32 s13, s1
	;; [unrolled: 1-line block ×3, first 2 shown]
	s_waitcnt lgkmcnt(0)
	s_ashr_i32 s15, s14, 31
	s_lshl_b64 s[8:9], s[14:15], 19
	s_waitcnt vmcnt(0)
	v_readfirstlane_b32 s0, v1
	s_lshl_b32 s0, s0, 3
	s_load_dwordx2 s[6:7], s[4:5], s0 offset:0x0
	s_load_dwordx2 s[16:17], s[4:5], s0 offset:0x400
	;; [unrolled: 1-line block ×3, first 2 shown]
	s_waitcnt lgkmcnt(0)
	s_add_u32 s33, s6, s8
	s_addc_u32 s40, s7, s9
	s_and_b32 s0, s33, 31
	s_add_u32 s41, s2, s8
	s_addc_u32 s42, s3, s9
	s_and_b32 s12, s16, 3
	s_and_b32 s10, s41, 31
	s_or_b64 s[12:13], s[0:1], s[12:13]
	s_or_b64 s[12:13], s[10:11], s[12:13]
	s_lshl_b64 s[10:11], s[14:15], 16
	s_sub_u32 s10, s16, s10
	s_subb_u32 s11, s17, s11
	s_cmp_eq_u64 s[12:13], 0
	s_mov_b64 s[12:13], -1
	s_cbranch_scc0 .LBB202_5
; %bb.1:
	v_mov_b32_e32 v15, 0
	v_lshlrev_b32_e32 v14, 2, v0
	v_cmp_gt_i64_e32 vcc, s[10:11], v[14:15]
	s_and_saveexec_b64 s[12:13], vcc
	s_cbranch_execz .LBB202_4
; %bb.2:
	s_load_dword s0, s[4:5], 0xc5c
	s_mov_b32 s20, 0x6b47b09a
	s_mov_b32 s16, 0x55555555
	;; [unrolled: 1-line block ×4, first 2 shown]
	s_waitcnt lgkmcnt(0)
	s_and_b32 s0, s0, 0xffff
	s_mov_b32 s18, 0xbf559e2b
	v_pk_mov_b32 v[18:19], s[20:21], s[20:21] op_sel:[0,1]
	s_mov_b32 s20, 0xd7f4df2e
	s_mov_b32 s22, 0x16291751
	;; [unrolled: 1-line block ×7, first 2 shown]
	v_lshlrev_b32_e32 v16, 5, v0
	s_mov_b64 s[14:15], 0
	v_add_lshl_u32 v14, v0, s0, 2
	s_lshl_b32 s43, s0, 2
	s_lshl_b32 s44, s0, 5
	s_mov_b32 s19, 0x3fc3ab76
	s_mov_b32 s21, 0x3fc7474d
	;; [unrolled: 1-line block ×10, first 2 shown]
	v_mov_b32_e32 v1, 0x7ff80000
	v_mov_b32_e32 v17, 0xfff00000
	s_mov_b64 s[38:39], 0xffff
	v_mov_b32_e32 v24, s1
.LBB202_3:                              ; =>This Inner Loop Header: Depth=1
	v_add_co_u32_e32 v2, vcc, s33, v16
	v_mov_b32_e32 v3, s40
	v_addc_co_u32_e32 v3, vcc, 0, v3, vcc
	global_load_dwordx4 v[6:9], v[2:3], off offset:16
	global_load_dwordx4 v[10:13], v[2:3], off
	v_cmp_lt_u64_e64 s[0:1], s[38:39], v[14:15]
	s_waitcnt vmcnt(0)
	v_add_f64 v[2:3], v[10:11], 1.0
	v_add_f64 v[4:5], v[2:3], -1.0
	v_add_f64 v[20:21], v[4:5], -v[2:3]
	v_add_f64 v[20:21], v[20:21], 1.0
	v_add_f64 v[4:5], v[10:11], -v[4:5]
	v_add_f64 v[4:5], v[4:5], v[20:21]
	v_frexp_mant_f64_e32 v[20:21], v[2:3]
	v_frexp_exp_i32_f64_e32 v22, v[2:3]
	v_cmp_gt_f64_e32 vcc, s[16:17], v[20:21]
	v_subbrev_co_u32_e32 v25, vcc, 0, v22, vcc
	v_sub_u32_e32 v20, 0, v25
	v_ldexp_f64 v[2:3], v[2:3], v20
	v_ldexp_f64 v[4:5], v[4:5], v20
	v_add_f64 v[20:21], v[2:3], -1.0
	v_add_f64 v[22:23], v[20:21], 1.0
	v_add_f64 v[22:23], v[2:3], -v[22:23]
	v_add_f64 v[22:23], v[4:5], v[22:23]
	v_add_f64 v[26:27], v[20:21], v[22:23]
	v_add_f64 v[20:21], v[26:27], -v[20:21]
	v_add_f64 v[20:21], v[22:23], -v[20:21]
	v_add_f64 v[22:23], v[2:3], 1.0
	v_add_f64 v[28:29], v[22:23], -1.0
	v_add_f64 v[2:3], v[2:3], -v[28:29]
	v_add_f64 v[2:3], v[4:5], v[2:3]
	v_add_f64 v[4:5], v[22:23], v[2:3]
	v_add_f64 v[22:23], v[4:5], -v[22:23]
	v_add_f64 v[2:3], v[2:3], -v[22:23]
	v_rcp_f64_e32 v[22:23], v[4:5]
	v_cmp_eq_f64_e32 vcc, s[36:37], v[10:11]
	v_fma_f64 v[28:29], -v[4:5], v[22:23], 1.0
	v_fmac_f64_e32 v[22:23], v[28:29], v[22:23]
	v_fma_f64 v[28:29], -v[4:5], v[22:23], 1.0
	v_fmac_f64_e32 v[22:23], v[28:29], v[22:23]
	v_mul_f64 v[28:29], v[26:27], v[22:23]
	v_mul_f64 v[30:31], v[4:5], v[28:29]
	v_fma_f64 v[32:33], v[28:29], v[4:5], -v[30:31]
	v_fmac_f64_e32 v[32:33], v[28:29], v[2:3]
	v_add_f64 v[34:35], v[30:31], v[32:33]
	v_add_f64 v[36:37], v[26:27], -v[34:35]
	v_add_f64 v[26:27], v[26:27], -v[36:37]
	;; [unrolled: 1-line block ×4, first 2 shown]
	v_add_f64 v[20:21], v[20:21], v[26:27]
	v_add_f64 v[26:27], v[30:31], -v[32:33]
	v_add_f64 v[20:21], v[26:27], v[20:21]
	v_add_f64 v[26:27], v[36:37], v[20:21]
	v_add_f64 v[30:31], v[36:37], -v[26:27]
	v_add_f64 v[20:21], v[20:21], v[30:31]
	v_mul_f64 v[30:31], v[22:23], v[26:27]
	v_mul_f64 v[32:33], v[4:5], v[30:31]
	v_fma_f64 v[4:5], v[30:31], v[4:5], -v[32:33]
	v_fmac_f64_e32 v[4:5], v[30:31], v[2:3]
	v_add_f64 v[2:3], v[32:33], v[4:5]
	v_add_f64 v[34:35], v[26:27], -v[2:3]
	v_add_f64 v[26:27], v[26:27], -v[34:35]
	;; [unrolled: 1-line block ×4, first 2 shown]
	v_add_f64 v[2:3], v[20:21], v[2:3]
	v_add_f64 v[4:5], v[32:33], -v[4:5]
	v_add_f64 v[2:3], v[4:5], v[2:3]
	v_add_f64 v[4:5], v[28:29], v[30:31]
	;; [unrolled: 1-line block ×3, first 2 shown]
	v_add_f64 v[20:21], v[4:5], -v[28:29]
	v_mul_f64 v[2:3], v[22:23], v[2:3]
	v_add_f64 v[20:21], v[30:31], -v[20:21]
	v_add_f64 v[2:3], v[20:21], v[2:3]
	v_add_f64 v[20:21], v[4:5], v[2:3]
	v_add_f64 v[4:5], v[20:21], -v[4:5]
	v_add_f64 v[2:3], v[2:3], -v[4:5]
	v_mul_f64 v[4:5], v[20:21], v[20:21]
	v_fma_f64 v[22:23], s[18:19], v[4:5], v[18:19]
	v_cvt_f64_i32_e32 v[26:27], v25
	v_fma_f64 v[22:23], v[4:5], v[22:23], s[20:21]
	v_mul_f64 v[28:29], v[26:27], s[30:31]
	v_fma_f64 v[22:23], v[4:5], v[22:23], s[22:23]
	v_fma_f64 v[30:31], v[26:27], s[30:31], -v[28:29]
	v_fma_f64 v[22:23], v[4:5], v[22:23], s[24:25]
	v_fmac_f64_e32 v[30:31], s[34:35], v[26:27]
	v_fma_f64 v[22:23], v[4:5], v[22:23], s[26:27]
	v_add_f64 v[26:27], v[28:29], v[30:31]
	v_fma_f64 v[22:23], v[4:5], v[22:23], s[28:29]
	v_add_f64 v[28:29], v[26:27], -v[28:29]
	v_mul_f64 v[4:5], v[20:21], v[4:5]
	v_add_f64 v[28:29], v[30:31], -v[28:29]
	v_ldexp_f64 v[30:31], v[20:21], 1
	v_mul_f64 v[4:5], v[4:5], v[22:23]
	v_add_f64 v[20:21], v[30:31], v[4:5]
	v_add_f64 v[22:23], v[20:21], -v[30:31]
	v_ldexp_f64 v[2:3], v[2:3], 1
	v_add_f64 v[4:5], v[4:5], -v[22:23]
	v_add_f64 v[2:3], v[2:3], v[4:5]
	v_add_f64 v[4:5], v[20:21], v[2:3]
	v_add_f64 v[20:21], v[4:5], -v[20:21]
	v_add_f64 v[2:3], v[2:3], -v[20:21]
	v_add_f64 v[20:21], v[26:27], v[4:5]
	v_add_f64 v[22:23], v[20:21], -v[26:27]
	v_add_f64 v[30:31], v[20:21], -v[22:23]
	;; [unrolled: 1-line block ×4, first 2 shown]
	v_add_f64 v[4:5], v[4:5], v[26:27]
	v_add_f64 v[22:23], v[28:29], v[2:3]
	v_add_f64 v[26:27], v[22:23], -v[28:29]
	v_add_f64 v[4:5], v[22:23], v[4:5]
	v_add_f64 v[30:31], v[22:23], -v[26:27]
	;; [unrolled: 2-line block ×3, first 2 shown]
	v_add_f64 v[2:3], v[2:3], -v[26:27]
	v_add_f64 v[20:21], v[22:23], -v[20:21]
	v_add_f64 v[2:3], v[2:3], v[28:29]
	v_add_f64 v[4:5], v[4:5], -v[20:21]
	v_add_f64 v[2:3], v[2:3], v[4:5]
	v_add_f64 v[2:3], v[22:23], v[2:3]
	v_cndmask_b32_e32 v2, v2, v10, vcc
	v_cndmask_b32_e32 v3, v3, v11, vcc
	v_cmp_ngt_f64_e32 vcc, -1.0, v[10:11]
	v_cndmask_b32_e32 v3, v1, v3, vcc
	v_cmp_nge_f64_e32 vcc, -1.0, v[10:11]
	v_add_f64 v[4:5], v[12:13], 1.0
	v_cndmask_b32_e32 v2, 0, v2, vcc
	v_cmp_neq_f64_e32 vcc, -1.0, v[10:11]
	v_add_f64 v[10:11], v[4:5], -1.0
	v_add_f64 v[20:21], v[10:11], -v[4:5]
	v_add_f64 v[20:21], v[20:21], 1.0
	v_add_f64 v[10:11], v[12:13], -v[10:11]
	v_add_f64 v[10:11], v[10:11], v[20:21]
	v_frexp_mant_f64_e32 v[20:21], v[4:5]
	v_cndmask_b32_e32 v3, v17, v3, vcc
	v_frexp_exp_i32_f64_e32 v22, v[4:5]
	v_cmp_gt_f64_e32 vcc, s[16:17], v[20:21]
	v_subbrev_co_u32_e32 v25, vcc, 0, v22, vcc
	v_sub_u32_e32 v20, 0, v25
	v_ldexp_f64 v[4:5], v[4:5], v20
	v_ldexp_f64 v[10:11], v[10:11], v20
	v_add_f64 v[20:21], v[4:5], -1.0
	v_add_f64 v[22:23], v[20:21], 1.0
	v_add_f64 v[22:23], v[4:5], -v[22:23]
	v_add_f64 v[22:23], v[10:11], v[22:23]
	v_add_f64 v[26:27], v[20:21], v[22:23]
	v_add_f64 v[20:21], v[26:27], -v[20:21]
	v_add_f64 v[20:21], v[22:23], -v[20:21]
	v_add_f64 v[22:23], v[4:5], 1.0
	v_add_f64 v[28:29], v[22:23], -1.0
	v_add_f64 v[4:5], v[4:5], -v[28:29]
	v_add_f64 v[4:5], v[10:11], v[4:5]
	v_add_f64 v[10:11], v[22:23], v[4:5]
	v_add_f64 v[22:23], v[10:11], -v[22:23]
	v_add_f64 v[4:5], v[4:5], -v[22:23]
	v_rcp_f64_e32 v[22:23], v[10:11]
	v_cmp_eq_f64_e32 vcc, s[36:37], v[12:13]
	v_fma_f64 v[28:29], -v[10:11], v[22:23], 1.0
	v_fmac_f64_e32 v[22:23], v[28:29], v[22:23]
	v_fma_f64 v[28:29], -v[10:11], v[22:23], 1.0
	v_fmac_f64_e32 v[22:23], v[28:29], v[22:23]
	v_mul_f64 v[28:29], v[26:27], v[22:23]
	v_mul_f64 v[30:31], v[10:11], v[28:29]
	v_fma_f64 v[32:33], v[28:29], v[10:11], -v[30:31]
	v_fmac_f64_e32 v[32:33], v[28:29], v[4:5]
	v_add_f64 v[34:35], v[30:31], v[32:33]
	v_add_f64 v[36:37], v[26:27], -v[34:35]
	v_add_f64 v[26:27], v[26:27], -v[36:37]
	;; [unrolled: 1-line block ×4, first 2 shown]
	v_add_f64 v[20:21], v[20:21], v[26:27]
	v_add_f64 v[26:27], v[30:31], -v[32:33]
	v_add_f64 v[20:21], v[26:27], v[20:21]
	v_add_f64 v[26:27], v[36:37], v[20:21]
	v_add_f64 v[30:31], v[36:37], -v[26:27]
	v_add_f64 v[20:21], v[20:21], v[30:31]
	v_mul_f64 v[30:31], v[22:23], v[26:27]
	v_mul_f64 v[32:33], v[10:11], v[30:31]
	v_fma_f64 v[10:11], v[30:31], v[10:11], -v[32:33]
	v_fmac_f64_e32 v[10:11], v[30:31], v[4:5]
	v_add_f64 v[4:5], v[32:33], v[10:11]
	v_add_f64 v[34:35], v[26:27], -v[4:5]
	v_add_f64 v[26:27], v[26:27], -v[34:35]
	;; [unrolled: 1-line block ×4, first 2 shown]
	v_add_f64 v[4:5], v[20:21], v[4:5]
	v_add_f64 v[10:11], v[32:33], -v[10:11]
	v_add_f64 v[4:5], v[10:11], v[4:5]
	v_add_f64 v[10:11], v[28:29], v[30:31]
	;; [unrolled: 1-line block ×3, first 2 shown]
	v_add_f64 v[20:21], v[10:11], -v[28:29]
	v_mul_f64 v[4:5], v[22:23], v[4:5]
	v_add_f64 v[20:21], v[30:31], -v[20:21]
	v_add_f64 v[4:5], v[20:21], v[4:5]
	v_add_f64 v[20:21], v[10:11], v[4:5]
	v_add_f64 v[10:11], v[20:21], -v[10:11]
	v_add_f64 v[4:5], v[4:5], -v[10:11]
	v_mul_f64 v[10:11], v[20:21], v[20:21]
	v_fma_f64 v[22:23], s[18:19], v[10:11], v[18:19]
	v_cvt_f64_i32_e32 v[26:27], v25
	v_fma_f64 v[22:23], v[10:11], v[22:23], s[20:21]
	v_mul_f64 v[28:29], v[26:27], s[30:31]
	v_fma_f64 v[22:23], v[10:11], v[22:23], s[22:23]
	v_fma_f64 v[30:31], v[26:27], s[30:31], -v[28:29]
	v_fma_f64 v[22:23], v[10:11], v[22:23], s[24:25]
	v_fmac_f64_e32 v[30:31], s[34:35], v[26:27]
	v_fma_f64 v[22:23], v[10:11], v[22:23], s[26:27]
	v_add_f64 v[26:27], v[28:29], v[30:31]
	v_fma_f64 v[22:23], v[10:11], v[22:23], s[28:29]
	v_add_f64 v[28:29], v[26:27], -v[28:29]
	v_mul_f64 v[10:11], v[20:21], v[10:11]
	v_add_f64 v[28:29], v[30:31], -v[28:29]
	v_ldexp_f64 v[30:31], v[20:21], 1
	v_mul_f64 v[10:11], v[10:11], v[22:23]
	v_add_f64 v[20:21], v[30:31], v[10:11]
	v_add_f64 v[22:23], v[20:21], -v[30:31]
	v_ldexp_f64 v[4:5], v[4:5], 1
	v_add_f64 v[10:11], v[10:11], -v[22:23]
	v_add_f64 v[4:5], v[4:5], v[10:11]
	v_add_f64 v[10:11], v[20:21], v[4:5]
	v_add_f64 v[20:21], v[10:11], -v[20:21]
	v_add_f64 v[4:5], v[4:5], -v[20:21]
	v_add_f64 v[20:21], v[26:27], v[10:11]
	v_add_f64 v[22:23], v[20:21], -v[26:27]
	v_add_f64 v[30:31], v[20:21], -v[22:23]
	;; [unrolled: 1-line block ×4, first 2 shown]
	v_add_f64 v[10:11], v[10:11], v[26:27]
	v_add_f64 v[22:23], v[28:29], v[4:5]
	v_add_f64 v[26:27], v[22:23], -v[28:29]
	v_add_f64 v[10:11], v[22:23], v[10:11]
	v_add_f64 v[30:31], v[22:23], -v[26:27]
	;; [unrolled: 2-line block ×3, first 2 shown]
	v_add_f64 v[4:5], v[4:5], -v[26:27]
	v_add_f64 v[20:21], v[22:23], -v[20:21]
	v_add_f64 v[4:5], v[4:5], v[28:29]
	v_add_f64 v[10:11], v[10:11], -v[20:21]
	v_add_f64 v[4:5], v[4:5], v[10:11]
	v_add_f64 v[4:5], v[22:23], v[4:5]
	v_cndmask_b32_e32 v4, v4, v12, vcc
	v_cndmask_b32_e32 v5, v5, v13, vcc
	v_cmp_ngt_f64_e32 vcc, -1.0, v[12:13]
	v_cndmask_b32_e32 v5, v1, v5, vcc
	v_cmp_nge_f64_e32 vcc, -1.0, v[12:13]
	v_add_f64 v[10:11], v[6:7], 1.0
	v_cndmask_b32_e32 v4, 0, v4, vcc
	v_cmp_neq_f64_e32 vcc, -1.0, v[12:13]
	v_add_f64 v[12:13], v[10:11], -1.0
	v_add_f64 v[20:21], v[12:13], -v[10:11]
	v_add_f64 v[20:21], v[20:21], 1.0
	v_add_f64 v[12:13], v[6:7], -v[12:13]
	v_add_f64 v[12:13], v[12:13], v[20:21]
	v_frexp_mant_f64_e32 v[20:21], v[10:11]
	v_cndmask_b32_e32 v5, v17, v5, vcc
	v_frexp_exp_i32_f64_e32 v22, v[10:11]
	v_cmp_gt_f64_e32 vcc, s[16:17], v[20:21]
	v_subbrev_co_u32_e32 v25, vcc, 0, v22, vcc
	v_sub_u32_e32 v20, 0, v25
	v_ldexp_f64 v[10:11], v[10:11], v20
	v_ldexp_f64 v[12:13], v[12:13], v20
	v_add_f64 v[20:21], v[10:11], -1.0
	v_add_f64 v[22:23], v[20:21], 1.0
	v_add_f64 v[22:23], v[10:11], -v[22:23]
	v_add_f64 v[22:23], v[12:13], v[22:23]
	v_add_f64 v[26:27], v[20:21], v[22:23]
	v_add_f64 v[20:21], v[26:27], -v[20:21]
	v_add_f64 v[20:21], v[22:23], -v[20:21]
	v_add_f64 v[22:23], v[10:11], 1.0
	v_add_f64 v[28:29], v[22:23], -1.0
	v_add_f64 v[10:11], v[10:11], -v[28:29]
	v_add_f64 v[10:11], v[12:13], v[10:11]
	v_add_f64 v[12:13], v[22:23], v[10:11]
	v_add_f64 v[22:23], v[12:13], -v[22:23]
	v_add_f64 v[10:11], v[10:11], -v[22:23]
	v_rcp_f64_e32 v[22:23], v[12:13]
	v_cmp_eq_f64_e32 vcc, s[36:37], v[6:7]
	v_fma_f64 v[28:29], -v[12:13], v[22:23], 1.0
	v_fmac_f64_e32 v[22:23], v[28:29], v[22:23]
	v_fma_f64 v[28:29], -v[12:13], v[22:23], 1.0
	v_fmac_f64_e32 v[22:23], v[28:29], v[22:23]
	v_mul_f64 v[28:29], v[26:27], v[22:23]
	v_mul_f64 v[30:31], v[12:13], v[28:29]
	v_fma_f64 v[32:33], v[28:29], v[12:13], -v[30:31]
	v_fmac_f64_e32 v[32:33], v[28:29], v[10:11]
	v_add_f64 v[34:35], v[30:31], v[32:33]
	v_add_f64 v[36:37], v[26:27], -v[34:35]
	v_add_f64 v[26:27], v[26:27], -v[36:37]
	;; [unrolled: 1-line block ×4, first 2 shown]
	v_add_f64 v[20:21], v[20:21], v[26:27]
	v_add_f64 v[26:27], v[30:31], -v[32:33]
	v_add_f64 v[20:21], v[26:27], v[20:21]
	v_add_f64 v[26:27], v[36:37], v[20:21]
	v_add_f64 v[30:31], v[36:37], -v[26:27]
	v_add_f64 v[20:21], v[20:21], v[30:31]
	v_mul_f64 v[30:31], v[22:23], v[26:27]
	v_mul_f64 v[32:33], v[12:13], v[30:31]
	v_fma_f64 v[12:13], v[30:31], v[12:13], -v[32:33]
	v_fmac_f64_e32 v[12:13], v[30:31], v[10:11]
	v_add_f64 v[10:11], v[32:33], v[12:13]
	v_add_f64 v[34:35], v[26:27], -v[10:11]
	v_add_f64 v[26:27], v[26:27], -v[34:35]
	;; [unrolled: 1-line block ×4, first 2 shown]
	v_add_f64 v[10:11], v[20:21], v[10:11]
	v_add_f64 v[12:13], v[32:33], -v[12:13]
	v_add_f64 v[10:11], v[12:13], v[10:11]
	v_add_f64 v[12:13], v[28:29], v[30:31]
	;; [unrolled: 1-line block ×3, first 2 shown]
	v_add_f64 v[20:21], v[12:13], -v[28:29]
	v_mul_f64 v[10:11], v[22:23], v[10:11]
	v_add_f64 v[20:21], v[30:31], -v[20:21]
	v_add_f64 v[10:11], v[20:21], v[10:11]
	v_add_f64 v[20:21], v[12:13], v[10:11]
	v_add_f64 v[12:13], v[20:21], -v[12:13]
	v_add_f64 v[10:11], v[10:11], -v[12:13]
	v_mul_f64 v[12:13], v[20:21], v[20:21]
	v_fma_f64 v[22:23], s[18:19], v[12:13], v[18:19]
	v_cvt_f64_i32_e32 v[26:27], v25
	v_fma_f64 v[22:23], v[12:13], v[22:23], s[20:21]
	v_mul_f64 v[28:29], v[26:27], s[30:31]
	v_fma_f64 v[22:23], v[12:13], v[22:23], s[22:23]
	v_fma_f64 v[30:31], v[26:27], s[30:31], -v[28:29]
	v_fma_f64 v[22:23], v[12:13], v[22:23], s[24:25]
	v_fmac_f64_e32 v[30:31], s[34:35], v[26:27]
	v_fma_f64 v[22:23], v[12:13], v[22:23], s[26:27]
	v_add_f64 v[26:27], v[28:29], v[30:31]
	v_fma_f64 v[22:23], v[12:13], v[22:23], s[28:29]
	v_add_f64 v[28:29], v[26:27], -v[28:29]
	v_mul_f64 v[12:13], v[20:21], v[12:13]
	v_add_f64 v[28:29], v[30:31], -v[28:29]
	v_ldexp_f64 v[30:31], v[20:21], 1
	v_mul_f64 v[12:13], v[12:13], v[22:23]
	v_add_f64 v[20:21], v[30:31], v[12:13]
	v_add_f64 v[22:23], v[20:21], -v[30:31]
	v_ldexp_f64 v[10:11], v[10:11], 1
	v_add_f64 v[12:13], v[12:13], -v[22:23]
	v_add_f64 v[10:11], v[10:11], v[12:13]
	v_add_f64 v[12:13], v[20:21], v[10:11]
	v_add_f64 v[20:21], v[12:13], -v[20:21]
	v_add_f64 v[10:11], v[10:11], -v[20:21]
	v_add_f64 v[20:21], v[26:27], v[12:13]
	v_add_f64 v[22:23], v[20:21], -v[26:27]
	v_add_f64 v[30:31], v[20:21], -v[22:23]
	;; [unrolled: 1-line block ×4, first 2 shown]
	v_add_f64 v[12:13], v[12:13], v[26:27]
	v_add_f64 v[22:23], v[28:29], v[10:11]
	v_add_f64 v[26:27], v[22:23], -v[28:29]
	v_add_f64 v[12:13], v[22:23], v[12:13]
	v_add_f64 v[30:31], v[22:23], -v[26:27]
	;; [unrolled: 2-line block ×3, first 2 shown]
	v_add_f64 v[10:11], v[10:11], -v[26:27]
	v_add_f64 v[20:21], v[22:23], -v[20:21]
	v_add_f64 v[10:11], v[10:11], v[28:29]
	v_add_f64 v[12:13], v[12:13], -v[20:21]
	v_add_f64 v[10:11], v[10:11], v[12:13]
	v_add_f64 v[10:11], v[22:23], v[10:11]
	v_cndmask_b32_e32 v10, v10, v6, vcc
	v_cndmask_b32_e32 v11, v11, v7, vcc
	v_cmp_ngt_f64_e32 vcc, -1.0, v[6:7]
	v_cndmask_b32_e32 v11, v1, v11, vcc
	v_cmp_nge_f64_e32 vcc, -1.0, v[6:7]
	v_cndmask_b32_e32 v10, 0, v10, vcc
	v_cmp_neq_f64_e32 vcc, -1.0, v[6:7]
	v_add_f64 v[6:7], v[8:9], 1.0
	v_add_f64 v[12:13], v[6:7], -1.0
	v_add_f64 v[20:21], v[12:13], -v[6:7]
	v_add_f64 v[20:21], v[20:21], 1.0
	v_add_f64 v[12:13], v[8:9], -v[12:13]
	v_add_f64 v[12:13], v[12:13], v[20:21]
	v_frexp_mant_f64_e32 v[20:21], v[6:7]
	v_cndmask_b32_e32 v11, v17, v11, vcc
	v_frexp_exp_i32_f64_e32 v22, v[6:7]
	v_cmp_gt_f64_e32 vcc, s[16:17], v[20:21]
	v_subbrev_co_u32_e32 v25, vcc, 0, v22, vcc
	v_sub_u32_e32 v20, 0, v25
	v_ldexp_f64 v[6:7], v[6:7], v20
	v_ldexp_f64 v[12:13], v[12:13], v20
	v_add_f64 v[20:21], v[6:7], -1.0
	v_add_f64 v[22:23], v[20:21], 1.0
	v_add_f64 v[22:23], v[6:7], -v[22:23]
	v_add_f64 v[22:23], v[12:13], v[22:23]
	v_add_f64 v[26:27], v[20:21], v[22:23]
	v_add_f64 v[20:21], v[26:27], -v[20:21]
	v_add_f64 v[20:21], v[22:23], -v[20:21]
	v_add_f64 v[22:23], v[6:7], 1.0
	v_add_f64 v[28:29], v[22:23], -1.0
	v_add_f64 v[6:7], v[6:7], -v[28:29]
	v_add_f64 v[6:7], v[12:13], v[6:7]
	v_add_f64 v[12:13], v[22:23], v[6:7]
	v_add_f64 v[22:23], v[12:13], -v[22:23]
	v_add_f64 v[6:7], v[6:7], -v[22:23]
	v_rcp_f64_e32 v[22:23], v[12:13]
	v_cmp_eq_f64_e32 vcc, s[36:37], v[8:9]
	v_fma_f64 v[28:29], -v[12:13], v[22:23], 1.0
	v_fmac_f64_e32 v[22:23], v[28:29], v[22:23]
	v_fma_f64 v[28:29], -v[12:13], v[22:23], 1.0
	v_fmac_f64_e32 v[22:23], v[28:29], v[22:23]
	v_mul_f64 v[28:29], v[26:27], v[22:23]
	v_mul_f64 v[30:31], v[12:13], v[28:29]
	v_fma_f64 v[32:33], v[28:29], v[12:13], -v[30:31]
	v_fmac_f64_e32 v[32:33], v[28:29], v[6:7]
	v_add_f64 v[34:35], v[30:31], v[32:33]
	v_add_f64 v[36:37], v[26:27], -v[34:35]
	v_add_f64 v[26:27], v[26:27], -v[36:37]
	;; [unrolled: 1-line block ×4, first 2 shown]
	v_add_f64 v[20:21], v[20:21], v[26:27]
	v_add_f64 v[26:27], v[30:31], -v[32:33]
	v_add_f64 v[20:21], v[26:27], v[20:21]
	v_add_f64 v[26:27], v[36:37], v[20:21]
	v_add_f64 v[30:31], v[36:37], -v[26:27]
	v_add_f64 v[20:21], v[20:21], v[30:31]
	v_mul_f64 v[30:31], v[22:23], v[26:27]
	v_mul_f64 v[32:33], v[12:13], v[30:31]
	v_fma_f64 v[12:13], v[30:31], v[12:13], -v[32:33]
	v_fmac_f64_e32 v[12:13], v[30:31], v[6:7]
	v_add_f64 v[6:7], v[32:33], v[12:13]
	v_add_f64 v[34:35], v[26:27], -v[6:7]
	v_add_f64 v[26:27], v[26:27], -v[34:35]
	v_add_f64 v[32:33], v[6:7], -v[32:33]
	v_add_f64 v[6:7], v[26:27], -v[6:7]
	v_add_f64 v[6:7], v[20:21], v[6:7]
	v_add_f64 v[12:13], v[32:33], -v[12:13]
	v_add_f64 v[6:7], v[12:13], v[6:7]
	v_add_f64 v[12:13], v[28:29], v[30:31]
	;; [unrolled: 1-line block ×3, first 2 shown]
	v_add_f64 v[20:21], v[12:13], -v[28:29]
	v_mul_f64 v[6:7], v[22:23], v[6:7]
	v_add_f64 v[20:21], v[30:31], -v[20:21]
	v_add_f64 v[20:21], v[20:21], v[6:7]
	v_add_f64 v[6:7], v[12:13], v[20:21]
	v_add_f64 v[12:13], v[6:7], -v[12:13]
	v_add_f64 v[12:13], v[20:21], -v[12:13]
	v_mul_f64 v[20:21], v[6:7], v[6:7]
	v_cvt_f64_i32_e32 v[26:27], v25
	v_fma_f64 v[22:23], s[18:19], v[20:21], v[18:19]
	v_mul_f64 v[28:29], v[26:27], s[30:31]
	v_fma_f64 v[22:23], v[20:21], v[22:23], s[20:21]
	v_fma_f64 v[30:31], v[26:27], s[30:31], -v[28:29]
	v_fma_f64 v[22:23], v[20:21], v[22:23], s[22:23]
	v_fmac_f64_e32 v[30:31], s[34:35], v[26:27]
	v_fma_f64 v[22:23], v[20:21], v[22:23], s[24:25]
	v_add_f64 v[26:27], v[28:29], v[30:31]
	v_fma_f64 v[22:23], v[20:21], v[22:23], s[26:27]
	v_add_f64 v[28:29], v[26:27], -v[28:29]
	v_fma_f64 v[22:23], v[20:21], v[22:23], s[28:29]
	v_add_f64 v[28:29], v[30:31], -v[28:29]
	v_ldexp_f64 v[30:31], v[6:7], 1
	v_mul_f64 v[6:7], v[6:7], v[20:21]
	v_mul_f64 v[6:7], v[6:7], v[22:23]
	v_add_f64 v[20:21], v[30:31], v[6:7]
	v_add_f64 v[22:23], v[20:21], -v[30:31]
	v_ldexp_f64 v[12:13], v[12:13], 1
	v_add_f64 v[6:7], v[6:7], -v[22:23]
	v_add_f64 v[6:7], v[12:13], v[6:7]
	v_add_f64 v[12:13], v[20:21], v[6:7]
	v_add_f64 v[20:21], v[12:13], -v[20:21]
	v_add_f64 v[6:7], v[6:7], -v[20:21]
	v_add_f64 v[20:21], v[26:27], v[12:13]
	v_add_f64 v[22:23], v[20:21], -v[26:27]
	v_add_f64 v[30:31], v[20:21], -v[22:23]
	;; [unrolled: 1-line block ×4, first 2 shown]
	v_add_f64 v[12:13], v[12:13], v[26:27]
	v_add_f64 v[22:23], v[28:29], v[6:7]
	v_add_f64 v[26:27], v[22:23], -v[28:29]
	v_add_f64 v[12:13], v[22:23], v[12:13]
	v_add_f64 v[30:31], v[22:23], -v[26:27]
	;; [unrolled: 2-line block ×3, first 2 shown]
	v_add_f64 v[6:7], v[6:7], -v[26:27]
	v_add_f64 v[20:21], v[22:23], -v[20:21]
	v_add_f64 v[6:7], v[6:7], v[28:29]
	v_add_f64 v[12:13], v[12:13], -v[20:21]
	v_add_f64 v[6:7], v[6:7], v[12:13]
	v_add_f64 v[6:7], v[22:23], v[6:7]
	v_cndmask_b32_e32 v6, v6, v8, vcc
	v_cndmask_b32_e32 v7, v7, v9, vcc
	v_cmp_ngt_f64_e32 vcc, -1.0, v[8:9]
	v_cndmask_b32_e32 v7, v1, v7, vcc
	v_cmp_nge_f64_e32 vcc, -1.0, v[8:9]
	v_cndmask_b32_e32 v12, 0, v6, vcc
	v_cmp_neq_f64_e32 vcc, -1.0, v[8:9]
	v_cndmask_b32_e32 v13, v17, v7, vcc
	v_add_co_u32_e32 v6, vcc, s41, v16
	v_mov_b32_e32 v7, s42
	v_addc_co_u32_e32 v7, vcc, 0, v7, vcc
	v_cmp_le_i64_e32 vcc, s[10:11], v[14:15]
	s_or_b64 s[0:1], vcc, s[0:1]
	s_add_u32 s33, s33, s44
	s_addc_u32 s40, s40, 0
	s_add_u32 s41, s41, s44
	s_addc_u32 s42, s42, 0
	v_add_co_u32_e32 v14, vcc, s43, v14
	s_and_b64 s[0:1], exec, s[0:1]
	v_addc_co_u32_e32 v15, vcc, v15, v24, vcc
	s_or_b64 s[14:15], s[0:1], s[14:15]
	global_store_dwordx4 v[6:7], v[2:5], off
	global_store_dwordx4 v[6:7], v[10:13], off offset:16
	s_andn2_b64 exec, exec, s[14:15]
	s_cbranch_execnz .LBB202_3
.LBB202_4:
	s_or_b64 exec, exec, s[12:13]
	s_mov_b64 s[12:13], 0
.LBB202_5:
	s_andn2_b64 vcc, exec, s[12:13]
	s_cbranch_vccnz .LBB202_25
; %bb.6:
	v_cmp_lt_i64_e64 s[0:1], s[10:11], 1
	s_and_b64 vcc, exec, s[0:1]
	s_cbranch_vccnz .LBB202_25
; %bb.7:
	s_load_dword s0, s[4:5], 0xc5c
	v_mov_b32_e32 v2, 0x10000
	v_mov_b32_e32 v3, 0
	v_cmp_lt_u64_e32 vcc, s[10:11], v[2:3]
	v_lshlrev_b32_e32 v10, 3, v0
	s_waitcnt lgkmcnt(0)
	s_and_b32 s4, s0, 0xffff
	s_and_b64 s[0:1], vcc, exec
	v_mov_b32_e32 v13, s7
	v_add_co_u32_e32 v2, vcc, s6, v10
	v_addc_co_u32_e32 v1, vcc, 0, v13, vcc
	v_mov_b32_e32 v11, 0
	v_mov_b32_e32 v15, s3
	v_add_co_u32_e32 v4, vcc, s2, v10
	v_addc_co_u32_e32 v3, vcc, 0, v15, vcc
	v_mad_u64_u32 v[8:9], s[0:1], s4, 24, v[10:11]
	v_add_co_u32_e32 v6, vcc, s6, v8
	v_addc_co_u32_e32 v5, vcc, v13, v9, vcc
	v_add_co_u32_e32 v8, vcc, s2, v8
	s_mul_i32 s14, s4, 3
	v_addc_co_u32_e32 v7, vcc, v15, v9, vcc
	v_add_co_u32_e32 v17, vcc, s14, v0
	v_addc_co_u32_e64 v38, s[0:1], 0, 0, vcc
	s_cselect_b32 s13, s11, 0
	s_cselect_b32 s12, s10, 0x10000
	s_lshl_b32 s0, s4, 4
	v_add_co_u32_e32 v11, vcc, s0, v10
	v_addc_co_u32_e64 v14, s[0:1], 0, 0, vcc
	v_add_co_u32_e32 v10, vcc, s6, v11
	v_addc_co_u32_e32 v9, vcc, v13, v14, vcc
	v_add_co_u32_e32 v12, vcc, s2, v11
	s_lshl_b32 s5, s4, 1
	v_addc_co_u32_e32 v11, vcc, v15, v14, vcc
	v_add_co_u32_e32 v39, vcc, s5, v0
	v_addc_co_u32_e64 v40, s[0:1], 0, 0, vcc
	v_add_co_u32_e32 v41, vcc, s4, v0
	v_lshlrev_b32_e32 v16, 3, v41
	v_addc_co_u32_e64 v42, s[0:1], 0, 0, vcc
	v_add_co_u32_e32 v14, vcc, s6, v16
	v_addc_co_u32_e32 v13, vcc, 0, v13, vcc
	v_add_co_u32_e32 v16, vcc, s2, v16
	s_mov_b32 s16, 0
	s_mov_b32 s18, 0x55555555
	;; [unrolled: 1-line block ×6, first 2 shown]
	s_lshl_b32 s29, s4, 2
	s_lshl_b32 s30, s4, 5
	v_addc_co_u32_e32 v15, vcc, 0, v15, vcc
	s_mov_b64 s[14:15], 0
	s_mov_b32 s17, 0x7ff00000
	s_mov_b32 s19, 0x3fe55555
	;; [unrolled: 1-line block ×5, first 2 shown]
	v_mov_b32_e32 v18, 0x6b47b09a
	v_mov_b32_e32 v19, 0x3fc38538
	;; [unrolled: 1-line block ×14, first 2 shown]
	s_branch .LBB202_9
.LBB202_8:                              ;   in Loop: Header=BB202_9 Depth=1
	s_or_b64 exec, exec, s[0:1]
	s_add_u32 s14, s14, s29
	s_addc_u32 s15, s15, 0
	s_waitcnt vmcnt(0)
	v_pk_mov_b32 v[30:31], s[10:11], s[10:11] op_sel:[0,1]
	v_cmp_ge_i64_e32 vcc, s[14:15], v[30:31]
	v_mov_b32_e32 v30, 0xffff
	v_mov_b32_e32 v31, 0
	v_cmp_gt_u64_e64 s[0:1], s[14:15], v[30:31]
	s_or_b64 s[0:1], vcc, s[0:1]
	v_mov_b32_e32 v30, s28
	v_add_co_u32_e32 v2, vcc, s30, v2
	v_addc_co_u32_e32 v1, vcc, v1, v30, vcc
	v_add_co_u32_e32 v4, vcc, s30, v4
	v_addc_co_u32_e32 v3, vcc, v3, v30, vcc
	;; [unrolled: 2-line block ×8, first 2 shown]
	s_and_b64 vcc, exec, s[0:1]
	s_cbranch_vccnz .LBB202_25
.LBB202_9:                              ; =>This Inner Loop Header: Depth=1
	v_mov_b32_e32 v31, s15
	v_add_co_u32_e32 v30, vcc, s14, v0
	v_addc_co_u32_e32 v31, vcc, 0, v31, vcc
	v_pk_mov_b32 v[34:35], 0, 0
	v_cmp_gt_u64_e64 s[4:5], s[12:13], v[30:31]
	v_pk_mov_b32 v[36:37], v[34:35], v[34:35] op_sel:[0,1]
	s_and_saveexec_b64 s[0:1], s[4:5]
	s_cbranch_execz .LBB202_11
; %bb.10:                               ;   in Loop: Header=BB202_9 Depth=1
	v_mov_b32_e32 v31, s9
	v_add_co_u32_e32 v30, vcc, s8, v2
	v_addc_co_u32_e32 v31, vcc, v1, v31, vcc
	global_load_dwordx2 v[36:37], v[30:31], off
.LBB202_11:                             ;   in Loop: Header=BB202_9 Depth=1
	s_or_b64 exec, exec, s[0:1]
	v_mov_b32_e32 v31, s15
	v_add_co_u32_e32 v30, vcc, s14, v41
	v_addc_co_u32_e32 v31, vcc, v42, v31, vcc
	v_cmp_gt_u64_e64 s[2:3], s[12:13], v[30:31]
	s_and_saveexec_b64 s[0:1], s[2:3]
	s_cbranch_execz .LBB202_13
; %bb.12:                               ;   in Loop: Header=BB202_9 Depth=1
	v_mov_b32_e32 v31, s9
	v_add_co_u32_e32 v30, vcc, s8, v14
	v_addc_co_u32_e32 v31, vcc, v13, v31, vcc
	global_load_dwordx2 v[34:35], v[30:31], off
.LBB202_13:                             ;   in Loop: Header=BB202_9 Depth=1
	s_or_b64 exec, exec, s[0:1]
	v_mov_b32_e32 v31, s15
	v_add_co_u32_e32 v30, vcc, s14, v39
	v_addc_co_u32_e32 v31, vcc, v40, v31, vcc
	v_cmp_gt_u64_e64 s[0:1], s[12:13], v[30:31]
	v_pk_mov_b32 v[30:31], 0, 0
	v_pk_mov_b32 v[32:33], v[30:31], v[30:31] op_sel:[0,1]
	s_and_saveexec_b64 s[6:7], s[0:1]
	s_cbranch_execz .LBB202_15
; %bb.14:                               ;   in Loop: Header=BB202_9 Depth=1
	v_mov_b32_e32 v33, s9
	v_add_co_u32_e32 v32, vcc, s8, v10
	v_addc_co_u32_e32 v33, vcc, v9, v33, vcc
	global_load_dwordx2 v[32:33], v[32:33], off
.LBB202_15:                             ;   in Loop: Header=BB202_9 Depth=1
	s_or_b64 exec, exec, s[6:7]
	v_mov_b32_e32 v45, s15
	v_add_co_u32_e32 v46, vcc, s14, v17
	v_addc_co_u32_e32 v47, vcc, v38, v45, vcc
	v_cmp_gt_u64_e32 vcc, s[12:13], v[46:47]
	s_and_saveexec_b64 s[26:27], vcc
	s_cbranch_execnz .LBB202_20
; %bb.16:                               ;   in Loop: Header=BB202_9 Depth=1
	s_or_b64 exec, exec, s[26:27]
	s_and_saveexec_b64 s[6:7], s[4:5]
	s_cbranch_execnz .LBB202_21
.LBB202_17:                             ;   in Loop: Header=BB202_9 Depth=1
	s_or_b64 exec, exec, s[6:7]
	s_and_saveexec_b64 s[4:5], s[2:3]
	s_cbranch_execnz .LBB202_22
.LBB202_18:                             ;   in Loop: Header=BB202_9 Depth=1
	s_or_b64 exec, exec, s[4:5]
	s_and_saveexec_b64 s[2:3], s[0:1]
	s_cbranch_execnz .LBB202_23
.LBB202_19:                             ;   in Loop: Header=BB202_9 Depth=1
	s_or_b64 exec, exec, s[2:3]
	s_and_saveexec_b64 s[0:1], vcc
	s_cbranch_execz .LBB202_8
	s_branch .LBB202_24
.LBB202_20:                             ;   in Loop: Header=BB202_9 Depth=1
	v_mov_b32_e32 v31, s9
	v_add_co_u32_e64 v30, s[6:7], s8, v6
	v_addc_co_u32_e64 v31, s[6:7], v5, v31, s[6:7]
	global_load_dwordx2 v[30:31], v[30:31], off
	s_or_b64 exec, exec, s[26:27]
	s_and_saveexec_b64 s[6:7], s[4:5]
	s_cbranch_execz .LBB202_17
.LBB202_21:                             ;   in Loop: Header=BB202_9 Depth=1
	s_waitcnt vmcnt(0)
	v_add_f64 v[46:47], v[36:37], 1.0
	v_frexp_mant_f64_e32 v[48:49], v[46:47]
	v_frexp_exp_i32_f64_e32 v45, v[46:47]
	v_cmp_gt_f64_e64 s[4:5], s[18:19], v[48:49]
	v_subbrev_co_u32_e64 v45, s[4:5], 0, v45, s[4:5]
	v_cvt_f64_i32_e32 v[48:49], v45
	v_sub_u32_e32 v45, 0, v45
	v_add_f64 v[58:59], v[46:47], -1.0
	v_ldexp_f64 v[54:55], v[46:47], v45
	v_add_f64 v[46:47], v[58:59], -v[46:47]
	v_add_f64 v[60:61], v[36:37], -v[58:59]
	v_add_f64 v[46:47], v[46:47], 1.0
	v_add_f64 v[46:47], v[60:61], v[46:47]
	v_add_f64 v[60:61], v[54:55], 1.0
	v_add_f64 v[62:63], v[60:61], -1.0
	v_ldexp_f64 v[46:47], v[46:47], v45
	v_add_f64 v[62:63], v[54:55], -v[62:63]
	v_add_f64 v[62:63], v[46:47], v[62:63]
	v_add_f64 v[64:65], v[60:61], v[62:63]
	v_rcp_f64_e32 v[66:67], v[64:65]
	v_add_f64 v[56:57], v[54:55], -1.0
	v_add_f64 v[58:59], v[56:57], 1.0
	v_add_f64 v[54:55], v[54:55], -v[58:59]
	v_fma_f64 v[58:59], -v[64:65], v[66:67], 1.0
	v_fmac_f64_e32 v[66:67], v[58:59], v[66:67]
	v_add_f64 v[46:47], v[46:47], v[54:55]
	v_fma_f64 v[58:59], -v[64:65], v[66:67], 1.0
	v_add_f64 v[54:55], v[56:57], v[46:47]
	v_fmac_f64_e32 v[66:67], v[58:59], v[66:67]
	v_mul_f64 v[58:59], v[54:55], v[66:67]
	v_mul_f64 v[68:69], v[64:65], v[58:59]
	v_add_f64 v[60:61], v[64:65], -v[60:61]
	v_add_f64 v[60:61], v[62:63], -v[60:61]
	v_fma_f64 v[62:63], v[58:59], v[64:65], -v[68:69]
	v_fmac_f64_e32 v[62:63], v[58:59], v[60:61]
	v_add_f64 v[70:71], v[68:69], v[62:63]
	v_add_f64 v[72:73], v[54:55], -v[70:71]
	v_add_f64 v[56:57], v[54:55], -v[56:57]
	v_add_f64 v[54:55], v[54:55], -v[72:73]
	v_add_f64 v[68:69], v[70:71], -v[68:69]
	v_add_f64 v[46:47], v[46:47], -v[56:57]
	v_add_f64 v[54:55], v[54:55], -v[70:71]
	v_add_f64 v[62:63], v[68:69], -v[62:63]
	v_add_f64 v[46:47], v[46:47], v[54:55]
	v_add_f64 v[46:47], v[62:63], v[46:47]
	;; [unrolled: 1-line block ×3, first 2 shown]
	v_mul_f64 v[56:57], v[66:67], v[54:55]
	v_mul_f64 v[68:69], v[64:65], v[56:57]
	v_add_f64 v[62:63], v[58:59], v[56:57]
	v_fma_f64 v[64:65], v[56:57], v[64:65], -v[68:69]
	v_add_f64 v[58:59], v[62:63], -v[58:59]
	v_fmac_f64_e32 v[64:65], v[56:57], v[60:61]
	v_add_f64 v[58:59], v[56:57], -v[58:59]
	v_add_f64 v[56:57], v[68:69], v[64:65]
	v_add_f64 v[60:61], v[54:55], -v[56:57]
	v_add_f64 v[68:69], v[56:57], -v[68:69]
	;; [unrolled: 1-line block ×5, first 2 shown]
	v_add_f64 v[46:47], v[46:47], v[68:69]
	v_add_f64 v[54:55], v[54:55], -v[56:57]
	v_add_f64 v[46:47], v[46:47], v[54:55]
	v_add_f64 v[46:47], v[64:65], v[46:47]
	;; [unrolled: 1-line block ×3, first 2 shown]
	v_mul_f64 v[46:47], v[66:67], v[46:47]
	v_add_f64 v[46:47], v[58:59], v[46:47]
	v_add_f64 v[54:55], v[62:63], v[46:47]
	v_mul_f64 v[58:59], v[54:55], v[54:55]
	v_pk_mov_b32 v[64:65], v[18:19], v[18:19] op_sel:[0,1]
	v_fmac_f64_e32 v[64:65], s[24:25], v[58:59]
	v_pk_mov_b32 v[66:67], v[20:21], v[20:21] op_sel:[0,1]
	v_fmac_f64_e32 v[66:67], v[58:59], v[64:65]
	;; [unrolled: 2-line block ×5, first 2 shown]
	v_pk_mov_b32 v[66:67], v[28:29], v[28:29] op_sel:[0,1]
	v_mul_f64 v[60:61], v[54:55], v[58:59]
	v_fmac_f64_e32 v[66:67], v[58:59], v[64:65]
	v_ldexp_f64 v[56:57], v[54:55], 1
	v_mul_f64 v[58:59], v[60:61], v[66:67]
	v_add_f64 v[60:61], v[56:57], v[58:59]
	v_add_f64 v[54:55], v[54:55], -v[62:63]
	v_mul_f64 v[50:51], v[48:49], s[20:21]
	v_add_f64 v[46:47], v[46:47], -v[54:55]
	v_add_f64 v[54:55], v[60:61], -v[56:57]
	v_fma_f64 v[52:53], v[48:49], s[20:21], -v[50:51]
	v_ldexp_f64 v[46:47], v[46:47], 1
	v_add_f64 v[54:55], v[58:59], -v[54:55]
	v_fmac_f64_e32 v[52:53], s[22:23], v[48:49]
	v_add_f64 v[46:47], v[46:47], v[54:55]
	v_add_f64 v[48:49], v[50:51], v[52:53]
	;; [unrolled: 1-line block ×4, first 2 shown]
	v_add_f64 v[50:51], v[48:49], -v[50:51]
	v_add_f64 v[50:51], v[52:53], -v[50:51]
	;; [unrolled: 1-line block ×7, first 2 shown]
	v_add_f64 v[52:53], v[50:51], v[46:47]
	v_add_f64 v[48:49], v[48:49], -v[58:59]
	v_add_f64 v[48:49], v[54:55], v[48:49]
	v_add_f64 v[58:59], v[52:53], -v[50:51]
	;; [unrolled: 2-line block ×4, first 2 shown]
	v_add_f64 v[50:51], v[50:51], -v[52:53]
	v_add_f64 v[46:47], v[46:47], v[50:51]
	v_add_f64 v[50:51], v[54:55], -v[56:57]
	v_add_f64 v[48:49], v[48:49], -v[50:51]
	v_add_f64 v[46:47], v[46:47], v[48:49]
	v_add_f64 v[46:47], v[54:55], v[46:47]
	v_cmp_eq_f64_e64 s[4:5], s[16:17], v[36:37]
	v_cndmask_b32_e64 v45, v46, v36, s[4:5]
	v_cndmask_b32_e64 v46, v47, v37, s[4:5]
	v_cmp_ngt_f64_e64 s[4:5], -1.0, v[36:37]
	v_cndmask_b32_e64 v47, v43, v46, s[4:5]
	v_cmp_nge_f64_e64 s[4:5], -1.0, v[36:37]
	v_cndmask_b32_e64 v46, 0, v45, s[4:5]
	v_cmp_neq_f64_e64 s[4:5], -1.0, v[36:37]
	v_cndmask_b32_e64 v47, v44, v47, s[4:5]
	v_mov_b32_e32 v37, s9
	v_add_co_u32_e64 v36, s[4:5], s8, v4
	v_addc_co_u32_e64 v37, s[4:5], v3, v37, s[4:5]
	global_store_dwordx2 v[36:37], v[46:47], off
	s_or_b64 exec, exec, s[6:7]
	s_and_saveexec_b64 s[4:5], s[2:3]
	s_cbranch_execz .LBB202_18
.LBB202_22:                             ;   in Loop: Header=BB202_9 Depth=1
	s_waitcnt vmcnt(0)
	v_add_f64 v[36:37], v[34:35], 1.0
	v_add_f64 v[46:47], v[36:37], -1.0
	v_add_f64 v[48:49], v[46:47], -v[36:37]
	v_add_f64 v[48:49], v[48:49], 1.0
	v_add_f64 v[46:47], v[34:35], -v[46:47]
	v_add_f64 v[46:47], v[46:47], v[48:49]
	v_frexp_mant_f64_e32 v[48:49], v[36:37]
	v_frexp_exp_i32_f64_e32 v45, v[36:37]
	v_cmp_gt_f64_e64 s[2:3], s[18:19], v[48:49]
	v_subbrev_co_u32_e64 v45, s[2:3], 0, v45, s[2:3]
	v_sub_u32_e32 v48, 0, v45
	v_ldexp_f64 v[36:37], v[36:37], v48
	v_ldexp_f64 v[46:47], v[46:47], v48
	v_add_f64 v[48:49], v[36:37], -1.0
	v_add_f64 v[54:55], v[36:37], 1.0
	v_add_f64 v[50:51], v[48:49], 1.0
	v_add_f64 v[56:57], v[54:55], -1.0
	v_add_f64 v[50:51], v[36:37], -v[50:51]
	v_add_f64 v[36:37], v[36:37], -v[56:57]
	v_add_f64 v[36:37], v[46:47], v[36:37]
	v_add_f64 v[50:51], v[46:47], v[50:51]
	;; [unrolled: 1-line block ×3, first 2 shown]
	v_rcp_f64_e32 v[56:57], v[46:47]
	v_add_f64 v[52:53], v[48:49], v[50:51]
	v_add_f64 v[48:49], v[52:53], -v[48:49]
	v_add_f64 v[48:49], v[50:51], -v[48:49]
	;; [unrolled: 1-line block ×4, first 2 shown]
	v_fma_f64 v[50:51], -v[46:47], v[56:57], 1.0
	v_fmac_f64_e32 v[56:57], v[50:51], v[56:57]
	v_fma_f64 v[50:51], -v[46:47], v[56:57], 1.0
	v_fmac_f64_e32 v[56:57], v[50:51], v[56:57]
	v_mul_f64 v[50:51], v[52:53], v[56:57]
	v_mul_f64 v[54:55], v[46:47], v[50:51]
	v_fma_f64 v[58:59], v[50:51], v[46:47], -v[54:55]
	v_fmac_f64_e32 v[58:59], v[50:51], v[36:37]
	v_add_f64 v[60:61], v[54:55], v[58:59]
	v_add_f64 v[62:63], v[52:53], -v[60:61]
	v_add_f64 v[52:53], v[52:53], -v[62:63]
	;; [unrolled: 1-line block ×4, first 2 shown]
	v_add_f64 v[48:49], v[48:49], v[52:53]
	v_add_f64 v[52:53], v[54:55], -v[58:59]
	v_add_f64 v[48:49], v[52:53], v[48:49]
	v_add_f64 v[52:53], v[62:63], v[48:49]
	v_add_f64 v[54:55], v[62:63], -v[52:53]
	v_add_f64 v[48:49], v[48:49], v[54:55]
	v_mul_f64 v[54:55], v[56:57], v[52:53]
	v_mul_f64 v[58:59], v[46:47], v[54:55]
	v_fma_f64 v[46:47], v[54:55], v[46:47], -v[58:59]
	v_fmac_f64_e32 v[46:47], v[54:55], v[36:37]
	v_add_f64 v[36:37], v[58:59], v[46:47]
	v_add_f64 v[60:61], v[52:53], -v[36:37]
	v_add_f64 v[52:53], v[52:53], -v[60:61]
	v_add_f64 v[58:59], v[36:37], -v[58:59]
	v_add_f64 v[36:37], v[52:53], -v[36:37]
	v_add_f64 v[36:37], v[48:49], v[36:37]
	v_add_f64 v[46:47], v[58:59], -v[46:47]
	v_add_f64 v[36:37], v[46:47], v[36:37]
	v_add_f64 v[46:47], v[50:51], v[54:55]
	;; [unrolled: 1-line block ×3, first 2 shown]
	v_add_f64 v[48:49], v[46:47], -v[50:51]
	v_mul_f64 v[36:37], v[56:57], v[36:37]
	v_add_f64 v[48:49], v[54:55], -v[48:49]
	v_add_f64 v[36:37], v[48:49], v[36:37]
	v_add_f64 v[48:49], v[46:47], v[36:37]
	v_add_f64 v[46:47], v[48:49], -v[46:47]
	v_add_f64 v[36:37], v[36:37], -v[46:47]
	v_mul_f64 v[46:47], v[48:49], v[48:49]
	v_pk_mov_b32 v[50:51], v[18:19], v[18:19] op_sel:[0,1]
	v_fmac_f64_e32 v[50:51], s[24:25], v[46:47]
	v_pk_mov_b32 v[52:53], v[20:21], v[20:21] op_sel:[0,1]
	v_fmac_f64_e32 v[52:53], v[46:47], v[50:51]
	;; [unrolled: 2-line block ×6, first 2 shown]
	v_cvt_f64_i32_e32 v[50:51], v45
	v_mul_f64 v[54:55], v[50:51], s[20:21]
	v_fma_f64 v[56:57], v[50:51], s[20:21], -v[54:55]
	v_fmac_f64_e32 v[56:57], s[22:23], v[50:51]
	v_add_f64 v[50:51], v[54:55], v[56:57]
	v_add_f64 v[54:55], v[50:51], -v[54:55]
	v_mul_f64 v[46:47], v[48:49], v[46:47]
	v_add_f64 v[54:55], v[56:57], -v[54:55]
	v_ldexp_f64 v[56:57], v[48:49], 1
	v_mul_f64 v[46:47], v[46:47], v[52:53]
	v_add_f64 v[48:49], v[56:57], v[46:47]
	v_add_f64 v[52:53], v[48:49], -v[56:57]
	v_ldexp_f64 v[36:37], v[36:37], 1
	v_add_f64 v[46:47], v[46:47], -v[52:53]
	v_add_f64 v[36:37], v[36:37], v[46:47]
	v_add_f64 v[46:47], v[48:49], v[36:37]
	v_add_f64 v[48:49], v[46:47], -v[48:49]
	v_add_f64 v[36:37], v[36:37], -v[48:49]
	v_add_f64 v[48:49], v[50:51], v[46:47]
	v_add_f64 v[52:53], v[48:49], -v[50:51]
	v_add_f64 v[56:57], v[48:49], -v[52:53]
	;; [unrolled: 1-line block ×4, first 2 shown]
	v_add_f64 v[46:47], v[46:47], v[50:51]
	v_add_f64 v[50:51], v[54:55], v[36:37]
	v_add_f64 v[52:53], v[50:51], -v[54:55]
	v_add_f64 v[46:47], v[50:51], v[46:47]
	v_add_f64 v[56:57], v[50:51], -v[52:53]
	;; [unrolled: 2-line block ×3, first 2 shown]
	v_add_f64 v[36:37], v[36:37], -v[52:53]
	v_add_f64 v[48:49], v[50:51], -v[48:49]
	v_add_f64 v[36:37], v[36:37], v[54:55]
	v_add_f64 v[46:47], v[46:47], -v[48:49]
	v_add_f64 v[36:37], v[36:37], v[46:47]
	v_add_f64 v[36:37], v[50:51], v[36:37]
	v_cmp_eq_f64_e64 s[2:3], s[16:17], v[34:35]
	v_cndmask_b32_e64 v36, v36, v34, s[2:3]
	v_cndmask_b32_e64 v37, v37, v35, s[2:3]
	v_cmp_ngt_f64_e64 s[2:3], -1.0, v[34:35]
	v_cndmask_b32_e64 v37, v43, v37, s[2:3]
	v_cmp_nge_f64_e64 s[2:3], -1.0, v[34:35]
	v_cndmask_b32_e64 v36, 0, v36, s[2:3]
	v_cmp_neq_f64_e64 s[2:3], -1.0, v[34:35]
	v_cndmask_b32_e64 v37, v44, v37, s[2:3]
	v_mov_b32_e32 v35, s9
	v_add_co_u32_e64 v34, s[2:3], s8, v16
	v_addc_co_u32_e64 v35, s[2:3], v15, v35, s[2:3]
	global_store_dwordx2 v[34:35], v[36:37], off
	s_or_b64 exec, exec, s[4:5]
	s_and_saveexec_b64 s[2:3], s[0:1]
	s_cbranch_execz .LBB202_19
.LBB202_23:                             ;   in Loop: Header=BB202_9 Depth=1
	s_waitcnt vmcnt(0)
	v_add_f64 v[34:35], v[32:33], 1.0
	v_add_f64 v[36:37], v[34:35], -1.0
	v_add_f64 v[46:47], v[36:37], -v[34:35]
	v_add_f64 v[46:47], v[46:47], 1.0
	v_add_f64 v[36:37], v[32:33], -v[36:37]
	v_add_f64 v[36:37], v[36:37], v[46:47]
	v_frexp_mant_f64_e32 v[46:47], v[34:35]
	v_frexp_exp_i32_f64_e32 v45, v[34:35]
	v_cmp_gt_f64_e64 s[0:1], s[18:19], v[46:47]
	v_subbrev_co_u32_e64 v45, s[0:1], 0, v45, s[0:1]
	v_sub_u32_e32 v46, 0, v45
	v_ldexp_f64 v[34:35], v[34:35], v46
	v_ldexp_f64 v[36:37], v[36:37], v46
	v_add_f64 v[46:47], v[34:35], -1.0
	v_add_f64 v[52:53], v[34:35], 1.0
	v_add_f64 v[48:49], v[46:47], 1.0
	v_add_f64 v[54:55], v[52:53], -1.0
	v_add_f64 v[48:49], v[34:35], -v[48:49]
	v_add_f64 v[34:35], v[34:35], -v[54:55]
	v_add_f64 v[34:35], v[36:37], v[34:35]
	v_add_f64 v[48:49], v[36:37], v[48:49]
	;; [unrolled: 1-line block ×3, first 2 shown]
	v_rcp_f64_e32 v[54:55], v[36:37]
	v_add_f64 v[50:51], v[46:47], v[48:49]
	v_add_f64 v[46:47], v[50:51], -v[46:47]
	v_add_f64 v[46:47], v[48:49], -v[46:47]
	;; [unrolled: 1-line block ×4, first 2 shown]
	v_fma_f64 v[48:49], -v[36:37], v[54:55], 1.0
	v_fmac_f64_e32 v[54:55], v[48:49], v[54:55]
	v_fma_f64 v[48:49], -v[36:37], v[54:55], 1.0
	v_fmac_f64_e32 v[54:55], v[48:49], v[54:55]
	v_mul_f64 v[48:49], v[50:51], v[54:55]
	v_mul_f64 v[52:53], v[36:37], v[48:49]
	v_fma_f64 v[56:57], v[48:49], v[36:37], -v[52:53]
	v_fmac_f64_e32 v[56:57], v[48:49], v[34:35]
	v_add_f64 v[58:59], v[52:53], v[56:57]
	v_add_f64 v[60:61], v[50:51], -v[58:59]
	v_add_f64 v[50:51], v[50:51], -v[60:61]
	;; [unrolled: 1-line block ×4, first 2 shown]
	v_add_f64 v[46:47], v[46:47], v[50:51]
	v_add_f64 v[50:51], v[52:53], -v[56:57]
	v_add_f64 v[46:47], v[50:51], v[46:47]
	v_add_f64 v[50:51], v[60:61], v[46:47]
	v_add_f64 v[52:53], v[60:61], -v[50:51]
	v_add_f64 v[46:47], v[46:47], v[52:53]
	v_mul_f64 v[52:53], v[54:55], v[50:51]
	v_mul_f64 v[56:57], v[36:37], v[52:53]
	v_fma_f64 v[36:37], v[52:53], v[36:37], -v[56:57]
	v_fmac_f64_e32 v[36:37], v[52:53], v[34:35]
	v_add_f64 v[34:35], v[56:57], v[36:37]
	v_add_f64 v[58:59], v[50:51], -v[34:35]
	v_add_f64 v[50:51], v[50:51], -v[58:59]
	;; [unrolled: 1-line block ×4, first 2 shown]
	v_add_f64 v[34:35], v[46:47], v[34:35]
	v_add_f64 v[36:37], v[56:57], -v[36:37]
	v_add_f64 v[34:35], v[36:37], v[34:35]
	v_add_f64 v[36:37], v[48:49], v[52:53]
	;; [unrolled: 1-line block ×3, first 2 shown]
	v_add_f64 v[46:47], v[36:37], -v[48:49]
	v_mul_f64 v[34:35], v[54:55], v[34:35]
	v_add_f64 v[46:47], v[52:53], -v[46:47]
	v_add_f64 v[34:35], v[46:47], v[34:35]
	v_add_f64 v[46:47], v[36:37], v[34:35]
	v_add_f64 v[36:37], v[46:47], -v[36:37]
	v_add_f64 v[34:35], v[34:35], -v[36:37]
	v_mul_f64 v[36:37], v[46:47], v[46:47]
	v_pk_mov_b32 v[48:49], v[18:19], v[18:19] op_sel:[0,1]
	v_fmac_f64_e32 v[48:49], s[24:25], v[36:37]
	v_pk_mov_b32 v[50:51], v[20:21], v[20:21] op_sel:[0,1]
	v_fmac_f64_e32 v[50:51], v[36:37], v[48:49]
	;; [unrolled: 2-line block ×6, first 2 shown]
	v_cvt_f64_i32_e32 v[48:49], v45
	v_mul_f64 v[52:53], v[48:49], s[20:21]
	v_fma_f64 v[54:55], v[48:49], s[20:21], -v[52:53]
	v_fmac_f64_e32 v[54:55], s[22:23], v[48:49]
	v_add_f64 v[48:49], v[52:53], v[54:55]
	v_add_f64 v[52:53], v[48:49], -v[52:53]
	v_mul_f64 v[36:37], v[46:47], v[36:37]
	v_add_f64 v[52:53], v[54:55], -v[52:53]
	v_ldexp_f64 v[54:55], v[46:47], 1
	v_mul_f64 v[36:37], v[36:37], v[50:51]
	v_add_f64 v[46:47], v[54:55], v[36:37]
	v_add_f64 v[50:51], v[46:47], -v[54:55]
	v_ldexp_f64 v[34:35], v[34:35], 1
	v_add_f64 v[36:37], v[36:37], -v[50:51]
	v_add_f64 v[34:35], v[34:35], v[36:37]
	v_add_f64 v[36:37], v[46:47], v[34:35]
	v_add_f64 v[46:47], v[36:37], -v[46:47]
	v_add_f64 v[34:35], v[34:35], -v[46:47]
	v_add_f64 v[46:47], v[48:49], v[36:37]
	v_add_f64 v[50:51], v[46:47], -v[48:49]
	v_add_f64 v[54:55], v[46:47], -v[50:51]
	;; [unrolled: 1-line block ×4, first 2 shown]
	v_add_f64 v[36:37], v[36:37], v[48:49]
	v_add_f64 v[48:49], v[52:53], v[34:35]
	v_add_f64 v[50:51], v[48:49], -v[52:53]
	v_add_f64 v[36:37], v[48:49], v[36:37]
	v_add_f64 v[54:55], v[48:49], -v[50:51]
	;; [unrolled: 2-line block ×3, first 2 shown]
	v_add_f64 v[34:35], v[34:35], -v[50:51]
	v_add_f64 v[46:47], v[48:49], -v[46:47]
	v_add_f64 v[34:35], v[34:35], v[52:53]
	v_add_f64 v[36:37], v[36:37], -v[46:47]
	v_add_f64 v[34:35], v[34:35], v[36:37]
	v_add_f64 v[34:35], v[48:49], v[34:35]
	v_cmp_eq_f64_e64 s[0:1], s[16:17], v[32:33]
	v_cndmask_b32_e64 v34, v34, v32, s[0:1]
	v_cndmask_b32_e64 v35, v35, v33, s[0:1]
	v_cmp_ngt_f64_e64 s[0:1], -1.0, v[32:33]
	v_cndmask_b32_e64 v35, v43, v35, s[0:1]
	v_cmp_nge_f64_e64 s[0:1], -1.0, v[32:33]
	v_cndmask_b32_e64 v34, 0, v34, s[0:1]
	v_cmp_neq_f64_e64 s[0:1], -1.0, v[32:33]
	v_cndmask_b32_e64 v35, v44, v35, s[0:1]
	v_mov_b32_e32 v33, s9
	v_add_co_u32_e64 v32, s[0:1], s8, v12
	v_addc_co_u32_e64 v33, s[0:1], v11, v33, s[0:1]
	global_store_dwordx2 v[32:33], v[34:35], off
	s_or_b64 exec, exec, s[2:3]
	s_and_saveexec_b64 s[0:1], vcc
	s_cbranch_execz .LBB202_8
.LBB202_24:                             ;   in Loop: Header=BB202_9 Depth=1
	s_waitcnt vmcnt(0)
	v_add_f64 v[32:33], v[30:31], 1.0
	v_add_f64 v[34:35], v[32:33], -1.0
	v_add_f64 v[36:37], v[34:35], -v[32:33]
	v_add_f64 v[36:37], v[36:37], 1.0
	v_add_f64 v[34:35], v[30:31], -v[34:35]
	v_add_f64 v[34:35], v[34:35], v[36:37]
	v_frexp_mant_f64_e32 v[36:37], v[32:33]
	v_frexp_exp_i32_f64_e32 v45, v[32:33]
	v_cmp_gt_f64_e32 vcc, s[18:19], v[36:37]
	v_subbrev_co_u32_e32 v45, vcc, 0, v45, vcc
	v_sub_u32_e32 v36, 0, v45
	v_ldexp_f64 v[32:33], v[32:33], v36
	v_ldexp_f64 v[34:35], v[34:35], v36
	v_add_f64 v[36:37], v[32:33], -1.0
	v_add_f64 v[50:51], v[32:33], 1.0
	v_add_f64 v[46:47], v[36:37], 1.0
	v_add_f64 v[52:53], v[50:51], -1.0
	v_add_f64 v[46:47], v[32:33], -v[46:47]
	v_add_f64 v[32:33], v[32:33], -v[52:53]
	v_add_f64 v[32:33], v[34:35], v[32:33]
	v_add_f64 v[46:47], v[34:35], v[46:47]
	;; [unrolled: 1-line block ×3, first 2 shown]
	v_rcp_f64_e32 v[52:53], v[34:35]
	v_add_f64 v[48:49], v[36:37], v[46:47]
	v_add_f64 v[36:37], v[48:49], -v[36:37]
	v_add_f64 v[36:37], v[46:47], -v[36:37]
	v_add_f64 v[46:47], v[34:35], -v[50:51]
	v_add_f64 v[32:33], v[32:33], -v[46:47]
	v_fma_f64 v[46:47], -v[34:35], v[52:53], 1.0
	v_fmac_f64_e32 v[52:53], v[46:47], v[52:53]
	v_fma_f64 v[46:47], -v[34:35], v[52:53], 1.0
	v_fmac_f64_e32 v[52:53], v[46:47], v[52:53]
	v_mul_f64 v[46:47], v[48:49], v[52:53]
	v_mul_f64 v[50:51], v[34:35], v[46:47]
	v_fma_f64 v[54:55], v[46:47], v[34:35], -v[50:51]
	v_fmac_f64_e32 v[54:55], v[46:47], v[32:33]
	v_add_f64 v[56:57], v[50:51], v[54:55]
	v_add_f64 v[58:59], v[48:49], -v[56:57]
	v_add_f64 v[48:49], v[48:49], -v[58:59]
	v_add_f64 v[50:51], v[56:57], -v[50:51]
	v_add_f64 v[48:49], v[48:49], -v[56:57]
	v_add_f64 v[36:37], v[36:37], v[48:49]
	v_add_f64 v[48:49], v[50:51], -v[54:55]
	v_add_f64 v[36:37], v[48:49], v[36:37]
	v_add_f64 v[48:49], v[58:59], v[36:37]
	v_add_f64 v[50:51], v[58:59], -v[48:49]
	v_add_f64 v[36:37], v[36:37], v[50:51]
	v_mul_f64 v[50:51], v[52:53], v[48:49]
	v_mul_f64 v[54:55], v[34:35], v[50:51]
	v_fma_f64 v[34:35], v[50:51], v[34:35], -v[54:55]
	v_fmac_f64_e32 v[34:35], v[50:51], v[32:33]
	v_add_f64 v[32:33], v[54:55], v[34:35]
	v_add_f64 v[56:57], v[48:49], -v[32:33]
	v_add_f64 v[48:49], v[48:49], -v[56:57]
	;; [unrolled: 1-line block ×4, first 2 shown]
	v_add_f64 v[32:33], v[36:37], v[32:33]
	v_add_f64 v[34:35], v[54:55], -v[34:35]
	v_add_f64 v[32:33], v[34:35], v[32:33]
	v_add_f64 v[34:35], v[46:47], v[50:51]
	;; [unrolled: 1-line block ×3, first 2 shown]
	v_add_f64 v[36:37], v[34:35], -v[46:47]
	v_mul_f64 v[32:33], v[52:53], v[32:33]
	v_add_f64 v[36:37], v[50:51], -v[36:37]
	v_add_f64 v[32:33], v[36:37], v[32:33]
	v_add_f64 v[36:37], v[34:35], v[32:33]
	v_add_f64 v[34:35], v[36:37], -v[34:35]
	v_add_f64 v[32:33], v[32:33], -v[34:35]
	v_mul_f64 v[34:35], v[36:37], v[36:37]
	v_pk_mov_b32 v[46:47], v[18:19], v[18:19] op_sel:[0,1]
	v_fmac_f64_e32 v[46:47], s[24:25], v[34:35]
	v_pk_mov_b32 v[48:49], v[20:21], v[20:21] op_sel:[0,1]
	v_fmac_f64_e32 v[48:49], v[34:35], v[46:47]
	;; [unrolled: 2-line block ×6, first 2 shown]
	v_cvt_f64_i32_e32 v[46:47], v45
	v_mul_f64 v[50:51], v[46:47], s[20:21]
	v_fma_f64 v[52:53], v[46:47], s[20:21], -v[50:51]
	v_fmac_f64_e32 v[52:53], s[22:23], v[46:47]
	v_add_f64 v[46:47], v[50:51], v[52:53]
	v_add_f64 v[50:51], v[46:47], -v[50:51]
	v_mul_f64 v[34:35], v[36:37], v[34:35]
	v_add_f64 v[50:51], v[52:53], -v[50:51]
	v_ldexp_f64 v[52:53], v[36:37], 1
	v_mul_f64 v[34:35], v[34:35], v[48:49]
	v_add_f64 v[36:37], v[52:53], v[34:35]
	v_add_f64 v[48:49], v[36:37], -v[52:53]
	v_ldexp_f64 v[32:33], v[32:33], 1
	v_add_f64 v[34:35], v[34:35], -v[48:49]
	v_add_f64 v[32:33], v[32:33], v[34:35]
	v_add_f64 v[34:35], v[36:37], v[32:33]
	v_add_f64 v[36:37], v[34:35], -v[36:37]
	v_add_f64 v[32:33], v[32:33], -v[36:37]
	v_add_f64 v[36:37], v[46:47], v[34:35]
	v_add_f64 v[48:49], v[36:37], -v[46:47]
	v_add_f64 v[52:53], v[36:37], -v[48:49]
	;; [unrolled: 1-line block ×4, first 2 shown]
	v_add_f64 v[34:35], v[34:35], v[46:47]
	v_add_f64 v[46:47], v[50:51], v[32:33]
	v_add_f64 v[48:49], v[46:47], -v[50:51]
	v_add_f64 v[34:35], v[46:47], v[34:35]
	v_add_f64 v[52:53], v[46:47], -v[48:49]
	;; [unrolled: 2-line block ×3, first 2 shown]
	v_add_f64 v[32:33], v[32:33], -v[48:49]
	v_add_f64 v[36:37], v[46:47], -v[36:37]
	v_add_f64 v[32:33], v[32:33], v[50:51]
	v_add_f64 v[34:35], v[34:35], -v[36:37]
	v_add_f64 v[32:33], v[32:33], v[34:35]
	v_add_f64 v[32:33], v[46:47], v[32:33]
	v_cmp_eq_f64_e32 vcc, s[16:17], v[30:31]
	v_cndmask_b32_e32 v32, v32, v30, vcc
	v_cndmask_b32_e32 v33, v33, v31, vcc
	v_cmp_ngt_f64_e32 vcc, -1.0, v[30:31]
	v_cndmask_b32_e32 v33, v43, v33, vcc
	v_cmp_nge_f64_e32 vcc, -1.0, v[30:31]
	v_cndmask_b32_e32 v32, 0, v32, vcc
	v_cmp_neq_f64_e32 vcc, -1.0, v[30:31]
	v_cndmask_b32_e32 v33, v44, v33, vcc
	v_mov_b32_e32 v31, s9
	v_add_co_u32_e32 v30, vcc, s8, v8
	v_addc_co_u32_e32 v31, vcc, v7, v31, vcc
	global_store_dwordx2 v[30:31], v[32:33], off
	s_branch .LBB202_8
.LBB202_25:
	s_endpgm
	.section	.rodata,"a",@progbits
	.p2align	6, 0x0
	.amdhsa_kernel _ZN2at6native12_GLOBAL__N_125multi_tensor_apply_kernelINS1_18TensorListMetadataILi2EEENS1_14UnaryOpFunctorIdLi2ELi1ELi1EEEJNS0_5Log1pIdEEEEEvT_T0_DpT1_
		.amdhsa_group_segment_fixed_size 0
		.amdhsa_private_segment_fixed_size 0
		.amdhsa_kernarg_size 3408
		.amdhsa_user_sgpr_count 6
		.amdhsa_user_sgpr_private_segment_buffer 1
		.amdhsa_user_sgpr_dispatch_ptr 0
		.amdhsa_user_sgpr_queue_ptr 0
		.amdhsa_user_sgpr_kernarg_segment_ptr 1
		.amdhsa_user_sgpr_dispatch_id 0
		.amdhsa_user_sgpr_flat_scratch_init 0
		.amdhsa_user_sgpr_kernarg_preload_length 0
		.amdhsa_user_sgpr_kernarg_preload_offset 0
		.amdhsa_user_sgpr_private_segment_size 0
		.amdhsa_uses_dynamic_stack 0
		.amdhsa_system_sgpr_private_segment_wavefront_offset 0
		.amdhsa_system_sgpr_workgroup_id_x 1
		.amdhsa_system_sgpr_workgroup_id_y 0
		.amdhsa_system_sgpr_workgroup_id_z 0
		.amdhsa_system_sgpr_workgroup_info 0
		.amdhsa_system_vgpr_workitem_id 0
		.amdhsa_next_free_vgpr 74
		.amdhsa_next_free_sgpr 45
		.amdhsa_accum_offset 76
		.amdhsa_reserve_vcc 1
		.amdhsa_reserve_flat_scratch 0
		.amdhsa_float_round_mode_32 0
		.amdhsa_float_round_mode_16_64 0
		.amdhsa_float_denorm_mode_32 3
		.amdhsa_float_denorm_mode_16_64 3
		.amdhsa_dx10_clamp 1
		.amdhsa_ieee_mode 1
		.amdhsa_fp16_overflow 0
		.amdhsa_tg_split 0
		.amdhsa_exception_fp_ieee_invalid_op 0
		.amdhsa_exception_fp_denorm_src 0
		.amdhsa_exception_fp_ieee_div_zero 0
		.amdhsa_exception_fp_ieee_overflow 0
		.amdhsa_exception_fp_ieee_underflow 0
		.amdhsa_exception_fp_ieee_inexact 0
		.amdhsa_exception_int_div_zero 0
	.end_amdhsa_kernel
	.section	.text._ZN2at6native12_GLOBAL__N_125multi_tensor_apply_kernelINS1_18TensorListMetadataILi2EEENS1_14UnaryOpFunctorIdLi2ELi1ELi1EEEJNS0_5Log1pIdEEEEEvT_T0_DpT1_,"axG",@progbits,_ZN2at6native12_GLOBAL__N_125multi_tensor_apply_kernelINS1_18TensorListMetadataILi2EEENS1_14UnaryOpFunctorIdLi2ELi1ELi1EEEJNS0_5Log1pIdEEEEEvT_T0_DpT1_,comdat
.Lfunc_end202:
	.size	_ZN2at6native12_GLOBAL__N_125multi_tensor_apply_kernelINS1_18TensorListMetadataILi2EEENS1_14UnaryOpFunctorIdLi2ELi1ELi1EEEJNS0_5Log1pIdEEEEEvT_T0_DpT1_, .Lfunc_end202-_ZN2at6native12_GLOBAL__N_125multi_tensor_apply_kernelINS1_18TensorListMetadataILi2EEENS1_14UnaryOpFunctorIdLi2ELi1ELi1EEEJNS0_5Log1pIdEEEEEvT_T0_DpT1_
                                        ; -- End function
	.section	.AMDGPU.csdata,"",@progbits
; Kernel info:
; codeLenInByte = 8828
; NumSgprs: 49
; NumVgprs: 74
; NumAgprs: 0
; TotalNumVgprs: 74
; ScratchSize: 0
; MemoryBound: 0
; FloatMode: 240
; IeeeMode: 1
; LDSByteSize: 0 bytes/workgroup (compile time only)
; SGPRBlocks: 6
; VGPRBlocks: 9
; NumSGPRsForWavesPerEU: 49
; NumVGPRsForWavesPerEU: 74
; AccumOffset: 76
; Occupancy: 6
; WaveLimiterHint : 0
; COMPUTE_PGM_RSRC2:SCRATCH_EN: 0
; COMPUTE_PGM_RSRC2:USER_SGPR: 6
; COMPUTE_PGM_RSRC2:TRAP_HANDLER: 0
; COMPUTE_PGM_RSRC2:TGID_X_EN: 1
; COMPUTE_PGM_RSRC2:TGID_Y_EN: 0
; COMPUTE_PGM_RSRC2:TGID_Z_EN: 0
; COMPUTE_PGM_RSRC2:TIDIG_COMP_CNT: 0
; COMPUTE_PGM_RSRC3_GFX90A:ACCUM_OFFSET: 18
; COMPUTE_PGM_RSRC3_GFX90A:TG_SPLIT: 0
	.section	.text._ZN2at6native12_GLOBAL__N_125multi_tensor_apply_kernelINS1_18TensorListMetadataILi2EEENS1_14UnaryOpFunctorIfLi2ELi1ELi1EEEJNS0_5Log1pIfEEEEEvT_T0_DpT1_,"axG",@progbits,_ZN2at6native12_GLOBAL__N_125multi_tensor_apply_kernelINS1_18TensorListMetadataILi2EEENS1_14UnaryOpFunctorIfLi2ELi1ELi1EEEJNS0_5Log1pIfEEEEEvT_T0_DpT1_,comdat
	.globl	_ZN2at6native12_GLOBAL__N_125multi_tensor_apply_kernelINS1_18TensorListMetadataILi2EEENS1_14UnaryOpFunctorIfLi2ELi1ELi1EEEJNS0_5Log1pIfEEEEEvT_T0_DpT1_ ; -- Begin function _ZN2at6native12_GLOBAL__N_125multi_tensor_apply_kernelINS1_18TensorListMetadataILi2EEENS1_14UnaryOpFunctorIfLi2ELi1ELi1EEEJNS0_5Log1pIfEEEEEvT_T0_DpT1_
	.p2align	8
	.type	_ZN2at6native12_GLOBAL__N_125multi_tensor_apply_kernelINS1_18TensorListMetadataILi2EEENS1_14UnaryOpFunctorIfLi2ELi1ELi1EEEJNS0_5Log1pIfEEEEEvT_T0_DpT1_,@function
_ZN2at6native12_GLOBAL__N_125multi_tensor_apply_kernelINS1_18TensorListMetadataILi2EEENS1_14UnaryOpFunctorIfLi2ELi1ELi1EEEJNS0_5Log1pIfEEEEEvT_T0_DpT1_: ; @_ZN2at6native12_GLOBAL__N_125multi_tensor_apply_kernelINS1_18TensorListMetadataILi2EEENS1_14UnaryOpFunctorIfLi2ELi1ELi1EEEJNS0_5Log1pIfEEEEEvT_T0_DpT1_
; %bb.0:
	v_mov_b32_e32 v1, s6
	global_load_ubyte v1, v1, s[4:5] offset:1536
	s_add_u32 s0, s4, s6
	s_mul_hi_u32 s2, s6, 3
	s_mul_i32 s6, s6, 3
	s_addc_u32 s7, s5, 0
	s_add_u32 s6, s0, s6
	s_addc_u32 s7, s7, s2
	s_mov_b32 s1, 0
	s_mov_b32 s3, s1
	s_waitcnt vmcnt(0)
	v_readfirstlane_b32 s0, v1
	s_lshl_b32 s0, s0, 3
	s_load_dword s10, s[6:7], 0x740
	s_load_dwordx2 s[14:15], s[4:5], s0 offset:0x0
	s_load_dwordx2 s[16:17], s[4:5], s0 offset:0x400
	;; [unrolled: 1-line block ×3, first 2 shown]
	s_mov_b32 s7, s1
	s_waitcnt lgkmcnt(0)
	s_ashr_i32 s11, s10, 31
	s_and_b32 s0, s14, 15
	s_and_b32 s6, s16, 3
	;; [unrolled: 1-line block ×3, first 2 shown]
	s_or_b64 s[6:7], s[0:1], s[6:7]
	s_lshl_b64 s[8:9], s[10:11], 18
	s_or_b64 s[2:3], s[2:3], s[6:7]
	s_lshl_b64 s[6:7], s[10:11], 16
	s_sub_u32 s10, s16, s6
	s_subb_u32 s11, s17, s7
	s_cmp_eq_u64 s[2:3], 0
	s_mov_b64 s[2:3], -1
	s_cbranch_scc0 .LBB203_5
; %bb.1:
	v_mov_b32_e32 v7, 0
	v_lshlrev_b32_e32 v6, 2, v0
	v_cmp_gt_i64_e32 vcc, s[10:11], v[6:7]
	s_and_saveexec_b64 s[16:17], vcc
	s_cbranch_execz .LBB203_4
; %bb.2:
	s_load_dword s0, s[4:5], 0xc5c
	v_lshlrev_b32_e32 v1, 4, v0
	v_mov_b32_e32 v2, s9
	v_add_co_u32_e32 v1, vcc, s8, v1
	s_waitcnt lgkmcnt(0)
	s_and_b32 s0, s0, 0xffff
	v_addc_co_u32_e32 v2, vcc, 0, v2, vcc
	v_add_lshl_u32 v6, v0, s0, 2
	s_lshl_b32 s21, s0, 2
	v_add_co_u32_e32 v8, vcc, 8, v1
	s_lshl_b32 s23, s0, 4
	s_mov_b32 s0, 0x3ecc95a3
	v_addc_co_u32_e32 v1, vcc, 0, v2, vcc
	s_mov_b64 s[18:19], 0
	v_mov_b32_e32 v9, s15
	v_mov_b32_e32 v22, s13
	s_mov_b32 s25, 0x3f2aaaab
	s_mov_b32 s20, 0x3e9b6dac
	v_pk_mov_b32 v[10:11], s[0:1], s[0:1] op_sel:[0,1]
	s_mov_b32 s22, 0x3f2aaada
	s_mov_b32 s24, 0x3f317218
	;; [unrolled: 1-line block ×4, first 2 shown]
	v_mov_b32_e32 v23, 0x7fc00000
	v_mov_b32_e32 v24, 0xff800000
	s_mov_b32 s30, 0x33800000
	s_mov_b64 s[28:29], 0xffff
	v_mov_b32_e32 v25, s1
	v_mov_b32_e32 v26, s1
.LBB203_3:                              ; =>This Inner Loop Header: Depth=1
	v_add_co_u32_e32 v2, vcc, s14, v8
	v_addc_co_u32_e32 v3, vcc, v9, v1, vcc
	global_load_dwordx4 v[2:5], v[2:3], off offset:-8
	s_waitcnt vmcnt(0)
	v_add_f32_e32 v27, 1.0, v2
	v_add_f32_e32 v28, 1.0, v3
	;; [unrolled: 1-line block ×4, first 2 shown]
	v_frexp_mant_f32_e32 v21, v27
	v_cvt_f64_f32_e32 v[12:13], v27
	v_frexp_mant_f32_e32 v31, v28
	v_cvt_f64_f32_e32 v[14:15], v28
	v_add_f32_e32 v20, -1.0, v27
	v_add_f32_e32 v32, -1.0, v28
	;; [unrolled: 1-line block ×3, first 2 shown]
	v_frexp_mant_f32_e32 v34, v29
	v_cvt_f64_f32_e32 v[16:17], v29
	v_frexp_mant_f32_e32 v35, v30
	v_cvt_f64_f32_e32 v[18:19], v30
	v_frexp_exp_i32_f64_e32 v12, v[12:13]
	v_cmp_gt_f32_e32 vcc, s25, v21
	v_frexp_exp_i32_f64_e32 v13, v[14:15]
	v_cmp_gt_f32_e64 s[6:7], s25, v31
	v_add_f32_e32 v36, -1.0, v30
	v_sub_f32_e32 v37, v20, v27
	v_sub_f32_e32 v14, v32, v28
	;; [unrolled: 1-line block ×3, first 2 shown]
	v_frexp_exp_i32_f64_e32 v16, v[16:17]
	v_cmp_gt_f32_e64 s[0:1], s25, v34
	v_frexp_exp_i32_f64_e32 v17, v[18:19]
	v_cmp_gt_f32_e64 s[2:3], s25, v35
	v_subbrev_co_u32_e64 v13, s[6:7], 0, v13, s[6:7]
	v_subbrev_co_u32_e32 v12, vcc, 0, v12, vcc
	v_sub_f32_e32 v20, v2, v20
	v_sub_f32_e32 v15, v3, v32
	;; [unrolled: 1-line block ×4, first 2 shown]
	v_add_f32_e32 v31, 1.0, v37
	v_add_f32_e32 v14, 1.0, v14
	;; [unrolled: 1-line block ×3, first 2 shown]
	v_subbrev_co_u32_e64 v17, vcc, 0, v17, s[2:3]
	v_subbrev_co_u32_e64 v16, vcc, 0, v16, s[0:1]
	v_sub_u32_e32 v33, 0, v12
	v_sub_u32_e32 v35, 0, v13
	v_sub_f32_e32 v19, v5, v36
	v_add_f32_e32 v18, 1.0, v18
	v_add_f32_e32 v31, v20, v31
	v_add_f32_e32 v34, v15, v14
	;; [unrolled: 1-line block ×3, first 2 shown]
	v_sub_u32_e32 v36, 0, v16
	v_sub_u32_e32 v38, 0, v17
	v_cvt_f32_i32_e32 v21, v17
	v_cvt_f32_i32_e32 v20, v16
	v_ldexp_f32 v14, v27, v33
	v_ldexp_f32 v15, v28, v35
	v_add_f32_e32 v37, v19, v18
	v_ldexp_f32 v18, v31, v33
	v_ldexp_f32 v16, v29, v36
	;; [unrolled: 1-line block ×3, first 2 shown]
	v_pk_add_f32 v[30:31], v[14:15], 1.0 op_sel_hi:[1,0]
	v_cvt_f32_i32_e32 v13, v13
	v_cvt_f32_i32_e32 v12, v12
	v_ldexp_f32 v19, v34, v35
	v_ldexp_f32 v28, v32, v36
	;; [unrolled: 1-line block ×3, first 2 shown]
	v_pk_add_f32 v[34:35], v[16:17], 1.0 op_sel_hi:[1,0]
	v_pk_add_f32 v[36:37], -1.0, v[16:17] op_sel_hi:[0,1]
	v_pk_add_f32 v[38:39], -1.0, v[30:31] op_sel_hi:[0,1]
	;; [unrolled: 1-line block ×3, first 2 shown]
	v_pk_add_f32 v[44:45], v[36:37], 1.0 op_sel_hi:[1,0]
	v_pk_add_f32 v[38:39], v[14:15], v[38:39] neg_lo:[0,1] neg_hi:[0,1]
	v_pk_add_f32 v[32:33], -1.0, v[14:15] op_sel_hi:[0,1]
	v_pk_add_f32 v[42:43], v[16:17], v[42:43] neg_lo:[0,1] neg_hi:[0,1]
	v_pk_add_f32 v[44:45], v[16:17], v[44:45] neg_lo:[0,1] neg_hi:[0,1]
	v_pk_mul_f32 v[16:17], v[20:21], s[24:25] op_sel_hi:[1,0]
	v_pk_add_f32 v[38:39], v[18:19], v[38:39]
	v_pk_add_f32 v[40:41], v[32:33], 1.0 op_sel_hi:[1,0]
	v_pk_add_f32 v[42:43], v[28:29], v[42:43]
	v_pk_add_f32 v[28:29], v[28:29], v[44:45]
	v_pk_fma_f32 v[44:45], v[20:21], s[24:25], v[16:17] op_sel_hi:[1,0,1] neg_lo:[0,0,1] neg_hi:[0,0,1]
	v_pk_add_f32 v[46:47], v[30:31], v[38:39]
	v_pk_add_f32 v[40:41], v[14:15], v[40:41] neg_lo:[0,1] neg_hi:[0,1]
	v_pk_mul_f32 v[14:15], v[12:13], s[24:25] op_sel_hi:[1,0]
	v_pk_fma_f32 v[20:21], v[20:21], s[26:27], v[44:45] op_sel_hi:[1,0,1]
	v_rcp_f32_e32 v44, v46
	v_rcp_f32_e32 v45, v47
	v_pk_add_f32 v[40:41], v[18:19], v[40:41]
	v_pk_fma_f32 v[18:19], v[12:13], s[24:25], v[14:15] op_sel_hi:[1,0,1] neg_lo:[0,0,1] neg_hi:[0,0,1]
	v_pk_add_f32 v[50:51], v[34:35], v[42:43]
	v_pk_fma_f32 v[18:19], v[12:13], s[26:27], v[18:19] op_sel_hi:[1,0,1]
	v_pk_add_f32 v[12:13], v[36:37], v[28:29]
	v_rcp_f32_e32 v52, v50
	v_rcp_f32_e32 v53, v51
	v_pk_add_f32 v[48:49], v[32:33], v[40:41]
	v_pk_add_f32 v[36:37], v[12:13], v[36:37] neg_lo:[0,1] neg_hi:[0,1]
	v_pk_add_f32 v[32:33], v[48:49], v[32:33] neg_lo:[0,1] neg_hi:[0,1]
	;; [unrolled: 1-line block ×3, first 2 shown]
	v_pk_mul_f32 v[36:37], v[48:49], v[44:45]
	v_pk_add_f32 v[30:31], v[46:47], v[30:31] neg_lo:[0,1] neg_hi:[0,1]
	v_pk_add_f32 v[32:33], v[40:41], v[32:33] neg_lo:[0,1] neg_hi:[0,1]
	v_pk_mul_f32 v[40:41], v[46:47], v[36:37]
	v_pk_add_f32 v[34:35], v[50:51], v[34:35] neg_lo:[0,1] neg_hi:[0,1]
	v_pk_add_f32 v[30:31], v[38:39], v[30:31] neg_lo:[0,1] neg_hi:[0,1]
	v_pk_mul_f32 v[38:39], v[12:13], v[52:53]
	v_pk_fma_f32 v[54:55], v[36:37], v[46:47], v[40:41] neg_lo:[0,0,1] neg_hi:[0,0,1]
	v_pk_add_f32 v[34:35], v[42:43], v[34:35] neg_lo:[0,1] neg_hi:[0,1]
	v_pk_mul_f32 v[42:43], v[50:51], v[38:39]
	v_pk_fma_f32 v[54:55], v[36:37], v[30:31], v[54:55]
	v_pk_fma_f32 v[56:57], v[38:39], v[50:51], v[42:43] neg_lo:[0,0,1] neg_hi:[0,0,1]
	v_pk_add_f32 v[58:59], v[40:41], v[54:55]
	v_pk_fma_f32 v[56:57], v[38:39], v[34:35], v[56:57]
	v_pk_add_f32 v[40:41], v[58:59], v[40:41] neg_lo:[0,1] neg_hi:[0,1]
	v_pk_add_f32 v[40:41], v[40:41], v[54:55] neg_lo:[0,1] neg_hi:[0,1]
	v_pk_add_f32 v[54:55], v[42:43], v[56:57]
	v_pk_add_f32 v[42:43], v[54:55], v[42:43] neg_lo:[0,1] neg_hi:[0,1]
	v_pk_add_f32 v[42:43], v[42:43], v[56:57] neg_lo:[0,1] neg_hi:[0,1]
	;; [unrolled: 1-line block ×8, first 2 shown]
	v_pk_add_f32 v[32:33], v[32:33], v[48:49]
	v_pk_add_f32 v[28:29], v[28:29], v[54:55]
	;; [unrolled: 1-line block ×6, first 2 shown]
	v_pk_mul_f32 v[54:55], v[44:45], v[40:41]
	v_pk_add_f32 v[58:59], v[58:59], v[42:43] neg_lo:[0,1] neg_hi:[0,1]
	v_pk_add_f32 v[28:29], v[28:29], v[58:59]
	v_pk_mul_f32 v[58:59], v[46:47], v[54:55]
	v_pk_fma_f32 v[46:47], v[54:55], v[46:47], v[58:59] neg_lo:[0,0,1] neg_hi:[0,0,1]
	v_pk_add_f32 v[56:57], v[56:57], v[40:41] neg_lo:[0,1] neg_hi:[0,1]
	v_pk_fma_f32 v[30:31], v[54:55], v[30:31], v[46:47]
	v_pk_add_f32 v[46:47], v[36:37], v[54:55]
	v_pk_add_f32 v[32:33], v[32:33], v[56:57]
	v_pk_mul_f32 v[56:57], v[52:53], v[42:43]
	v_pk_add_f32 v[36:37], v[46:47], v[36:37] neg_lo:[0,1] neg_hi:[0,1]
	v_pk_add_f32 v[36:37], v[54:55], v[36:37] neg_lo:[0,1] neg_hi:[0,1]
	v_pk_mul_f32 v[54:55], v[50:51], v[56:57]
	v_pk_fma_f32 v[50:51], v[56:57], v[50:51], v[54:55] neg_lo:[0,0,1] neg_hi:[0,0,1]
	v_pk_fma_f32 v[34:35], v[56:57], v[34:35], v[50:51]
	v_pk_add_f32 v[50:51], v[38:39], v[56:57]
	v_pk_add_f32 v[38:39], v[50:51], v[38:39] neg_lo:[0,1] neg_hi:[0,1]
	v_pk_add_f32 v[38:39], v[56:57], v[38:39] neg_lo:[0,1] neg_hi:[0,1]
	v_pk_add_f32 v[56:57], v[58:59], v[30:31]
	v_pk_add_f32 v[58:59], v[56:57], v[58:59] neg_lo:[0,1] neg_hi:[0,1]
	v_pk_add_f32 v[30:31], v[58:59], v[30:31] neg_lo:[0,1] neg_hi:[0,1]
	;; [unrolled: 3-line block ×3, first 2 shown]
	v_pk_add_f32 v[54:55], v[40:41], v[56:57] neg_lo:[0,1] neg_hi:[0,1]
	v_pk_add_f32 v[40:41], v[40:41], v[54:55] neg_lo:[0,1] neg_hi:[0,1]
	;; [unrolled: 1-line block ×6, first 2 shown]
	v_pk_add_f32 v[32:33], v[32:33], v[40:41]
	v_pk_add_f32 v[28:29], v[28:29], v[42:43]
	;; [unrolled: 1-line block ×6, first 2 shown]
	v_pk_mul_f32 v[30:31], v[44:45], v[30:31]
	v_pk_mul_f32 v[28:29], v[52:53], v[28:29]
	v_pk_add_f32 v[30:31], v[36:37], v[30:31]
	v_pk_add_f32 v[28:29], v[38:39], v[28:29]
	;; [unrolled: 1-line block ×4, first 2 shown]
	v_pk_add_f32 v[44:45], v[36:37], v[46:47] neg_lo:[0,1] neg_hi:[0,1]
	v_pk_mul_f32 v[52:53], v[36:37], v[36:37]
	v_pk_add_f32 v[50:51], v[38:39], v[50:51] neg_lo:[0,1] neg_hi:[0,1]
	v_pk_add_f32 v[30:31], v[30:31], v[44:45] neg_lo:[0,1] neg_hi:[0,1]
	v_pk_mul_f32 v[44:45], v[38:39], v[38:39]
	v_pk_add_f32 v[28:29], v[28:29], v[50:51] neg_lo:[0,1] neg_hi:[0,1]
	v_pk_fma_f32 v[50:51], v[52:53], s[20:21], v[10:11] op_sel_hi:[1,0,0]
	v_ldexp_f32 v46, v36, 1
	v_ldexp_f32 v47, v37, 1
	v_pk_mul_f32 v[36:37], v[36:37], v[52:53]
	v_pk_fma_f32 v[50:51], v[52:53], v[50:51], s[22:23] op_sel_hi:[1,1,0]
	v_pk_fma_f32 v[52:53], v[44:45], s[20:21], v[10:11] op_sel_hi:[1,0,0]
	v_ldexp_f32 v56, v38, 1
	v_ldexp_f32 v57, v39, 1
	v_pk_mul_f32 v[38:39], v[38:39], v[44:45]
	v_pk_fma_f32 v[44:45], v[44:45], v[52:53], s[22:23] op_sel_hi:[1,1,0]
	v_pk_mul_f32 v[36:37], v[36:37], v[50:51]
	v_pk_mul_f32 v[38:39], v[38:39], v[44:45]
	v_pk_add_f32 v[44:45], v[46:47], v[36:37]
	v_pk_add_f32 v[46:47], v[44:45], v[46:47] neg_lo:[0,1] neg_hi:[0,1]
	v_ldexp_f32 v30, v30, 1
	v_ldexp_f32 v31, v31, 1
	v_pk_add_f32 v[36:37], v[36:37], v[46:47] neg_lo:[0,1] neg_hi:[0,1]
	v_pk_add_f32 v[46:47], v[56:57], v[38:39]
	v_pk_add_f32 v[56:57], v[46:47], v[56:57] neg_lo:[0,1] neg_hi:[0,1]
	v_pk_add_f32 v[30:31], v[30:31], v[36:37]
	v_pk_add_f32 v[40:41], v[14:15], v[18:19]
	v_ldexp_f32 v28, v28, 1
	v_ldexp_f32 v29, v29, 1
	v_pk_add_f32 v[38:39], v[38:39], v[56:57] neg_lo:[0,1] neg_hi:[0,1]
	v_pk_add_f32 v[36:37], v[44:45], v[30:31]
	v_pk_add_f32 v[28:29], v[28:29], v[38:39]
	;; [unrolled: 1-line block ×3, first 2 shown]
	v_mov_b32_e32 v49, v15
	v_pk_add_f32 v[32:33], v[16:17], v[20:21]
	v_mov_b32_e32 v55, v41
	v_mov_b32_e32 v48, v40
	v_pk_add_f32 v[38:39], v[46:47], v[28:29]
	v_mov_b32_e32 v54, v56
	v_pk_add_f32 v[48:49], v[54:55], v[48:49] neg_lo:[0,1] neg_hi:[0,1]
	v_pk_add_f32 v[54:55], v[32:33], v[38:39]
	v_mov_b32_e32 v59, v17
	v_mov_b32_e32 v43, v19
	;; [unrolled: 1-line block ×7, first 2 shown]
	v_pk_add_f32 v[50:51], v[50:51], v[58:59] neg_lo:[0,1] neg_hi:[0,1]
	v_pk_add_f32 v[42:43], v[42:43], v[48:49] neg_lo:[0,1] neg_hi:[0,1]
	v_mov_b32_e32 v49, v45
	v_mov_b32_e32 v45, v41
	;; [unrolled: 1-line block ×8, first 2 shown]
	v_pk_add_f32 v[48:49], v[58:59], v[48:49] neg_lo:[0,1] neg_hi:[0,1]
	v_pk_add_f32 v[34:35], v[34:35], v[50:51] neg_lo:[0,1] neg_hi:[0,1]
	v_mov_b32_e32 v51, v47
	v_mov_b32_e32 v47, v33
	v_mov_b32_e32 v59, v29
	v_pk_add_f32 v[36:37], v[36:37], v[44:45] neg_lo:[0,1] neg_hi:[0,1]
	v_mov_b32_e32 v45, v39
	v_mov_b32_e32 v29, v39
	v_mov_b32_e32 v39, v55
	;; [unrolled: 4-line block ×3, first 2 shown]
	v_mov_b32_e32 v44, v54
	v_mov_b32_e32 v33, v55
	;; [unrolled: 1-line block ×6, first 2 shown]
	v_pk_add_f32 v[44:45], v[44:45], v[50:51] neg_lo:[0,1] neg_hi:[0,1]
	v_pk_add_f32 v[14:15], v[40:41], v[14:15] neg_lo:[0,1] neg_hi:[0,1]
	;; [unrolled: 1-line block ×9, first 2 shown]
	v_pk_add_f32 v[38:39], v[42:43], v[46:47]
	v_pk_add_f32 v[32:33], v[34:35], v[36:37]
	;; [unrolled: 1-line block ×3, first 2 shown]
	v_mov_b32_e32 v15, v43
	v_pk_add_f32 v[42:43], v[28:29], v[16:17]
	v_add_co_u32_e32 v12, vcc, s12, v8
	v_mov_b32_e32 v19, v39
	v_mov_b32_e32 v21, v33
	;; [unrolled: 1-line block ×5, first 2 shown]
	v_addc_co_u32_e32 v13, vcc, v22, v1, vcc
	v_mov_b32_e32 v29, v37
	v_pk_add_f32 v[34:35], v[38:39], v[40:41]
	v_pk_add_f32 v[32:33], v[32:33], v[42:43]
	v_pk_add_f32 v[36:37], v[18:19], v[14:15] neg_lo:[0,1] neg_hi:[0,1]
	v_pk_add_f32 v[40:41], v[20:21], v[16:17] neg_lo:[0,1] neg_hi:[0,1]
	v_cmp_le_i64_e32 vcc, s[10:11], v[6:7]
	v_cmp_lt_u64_e64 s[0:1], s[28:29], v[6:7]
	v_add_co_u32_e64 v6, s[2:3], s21, v6
	v_mov_b32_e32 v31, v47
	v_pk_add_f32 v[38:39], v[56:57], v[34:35]
	v_pk_add_f32 v[42:43], v[54:55], v[32:33]
	v_pk_add_f32 v[18:19], v[18:19], v[36:37] neg_lo:[0,1] neg_hi:[0,1]
	v_pk_add_f32 v[20:21], v[20:21], v[40:41] neg_lo:[0,1] neg_hi:[0,1]
	v_addc_co_u32_e64 v7, s[2:3], v7, v25, s[2:3]
	v_pk_add_f32 v[30:31], v[30:31], v[36:37] neg_lo:[0,1] neg_hi:[0,1]
	v_pk_add_f32 v[36:37], v[38:39], v[56:57] neg_lo:[0,1] neg_hi:[0,1]
	;; [unrolled: 1-line block ×6, first 2 shown]
	v_add_co_u32_e64 v8, s[2:3], s23, v8
	s_or_b64 s[0:1], vcc, s[0:1]
	v_pk_add_f32 v[18:19], v[34:35], v[36:37] neg_lo:[0,1] neg_hi:[0,1]
	v_pk_add_f32 v[20:21], v[32:33], v[40:41] neg_lo:[0,1] neg_hi:[0,1]
	v_pk_add_f32 v[14:15], v[30:31], v[14:15]
	v_pk_add_f32 v[16:17], v[28:29], v[16:17]
	v_addc_co_u32_e64 v1, s[2:3], v1, v26, s[2:3]
	s_and_b64 s[0:1], exec, s[0:1]
	v_pk_add_f32 v[14:15], v[14:15], v[18:19]
	v_pk_add_f32 v[16:17], v[16:17], v[20:21]
	s_or_b64 s[18:19], s[0:1], s[18:19]
	v_pk_add_f32 v[14:15], v[38:39], v[14:15]
	v_cmp_eq_f32_e32 vcc, s27, v3
	v_pk_add_f32 v[16:17], v[42:43], v[16:17]
	v_cmp_eq_f32_e64 s[0:1], s27, v5
	v_cmp_eq_f32_e64 s[2:3], s27, v4
	;; [unrolled: 1-line block ×3, first 2 shown]
	v_cndmask_b32_e64 v14, v14, v2, s[6:7]
	v_cndmask_b32_e32 v15, v15, v3, vcc
	v_cmp_ngt_f32_e32 vcc, -1.0, v2
	v_cndmask_b32_e64 v16, v16, v4, s[2:3]
	v_cndmask_b32_e64 v17, v17, v5, s[0:1]
	v_cmp_ngt_f32_e64 s[0:1], -1.0, v5
	v_cmp_ngt_f32_e64 s[2:3], -1.0, v4
	;; [unrolled: 1-line block ×3, first 2 shown]
	v_cndmask_b32_e64 v15, v23, v15, s[6:7]
	v_cndmask_b32_e32 v14, v23, v14, vcc
	v_cmp_neq_f32_e32 vcc, -1.0, v3
	v_cndmask_b32_e64 v17, v23, v17, s[0:1]
	v_cndmask_b32_e64 v16, v23, v16, s[2:3]
	v_cmp_neq_f32_e64 s[0:1], -1.0, v4
	v_cmp_neq_f32_e64 s[2:3], -1.0, v5
	;; [unrolled: 1-line block ×3, first 2 shown]
	v_cndmask_b32_e64 v14, v24, v14, s[6:7]
	v_cndmask_b32_e32 v15, v24, v15, vcc
	v_cmp_lt_f32_e64 vcc, |v2|, s30
	v_cndmask_b32_e64 v16, v24, v16, s[0:1]
	v_cndmask_b32_e64 v17, v24, v17, s[2:3]
	v_cmp_lt_f32_e64 s[0:1], |v4|, s30
	v_cmp_lt_f32_e64 s[2:3], |v5|, s30
	;; [unrolled: 1-line block ×3, first 2 shown]
	v_cndmask_b32_e64 v3, v15, v3, s[6:7]
	v_cndmask_b32_e32 v2, v14, v2, vcc
	v_cndmask_b32_e64 v5, v17, v5, s[2:3]
	v_cndmask_b32_e64 v4, v16, v4, s[0:1]
	global_store_dwordx4 v[12:13], v[2:5], off offset:-8
	s_andn2_b64 exec, exec, s[18:19]
	s_cbranch_execnz .LBB203_3
.LBB203_4:
	s_or_b64 exec, exec, s[16:17]
	s_mov_b64 s[2:3], 0
.LBB203_5:
	s_andn2_b64 vcc, exec, s[2:3]
	s_cbranch_vccnz .LBB203_25
; %bb.6:
	v_cmp_lt_i64_e64 s[0:1], s[10:11], 1
	s_and_b64 vcc, exec, s[0:1]
	s_cbranch_vccnz .LBB203_25
; %bb.7:
	s_load_dword s0, s[4:5], 0xc5c
	v_mov_b32_e32 v2, 0x10000
	v_mov_b32_e32 v3, 0
	v_cmp_lt_u64_e32 vcc, s[10:11], v[2:3]
	v_lshlrev_b32_e32 v10, 2, v0
	s_waitcnt lgkmcnt(0)
	s_and_b32 s2, s0, 0xffff
	s_and_b64 s[0:1], vcc, exec
	v_mov_b32_e32 v13, s15
	v_add_co_u32_e32 v2, vcc, s14, v10
	v_addc_co_u32_e32 v1, vcc, 0, v13, vcc
	v_mov_b32_e32 v11, 0
	v_mov_b32_e32 v15, s13
	v_add_co_u32_e32 v4, vcc, s12, v10
	v_addc_co_u32_e32 v3, vcc, 0, v15, vcc
	v_mad_u64_u32 v[8:9], s[0:1], s2, 12, v[10:11]
	v_add_co_u32_e32 v6, vcc, s14, v8
	v_addc_co_u32_e32 v5, vcc, v13, v9, vcc
	v_add_co_u32_e32 v8, vcc, s12, v8
	s_mul_i32 s4, s2, 3
	v_addc_co_u32_e32 v7, vcc, v15, v9, vcc
	v_add_co_u32_e32 v17, vcc, s4, v0
	v_addc_co_u32_e64 v20, s[0:1], 0, 0, vcc
	s_cselect_b32 s17, s11, 0
	s_cselect_b32 s16, s10, 0x10000
	s_lshl_b32 s0, s2, 3
	v_add_co_u32_e32 v11, vcc, s0, v10
	v_addc_co_u32_e64 v14, s[0:1], 0, 0, vcc
	v_add_co_u32_e32 v10, vcc, s14, v11
	v_addc_co_u32_e32 v9, vcc, v13, v14, vcc
	v_add_co_u32_e32 v12, vcc, s12, v11
	s_lshl_b32 s3, s2, 1
	v_addc_co_u32_e32 v11, vcc, v15, v14, vcc
	v_add_co_u32_e32 v21, vcc, s3, v0
	v_addc_co_u32_e64 v22, s[0:1], 0, 0, vcc
	v_add_co_u32_e32 v23, vcc, s2, v0
	v_lshlrev_b32_e32 v16, 2, v23
	v_addc_co_u32_e64 v24, s[0:1], 0, 0, vcc
	v_add_co_u32_e32 v14, vcc, s14, v16
	v_addc_co_u32_e32 v13, vcc, 0, v13, vcc
	v_add_co_u32_e32 v16, vcc, s12, v16
	s_mov_b32 s18, 0
	s_lshl_b32 s19, s2, 2
	s_lshl_b32 s20, s2, 4
	v_addc_co_u32_e32 v15, vcc, 0, v15, vcc
	s_mov_b64 s[12:13], 0
	s_mov_b32 s21, 0x33800000
	s_mov_b32 s22, 0x7f800000
	;; [unrolled: 1-line block ×3, first 2 shown]
	v_mov_b32_e32 v25, 0x3f2aaada
	s_mov_b32 s24, 0x3f317218
	v_mov_b32_e32 v18, 0x3f317218
	v_mov_b32_e32 v26, 0x7fc00000
	;; [unrolled: 1-line block ×3, first 2 shown]
	s_branch .LBB203_9
.LBB203_8:                              ;   in Loop: Header=BB203_9 Depth=1
	s_or_b64 exec, exec, s[0:1]
	s_add_u32 s12, s12, s19
	s_addc_u32 s13, s13, 0
	s_waitcnt vmcnt(0)
	v_pk_mov_b32 v[28:29], s[10:11], s[10:11] op_sel:[0,1]
	v_cmp_ge_i64_e32 vcc, s[12:13], v[28:29]
	v_mov_b32_e32 v28, 0xffff
	v_mov_b32_e32 v29, 0
	v_cmp_gt_u64_e64 s[0:1], s[12:13], v[28:29]
	s_or_b64 s[0:1], vcc, s[0:1]
	v_mov_b32_e32 v19, s18
	v_add_co_u32_e32 v2, vcc, s20, v2
	v_addc_co_u32_e32 v1, vcc, v1, v19, vcc
	v_add_co_u32_e32 v4, vcc, s20, v4
	v_addc_co_u32_e32 v3, vcc, v3, v19, vcc
	;; [unrolled: 2-line block ×8, first 2 shown]
	s_and_b64 vcc, exec, s[0:1]
	s_cbranch_vccnz .LBB203_25
.LBB203_9:                              ; =>This Inner Loop Header: Depth=1
	v_mov_b32_e32 v19, s13
	v_add_co_u32_e32 v28, vcc, s12, v0
	v_addc_co_u32_e32 v29, vcc, 0, v19, vcc
	v_cmp_gt_u64_e64 s[4:5], s[16:17], v[28:29]
	v_mov_b32_e32 v31, 0
	s_and_saveexec_b64 s[0:1], s[4:5]
	s_cbranch_execz .LBB203_11
; %bb.10:                               ;   in Loop: Header=BB203_9 Depth=1
	v_mov_b32_e32 v19, s9
	v_add_co_u32_e32 v28, vcc, s8, v2
	v_addc_co_u32_e32 v29, vcc, v1, v19, vcc
	global_load_dword v31, v[28:29], off
.LBB203_11:                             ;   in Loop: Header=BB203_9 Depth=1
	s_or_b64 exec, exec, s[0:1]
	v_mov_b32_e32 v19, s13
	v_add_co_u32_e32 v28, vcc, s12, v23
	v_addc_co_u32_e32 v29, vcc, v24, v19, vcc
	v_cmp_gt_u64_e64 s[2:3], s[16:17], v[28:29]
	v_mov_b32_e32 v30, 0
	s_and_saveexec_b64 s[0:1], s[2:3]
	s_cbranch_execz .LBB203_13
; %bb.12:                               ;   in Loop: Header=BB203_9 Depth=1
	v_mov_b32_e32 v19, s9
	v_add_co_u32_e32 v28, vcc, s8, v14
	v_addc_co_u32_e32 v29, vcc, v13, v19, vcc
	global_load_dword v30, v[28:29], off
.LBB203_13:                             ;   in Loop: Header=BB203_9 Depth=1
	s_or_b64 exec, exec, s[0:1]
	v_mov_b32_e32 v19, s13
	v_add_co_u32_e32 v28, vcc, s12, v21
	v_addc_co_u32_e32 v29, vcc, v22, v19, vcc
	v_cmp_gt_u64_e64 s[0:1], s[16:17], v[28:29]
	v_mov_b32_e32 v28, 0
	v_mov_b32_e32 v29, 0
	s_and_saveexec_b64 s[6:7], s[0:1]
	s_cbranch_execz .LBB203_15
; %bb.14:                               ;   in Loop: Header=BB203_9 Depth=1
	v_mov_b32_e32 v19, s9
	v_add_co_u32_e32 v32, vcc, s8, v10
	v_addc_co_u32_e32 v33, vcc, v9, v19, vcc
	global_load_dword v29, v[32:33], off
.LBB203_15:                             ;   in Loop: Header=BB203_9 Depth=1
	s_or_b64 exec, exec, s[6:7]
	v_mov_b32_e32 v19, s13
	v_add_co_u32_e32 v32, vcc, s12, v17
	v_addc_co_u32_e32 v33, vcc, v20, v19, vcc
	v_cmp_gt_u64_e32 vcc, s[16:17], v[32:33]
	s_and_saveexec_b64 s[14:15], vcc
	s_cbranch_execnz .LBB203_20
; %bb.16:                               ;   in Loop: Header=BB203_9 Depth=1
	s_or_b64 exec, exec, s[14:15]
	s_and_saveexec_b64 s[6:7], s[4:5]
	s_cbranch_execnz .LBB203_21
.LBB203_17:                             ;   in Loop: Header=BB203_9 Depth=1
	s_or_b64 exec, exec, s[6:7]
	s_and_saveexec_b64 s[4:5], s[2:3]
	s_cbranch_execnz .LBB203_22
.LBB203_18:                             ;   in Loop: Header=BB203_9 Depth=1
	s_or_b64 exec, exec, s[4:5]
	s_and_saveexec_b64 s[2:3], s[0:1]
	s_cbranch_execnz .LBB203_23
.LBB203_19:                             ;   in Loop: Header=BB203_9 Depth=1
	s_or_b64 exec, exec, s[2:3]
	s_and_saveexec_b64 s[0:1], vcc
	s_cbranch_execz .LBB203_8
	s_branch .LBB203_24
.LBB203_20:                             ;   in Loop: Header=BB203_9 Depth=1
	v_mov_b32_e32 v19, s9
	v_add_co_u32_e64 v32, s[6:7], s8, v6
	v_addc_co_u32_e64 v33, s[6:7], v5, v19, s[6:7]
	global_load_dword v28, v[32:33], off
	s_or_b64 exec, exec, s[14:15]
	s_and_saveexec_b64 s[6:7], s[4:5]
	s_cbranch_execz .LBB203_17
.LBB203_21:                             ;   in Loop: Header=BB203_9 Depth=1
	s_waitcnt vmcnt(0)
	v_add_f32_e32 v19, 1.0, v31
	v_cvt_f64_f32_e32 v[32:33], v19
	v_frexp_exp_i32_f64_e32 v32, v[32:33]
	v_frexp_mant_f32_e32 v33, v19
	v_cmp_gt_f32_e64 s[4:5], s23, v33
	v_subbrev_co_u32_e64 v33, s[4:5], 0, v32, s[4:5]
	v_cvt_f32_i32_e32 v32, v33
	v_sub_u32_e32 v33, 0, v33
	v_add_f32_e32 v35, -1.0, v19
	v_ldexp_f32 v34, v19, v33
	v_sub_f32_e32 v19, v35, v19
	v_sub_f32_e32 v36, v31, v35
	v_add_f32_e32 v19, 1.0, v19
	v_add_f32_e32 v39, -1.0, v34
	v_add_f32_e32 v19, v36, v19
	v_add_f32_e32 v35, 1.0, v34
	v_ldexp_f32 v19, v19, v33
	v_add_f32_e32 v33, 1.0, v39
	v_add_f32_e32 v36, -1.0, v35
	v_sub_f32_e32 v33, v34, v33
	v_sub_f32_e32 v34, v34, v36
	v_add_f32_e32 v33, v19, v33
	v_add_f32_e32 v19, v19, v34
	;; [unrolled: 1-line block ×3, first 2 shown]
	v_rcp_f32_e32 v43, v42
	v_sub_f32_e32 v34, v42, v35
	v_add_f32_e32 v35, v39, v33
	v_sub_f32_e32 v19, v19, v34
	v_mul_f32_e32 v44, v35, v43
	v_mul_f32_e32 v36, v42, v44
	v_fma_f32 v38, v44, v42, -v36
	v_fmac_f32_e32 v38, v44, v19
	v_add_f32_e32 v34, v36, v38
	v_sub_f32_e32 v37, v35, v34
	v_sub_f32_e32 v39, v35, v39
	;; [unrolled: 1-line block ×3, first 2 shown]
	v_pk_add_f32 v[40:41], v[34:35], v[36:37] neg_lo:[0,1] neg_hi:[0,1]
	v_mov_b32_e32 v39, v34
	v_pk_add_f32 v[34:35], v[40:41], v[38:39] neg_lo:[0,1] neg_hi:[0,1]
	v_add_f32_e32 v33, v33, v35
	v_add_f32_e32 v33, v34, v33
	;; [unrolled: 1-line block ×3, first 2 shown]
	v_mul_f32_e32 v34, v43, v35
	v_add_f32_e32 v45, v44, v34
	v_sub_f32_e32 v36, v45, v44
	v_mul_f32_e32 v38, v42, v34
	v_sub_f32_e32 v44, v34, v36
	v_fma_f32 v36, v34, v42, -v38
	v_fmac_f32_e32 v36, v34, v19
	v_add_f32_e32 v34, v38, v36
	v_sub_f32_e32 v39, v35, v34
	v_sub_f32_e32 v19, v37, v35
	v_pk_add_f32 v[40:41], v[34:35], v[38:39] neg_lo:[0,1] neg_hi:[0,1]
	v_mov_b32_e32 v37, v34
	v_add_f32_e32 v19, v33, v19
	v_pk_add_f32 v[34:35], v[40:41], v[36:37] neg_lo:[0,1] neg_hi:[0,1]
	v_add_f32_e32 v19, v19, v35
	v_add_f32_e32 v19, v34, v19
	v_add_f32_e32 v19, v39, v19
	v_mul_f32_e32 v19, v43, v19
	v_add_f32_e32 v34, v44, v19
	v_add_f32_e32 v36, v45, v34
	v_mul_f32_e32 v19, v36, v36
	v_mov_b32_e32 v37, 0x3ecc95a3
	v_fmac_f32_e32 v37, 0x3e9b6dac, v19
	v_ldexp_f32 v35, v36, 1
	v_mul_f32_e32 v33, v36, v19
	v_fma_f32 v19, v19, v37, v25
	v_sub_f32_e32 v36, v36, v45
	v_sub_f32_e32 v34, v34, v36
	v_pk_mul_f32 v[36:37], v[32:33], v[18:19]
	v_ldexp_f32 v38, v34, 1
	v_fma_f32 v34, v32, s24, -v36
	v_fmac_f32_e32 v34, 0xb102e308, v32
	v_pk_add_f32 v[32:33], v[36:37], v[34:35]
	v_sub_f32_e32 v19, v33, v35
	v_sub_f32_e32 v19, v37, v19
	v_add_f32_e32 v39, v38, v19
	v_mov_b32_e32 v38, v36
	v_pk_add_f32 v[36:37], v[32:33], v[36:37] neg_lo:[0,1] neg_hi:[0,1]
	v_pk_add_f32 v[40:41], v[32:33], v[38:39]
	v_mov_b32_e32 v37, v41
	v_mov_b32_e32 v35, v32
	v_pk_add_f32 v[42:43], v[34:35], v[36:37] neg_lo:[0,1] neg_hi:[0,1]
	v_pk_add_f32 v[34:35], v[34:35], v[36:37]
	v_mov_b32_e32 v36, v35
	v_pk_add_f32 v[44:45], v[36:37], v[32:33] neg_lo:[0,1] neg_hi:[0,1]
	v_mov_b32_e32 v19, v44
	v_pk_add_f32 v[46:47], v[40:41], v[18:19] neg_lo:[0,1] neg_hi:[0,1]
	v_mov_b32_e32 v34, v41
	v_mov_b32_e32 v40, v33
	;; [unrolled: 1-line block ×4, first 2 shown]
	v_pk_add_f32 v[34:35], v[34:35], v[40:41] neg_lo:[0,1] neg_hi:[0,1]
	v_mov_b32_e32 v38, v39
	v_mov_b32_e32 v39, v32
	v_pk_add_f32 v[32:33], v[38:39], v[34:35] neg_lo:[0,1] neg_hi:[0,1]
	v_mov_b32_e32 v46, v42
	v_pk_add_f32 v[34:35], v[46:47], v[32:33]
	v_mov_b32_e32 v38, v35
	v_pk_add_f32 v[38:39], v[34:35], v[38:39]
	v_pk_add_f32 v[36:37], v[36:37], v[38:39]
	v_mov_b32_e32 v35, v36
	v_pk_add_f32 v[40:41], v[34:35], v[42:43] neg_lo:[0,1] neg_hi:[0,1]
	v_mov_b32_e32 v33, v38
	v_sub_f32_e32 v19, v34, v40
	v_pk_add_f32 v[32:33], v[32:33], v[40:41] neg_lo:[0,1] neg_hi:[0,1]
	v_sub_f32_e32 v19, v42, v19
	v_add_f32_e32 v19, v32, v19
	v_add_f32_e32 v19, v19, v33
	;; [unrolled: 1-line block ×3, first 2 shown]
	v_cmp_eq_f32_e64 s[4:5], s22, v31
	v_cndmask_b32_e64 v19, v19, v31, s[4:5]
	v_cmp_ngt_f32_e64 s[4:5], -1.0, v31
	v_cndmask_b32_e64 v19, v26, v19, s[4:5]
	v_cmp_neq_f32_e64 s[4:5], -1.0, v31
	v_cndmask_b32_e64 v19, v27, v19, s[4:5]
	v_cmp_lt_f32_e64 s[4:5], |v31|, s21
	v_cndmask_b32_e64 v19, v19, v31, s[4:5]
	v_mov_b32_e32 v31, s9
	v_add_co_u32_e64 v32, s[4:5], s8, v4
	v_addc_co_u32_e64 v33, s[4:5], v3, v31, s[4:5]
	global_store_dword v[32:33], v19, off
	s_or_b64 exec, exec, s[6:7]
	s_and_saveexec_b64 s[4:5], s[2:3]
	s_cbranch_execz .LBB203_18
.LBB203_22:                             ;   in Loop: Header=BB203_9 Depth=1
	s_waitcnt vmcnt(0)
	v_add_f32_e32 v19, 1.0, v30
	v_add_f32_e32 v31, -1.0, v19
	v_sub_f32_e32 v32, v31, v19
	v_add_f32_e32 v32, 1.0, v32
	v_sub_f32_e32 v31, v30, v31
	v_add_f32_e32 v31, v31, v32
	v_frexp_mant_f32_e32 v34, v19
	v_cvt_f64_f32_e32 v[32:33], v19
	v_frexp_exp_i32_f64_e32 v32, v[32:33]
	v_cmp_gt_f32_e64 s[2:3], s23, v34
	v_subbrev_co_u32_e64 v32, s[2:3], 0, v32, s[2:3]
	v_sub_u32_e32 v33, 0, v32
	v_ldexp_f32 v19, v19, v33
	v_ldexp_f32 v31, v31, v33
	v_add_f32_e32 v33, -1.0, v19
	v_add_f32_e32 v36, 1.0, v19
	v_add_f32_e32 v34, 1.0, v33
	v_add_f32_e32 v37, -1.0, v36
	v_sub_f32_e32 v34, v19, v34
	v_sub_f32_e32 v19, v19, v37
	v_add_f32_e32 v19, v31, v19
	v_add_f32_e32 v34, v31, v34
	v_add_f32_e32 v31, v36, v19
	v_rcp_f32_e32 v37, v31
	v_add_f32_e32 v35, v33, v34
	v_sub_f32_e32 v33, v35, v33
	v_sub_f32_e32 v33, v34, v33
	;; [unrolled: 1-line block ×4, first 2 shown]
	v_mul_f32_e32 v34, v35, v37
	v_mul_f32_e32 v36, v31, v34
	v_fma_f32 v38, v34, v31, -v36
	v_fmac_f32_e32 v38, v34, v19
	v_add_f32_e32 v39, v36, v38
	v_sub_f32_e32 v40, v35, v39
	v_sub_f32_e32 v35, v35, v40
	;; [unrolled: 1-line block ×4, first 2 shown]
	v_add_f32_e32 v33, v33, v35
	v_sub_f32_e32 v35, v36, v38
	v_add_f32_e32 v33, v35, v33
	v_add_f32_e32 v35, v40, v33
	v_mul_f32_e32 v36, v37, v35
	v_mul_f32_e32 v38, v31, v36
	v_fma_f32 v31, v36, v31, -v38
	v_fmac_f32_e32 v31, v36, v19
	v_sub_f32_e32 v19, v40, v35
	v_add_f32_e32 v19, v33, v19
	v_add_f32_e32 v33, v38, v31
	v_sub_f32_e32 v39, v35, v33
	v_sub_f32_e32 v35, v35, v39
	;; [unrolled: 1-line block ×4, first 2 shown]
	v_add_f32_e32 v19, v19, v33
	v_sub_f32_e32 v31, v38, v31
	v_cvt_f32_i32_e32 v32, v32
	v_add_f32_e32 v19, v31, v19
	v_add_f32_e32 v31, v34, v36
	;; [unrolled: 1-line block ×3, first 2 shown]
	v_sub_f32_e32 v33, v31, v34
	v_mul_f32_e32 v19, v37, v19
	v_sub_f32_e32 v33, v36, v33
	v_add_f32_e32 v19, v33, v19
	v_mul_f32_e32 v36, 0x3f317218, v32
	v_add_f32_e32 v33, v31, v19
	v_fma_f32 v37, v32, s24, -v36
	v_mul_f32_e32 v34, v33, v33
	v_mov_b32_e32 v35, 0x3ecc95a3
	v_fmac_f32_e32 v37, 0xb102e308, v32
	v_sub_f32_e32 v31, v33, v31
	v_fmac_f32_e32 v35, 0x3e9b6dac, v34
	v_sub_f32_e32 v19, v19, v31
	v_add_f32_e32 v31, v36, v37
	v_fma_f32 v35, v34, v35, v25
	v_sub_f32_e32 v32, v31, v36
	v_ldexp_f32 v36, v33, 1
	v_mul_f32_e32 v33, v33, v34
	v_mul_f32_e32 v33, v33, v35
	v_add_f32_e32 v34, v36, v33
	v_sub_f32_e32 v35, v34, v36
	v_ldexp_f32 v19, v19, 1
	v_sub_f32_e32 v33, v33, v35
	v_add_f32_e32 v19, v19, v33
	v_add_f32_e32 v33, v34, v19
	v_sub_f32_e32 v34, v33, v34
	v_sub_f32_e32 v19, v19, v34
	v_add_f32_e32 v34, v31, v33
	v_sub_f32_e32 v35, v34, v31
	v_sub_f32_e32 v36, v34, v35
	;; [unrolled: 1-line block ×5, first 2 shown]
	v_add_f32_e32 v31, v33, v31
	v_add_f32_e32 v33, v32, v19
	v_sub_f32_e32 v35, v33, v32
	v_sub_f32_e32 v36, v33, v35
	;; [unrolled: 1-line block ×4, first 2 shown]
	v_add_f32_e32 v31, v33, v31
	v_add_f32_e32 v19, v19, v32
	;; [unrolled: 1-line block ×3, first 2 shown]
	v_sub_f32_e32 v33, v32, v34
	v_sub_f32_e32 v31, v31, v33
	v_add_f32_e32 v19, v19, v31
	v_add_f32_e32 v19, v32, v19
	v_cmp_eq_f32_e64 s[2:3], s22, v30
	v_cndmask_b32_e64 v19, v19, v30, s[2:3]
	v_cmp_ngt_f32_e64 s[2:3], -1.0, v30
	v_cndmask_b32_e64 v19, v26, v19, s[2:3]
	v_cmp_neq_f32_e64 s[2:3], -1.0, v30
	v_cndmask_b32_e64 v19, v27, v19, s[2:3]
	v_cmp_lt_f32_e64 s[2:3], |v30|, s21
	v_cndmask_b32_e64 v19, v19, v30, s[2:3]
	v_mov_b32_e32 v31, s9
	v_add_co_u32_e64 v30, s[2:3], s8, v16
	v_addc_co_u32_e64 v31, s[2:3], v15, v31, s[2:3]
	global_store_dword v[30:31], v19, off
	s_or_b64 exec, exec, s[4:5]
	s_and_saveexec_b64 s[2:3], s[0:1]
	s_cbranch_execz .LBB203_19
.LBB203_23:                             ;   in Loop: Header=BB203_9 Depth=1
	s_waitcnt vmcnt(0)
	v_add_f32_e32 v19, 1.0, v29
	v_add_f32_e32 v30, -1.0, v19
	v_sub_f32_e32 v31, v30, v19
	v_add_f32_e32 v31, 1.0, v31
	v_sub_f32_e32 v30, v29, v30
	v_add_f32_e32 v32, v30, v31
	v_frexp_mant_f32_e32 v33, v19
	v_cvt_f64_f32_e32 v[30:31], v19
	v_frexp_exp_i32_f64_e32 v30, v[30:31]
	v_cmp_gt_f32_e64 s[0:1], s23, v33
	v_subbrev_co_u32_e64 v30, s[0:1], 0, v30, s[0:1]
	v_sub_u32_e32 v31, 0, v30
	v_ldexp_f32 v19, v19, v31
	v_ldexp_f32 v31, v32, v31
	v_add_f32_e32 v32, -1.0, v19
	v_add_f32_e32 v35, 1.0, v19
	v_add_f32_e32 v33, 1.0, v32
	v_add_f32_e32 v36, -1.0, v35
	v_sub_f32_e32 v33, v19, v33
	v_sub_f32_e32 v19, v19, v36
	v_add_f32_e32 v19, v31, v19
	v_add_f32_e32 v33, v31, v33
	v_add_f32_e32 v31, v35, v19
	v_rcp_f32_e32 v36, v31
	v_add_f32_e32 v34, v32, v33
	v_sub_f32_e32 v32, v34, v32
	v_sub_f32_e32 v32, v33, v32
	;; [unrolled: 1-line block ×4, first 2 shown]
	v_mul_f32_e32 v33, v34, v36
	v_mul_f32_e32 v35, v31, v33
	v_fma_f32 v37, v33, v31, -v35
	v_fmac_f32_e32 v37, v33, v19
	v_add_f32_e32 v38, v35, v37
	v_sub_f32_e32 v39, v34, v38
	v_sub_f32_e32 v34, v34, v39
	;; [unrolled: 1-line block ×4, first 2 shown]
	v_add_f32_e32 v32, v32, v34
	v_sub_f32_e32 v34, v35, v37
	v_add_f32_e32 v32, v34, v32
	v_add_f32_e32 v34, v39, v32
	v_mul_f32_e32 v35, v36, v34
	v_mul_f32_e32 v37, v31, v35
	v_fma_f32 v31, v35, v31, -v37
	v_fmac_f32_e32 v31, v35, v19
	v_sub_f32_e32 v19, v39, v34
	v_add_f32_e32 v19, v32, v19
	v_add_f32_e32 v32, v37, v31
	v_sub_f32_e32 v38, v34, v32
	v_sub_f32_e32 v34, v34, v38
	;; [unrolled: 1-line block ×4, first 2 shown]
	v_add_f32_e32 v19, v19, v32
	v_sub_f32_e32 v31, v37, v31
	v_cvt_f32_i32_e32 v30, v30
	v_add_f32_e32 v19, v31, v19
	v_add_f32_e32 v31, v33, v35
	;; [unrolled: 1-line block ×3, first 2 shown]
	v_sub_f32_e32 v32, v31, v33
	v_mul_f32_e32 v19, v36, v19
	v_sub_f32_e32 v32, v35, v32
	v_add_f32_e32 v19, v32, v19
	v_mul_f32_e32 v35, 0x3f317218, v30
	v_add_f32_e32 v32, v31, v19
	v_fma_f32 v36, v30, s24, -v35
	v_mul_f32_e32 v33, v32, v32
	v_mov_b32_e32 v34, 0x3ecc95a3
	v_fmac_f32_e32 v36, 0xb102e308, v30
	v_sub_f32_e32 v30, v32, v31
	v_fmac_f32_e32 v34, 0x3e9b6dac, v33
	v_sub_f32_e32 v19, v19, v30
	v_add_f32_e32 v30, v35, v36
	v_fma_f32 v34, v33, v34, v25
	v_sub_f32_e32 v31, v30, v35
	v_ldexp_f32 v35, v32, 1
	v_mul_f32_e32 v32, v32, v33
	v_mul_f32_e32 v32, v32, v34
	v_add_f32_e32 v33, v35, v32
	v_sub_f32_e32 v34, v33, v35
	v_ldexp_f32 v19, v19, 1
	v_sub_f32_e32 v32, v32, v34
	v_add_f32_e32 v19, v19, v32
	v_add_f32_e32 v32, v33, v19
	v_sub_f32_e32 v33, v32, v33
	v_sub_f32_e32 v19, v19, v33
	v_add_f32_e32 v33, v30, v32
	v_sub_f32_e32 v34, v33, v30
	v_sub_f32_e32 v35, v33, v34
	;; [unrolled: 1-line block ×5, first 2 shown]
	v_add_f32_e32 v30, v32, v30
	v_add_f32_e32 v32, v31, v19
	v_sub_f32_e32 v34, v32, v31
	v_sub_f32_e32 v35, v32, v34
	;; [unrolled: 1-line block ×4, first 2 shown]
	v_add_f32_e32 v30, v32, v30
	v_add_f32_e32 v19, v19, v31
	;; [unrolled: 1-line block ×3, first 2 shown]
	v_sub_f32_e32 v32, v31, v33
	v_sub_f32_e32 v30, v30, v32
	v_add_f32_e32 v19, v19, v30
	v_add_f32_e32 v19, v31, v19
	v_cmp_eq_f32_e64 s[0:1], s22, v29
	v_cndmask_b32_e64 v19, v19, v29, s[0:1]
	v_cmp_ngt_f32_e64 s[0:1], -1.0, v29
	v_cndmask_b32_e64 v19, v26, v19, s[0:1]
	v_cmp_neq_f32_e64 s[0:1], -1.0, v29
	v_cndmask_b32_e64 v19, v27, v19, s[0:1]
	v_cmp_lt_f32_e64 s[0:1], |v29|, s21
	v_cndmask_b32_e64 v19, v19, v29, s[0:1]
	v_mov_b32_e32 v29, s9
	v_add_co_u32_e64 v30, s[0:1], s8, v12
	v_addc_co_u32_e64 v31, s[0:1], v11, v29, s[0:1]
	global_store_dword v[30:31], v19, off
	s_or_b64 exec, exec, s[2:3]
	s_and_saveexec_b64 s[0:1], vcc
	s_cbranch_execz .LBB203_8
.LBB203_24:                             ;   in Loop: Header=BB203_9 Depth=1
	s_waitcnt vmcnt(0)
	v_add_f32_e32 v19, 1.0, v28
	v_add_f32_e32 v29, -1.0, v19
	v_sub_f32_e32 v30, v29, v19
	v_add_f32_e32 v30, 1.0, v30
	v_sub_f32_e32 v29, v28, v29
	v_add_f32_e32 v29, v29, v30
	v_frexp_mant_f32_e32 v32, v19
	v_cvt_f64_f32_e32 v[30:31], v19
	v_frexp_exp_i32_f64_e32 v30, v[30:31]
	v_cmp_gt_f32_e32 vcc, s23, v32
	v_subbrev_co_u32_e32 v30, vcc, 0, v30, vcc
	v_sub_u32_e32 v31, 0, v30
	v_ldexp_f32 v19, v19, v31
	v_ldexp_f32 v29, v29, v31
	v_add_f32_e32 v31, -1.0, v19
	v_add_f32_e32 v34, 1.0, v19
	v_add_f32_e32 v32, 1.0, v31
	v_add_f32_e32 v35, -1.0, v34
	v_sub_f32_e32 v32, v19, v32
	v_sub_f32_e32 v19, v19, v35
	v_add_f32_e32 v19, v29, v19
	v_add_f32_e32 v32, v29, v32
	;; [unrolled: 1-line block ×3, first 2 shown]
	v_rcp_f32_e32 v35, v29
	v_add_f32_e32 v33, v31, v32
	v_sub_f32_e32 v31, v33, v31
	v_sub_f32_e32 v31, v32, v31
	;; [unrolled: 1-line block ×4, first 2 shown]
	v_mul_f32_e32 v32, v33, v35
	v_mul_f32_e32 v34, v29, v32
	v_fma_f32 v36, v32, v29, -v34
	v_fmac_f32_e32 v36, v32, v19
	v_add_f32_e32 v37, v34, v36
	v_sub_f32_e32 v38, v33, v37
	v_sub_f32_e32 v33, v33, v38
	;; [unrolled: 1-line block ×4, first 2 shown]
	v_add_f32_e32 v31, v31, v33
	v_sub_f32_e32 v33, v34, v36
	v_add_f32_e32 v31, v33, v31
	v_add_f32_e32 v33, v38, v31
	v_mul_f32_e32 v34, v35, v33
	v_mul_f32_e32 v36, v29, v34
	v_fma_f32 v29, v34, v29, -v36
	v_fmac_f32_e32 v29, v34, v19
	v_sub_f32_e32 v19, v38, v33
	v_add_f32_e32 v19, v31, v19
	v_add_f32_e32 v31, v36, v29
	v_sub_f32_e32 v37, v33, v31
	v_sub_f32_e32 v33, v33, v37
	;; [unrolled: 1-line block ×4, first 2 shown]
	v_add_f32_e32 v19, v19, v31
	v_sub_f32_e32 v29, v36, v29
	v_cvt_f32_i32_e32 v30, v30
	v_add_f32_e32 v19, v29, v19
	v_add_f32_e32 v29, v32, v34
	;; [unrolled: 1-line block ×3, first 2 shown]
	v_sub_f32_e32 v31, v29, v32
	v_mul_f32_e32 v19, v35, v19
	v_sub_f32_e32 v31, v34, v31
	v_add_f32_e32 v19, v31, v19
	v_mul_f32_e32 v34, 0x3f317218, v30
	v_add_f32_e32 v31, v29, v19
	v_fma_f32 v35, v30, s24, -v34
	v_mul_f32_e32 v32, v31, v31
	v_mov_b32_e32 v33, 0x3ecc95a3
	v_fmac_f32_e32 v35, 0xb102e308, v30
	v_sub_f32_e32 v29, v31, v29
	v_fmac_f32_e32 v33, 0x3e9b6dac, v32
	v_sub_f32_e32 v19, v19, v29
	v_add_f32_e32 v29, v34, v35
	v_fma_f32 v33, v32, v33, v25
	v_sub_f32_e32 v30, v29, v34
	v_ldexp_f32 v34, v31, 1
	v_mul_f32_e32 v31, v31, v32
	v_mul_f32_e32 v31, v31, v33
	v_add_f32_e32 v32, v34, v31
	v_sub_f32_e32 v33, v32, v34
	v_ldexp_f32 v19, v19, 1
	v_sub_f32_e32 v31, v31, v33
	v_add_f32_e32 v19, v19, v31
	v_add_f32_e32 v31, v32, v19
	v_sub_f32_e32 v32, v31, v32
	v_sub_f32_e32 v19, v19, v32
	v_add_f32_e32 v32, v29, v31
	v_sub_f32_e32 v33, v32, v29
	v_sub_f32_e32 v34, v32, v33
	;; [unrolled: 1-line block ×5, first 2 shown]
	v_add_f32_e32 v29, v31, v29
	v_add_f32_e32 v31, v30, v19
	v_sub_f32_e32 v33, v31, v30
	v_sub_f32_e32 v34, v31, v33
	;; [unrolled: 1-line block ×4, first 2 shown]
	v_add_f32_e32 v29, v31, v29
	v_add_f32_e32 v19, v19, v30
	;; [unrolled: 1-line block ×3, first 2 shown]
	v_sub_f32_e32 v31, v30, v32
	v_sub_f32_e32 v29, v29, v31
	v_add_f32_e32 v19, v19, v29
	v_add_f32_e32 v19, v30, v19
	v_cmp_eq_f32_e32 vcc, s22, v28
	v_cndmask_b32_e32 v19, v19, v28, vcc
	v_cmp_ngt_f32_e32 vcc, -1.0, v28
	v_cndmask_b32_e32 v19, v26, v19, vcc
	v_cmp_neq_f32_e32 vcc, -1.0, v28
	v_cndmask_b32_e32 v19, v27, v19, vcc
	v_cmp_lt_f32_e64 vcc, |v28|, s21
	v_cndmask_b32_e32 v19, v19, v28, vcc
	v_mov_b32_e32 v29, s9
	v_add_co_u32_e32 v28, vcc, s8, v8
	v_addc_co_u32_e32 v29, vcc, v7, v29, vcc
	global_store_dword v[28:29], v19, off
	s_branch .LBB203_8
.LBB203_25:
	s_endpgm
	.section	.rodata,"a",@progbits
	.p2align	6, 0x0
	.amdhsa_kernel _ZN2at6native12_GLOBAL__N_125multi_tensor_apply_kernelINS1_18TensorListMetadataILi2EEENS1_14UnaryOpFunctorIfLi2ELi1ELi1EEEJNS0_5Log1pIfEEEEEvT_T0_DpT1_
		.amdhsa_group_segment_fixed_size 0
		.amdhsa_private_segment_fixed_size 0
		.amdhsa_kernarg_size 3408
		.amdhsa_user_sgpr_count 6
		.amdhsa_user_sgpr_private_segment_buffer 1
		.amdhsa_user_sgpr_dispatch_ptr 0
		.amdhsa_user_sgpr_queue_ptr 0
		.amdhsa_user_sgpr_kernarg_segment_ptr 1
		.amdhsa_user_sgpr_dispatch_id 0
		.amdhsa_user_sgpr_flat_scratch_init 0
		.amdhsa_user_sgpr_kernarg_preload_length 0
		.amdhsa_user_sgpr_kernarg_preload_offset 0
		.amdhsa_user_sgpr_private_segment_size 0
		.amdhsa_uses_dynamic_stack 0
		.amdhsa_system_sgpr_private_segment_wavefront_offset 0
		.amdhsa_system_sgpr_workgroup_id_x 1
		.amdhsa_system_sgpr_workgroup_id_y 0
		.amdhsa_system_sgpr_workgroup_id_z 0
		.amdhsa_system_sgpr_workgroup_info 0
		.amdhsa_system_vgpr_workitem_id 0
		.amdhsa_next_free_vgpr 60
		.amdhsa_next_free_sgpr 31
		.amdhsa_accum_offset 60
		.amdhsa_reserve_vcc 1
		.amdhsa_reserve_flat_scratch 0
		.amdhsa_float_round_mode_32 0
		.amdhsa_float_round_mode_16_64 0
		.amdhsa_float_denorm_mode_32 3
		.amdhsa_float_denorm_mode_16_64 3
		.amdhsa_dx10_clamp 1
		.amdhsa_ieee_mode 1
		.amdhsa_fp16_overflow 0
		.amdhsa_tg_split 0
		.amdhsa_exception_fp_ieee_invalid_op 0
		.amdhsa_exception_fp_denorm_src 0
		.amdhsa_exception_fp_ieee_div_zero 0
		.amdhsa_exception_fp_ieee_overflow 0
		.amdhsa_exception_fp_ieee_underflow 0
		.amdhsa_exception_fp_ieee_inexact 0
		.amdhsa_exception_int_div_zero 0
	.end_amdhsa_kernel
	.section	.text._ZN2at6native12_GLOBAL__N_125multi_tensor_apply_kernelINS1_18TensorListMetadataILi2EEENS1_14UnaryOpFunctorIfLi2ELi1ELi1EEEJNS0_5Log1pIfEEEEEvT_T0_DpT1_,"axG",@progbits,_ZN2at6native12_GLOBAL__N_125multi_tensor_apply_kernelINS1_18TensorListMetadataILi2EEENS1_14UnaryOpFunctorIfLi2ELi1ELi1EEEJNS0_5Log1pIfEEEEEvT_T0_DpT1_,comdat
.Lfunc_end203:
	.size	_ZN2at6native12_GLOBAL__N_125multi_tensor_apply_kernelINS1_18TensorListMetadataILi2EEENS1_14UnaryOpFunctorIfLi2ELi1ELi1EEEJNS0_5Log1pIfEEEEEvT_T0_DpT1_, .Lfunc_end203-_ZN2at6native12_GLOBAL__N_125multi_tensor_apply_kernelINS1_18TensorListMetadataILi2EEENS1_14UnaryOpFunctorIfLi2ELi1ELi1EEEJNS0_5Log1pIfEEEEEvT_T0_DpT1_
                                        ; -- End function
	.section	.AMDGPU.csdata,"",@progbits
; Kernel info:
; codeLenInByte = 5712
; NumSgprs: 35
; NumVgprs: 60
; NumAgprs: 0
; TotalNumVgprs: 60
; ScratchSize: 0
; MemoryBound: 0
; FloatMode: 240
; IeeeMode: 1
; LDSByteSize: 0 bytes/workgroup (compile time only)
; SGPRBlocks: 4
; VGPRBlocks: 7
; NumSGPRsForWavesPerEU: 35
; NumVGPRsForWavesPerEU: 60
; AccumOffset: 60
; Occupancy: 8
; WaveLimiterHint : 0
; COMPUTE_PGM_RSRC2:SCRATCH_EN: 0
; COMPUTE_PGM_RSRC2:USER_SGPR: 6
; COMPUTE_PGM_RSRC2:TRAP_HANDLER: 0
; COMPUTE_PGM_RSRC2:TGID_X_EN: 1
; COMPUTE_PGM_RSRC2:TGID_Y_EN: 0
; COMPUTE_PGM_RSRC2:TGID_Z_EN: 0
; COMPUTE_PGM_RSRC2:TIDIG_COMP_CNT: 0
; COMPUTE_PGM_RSRC3_GFX90A:ACCUM_OFFSET: 14
; COMPUTE_PGM_RSRC3_GFX90A:TG_SPLIT: 0
	.section	.text._ZN2at6native12_GLOBAL__N_125multi_tensor_apply_kernelINS1_18TensorListMetadataILi2EEENS1_14UnaryOpFunctorIN3c107complexIdEELi2ELi1ELi1EEEJNS0_5Log1pIS8_EEEEEvT_T0_DpT1_,"axG",@progbits,_ZN2at6native12_GLOBAL__N_125multi_tensor_apply_kernelINS1_18TensorListMetadataILi2EEENS1_14UnaryOpFunctorIN3c107complexIdEELi2ELi1ELi1EEEJNS0_5Log1pIS8_EEEEEvT_T0_DpT1_,comdat
	.globl	_ZN2at6native12_GLOBAL__N_125multi_tensor_apply_kernelINS1_18TensorListMetadataILi2EEENS1_14UnaryOpFunctorIN3c107complexIdEELi2ELi1ELi1EEEJNS0_5Log1pIS8_EEEEEvT_T0_DpT1_ ; -- Begin function _ZN2at6native12_GLOBAL__N_125multi_tensor_apply_kernelINS1_18TensorListMetadataILi2EEENS1_14UnaryOpFunctorIN3c107complexIdEELi2ELi1ELi1EEEJNS0_5Log1pIS8_EEEEEvT_T0_DpT1_
	.p2align	8
	.type	_ZN2at6native12_GLOBAL__N_125multi_tensor_apply_kernelINS1_18TensorListMetadataILi2EEENS1_14UnaryOpFunctorIN3c107complexIdEELi2ELi1ELi1EEEJNS0_5Log1pIS8_EEEEEvT_T0_DpT1_,@function
_ZN2at6native12_GLOBAL__N_125multi_tensor_apply_kernelINS1_18TensorListMetadataILi2EEENS1_14UnaryOpFunctorIN3c107complexIdEELi2ELi1ELi1EEEJNS0_5Log1pIS8_EEEEEvT_T0_DpT1_: ; @_ZN2at6native12_GLOBAL__N_125multi_tensor_apply_kernelINS1_18TensorListMetadataILi2EEENS1_14UnaryOpFunctorIN3c107complexIdEELi2ELi1ELi1EEEJNS0_5Log1pIS8_EEEEEvT_T0_DpT1_
; %bb.0:
	v_mov_b32_e32 v1, s6
	global_load_ubyte v1, v1, s[4:5] offset:1536
	s_add_u32 s0, s4, s6
	s_mul_hi_u32 s3, s6, 3
	s_mul_i32 s6, s6, 3
	s_addc_u32 s7, s5, 0
	s_add_u32 s2, s0, s6
	s_addc_u32 s3, s7, s3
	s_load_dword s2, s[2:3], 0x740
                                        ; implicit-def: $vgpr138 : SGPR spill to VGPR lane
	s_mov_b32 s17, 0
	s_mov_b32 s1, s17
	s_waitcnt lgkmcnt(0)
	s_ashr_i32 s3, s2, 31
	s_lshl_b64 s[22:23], s[2:3], 20
	s_waitcnt vmcnt(0)
	v_readfirstlane_b32 s0, v1
	s_lshl_b32 s0, s0, 3
	s_load_dwordx2 s[6:7], s[4:5], s0 offset:0x0
	s_load_dwordx2 s[10:11], s[4:5], s0 offset:0x400
	;; [unrolled: 1-line block ×3, first 2 shown]
	s_waitcnt lgkmcnt(0)
	s_add_u32 s33, s6, s22
	v_writelane_b32 v138, s6, 0
	s_addc_u32 s42, s7, s23
	v_writelane_b32 v138, s7, 1
	s_add_u32 s43, s8, s22
	v_writelane_b32 v138, s8, 2
	s_addc_u32 s82, s9, s23
	s_and_b32 s0, s33, 63
	s_and_b32 s6, s10, 3
	s_mov_b32 s7, s17
	s_and_b32 s16, s43, 63
	s_or_b64 s[0:1], s[0:1], s[6:7]
	s_lshl_b64 s[2:3], s[2:3], 16
	s_or_b64 s[0:1], s[16:17], s[0:1]
	s_sub_u32 s24, s10, s2
	s_subb_u32 s25, s11, s3
	s_cmp_eq_u64 s[0:1], 0
	s_mov_b64 s[0:1], -1
	v_writelane_b32 v138, s9, 3
	s_cbranch_scc0 .LBB204_29
; %bb.1:
	v_mov_b32_e32 v18, 0
	v_writelane_b32 v138, s4, 4
	v_lshlrev_b32_e32 v2, 2, v0
	v_mov_b32_e32 v3, v18
	v_writelane_b32 v138, s5, 5
	v_cmp_gt_i64_e32 vcc, s[24:25], v[2:3]
	s_mov_b64 s[0:1], exec
	v_writelane_b32 v138, s0, 6
	v_writelane_b32 v138, s1, 7
	s_and_b64 s[0:1], s[0:1], vcc
	s_mov_b64 exec, s[0:1]
	s_cbranch_execz .LBB204_28
; %bb.2:
	v_readlane_b32 s0, v138, 4
	v_readlane_b32 s1, v138, 5
	s_load_dword s0, s[0:1], 0xc5c
	s_mov_b32 s26, 0x55555555
	s_mov_b32 s28, 0xbf559e2b
	;; [unrolled: 1-line block ×4, first 2 shown]
	s_waitcnt lgkmcnt(0)
	s_and_b32 s0, s0, 0xffff
	s_mov_b32 s36, 0
	s_mov_b32 s38, 0x54442d18
	s_mov_b32 s44, 0xb5e68a13
	s_mov_b32 s46, 0x69efb384
	s_mov_b32 s48, 0xaf56de9b
	s_mov_b32 s50, 0xa595c56f
	s_mov_b32 s52, 0xa57d9582
	s_mov_b32 s54, 0x5f08b19f
	s_mov_b32 s56, 0xfc27006a
	s_mov_b32 s58, 0x5711927a
	s_mov_b32 s60, 0xe82d3ff0
	s_mov_b32 s62, 0x6ef28734
	s_mov_b32 s64, 0x6a214619
	s_mov_b32 s66, 0x8427b883
	s_mov_b32 s68, 0x8b207f05
	s_mov_b32 s70, 0x57b87036
	s_mov_b32 s72, 0x19378e4f
	s_mov_b32 s74, 0x17e1913c
	s_mov_b32 s76, 0x92376b7d
	s_mov_b32 s78, 0x999952cc
	s_mov_b32 s80, 0x55555523
	v_lshlrev_b32_e32 v20, 6, v0
	v_mov_b32_e32 v23, v18
	s_lshl_b32 s16, s0, 6
	v_add_lshl_u32 v22, v0, s0, 2
	s_lshl_b32 s4, s0, 2
	s_mov_b64 s[20:21], 0
	s_movk_i32 s83, 0x204
	s_mov_b32 s27, 0x3fe55555
	s_mov_b32 s29, 0x3fc3ab76
	;; [unrolled: 1-line block ×4, first 2 shown]
	s_brev_b32 s5, -2
	s_mov_b32 s37, 0x7ff00000
	s_mov_b32 s39, 0x3ff921fb
	;; [unrolled: 1-line block ×23, first 2 shown]
	v_mov_b32_e32 v1, 0x7ff80000
	v_mov_b32_e32 v21, 0x7ff00000
	v_mov_b32_e32 v62, 0x3ff00000
	v_mov_b32_e32 v24, 0x6b47b09a
	v_mov_b32_e32 v25, 0x3fc38538
	v_mov_b32_e32 v26, 0xd7f4df2e
	v_mov_b32_e32 v27, 0x3fc7474d
	v_mov_b32_e32 v28, 0x16291751
	v_mov_b32_e32 v29, 0x3fcc71c0
	v_mov_b32_e32 v30, 0x9b27acf1
	v_mov_b32_e32 v31, 0x3fd24924
	v_mov_b32_e32 v32, 0x998ef7b6
	v_mov_b32_e32 v33, 0x3fd99999
	v_mov_b32_e32 v34, 0x55555780
	v_mov_b32_e32 v35, 0x3fe55555
	v_mov_b32_e32 v63, 0xfff00000
	v_mov_b32_e32 v64, 0x54442d18
	v_mov_b32_e32 v65, 0x7f3321d2
	v_mov_b32_e32 v66, 0x3fe921fb
	v_mov_b32_e32 v67, 0x4002d97c
	s_branch .LBB204_5
.LBB204_3:                              ;   in Loop: Header=BB204_5 Depth=1
	s_or_b64 exec, exec, s[14:15]
.LBB204_4:                              ;   in Loop: Header=BB204_5 Depth=1
	s_or_b64 exec, exec, s[10:11]
	v_max_f64 v[60:61], |v[48:49]|, |v[48:49]|
	v_min_f64 v[50:51], v[60:61], v[50:51]
	v_div_scale_f64 v[60:61], s[10:11], v[52:53], v[52:53], v[50:51]
	v_rcp_f64_e32 v[68:69], v[60:61]
	v_div_scale_f64 v[70:71], vcc, v[50:51], v[52:53], v[50:51]
	s_mov_b32 s10, 0xbd3237f4
	v_fma_f64 v[72:73], -v[60:61], v[68:69], 1.0
	v_fmac_f64_e32 v[68:69], v[68:69], v[72:73]
	v_fma_f64 v[72:73], -v[60:61], v[68:69], 1.0
	v_fmac_f64_e32 v[68:69], v[68:69], v[72:73]
	v_mul_f64 v[72:73], v[70:71], v[68:69]
	v_fma_f64 v[60:61], -v[60:61], v[72:73], v[70:71]
	v_div_fmas_f64 v[60:61], v[60:61], v[68:69], v[72:73]
	v_div_fixup_f64 v[50:51], v[60:61], v[52:53], v[50:51]
	s_mov_b32 s11, 0xbf23e260
	v_mul_f64 v[52:53], v[50:51], v[50:51]
	v_pk_mov_b32 v[60:61], s[10:11], s[10:11] op_sel:[0,1]
	v_fma_f64 v[68:69], s[44:45], v[52:53], v[60:61]
	v_fma_f64 v[68:69], v[52:53], v[68:69], s[46:47]
	;; [unrolled: 1-line block ×19, first 2 shown]
	v_mul_f64 v[52:53], v[52:53], v[68:69]
	v_fmac_f64_e32 v[50:51], v[50:51], v[52:53]
	v_add_f64 v[52:53], -v[50:51], s[38:39]
	v_cmp_lt_f64_e64 vcc, |v[48:49]|, |v[8:9]|
	v_cndmask_b32_e32 v51, v51, v53, vcc
	v_cndmask_b32_e32 v50, v50, v52, vcc
	v_cmp_gt_i32_e32 vcc, 0, v49
	v_add_f64 v[52:53], -v[50:51], s[40:41]
	v_ashrrev_i32_e32 v49, 31, v49
	v_cndmask_b32_e32 v19, v64, v65, vcc
	v_cndmask_b32_e32 v48, v66, v67, vcc
	v_cndmask_b32_e32 v51, v51, v53, vcc
	v_cndmask_b32_e32 v50, v50, v52, vcc
	v_and_b32_e32 v52, 0x400921fb, v49
	v_and_b32_e32 v49, 0x54442d18, v49
	v_cmp_eq_f64_e32 vcc, 0, v[8:9]
	v_cndmask_b32_e32 v8, v50, v49, vcc
	v_cndmask_b32_e32 v49, v51, v52, vcc
	v_bfi_b32 v48, s5, v48, v9
	s_and_b64 vcc, s[92:93], s[94:95]
	v_cndmask_b32_e32 v48, v49, v48, vcc
	v_cndmask_b32_e32 v8, v8, v19, vcc
	v_cndmask_b32_e64 v8, 0, v8, s[6:7]
	v_cndmask_b32_e64 v19, v1, v48, s[6:7]
	v_cmp_gt_i32_e64 s[6:7], 0, v43
	v_cndmask_b32_e64 v48, v66, v67, s[6:7]
	v_bfi_b32 v70, s5, v48, v13
	v_max_f64 v[48:49], |v[42:43]|, |v[42:43]|
	v_min_f64 v[44:45], v[48:49], v[44:45]
	v_div_scale_f64 v[48:49], s[10:11], v[46:47], v[46:47], v[44:45]
	v_rcp_f64_e32 v[50:51], v[48:49]
	v_ashrrev_i32_e32 v52, 31, v43
	v_and_b32_e32 v71, 0x400921fb, v52
	v_and_b32_e32 v72, 0x54442d18, v52
	v_fma_f64 v[52:53], -v[48:49], v[50:51], 1.0
	v_fmac_f64_e32 v[50:51], v[50:51], v[52:53]
	v_fma_f64 v[52:53], -v[48:49], v[50:51], 1.0
	v_fmac_f64_e32 v[50:51], v[50:51], v[52:53]
	v_div_scale_f64 v[52:53], vcc, v[44:45], v[46:47], v[44:45]
	v_mul_f64 v[68:69], v[52:53], v[50:51]
	v_fma_f64 v[48:49], -v[48:49], v[68:69], v[52:53]
	v_bfi_b32 v9, s5, v19, v9
	s_nop 0
	v_div_fmas_f64 v[48:49], v[48:49], v[50:51], v[68:69]
	v_div_fixup_f64 v[44:45], v[48:49], v[46:47], v[44:45]
	v_mul_f64 v[46:47], v[44:45], v[44:45]
	v_fma_f64 v[48:49], s[44:45], v[46:47], v[60:61]
	v_fma_f64 v[48:49], v[46:47], v[48:49], s[46:47]
	;; [unrolled: 1-line block ×19, first 2 shown]
	v_mul_f64 v[46:47], v[46:47], v[48:49]
	v_fmac_f64_e32 v[44:45], v[44:45], v[46:47]
	v_add_f64 v[46:47], -v[44:45], s[38:39]
	v_cmp_lt_f64_e64 vcc, |v[42:43]|, |v[12:13]|
	v_cndmask_b32_e32 v43, v45, v47, vcc
	v_cndmask_b32_e32 v42, v44, v46, vcc
	v_add_f64 v[44:45], -v[42:43], s[40:41]
	v_cndmask_b32_e64 v43, v43, v45, s[6:7]
	v_cndmask_b32_e64 v42, v42, v44, s[6:7]
	v_cmp_eq_f64_e32 vcc, 0, v[12:13]
	v_cndmask_b32_e64 v19, v64, v65, s[6:7]
	v_cndmask_b32_e32 v12, v42, v72, vcc
	v_cndmask_b32_e32 v42, v43, v71, vcc
	s_and_b64 vcc, s[88:89], s[90:91]
	v_cndmask_b32_e32 v42, v42, v70, vcc
	v_cndmask_b32_e32 v12, v12, v19, vcc
	v_cndmask_b32_e64 v12, 0, v12, s[2:3]
	v_cndmask_b32_e64 v19, v1, v42, s[2:3]
	v_cmp_gt_i32_e64 s[2:3], 0, v37
	v_cndmask_b32_e64 v42, v66, v67, s[2:3]
	v_bfi_b32 v50, s5, v42, v17
	v_max_f64 v[42:43], |v[36:37]|, |v[36:37]|
	v_min_f64 v[38:39], v[42:43], v[38:39]
	v_div_scale_f64 v[42:43], s[6:7], v[40:41], v[40:41], v[38:39]
	v_rcp_f64_e32 v[44:45], v[42:43]
	v_ashrrev_i32_e32 v46, 31, v37
	v_and_b32_e32 v51, 0x400921fb, v46
	v_and_b32_e32 v52, 0x54442d18, v46
	v_fma_f64 v[46:47], -v[42:43], v[44:45], 1.0
	v_fmac_f64_e32 v[44:45], v[44:45], v[46:47]
	v_fma_f64 v[46:47], -v[42:43], v[44:45], 1.0
	v_fmac_f64_e32 v[44:45], v[44:45], v[46:47]
	v_div_scale_f64 v[46:47], vcc, v[38:39], v[40:41], v[38:39]
	v_mul_f64 v[48:49], v[46:47], v[44:45]
	v_fma_f64 v[42:43], -v[42:43], v[48:49], v[46:47]
	v_bfi_b32 v13, s5, v19, v13
	s_nop 0
	v_div_fmas_f64 v[42:43], v[42:43], v[44:45], v[48:49]
	v_div_fixup_f64 v[38:39], v[42:43], v[40:41], v[38:39]
	v_mul_f64 v[40:41], v[38:39], v[38:39]
	v_fma_f64 v[42:43], s[44:45], v[40:41], v[60:61]
	v_fma_f64 v[42:43], v[40:41], v[42:43], s[46:47]
	;; [unrolled: 1-line block ×19, first 2 shown]
	v_mul_f64 v[40:41], v[40:41], v[42:43]
	v_fmac_f64_e32 v[38:39], v[38:39], v[40:41]
	v_add_f64 v[40:41], -v[38:39], s[38:39]
	v_cmp_lt_f64_e64 vcc, |v[36:37]|, |v[16:17]|
	v_cndmask_b32_e32 v37, v39, v41, vcc
	v_cndmask_b32_e32 v36, v38, v40, vcc
	v_add_f64 v[38:39], -v[36:37], s[40:41]
	v_cndmask_b32_e64 v37, v37, v39, s[2:3]
	v_cndmask_b32_e64 v36, v36, v38, s[2:3]
	v_cmp_eq_f64_e32 vcc, 0, v[16:17]
	v_cndmask_b32_e64 v19, v64, v65, s[2:3]
	v_cndmask_b32_e32 v16, v36, v52, vcc
	v_cndmask_b32_e32 v36, v37, v51, vcc
	s_and_b64 vcc, s[84:85], s[86:87]
	v_cndmask_b32_e32 v36, v36, v50, vcc
	v_cndmask_b32_e32 v16, v16, v19, vcc
	v_cndmask_b32_e64 v16, 0, v16, s[0:1]
	v_cndmask_b32_e64 v19, v1, v36, s[0:1]
	v_cmp_gt_i32_e64 s[0:1], 0, v55
	v_cndmask_b32_e64 v36, v66, v67, s[0:1]
	v_bfi_b32 v46, s5, v36, v5
	v_max_f64 v[36:37], |v[54:55]|, |v[54:55]|
	v_min_f64 v[36:37], v[36:37], v[56:57]
	v_div_scale_f64 v[38:39], s[2:3], v[58:59], v[58:59], v[36:37]
	v_rcp_f64_e32 v[40:41], v[38:39]
	v_ashrrev_i32_e32 v42, 31, v55
	v_and_b32_e32 v47, 0x400921fb, v42
	v_and_b32_e32 v48, 0x54442d18, v42
	v_fma_f64 v[42:43], -v[38:39], v[40:41], 1.0
	v_fmac_f64_e32 v[40:41], v[40:41], v[42:43]
	v_fma_f64 v[42:43], -v[38:39], v[40:41], 1.0
	v_fmac_f64_e32 v[40:41], v[40:41], v[42:43]
	v_div_scale_f64 v[42:43], vcc, v[36:37], v[58:59], v[36:37]
	v_mul_f64 v[44:45], v[42:43], v[40:41]
	v_fma_f64 v[38:39], -v[38:39], v[44:45], v[42:43]
	v_bfi_b32 v17, s5, v19, v17
	s_nop 0
	v_div_fmas_f64 v[38:39], v[38:39], v[40:41], v[44:45]
	v_div_fixup_f64 v[36:37], v[38:39], v[58:59], v[36:37]
	v_mul_f64 v[38:39], v[36:37], v[36:37]
	v_fma_f64 v[40:41], s[44:45], v[38:39], v[60:61]
	v_fma_f64 v[40:41], v[38:39], v[40:41], s[46:47]
	;; [unrolled: 1-line block ×19, first 2 shown]
	v_mul_f64 v[38:39], v[38:39], v[40:41]
	v_fmac_f64_e32 v[36:37], v[36:37], v[38:39]
	v_add_f64 v[38:39], -v[36:37], s[38:39]
	v_cmp_lt_f64_e64 vcc, |v[54:55]|, |v[4:5]|
	v_cndmask_b32_e32 v37, v37, v39, vcc
	v_cndmask_b32_e32 v36, v36, v38, vcc
	v_add_f64 v[38:39], -v[36:37], s[40:41]
	v_cndmask_b32_e64 v37, v37, v39, s[0:1]
	v_cndmask_b32_e64 v36, v36, v38, s[0:1]
	v_cmp_eq_f64_e32 vcc, 0, v[4:5]
	v_cndmask_b32_e32 v4, v36, v48, vcc
	v_cndmask_b32_e32 v36, v37, v47, vcc
	s_and_b64 vcc, s[18:19], s[12:13]
	v_cndmask_b32_e64 v19, v64, v65, s[0:1]
	v_cndmask_b32_e32 v36, v36, v46, vcc
	v_cndmask_b32_e32 v4, v4, v19, vcc
	v_cndmask_b32_e64 v19, v1, v36, s[8:9]
	v_bfi_b32 v5, s5, v19, v5
	v_mov_b32_e32 v19, s82
	v_add_co_u32_e32 v36, vcc, s43, v20
	v_addc_co_u32_e32 v37, vcc, 0, v19, vcc
	s_mov_b64 s[0:1], 0xffff
	v_cmp_le_i64_e32 vcc, s[24:25], v[22:23]
	v_cmp_lt_u64_e64 s[0:1], s[0:1], v[22:23]
	s_or_b64 s[0:1], vcc, s[0:1]
	s_add_u32 s33, s33, s16
	s_addc_u32 s42, s42, 0
	s_add_u32 s43, s43, s16
	s_addc_u32 s82, s82, 0
	v_cndmask_b32_e64 v4, 0, v4, s[8:9]
	global_store_dwordx4 v[36:37], v[14:17], off
	global_store_dwordx4 v[36:37], v[10:13], off offset:16
	global_store_dwordx4 v[36:37], v[6:9], off offset:32
	global_store_dwordx4 v[36:37], v[2:5], off offset:48
	s_and_b64 s[0:1], exec, s[0:1]
	v_mov_b32_e32 v2, s17
	v_add_co_u32_e32 v22, vcc, s4, v22
	s_or_b64 s[20:21], s[0:1], s[20:21]
	v_addc_co_u32_e32 v23, vcc, v23, v2, vcc
	s_andn2_b64 exec, exec, s[20:21]
	s_cbranch_execz .LBB204_28
.LBB204_5:                              ; =>This Inner Loop Header: Depth=1
	v_mov_b32_e32 v2, s42
	v_add_co_u32_e32 v6, vcc, s33, v20
	v_addc_co_u32_e32 v7, vcc, 0, v2, vcc
	global_load_dwordx4 v[14:17], v[6:7], off
	global_load_dwordx4 v[10:13], v[6:7], off offset:16
	global_load_dwordx4 v[2:5], v[6:7], off offset:48
	s_nop 0
	global_load_dwordx4 v[6:9], v[6:7], off offset:32
	s_waitcnt vmcnt(3)
	v_max_f64 v[40:41], |v[14:15]|, |v[14:15]|
	v_max_f64 v[38:39], |v[16:17]|, |v[16:17]|
	v_max_f64 v[40:41], v[40:41], v[38:39]
	v_frexp_exp_i32_f64_e32 v19, v[40:41]
	v_sub_u32_e32 v42, 0, v19
	v_ldexp_f64 v[40:41], |v[14:15]|, v42
	v_ldexp_f64 v[42:43], |v[16:17]|, v42
	v_mul_f64 v[42:43], v[42:43], v[42:43]
	v_fmac_f64_e32 v[42:43], v[40:41], v[40:41]
	v_rsq_f64_e32 v[44:45], v[42:43]
	v_cmp_eq_f64_e64 s[2:3], 0, v[42:43]
	v_cmp_class_f64_e64 s[0:1], v[14:15], s83
	v_cmp_class_f64_e64 s[84:85], v[16:17], s83
	v_mul_f64 v[46:47], v[42:43], v[44:45]
	v_mul_f64 v[44:45], v[44:45], 0.5
	v_fma_f64 v[48:49], -v[44:45], v[46:47], 0.5
	v_fmac_f64_e32 v[46:47], v[46:47], v[48:49]
	v_fmac_f64_e32 v[44:45], v[44:45], v[48:49]
	v_fma_f64 v[48:49], -v[46:47], v[46:47], v[42:43]
	v_fmac_f64_e32 v[46:47], v[48:49], v[44:45]
	v_cndmask_b32_e64 v43, v47, v43, s[2:3]
	v_cndmask_b32_e64 v42, v46, v42, s[2:3]
	v_cmp_u_f64_e32 vcc, v[14:15], v[16:17]
	s_or_b64 s[6:7], s[0:1], s[84:85]
	v_ldexp_f64 v[42:43], v[42:43], v19
	v_add_f64 v[36:37], v[14:15], 1.0
	v_cmp_ngt_f64_e64 s[2:3], 0.5, v[42:43]
	s_or_b64 s[6:7], s[6:7], vcc
	v_max_f64 v[40:41], |v[36:37]|, v[38:39]
	v_cmp_o_f64_e64 s[0:1], v[36:37], v[16:17]
	v_cmp_class_f64_e64 s[86:87], v[36:37], s83
	s_or_b64 s[2:3], s[6:7], s[2:3]
	s_and_saveexec_b64 s[6:7], s[2:3]
	s_xor_b64 s[6:7], exec, s[6:7]
	s_cbranch_execz .LBB204_7
; %bb.6:                                ;   in Loop: Header=BB204_5 Depth=1
	v_frexp_exp_i32_f64_e32 v19, v[40:41]
	v_sub_u32_e32 v42, 0, v19
	v_ldexp_f64 v[14:15], |v[36:37]|, v42
	v_ldexp_f64 v[42:43], |v[16:17]|, v42
	v_mul_f64 v[42:43], v[42:43], v[42:43]
	v_fmac_f64_e32 v[42:43], v[14:15], v[14:15]
	v_rsq_f64_e32 v[14:15], v[42:43]
	v_cmp_eq_f64_e32 vcc, 0, v[42:43]
	v_mul_f64 v[44:45], v[42:43], v[14:15]
	v_mul_f64 v[14:15], v[14:15], 0.5
	v_fma_f64 v[46:47], -v[14:15], v[44:45], 0.5
	v_fmac_f64_e32 v[44:45], v[44:45], v[46:47]
	v_fmac_f64_e32 v[14:15], v[14:15], v[46:47]
	v_fma_f64 v[46:47], -v[44:45], v[44:45], v[42:43]
	v_fmac_f64_e32 v[44:45], v[46:47], v[14:15]
	v_cndmask_b32_e32 v15, v45, v43, vcc
	v_cndmask_b32_e32 v14, v44, v42, vcc
	v_ldexp_f64 v[14:15], v[14:15], v19
	v_cndmask_b32_e64 v58, 0, v14, s[0:1]
	v_cndmask_b32_e64 v59, v1, v15, s[0:1]
	s_or_b64 vcc, s[86:87], s[84:85]
	v_cndmask_b32_e32 v43, v59, v21, vcc
	v_cndmask_b32_e64 v42, v58, 0, vcc
	v_frexp_mant_f64_e32 v[44:45], v[42:43]
	v_cmp_gt_f64_e64 s[2:3], s[26:27], v[44:45]
	v_cndmask_b32_e64 v19, v62, 2.0, s[2:3]
	v_frexp_exp_i32_f64_e32 v46, v[42:43]
	v_mul_f64 v[44:45], v[44:45], v[18:19]
	v_subbrev_co_u32_e64 v19, s[2:3], 0, v46, s[2:3]
	v_add_f64 v[46:47], v[44:45], 1.0
	v_rcp_f64_e32 v[48:49], v[46:47]
	v_add_f64 v[52:53], v[46:47], -1.0
	v_add_f64 v[50:51], v[44:45], -1.0
	v_add_f64 v[44:45], v[44:45], -v[52:53]
	v_fma_f64 v[52:53], -v[46:47], v[48:49], 1.0
	v_fmac_f64_e32 v[48:49], v[52:53], v[48:49]
	v_fma_f64 v[52:53], -v[46:47], v[48:49], 1.0
	v_fmac_f64_e32 v[48:49], v[52:53], v[48:49]
	v_mul_f64 v[52:53], v[50:51], v[48:49]
	v_mul_f64 v[54:55], v[46:47], v[52:53]
	v_fma_f64 v[46:47], v[52:53], v[46:47], -v[54:55]
	v_fmac_f64_e32 v[46:47], v[52:53], v[44:45]
	v_add_f64 v[44:45], v[54:55], v[46:47]
	v_add_f64 v[56:57], v[50:51], -v[44:45]
	v_add_f64 v[54:55], v[44:45], -v[54:55]
	;; [unrolled: 1-line block ×5, first 2 shown]
	v_add_f64 v[44:45], v[46:47], v[44:45]
	v_add_f64 v[44:45], v[56:57], v[44:45]
	v_mul_f64 v[44:45], v[48:49], v[44:45]
	v_add_f64 v[46:47], v[52:53], v[44:45]
	v_add_f64 v[48:49], v[46:47], -v[52:53]
	v_add_f64 v[44:45], v[44:45], -v[48:49]
	v_mul_f64 v[48:49], v[46:47], v[46:47]
	v_pk_mov_b32 v[50:51], v[24:25], v[24:25] op_sel:[0,1]
	v_fmac_f64_e32 v[50:51], s[28:29], v[48:49]
	v_pk_mov_b32 v[52:53], v[26:27], v[26:27] op_sel:[0,1]
	v_fmac_f64_e32 v[52:53], v[48:49], v[50:51]
	;; [unrolled: 2-line block ×6, first 2 shown]
	v_ldexp_f64 v[50:51], v[46:47], 1
	v_mul_f64 v[46:47], v[46:47], v[48:49]
	v_mul_f64 v[46:47], v[46:47], v[52:53]
	v_add_f64 v[48:49], v[50:51], v[46:47]
	v_add_f64 v[50:51], v[48:49], -v[50:51]
	v_ldexp_f64 v[44:45], v[44:45], 1
	v_add_f64 v[46:47], v[46:47], -v[50:51]
	v_add_f64 v[44:45], v[44:45], v[46:47]
	v_add_f64 v[46:47], v[48:49], v[44:45]
	v_add_f64 v[48:49], v[46:47], -v[48:49]
	v_add_f64 v[44:45], v[44:45], -v[48:49]
	v_cvt_f64_i32_e32 v[48:49], v19
	v_mul_f64 v[50:51], v[48:49], s[30:31]
	v_fma_f64 v[52:53], v[48:49], s[30:31], -v[50:51]
	v_fmac_f64_e32 v[52:53], s[34:35], v[48:49]
	v_add_f64 v[48:49], v[50:51], v[52:53]
	v_add_f64 v[50:51], v[48:49], -v[50:51]
	v_add_f64 v[50:51], v[52:53], -v[50:51]
	v_add_f64 v[52:53], v[48:49], v[46:47]
	v_add_f64 v[54:55], v[52:53], -v[48:49]
	v_add_f64 v[56:57], v[52:53], -v[54:55]
	;; [unrolled: 1-line block ×4, first 2 shown]
	v_add_f64 v[46:47], v[46:47], v[48:49]
	v_add_f64 v[48:49], v[50:51], v[44:45]
	v_add_f64 v[54:55], v[48:49], -v[50:51]
	v_add_f64 v[56:57], v[48:49], -v[54:55]
	v_add_f64 v[46:47], v[48:49], v[46:47]
	v_add_f64 v[50:51], v[50:51], -v[56:57]
	v_add_f64 v[44:45], v[44:45], -v[54:55]
	v_add_f64 v[48:49], v[52:53], v[46:47]
	v_add_f64 v[44:45], v[44:45], v[50:51]
	v_add_f64 v[50:51], v[48:49], -v[52:53]
	v_add_f64 v[46:47], v[46:47], -v[50:51]
	v_and_b32_e32 v15, 0x7fffffff, v15
	v_add_f64 v[44:45], v[44:45], v[46:47]
	v_cmp_eq_f64_e64 s[2:3], s[36:37], v[14:15]
	v_add_f64 v[44:45], v[48:49], v[44:45]
	s_and_b64 s[2:3], s[0:1], s[2:3]
	v_cndmask_b32_e64 v14, v45, v59, s[2:3]
	v_cndmask_b32_e64 v15, v44, v58, s[2:3]
	v_cndmask_b32_e64 v15, v15, 0, vcc
	v_cndmask_b32_e32 v14, v14, v21, vcc
	v_cmp_ngt_f64_e32 vcc, 0, v[42:43]
	v_cndmask_b32_e32 v19, v1, v14, vcc
	v_cmp_nge_f64_e32 vcc, 0, v[42:43]
	v_cndmask_b32_e32 v14, 0, v15, vcc
	v_cmp_neq_f64_e32 vcc, 0, v[42:43]
	v_cndmask_b32_e32 v15, v63, v19, vcc
.LBB204_7:                              ;   in Loop: Header=BB204_5 Depth=1
	s_andn2_saveexec_b64 s[2:3], s[6:7]
	s_cbranch_execz .LBB204_11
; %bb.8:                                ;   in Loop: Header=BB204_5 Depth=1
	v_add_f64 v[44:45], v[14:15], 2.0
	v_mul_f64 v[42:43], v[16:17], v[16:17]
	v_fmac_f64_e32 v[42:43], v[14:15], v[44:45]
	v_cmp_neq_f64_e32 vcc, 0, v[42:43]
	s_and_saveexec_b64 s[6:7], vcc
	s_cbranch_execz .LBB204_10
; %bb.9:                                ;   in Loop: Header=BB204_5 Depth=1
	v_add_f64 v[14:15], v[42:43], 1.0
	v_add_f64 v[44:45], v[14:15], -1.0
	v_add_f64 v[46:47], v[44:45], -v[14:15]
	v_add_f64 v[46:47], v[46:47], 1.0
	v_add_f64 v[44:45], v[42:43], -v[44:45]
	v_add_f64 v[44:45], v[44:45], v[46:47]
	v_frexp_mant_f64_e32 v[46:47], v[14:15]
	v_frexp_exp_i32_f64_e32 v19, v[14:15]
	v_cmp_gt_f64_e32 vcc, s[26:27], v[46:47]
	v_subbrev_co_u32_e32 v19, vcc, 0, v19, vcc
	v_sub_u32_e32 v46, 0, v19
	v_ldexp_f64 v[14:15], v[14:15], v46
	v_ldexp_f64 v[44:45], v[44:45], v46
	v_add_f64 v[46:47], v[14:15], -1.0
	v_add_f64 v[52:53], v[14:15], 1.0
	v_add_f64 v[48:49], v[46:47], 1.0
	v_add_f64 v[54:55], v[52:53], -1.0
	v_add_f64 v[48:49], v[14:15], -v[48:49]
	v_add_f64 v[14:15], v[14:15], -v[54:55]
	v_add_f64 v[14:15], v[44:45], v[14:15]
	v_add_f64 v[48:49], v[44:45], v[48:49]
	;; [unrolled: 1-line block ×3, first 2 shown]
	v_rcp_f64_e32 v[54:55], v[44:45]
	v_add_f64 v[50:51], v[46:47], v[48:49]
	v_add_f64 v[46:47], v[50:51], -v[46:47]
	v_add_f64 v[46:47], v[48:49], -v[46:47]
	;; [unrolled: 1-line block ×4, first 2 shown]
	v_fma_f64 v[48:49], -v[44:45], v[54:55], 1.0
	v_fmac_f64_e32 v[54:55], v[48:49], v[54:55]
	v_fma_f64 v[48:49], -v[44:45], v[54:55], 1.0
	v_fmac_f64_e32 v[54:55], v[48:49], v[54:55]
	v_mul_f64 v[48:49], v[50:51], v[54:55]
	v_mul_f64 v[52:53], v[44:45], v[48:49]
	v_fma_f64 v[56:57], v[48:49], v[44:45], -v[52:53]
	v_fmac_f64_e32 v[56:57], v[48:49], v[14:15]
	v_add_f64 v[58:59], v[52:53], v[56:57]
	v_add_f64 v[60:61], v[50:51], -v[58:59]
	v_add_f64 v[50:51], v[50:51], -v[60:61]
	;; [unrolled: 1-line block ×4, first 2 shown]
	v_add_f64 v[46:47], v[46:47], v[50:51]
	v_add_f64 v[50:51], v[52:53], -v[56:57]
	v_add_f64 v[46:47], v[50:51], v[46:47]
	v_add_f64 v[50:51], v[60:61], v[46:47]
	v_add_f64 v[52:53], v[60:61], -v[50:51]
	v_add_f64 v[46:47], v[46:47], v[52:53]
	v_mul_f64 v[52:53], v[54:55], v[50:51]
	v_mul_f64 v[56:57], v[44:45], v[52:53]
	v_fma_f64 v[44:45], v[52:53], v[44:45], -v[56:57]
	v_fmac_f64_e32 v[44:45], v[52:53], v[14:15]
	v_add_f64 v[14:15], v[56:57], v[44:45]
	v_add_f64 v[58:59], v[50:51], -v[14:15]
	v_add_f64 v[50:51], v[50:51], -v[58:59]
	v_add_f64 v[56:57], v[14:15], -v[56:57]
	v_add_f64 v[14:15], v[50:51], -v[14:15]
	v_add_f64 v[14:15], v[46:47], v[14:15]
	v_add_f64 v[44:45], v[56:57], -v[44:45]
	v_add_f64 v[14:15], v[44:45], v[14:15]
	v_add_f64 v[44:45], v[48:49], v[52:53]
	;; [unrolled: 1-line block ×3, first 2 shown]
	v_add_f64 v[46:47], v[44:45], -v[48:49]
	v_mul_f64 v[14:15], v[54:55], v[14:15]
	v_add_f64 v[46:47], v[52:53], -v[46:47]
	v_add_f64 v[14:15], v[46:47], v[14:15]
	v_add_f64 v[46:47], v[44:45], v[14:15]
	v_add_f64 v[44:45], v[46:47], -v[44:45]
	v_add_f64 v[14:15], v[14:15], -v[44:45]
	v_mul_f64 v[44:45], v[46:47], v[46:47]
	v_pk_mov_b32 v[48:49], v[24:25], v[24:25] op_sel:[0,1]
	v_fmac_f64_e32 v[48:49], s[28:29], v[44:45]
	v_pk_mov_b32 v[50:51], v[26:27], v[26:27] op_sel:[0,1]
	v_fmac_f64_e32 v[50:51], v[44:45], v[48:49]
	;; [unrolled: 2-line block ×6, first 2 shown]
	v_cvt_f64_i32_e32 v[48:49], v19
	v_mul_f64 v[52:53], v[48:49], s[30:31]
	v_fma_f64 v[54:55], v[48:49], s[30:31], -v[52:53]
	v_fmac_f64_e32 v[54:55], s[34:35], v[48:49]
	v_add_f64 v[48:49], v[52:53], v[54:55]
	v_add_f64 v[52:53], v[48:49], -v[52:53]
	v_mul_f64 v[44:45], v[46:47], v[44:45]
	v_add_f64 v[52:53], v[54:55], -v[52:53]
	v_ldexp_f64 v[54:55], v[46:47], 1
	v_mul_f64 v[44:45], v[44:45], v[50:51]
	v_add_f64 v[46:47], v[54:55], v[44:45]
	v_add_f64 v[50:51], v[46:47], -v[54:55]
	v_ldexp_f64 v[14:15], v[14:15], 1
	v_add_f64 v[44:45], v[44:45], -v[50:51]
	v_add_f64 v[14:15], v[14:15], v[44:45]
	v_add_f64 v[44:45], v[46:47], v[14:15]
	v_add_f64 v[46:47], v[44:45], -v[46:47]
	v_add_f64 v[14:15], v[14:15], -v[46:47]
	v_add_f64 v[46:47], v[48:49], v[44:45]
	v_add_f64 v[50:51], v[46:47], -v[48:49]
	v_add_f64 v[54:55], v[46:47], -v[50:51]
	;; [unrolled: 1-line block ×4, first 2 shown]
	v_add_f64 v[44:45], v[44:45], v[48:49]
	v_add_f64 v[48:49], v[52:53], v[14:15]
	v_add_f64 v[50:51], v[48:49], -v[52:53]
	v_add_f64 v[44:45], v[48:49], v[44:45]
	v_add_f64 v[54:55], v[48:49], -v[50:51]
	;; [unrolled: 2-line block ×3, first 2 shown]
	v_add_f64 v[14:15], v[14:15], -v[50:51]
	v_add_f64 v[46:47], v[48:49], -v[46:47]
	v_add_f64 v[14:15], v[14:15], v[52:53]
	v_add_f64 v[44:45], v[44:45], -v[46:47]
	v_add_f64 v[14:15], v[14:15], v[44:45]
	v_add_f64 v[14:15], v[48:49], v[14:15]
	v_cmp_eq_f64_e32 vcc, s[36:37], v[42:43]
	v_cndmask_b32_e32 v15, v15, v43, vcc
	v_cndmask_b32_e32 v14, v14, v42, vcc
	v_mul_f64 v[14:15], v[14:15], 0.5
	v_cmp_ngt_f64_e32 vcc, -1.0, v[42:43]
	v_cndmask_b32_e32 v15, v1, v15, vcc
	v_cmp_nge_f64_e32 vcc, -1.0, v[42:43]
	v_cndmask_b32_e32 v14, 0, v14, vcc
	v_cmp_neq_f64_e32 vcc, -1.0, v[42:43]
	v_cndmask_b32_e32 v15, v63, v15, vcc
.LBB204_10:                             ;   in Loop: Header=BB204_5 Depth=1
	s_or_b64 exec, exec, s[6:7]
.LBB204_11:                             ;   in Loop: Header=BB204_5 Depth=1
	s_or_b64 exec, exec, s[2:3]
	s_waitcnt vmcnt(2)
	v_max_f64 v[42:43], |v[10:11]|, |v[10:11]|
	v_max_f64 v[44:45], |v[12:13]|, |v[12:13]|
	v_max_f64 v[42:43], v[42:43], v[44:45]
	v_frexp_exp_i32_f64_e32 v19, v[42:43]
	v_sub_u32_e32 v46, 0, v19
	v_ldexp_f64 v[42:43], |v[10:11]|, v46
	v_ldexp_f64 v[46:47], |v[12:13]|, v46
	v_mul_f64 v[46:47], v[46:47], v[46:47]
	v_fmac_f64_e32 v[46:47], v[42:43], v[42:43]
	v_rsq_f64_e32 v[42:43], v[46:47]
	v_cmp_eq_f64_e32 vcc, 0, v[46:47]
	v_cmp_class_f64_e64 s[2:3], v[10:11], s83
	v_cmp_class_f64_e64 s[88:89], v[12:13], s83
	v_mul_f64 v[48:49], v[46:47], v[42:43]
	v_mul_f64 v[42:43], v[42:43], 0.5
	v_fma_f64 v[50:51], -v[42:43], v[48:49], 0.5
	v_fmac_f64_e32 v[48:49], v[48:49], v[50:51]
	v_fmac_f64_e32 v[42:43], v[42:43], v[50:51]
	v_fma_f64 v[50:51], -v[48:49], v[48:49], v[46:47]
	v_fmac_f64_e32 v[48:49], v[50:51], v[42:43]
	v_cndmask_b32_e32 v43, v49, v47, vcc
	v_cndmask_b32_e32 v42, v48, v46, vcc
	v_ldexp_f64 v[42:43], v[42:43], v19
	v_cmp_u_f64_e32 vcc, v[10:11], v[12:13]
	s_or_b64 s[8:9], s[2:3], s[88:89]
	v_cmp_ngt_f64_e64 s[6:7], 0.5, v[42:43]
	v_add_f64 v[42:43], v[10:11], 1.0
	s_or_b64 s[8:9], s[8:9], vcc
	v_max_f64 v[46:47], |v[42:43]|, v[44:45]
	v_cmp_o_f64_e64 s[2:3], v[42:43], v[12:13]
	v_cmp_class_f64_e64 s[90:91], v[42:43], s83
	s_or_b64 s[6:7], s[8:9], s[6:7]
	s_and_saveexec_b64 s[8:9], s[6:7]
	s_xor_b64 s[8:9], exec, s[8:9]
	s_cbranch_execz .LBB204_13
; %bb.12:                               ;   in Loop: Header=BB204_5 Depth=1
	v_frexp_exp_i32_f64_e32 v19, v[46:47]
	v_sub_u32_e32 v48, 0, v19
	v_ldexp_f64 v[10:11], |v[42:43]|, v48
	v_ldexp_f64 v[48:49], |v[12:13]|, v48
	v_mul_f64 v[48:49], v[48:49], v[48:49]
	v_fmac_f64_e32 v[48:49], v[10:11], v[10:11]
	v_rsq_f64_e32 v[10:11], v[48:49]
	v_cmp_eq_f64_e32 vcc, 0, v[48:49]
	v_mul_f64 v[50:51], v[48:49], v[10:11]
	v_mul_f64 v[10:11], v[10:11], 0.5
	v_fma_f64 v[52:53], -v[10:11], v[50:51], 0.5
	v_fmac_f64_e32 v[50:51], v[50:51], v[52:53]
	v_fmac_f64_e32 v[10:11], v[10:11], v[52:53]
	v_fma_f64 v[52:53], -v[50:51], v[50:51], v[48:49]
	v_fmac_f64_e32 v[50:51], v[52:53], v[10:11]
	v_cndmask_b32_e32 v11, v51, v49, vcc
	v_cndmask_b32_e32 v10, v50, v48, vcc
	v_ldexp_f64 v[10:11], v[10:11], v19
	v_cndmask_b32_e64 v70, 0, v10, s[2:3]
	v_cndmask_b32_e64 v71, v1, v11, s[2:3]
	s_or_b64 vcc, s[90:91], s[88:89]
	v_cndmask_b32_e32 v49, v71, v21, vcc
	v_cndmask_b32_e64 v48, v70, 0, vcc
	v_frexp_mant_f64_e32 v[50:51], v[48:49]
	v_cmp_gt_f64_e64 s[6:7], s[26:27], v[50:51]
	v_cndmask_b32_e64 v19, v62, 2.0, s[6:7]
	v_frexp_exp_i32_f64_e32 v52, v[48:49]
	v_mul_f64 v[50:51], v[50:51], v[18:19]
	v_subbrev_co_u32_e64 v19, s[6:7], 0, v52, s[6:7]
	v_add_f64 v[52:53], v[50:51], 1.0
	v_rcp_f64_e32 v[54:55], v[52:53]
	v_add_f64 v[58:59], v[52:53], -1.0
	v_add_f64 v[56:57], v[50:51], -1.0
	v_add_f64 v[50:51], v[50:51], -v[58:59]
	v_fma_f64 v[58:59], -v[52:53], v[54:55], 1.0
	v_fmac_f64_e32 v[54:55], v[58:59], v[54:55]
	v_fma_f64 v[58:59], -v[52:53], v[54:55], 1.0
	v_fmac_f64_e32 v[54:55], v[58:59], v[54:55]
	v_mul_f64 v[58:59], v[56:57], v[54:55]
	v_mul_f64 v[60:61], v[52:53], v[58:59]
	v_fma_f64 v[52:53], v[58:59], v[52:53], -v[60:61]
	v_fmac_f64_e32 v[52:53], v[58:59], v[50:51]
	v_add_f64 v[50:51], v[60:61], v[52:53]
	v_add_f64 v[68:69], v[56:57], -v[50:51]
	v_add_f64 v[60:61], v[50:51], -v[60:61]
	;; [unrolled: 1-line block ×5, first 2 shown]
	v_add_f64 v[50:51], v[52:53], v[50:51]
	v_add_f64 v[50:51], v[68:69], v[50:51]
	v_mul_f64 v[50:51], v[54:55], v[50:51]
	v_add_f64 v[52:53], v[58:59], v[50:51]
	v_add_f64 v[54:55], v[52:53], -v[58:59]
	v_add_f64 v[50:51], v[50:51], -v[54:55]
	v_mul_f64 v[54:55], v[52:53], v[52:53]
	v_pk_mov_b32 v[56:57], v[24:25], v[24:25] op_sel:[0,1]
	v_fmac_f64_e32 v[56:57], s[28:29], v[54:55]
	v_pk_mov_b32 v[58:59], v[26:27], v[26:27] op_sel:[0,1]
	v_fmac_f64_e32 v[58:59], v[54:55], v[56:57]
	;; [unrolled: 2-line block ×6, first 2 shown]
	v_ldexp_f64 v[56:57], v[52:53], 1
	v_mul_f64 v[52:53], v[52:53], v[54:55]
	v_mul_f64 v[52:53], v[52:53], v[58:59]
	v_add_f64 v[54:55], v[56:57], v[52:53]
	v_add_f64 v[56:57], v[54:55], -v[56:57]
	v_ldexp_f64 v[50:51], v[50:51], 1
	v_add_f64 v[52:53], v[52:53], -v[56:57]
	v_add_f64 v[50:51], v[50:51], v[52:53]
	v_add_f64 v[52:53], v[54:55], v[50:51]
	v_add_f64 v[54:55], v[52:53], -v[54:55]
	v_add_f64 v[50:51], v[50:51], -v[54:55]
	v_cvt_f64_i32_e32 v[54:55], v19
	v_mul_f64 v[56:57], v[54:55], s[30:31]
	v_fma_f64 v[58:59], v[54:55], s[30:31], -v[56:57]
	v_fmac_f64_e32 v[58:59], s[34:35], v[54:55]
	v_add_f64 v[54:55], v[56:57], v[58:59]
	v_add_f64 v[56:57], v[54:55], -v[56:57]
	v_add_f64 v[56:57], v[58:59], -v[56:57]
	v_add_f64 v[58:59], v[54:55], v[52:53]
	v_add_f64 v[60:61], v[58:59], -v[54:55]
	v_add_f64 v[68:69], v[58:59], -v[60:61]
	v_add_f64 v[54:55], v[54:55], -v[68:69]
	v_add_f64 v[52:53], v[52:53], -v[60:61]
	v_add_f64 v[52:53], v[52:53], v[54:55]
	v_add_f64 v[54:55], v[56:57], v[50:51]
	v_add_f64 v[60:61], v[54:55], -v[56:57]
	v_add_f64 v[68:69], v[54:55], -v[60:61]
	v_add_f64 v[52:53], v[54:55], v[52:53]
	v_add_f64 v[56:57], v[56:57], -v[68:69]
	v_add_f64 v[50:51], v[50:51], -v[60:61]
	v_add_f64 v[54:55], v[58:59], v[52:53]
	v_add_f64 v[50:51], v[50:51], v[56:57]
	v_add_f64 v[56:57], v[54:55], -v[58:59]
	v_add_f64 v[52:53], v[52:53], -v[56:57]
	v_and_b32_e32 v11, 0x7fffffff, v11
	v_add_f64 v[50:51], v[50:51], v[52:53]
	v_cmp_eq_f64_e64 s[6:7], s[36:37], v[10:11]
	v_add_f64 v[50:51], v[54:55], v[50:51]
	s_and_b64 s[6:7], s[2:3], s[6:7]
	v_cndmask_b32_e64 v10, v51, v71, s[6:7]
	v_cndmask_b32_e64 v11, v50, v70, s[6:7]
	v_cndmask_b32_e64 v11, v11, 0, vcc
	v_cndmask_b32_e32 v10, v10, v21, vcc
	v_cmp_ngt_f64_e32 vcc, 0, v[48:49]
	v_cndmask_b32_e32 v19, v1, v10, vcc
	v_cmp_nge_f64_e32 vcc, 0, v[48:49]
	v_cndmask_b32_e32 v10, 0, v11, vcc
	v_cmp_neq_f64_e32 vcc, 0, v[48:49]
	v_cndmask_b32_e32 v11, v63, v19, vcc
.LBB204_13:                             ;   in Loop: Header=BB204_5 Depth=1
	s_andn2_saveexec_b64 s[6:7], s[8:9]
	s_cbranch_execz .LBB204_17
; %bb.14:                               ;   in Loop: Header=BB204_5 Depth=1
	v_add_f64 v[50:51], v[10:11], 2.0
	v_mul_f64 v[48:49], v[12:13], v[12:13]
	v_fmac_f64_e32 v[48:49], v[10:11], v[50:51]
	v_cmp_neq_f64_e32 vcc, 0, v[48:49]
	s_and_saveexec_b64 s[8:9], vcc
	s_cbranch_execz .LBB204_16
; %bb.15:                               ;   in Loop: Header=BB204_5 Depth=1
	v_add_f64 v[10:11], v[48:49], 1.0
	v_add_f64 v[50:51], v[10:11], -1.0
	v_add_f64 v[52:53], v[50:51], -v[10:11]
	v_add_f64 v[52:53], v[52:53], 1.0
	v_add_f64 v[50:51], v[48:49], -v[50:51]
	v_add_f64 v[50:51], v[50:51], v[52:53]
	v_frexp_mant_f64_e32 v[52:53], v[10:11]
	v_frexp_exp_i32_f64_e32 v19, v[10:11]
	v_cmp_gt_f64_e32 vcc, s[26:27], v[52:53]
	v_subbrev_co_u32_e32 v19, vcc, 0, v19, vcc
	v_sub_u32_e32 v52, 0, v19
	v_ldexp_f64 v[10:11], v[10:11], v52
	v_ldexp_f64 v[50:51], v[50:51], v52
	v_add_f64 v[52:53], v[10:11], -1.0
	v_add_f64 v[58:59], v[10:11], 1.0
	v_add_f64 v[54:55], v[52:53], 1.0
	v_add_f64 v[60:61], v[58:59], -1.0
	v_add_f64 v[54:55], v[10:11], -v[54:55]
	v_add_f64 v[10:11], v[10:11], -v[60:61]
	v_add_f64 v[10:11], v[50:51], v[10:11]
	v_add_f64 v[54:55], v[50:51], v[54:55]
	;; [unrolled: 1-line block ×3, first 2 shown]
	v_rcp_f64_e32 v[60:61], v[50:51]
	v_add_f64 v[56:57], v[52:53], v[54:55]
	v_add_f64 v[52:53], v[56:57], -v[52:53]
	v_add_f64 v[52:53], v[54:55], -v[52:53]
	;; [unrolled: 1-line block ×4, first 2 shown]
	v_fma_f64 v[54:55], -v[50:51], v[60:61], 1.0
	v_fmac_f64_e32 v[60:61], v[54:55], v[60:61]
	v_fma_f64 v[54:55], -v[50:51], v[60:61], 1.0
	v_fmac_f64_e32 v[60:61], v[54:55], v[60:61]
	v_mul_f64 v[54:55], v[56:57], v[60:61]
	v_mul_f64 v[58:59], v[50:51], v[54:55]
	v_fma_f64 v[68:69], v[54:55], v[50:51], -v[58:59]
	v_fmac_f64_e32 v[68:69], v[54:55], v[10:11]
	v_add_f64 v[70:71], v[58:59], v[68:69]
	v_add_f64 v[72:73], v[56:57], -v[70:71]
	v_add_f64 v[56:57], v[56:57], -v[72:73]
	;; [unrolled: 1-line block ×4, first 2 shown]
	v_add_f64 v[52:53], v[52:53], v[56:57]
	v_add_f64 v[56:57], v[58:59], -v[68:69]
	v_add_f64 v[52:53], v[56:57], v[52:53]
	v_add_f64 v[56:57], v[72:73], v[52:53]
	v_add_f64 v[58:59], v[72:73], -v[56:57]
	v_add_f64 v[52:53], v[52:53], v[58:59]
	v_mul_f64 v[58:59], v[60:61], v[56:57]
	v_mul_f64 v[68:69], v[50:51], v[58:59]
	v_fma_f64 v[50:51], v[58:59], v[50:51], -v[68:69]
	v_fmac_f64_e32 v[50:51], v[58:59], v[10:11]
	v_add_f64 v[10:11], v[68:69], v[50:51]
	v_add_f64 v[70:71], v[56:57], -v[10:11]
	v_add_f64 v[56:57], v[56:57], -v[70:71]
	;; [unrolled: 1-line block ×4, first 2 shown]
	v_add_f64 v[10:11], v[52:53], v[10:11]
	v_add_f64 v[50:51], v[68:69], -v[50:51]
	v_add_f64 v[10:11], v[50:51], v[10:11]
	v_add_f64 v[50:51], v[54:55], v[58:59]
	;; [unrolled: 1-line block ×3, first 2 shown]
	v_add_f64 v[52:53], v[50:51], -v[54:55]
	v_mul_f64 v[10:11], v[60:61], v[10:11]
	v_add_f64 v[52:53], v[58:59], -v[52:53]
	v_add_f64 v[10:11], v[52:53], v[10:11]
	v_add_f64 v[52:53], v[50:51], v[10:11]
	v_add_f64 v[50:51], v[52:53], -v[50:51]
	v_add_f64 v[10:11], v[10:11], -v[50:51]
	v_mul_f64 v[50:51], v[52:53], v[52:53]
	v_pk_mov_b32 v[54:55], v[24:25], v[24:25] op_sel:[0,1]
	v_fmac_f64_e32 v[54:55], s[28:29], v[50:51]
	v_pk_mov_b32 v[56:57], v[26:27], v[26:27] op_sel:[0,1]
	v_fmac_f64_e32 v[56:57], v[50:51], v[54:55]
	;; [unrolled: 2-line block ×6, first 2 shown]
	v_cvt_f64_i32_e32 v[54:55], v19
	v_mul_f64 v[58:59], v[54:55], s[30:31]
	v_fma_f64 v[60:61], v[54:55], s[30:31], -v[58:59]
	v_fmac_f64_e32 v[60:61], s[34:35], v[54:55]
	v_add_f64 v[54:55], v[58:59], v[60:61]
	v_add_f64 v[58:59], v[54:55], -v[58:59]
	v_mul_f64 v[50:51], v[52:53], v[50:51]
	v_add_f64 v[58:59], v[60:61], -v[58:59]
	v_ldexp_f64 v[60:61], v[52:53], 1
	v_mul_f64 v[50:51], v[50:51], v[56:57]
	v_add_f64 v[52:53], v[60:61], v[50:51]
	v_add_f64 v[56:57], v[52:53], -v[60:61]
	v_ldexp_f64 v[10:11], v[10:11], 1
	v_add_f64 v[50:51], v[50:51], -v[56:57]
	v_add_f64 v[10:11], v[10:11], v[50:51]
	v_add_f64 v[50:51], v[52:53], v[10:11]
	v_add_f64 v[52:53], v[50:51], -v[52:53]
	v_add_f64 v[10:11], v[10:11], -v[52:53]
	v_add_f64 v[52:53], v[54:55], v[50:51]
	v_add_f64 v[56:57], v[52:53], -v[54:55]
	v_add_f64 v[60:61], v[52:53], -v[56:57]
	;; [unrolled: 1-line block ×4, first 2 shown]
	v_add_f64 v[50:51], v[50:51], v[54:55]
	v_add_f64 v[54:55], v[58:59], v[10:11]
	v_add_f64 v[56:57], v[54:55], -v[58:59]
	v_add_f64 v[50:51], v[54:55], v[50:51]
	v_add_f64 v[60:61], v[54:55], -v[56:57]
	;; [unrolled: 2-line block ×3, first 2 shown]
	v_add_f64 v[10:11], v[10:11], -v[56:57]
	v_add_f64 v[52:53], v[54:55], -v[52:53]
	v_add_f64 v[10:11], v[10:11], v[58:59]
	v_add_f64 v[50:51], v[50:51], -v[52:53]
	v_add_f64 v[10:11], v[10:11], v[50:51]
	v_add_f64 v[10:11], v[54:55], v[10:11]
	v_cmp_eq_f64_e32 vcc, s[36:37], v[48:49]
	v_cndmask_b32_e32 v11, v11, v49, vcc
	v_cndmask_b32_e32 v10, v10, v48, vcc
	v_mul_f64 v[10:11], v[10:11], 0.5
	v_cmp_ngt_f64_e32 vcc, -1.0, v[48:49]
	v_cndmask_b32_e32 v11, v1, v11, vcc
	v_cmp_nge_f64_e32 vcc, -1.0, v[48:49]
	v_cndmask_b32_e32 v10, 0, v10, vcc
	v_cmp_neq_f64_e32 vcc, -1.0, v[48:49]
	v_cndmask_b32_e32 v11, v63, v11, vcc
.LBB204_16:                             ;   in Loop: Header=BB204_5 Depth=1
	s_or_b64 exec, exec, s[8:9]
.LBB204_17:                             ;   in Loop: Header=BB204_5 Depth=1
	s_or_b64 exec, exec, s[6:7]
	s_waitcnt vmcnt(0)
	v_max_f64 v[48:49], |v[6:7]|, |v[6:7]|
	v_max_f64 v[50:51], |v[8:9]|, |v[8:9]|
	v_max_f64 v[48:49], v[48:49], v[50:51]
	v_frexp_exp_i32_f64_e32 v19, v[48:49]
	v_sub_u32_e32 v52, 0, v19
	v_ldexp_f64 v[48:49], |v[6:7]|, v52
	v_ldexp_f64 v[52:53], |v[8:9]|, v52
	v_mul_f64 v[52:53], v[52:53], v[52:53]
	v_fmac_f64_e32 v[52:53], v[48:49], v[48:49]
	v_rsq_f64_e32 v[48:49], v[52:53]
	v_cmp_eq_f64_e32 vcc, 0, v[52:53]
	v_cmp_class_f64_e64 s[6:7], v[6:7], s83
	v_cmp_class_f64_e64 s[92:93], v[8:9], s83
	v_mul_f64 v[54:55], v[52:53], v[48:49]
	v_mul_f64 v[48:49], v[48:49], 0.5
	v_fma_f64 v[56:57], -v[48:49], v[54:55], 0.5
	v_fmac_f64_e32 v[54:55], v[54:55], v[56:57]
	v_fmac_f64_e32 v[48:49], v[48:49], v[56:57]
	v_fma_f64 v[56:57], -v[54:55], v[54:55], v[52:53]
	v_fmac_f64_e32 v[54:55], v[56:57], v[48:49]
	v_cndmask_b32_e32 v49, v55, v53, vcc
	v_cndmask_b32_e32 v48, v54, v52, vcc
	v_ldexp_f64 v[48:49], v[48:49], v19
	v_cmp_u_f64_e32 vcc, v[6:7], v[8:9]
	s_or_b64 s[10:11], s[6:7], s[92:93]
	v_cmp_ngt_f64_e64 s[8:9], 0.5, v[48:49]
	v_add_f64 v[48:49], v[6:7], 1.0
	s_or_b64 s[10:11], s[10:11], vcc
	v_max_f64 v[52:53], |v[48:49]|, v[50:51]
	v_cmp_o_f64_e64 s[6:7], v[48:49], v[8:9]
	v_cmp_class_f64_e64 s[94:95], v[48:49], s83
	s_or_b64 s[8:9], s[10:11], s[8:9]
	s_and_saveexec_b64 s[10:11], s[8:9]
	s_xor_b64 s[10:11], exec, s[10:11]
	s_cbranch_execz .LBB204_19
; %bb.18:                               ;   in Loop: Header=BB204_5 Depth=1
	v_frexp_exp_i32_f64_e32 v19, v[52:53]
	v_sub_u32_e32 v54, 0, v19
	v_ldexp_f64 v[6:7], |v[48:49]|, v54
	v_ldexp_f64 v[54:55], |v[8:9]|, v54
	v_mul_f64 v[54:55], v[54:55], v[54:55]
	v_fmac_f64_e32 v[54:55], v[6:7], v[6:7]
	v_rsq_f64_e32 v[6:7], v[54:55]
	v_cmp_eq_f64_e32 vcc, 0, v[54:55]
	v_mul_f64 v[56:57], v[54:55], v[6:7]
	v_mul_f64 v[6:7], v[6:7], 0.5
	v_fma_f64 v[58:59], -v[6:7], v[56:57], 0.5
	v_fmac_f64_e32 v[56:57], v[56:57], v[58:59]
	v_fmac_f64_e32 v[6:7], v[6:7], v[58:59]
	v_fma_f64 v[58:59], -v[56:57], v[56:57], v[54:55]
	v_fmac_f64_e32 v[56:57], v[58:59], v[6:7]
	v_cndmask_b32_e32 v7, v57, v55, vcc
	v_cndmask_b32_e32 v6, v56, v54, vcc
	v_ldexp_f64 v[6:7], v[6:7], v19
	v_cndmask_b32_e64 v76, 0, v6, s[6:7]
	v_cndmask_b32_e64 v77, v1, v7, s[6:7]
	s_or_b64 vcc, s[94:95], s[92:93]
	v_cndmask_b32_e32 v55, v77, v21, vcc
	v_cndmask_b32_e64 v54, v76, 0, vcc
	v_frexp_mant_f64_e32 v[56:57], v[54:55]
	v_cmp_gt_f64_e64 s[8:9], s[26:27], v[56:57]
	v_cndmask_b32_e64 v19, v62, 2.0, s[8:9]
	v_frexp_exp_i32_f64_e32 v58, v[54:55]
	v_mul_f64 v[56:57], v[56:57], v[18:19]
	v_subbrev_co_u32_e64 v19, s[8:9], 0, v58, s[8:9]
	v_add_f64 v[58:59], v[56:57], 1.0
	v_rcp_f64_e32 v[60:61], v[58:59]
	v_add_f64 v[70:71], v[58:59], -1.0
	v_add_f64 v[68:69], v[56:57], -1.0
	v_add_f64 v[56:57], v[56:57], -v[70:71]
	v_fma_f64 v[70:71], -v[58:59], v[60:61], 1.0
	v_fmac_f64_e32 v[60:61], v[70:71], v[60:61]
	v_fma_f64 v[70:71], -v[58:59], v[60:61], 1.0
	v_fmac_f64_e32 v[60:61], v[70:71], v[60:61]
	v_mul_f64 v[70:71], v[68:69], v[60:61]
	v_mul_f64 v[72:73], v[58:59], v[70:71]
	v_fma_f64 v[58:59], v[70:71], v[58:59], -v[72:73]
	v_fmac_f64_e32 v[58:59], v[70:71], v[56:57]
	v_add_f64 v[56:57], v[72:73], v[58:59]
	v_add_f64 v[74:75], v[68:69], -v[56:57]
	v_add_f64 v[72:73], v[56:57], -v[72:73]
	;; [unrolled: 1-line block ×5, first 2 shown]
	v_add_f64 v[56:57], v[58:59], v[56:57]
	v_add_f64 v[56:57], v[74:75], v[56:57]
	v_mul_f64 v[56:57], v[60:61], v[56:57]
	v_add_f64 v[58:59], v[70:71], v[56:57]
	v_add_f64 v[60:61], v[58:59], -v[70:71]
	v_add_f64 v[56:57], v[56:57], -v[60:61]
	v_mul_f64 v[60:61], v[58:59], v[58:59]
	v_pk_mov_b32 v[68:69], v[24:25], v[24:25] op_sel:[0,1]
	v_fmac_f64_e32 v[68:69], s[28:29], v[60:61]
	v_pk_mov_b32 v[70:71], v[26:27], v[26:27] op_sel:[0,1]
	v_fmac_f64_e32 v[70:71], v[60:61], v[68:69]
	;; [unrolled: 2-line block ×6, first 2 shown]
	v_ldexp_f64 v[68:69], v[58:59], 1
	v_mul_f64 v[58:59], v[58:59], v[60:61]
	v_mul_f64 v[58:59], v[58:59], v[70:71]
	v_add_f64 v[60:61], v[68:69], v[58:59]
	v_add_f64 v[68:69], v[60:61], -v[68:69]
	v_ldexp_f64 v[56:57], v[56:57], 1
	v_add_f64 v[58:59], v[58:59], -v[68:69]
	v_add_f64 v[56:57], v[56:57], v[58:59]
	v_add_f64 v[58:59], v[60:61], v[56:57]
	v_add_f64 v[60:61], v[58:59], -v[60:61]
	v_add_f64 v[56:57], v[56:57], -v[60:61]
	v_cvt_f64_i32_e32 v[60:61], v19
	v_mul_f64 v[68:69], v[60:61], s[30:31]
	v_fma_f64 v[70:71], v[60:61], s[30:31], -v[68:69]
	v_fmac_f64_e32 v[70:71], s[34:35], v[60:61]
	v_add_f64 v[60:61], v[68:69], v[70:71]
	v_add_f64 v[68:69], v[60:61], -v[68:69]
	v_add_f64 v[68:69], v[70:71], -v[68:69]
	v_add_f64 v[70:71], v[60:61], v[58:59]
	v_add_f64 v[72:73], v[70:71], -v[60:61]
	v_add_f64 v[74:75], v[70:71], -v[72:73]
	;; [unrolled: 1-line block ×4, first 2 shown]
	v_add_f64 v[58:59], v[58:59], v[60:61]
	v_add_f64 v[60:61], v[68:69], v[56:57]
	v_add_f64 v[72:73], v[60:61], -v[68:69]
	v_add_f64 v[74:75], v[60:61], -v[72:73]
	v_add_f64 v[58:59], v[60:61], v[58:59]
	v_add_f64 v[68:69], v[68:69], -v[74:75]
	v_add_f64 v[56:57], v[56:57], -v[72:73]
	v_add_f64 v[60:61], v[70:71], v[58:59]
	v_add_f64 v[56:57], v[56:57], v[68:69]
	v_add_f64 v[68:69], v[60:61], -v[70:71]
	v_add_f64 v[58:59], v[58:59], -v[68:69]
	v_and_b32_e32 v7, 0x7fffffff, v7
	v_add_f64 v[56:57], v[56:57], v[58:59]
	v_cmp_eq_f64_e64 s[8:9], s[36:37], v[6:7]
	v_add_f64 v[56:57], v[60:61], v[56:57]
	s_and_b64 s[8:9], s[6:7], s[8:9]
	v_cndmask_b32_e64 v6, v57, v77, s[8:9]
	v_cndmask_b32_e64 v7, v56, v76, s[8:9]
	v_cndmask_b32_e64 v7, v7, 0, vcc
	v_cndmask_b32_e32 v6, v6, v21, vcc
	v_cmp_ngt_f64_e32 vcc, 0, v[54:55]
	v_cndmask_b32_e32 v19, v1, v6, vcc
	v_cmp_nge_f64_e32 vcc, 0, v[54:55]
	v_cndmask_b32_e32 v6, 0, v7, vcc
	v_cmp_neq_f64_e32 vcc, 0, v[54:55]
	v_cndmask_b32_e32 v7, v63, v19, vcc
.LBB204_19:                             ;   in Loop: Header=BB204_5 Depth=1
	s_andn2_saveexec_b64 s[8:9], s[10:11]
	s_cbranch_execz .LBB204_23
; %bb.20:                               ;   in Loop: Header=BB204_5 Depth=1
	v_add_f64 v[56:57], v[6:7], 2.0
	v_mul_f64 v[54:55], v[8:9], v[8:9]
	v_fmac_f64_e32 v[54:55], v[6:7], v[56:57]
	v_cmp_neq_f64_e32 vcc, 0, v[54:55]
	s_and_saveexec_b64 s[10:11], vcc
	s_cbranch_execz .LBB204_22
; %bb.21:                               ;   in Loop: Header=BB204_5 Depth=1
	v_add_f64 v[6:7], v[54:55], 1.0
	v_add_f64 v[56:57], v[6:7], -1.0
	v_add_f64 v[58:59], v[56:57], -v[6:7]
	v_add_f64 v[58:59], v[58:59], 1.0
	v_add_f64 v[56:57], v[54:55], -v[56:57]
	v_add_f64 v[56:57], v[56:57], v[58:59]
	v_frexp_mant_f64_e32 v[58:59], v[6:7]
	v_frexp_exp_i32_f64_e32 v19, v[6:7]
	v_cmp_gt_f64_e32 vcc, s[26:27], v[58:59]
	v_subbrev_co_u32_e32 v19, vcc, 0, v19, vcc
	v_sub_u32_e32 v58, 0, v19
	v_ldexp_f64 v[6:7], v[6:7], v58
	v_ldexp_f64 v[56:57], v[56:57], v58
	v_add_f64 v[58:59], v[6:7], -1.0
	v_add_f64 v[70:71], v[6:7], 1.0
	v_add_f64 v[60:61], v[58:59], 1.0
	v_add_f64 v[72:73], v[70:71], -1.0
	v_add_f64 v[60:61], v[6:7], -v[60:61]
	v_add_f64 v[6:7], v[6:7], -v[72:73]
	v_add_f64 v[6:7], v[56:57], v[6:7]
	v_add_f64 v[60:61], v[56:57], v[60:61]
	;; [unrolled: 1-line block ×3, first 2 shown]
	v_rcp_f64_e32 v[72:73], v[56:57]
	v_add_f64 v[68:69], v[58:59], v[60:61]
	v_add_f64 v[58:59], v[68:69], -v[58:59]
	v_add_f64 v[58:59], v[60:61], -v[58:59]
	;; [unrolled: 1-line block ×4, first 2 shown]
	v_fma_f64 v[60:61], -v[56:57], v[72:73], 1.0
	v_fmac_f64_e32 v[72:73], v[60:61], v[72:73]
	v_fma_f64 v[60:61], -v[56:57], v[72:73], 1.0
	v_fmac_f64_e32 v[72:73], v[60:61], v[72:73]
	v_mul_f64 v[60:61], v[68:69], v[72:73]
	v_mul_f64 v[70:71], v[56:57], v[60:61]
	v_fma_f64 v[74:75], v[60:61], v[56:57], -v[70:71]
	v_fmac_f64_e32 v[74:75], v[60:61], v[6:7]
	v_add_f64 v[76:77], v[70:71], v[74:75]
	v_add_f64 v[78:79], v[68:69], -v[76:77]
	v_add_f64 v[68:69], v[68:69], -v[78:79]
	;; [unrolled: 1-line block ×4, first 2 shown]
	v_add_f64 v[58:59], v[58:59], v[68:69]
	v_add_f64 v[68:69], v[70:71], -v[74:75]
	v_add_f64 v[58:59], v[68:69], v[58:59]
	v_add_f64 v[68:69], v[78:79], v[58:59]
	v_add_f64 v[70:71], v[78:79], -v[68:69]
	v_add_f64 v[58:59], v[58:59], v[70:71]
	v_mul_f64 v[70:71], v[72:73], v[68:69]
	v_mul_f64 v[74:75], v[56:57], v[70:71]
	v_fma_f64 v[56:57], v[70:71], v[56:57], -v[74:75]
	v_fmac_f64_e32 v[56:57], v[70:71], v[6:7]
	v_add_f64 v[6:7], v[74:75], v[56:57]
	v_add_f64 v[76:77], v[68:69], -v[6:7]
	v_add_f64 v[68:69], v[68:69], -v[76:77]
	;; [unrolled: 1-line block ×4, first 2 shown]
	v_add_f64 v[6:7], v[58:59], v[6:7]
	v_add_f64 v[56:57], v[74:75], -v[56:57]
	v_add_f64 v[6:7], v[56:57], v[6:7]
	v_add_f64 v[56:57], v[60:61], v[70:71]
	;; [unrolled: 1-line block ×3, first 2 shown]
	v_add_f64 v[58:59], v[56:57], -v[60:61]
	v_mul_f64 v[6:7], v[72:73], v[6:7]
	v_add_f64 v[58:59], v[70:71], -v[58:59]
	v_add_f64 v[6:7], v[58:59], v[6:7]
	v_add_f64 v[58:59], v[56:57], v[6:7]
	v_add_f64 v[56:57], v[58:59], -v[56:57]
	v_add_f64 v[6:7], v[6:7], -v[56:57]
	v_mul_f64 v[56:57], v[58:59], v[58:59]
	v_pk_mov_b32 v[60:61], v[24:25], v[24:25] op_sel:[0,1]
	v_fmac_f64_e32 v[60:61], s[28:29], v[56:57]
	v_pk_mov_b32 v[68:69], v[26:27], v[26:27] op_sel:[0,1]
	v_fmac_f64_e32 v[68:69], v[56:57], v[60:61]
	;; [unrolled: 2-line block ×6, first 2 shown]
	v_cvt_f64_i32_e32 v[60:61], v19
	v_mul_f64 v[70:71], v[60:61], s[30:31]
	v_fma_f64 v[72:73], v[60:61], s[30:31], -v[70:71]
	v_fmac_f64_e32 v[72:73], s[34:35], v[60:61]
	v_add_f64 v[60:61], v[70:71], v[72:73]
	v_add_f64 v[70:71], v[60:61], -v[70:71]
	v_mul_f64 v[56:57], v[58:59], v[56:57]
	v_add_f64 v[70:71], v[72:73], -v[70:71]
	v_ldexp_f64 v[72:73], v[58:59], 1
	v_mul_f64 v[56:57], v[56:57], v[68:69]
	v_add_f64 v[58:59], v[72:73], v[56:57]
	v_add_f64 v[68:69], v[58:59], -v[72:73]
	v_ldexp_f64 v[6:7], v[6:7], 1
	v_add_f64 v[56:57], v[56:57], -v[68:69]
	v_add_f64 v[6:7], v[6:7], v[56:57]
	v_add_f64 v[56:57], v[58:59], v[6:7]
	v_add_f64 v[58:59], v[56:57], -v[58:59]
	v_add_f64 v[6:7], v[6:7], -v[58:59]
	v_add_f64 v[58:59], v[60:61], v[56:57]
	v_add_f64 v[68:69], v[58:59], -v[60:61]
	v_add_f64 v[72:73], v[58:59], -v[68:69]
	;; [unrolled: 1-line block ×4, first 2 shown]
	v_add_f64 v[56:57], v[56:57], v[60:61]
	v_add_f64 v[60:61], v[70:71], v[6:7]
	v_add_f64 v[68:69], v[60:61], -v[70:71]
	v_add_f64 v[56:57], v[60:61], v[56:57]
	v_add_f64 v[72:73], v[60:61], -v[68:69]
	;; [unrolled: 2-line block ×3, first 2 shown]
	v_add_f64 v[6:7], v[6:7], -v[68:69]
	v_add_f64 v[58:59], v[60:61], -v[58:59]
	v_add_f64 v[6:7], v[6:7], v[70:71]
	v_add_f64 v[56:57], v[56:57], -v[58:59]
	v_add_f64 v[6:7], v[6:7], v[56:57]
	v_add_f64 v[6:7], v[60:61], v[6:7]
	v_cmp_eq_f64_e32 vcc, s[36:37], v[54:55]
	v_cndmask_b32_e32 v7, v7, v55, vcc
	v_cndmask_b32_e32 v6, v6, v54, vcc
	v_mul_f64 v[6:7], v[6:7], 0.5
	v_cmp_ngt_f64_e32 vcc, -1.0, v[54:55]
	v_cndmask_b32_e32 v7, v1, v7, vcc
	v_cmp_nge_f64_e32 vcc, -1.0, v[54:55]
	v_cndmask_b32_e32 v6, 0, v6, vcc
	v_cmp_neq_f64_e32 vcc, -1.0, v[54:55]
	v_cndmask_b32_e32 v7, v63, v7, vcc
.LBB204_22:                             ;   in Loop: Header=BB204_5 Depth=1
	s_or_b64 exec, exec, s[10:11]
.LBB204_23:                             ;   in Loop: Header=BB204_5 Depth=1
	s_or_b64 exec, exec, s[8:9]
	v_max_f64 v[54:55], |v[2:3]|, |v[2:3]|
	v_max_f64 v[56:57], |v[4:5]|, |v[4:5]|
	v_max_f64 v[54:55], v[54:55], v[56:57]
	v_frexp_exp_i32_f64_e32 v19, v[54:55]
	v_sub_u32_e32 v58, 0, v19
	v_ldexp_f64 v[54:55], |v[2:3]|, v58
	v_ldexp_f64 v[58:59], |v[4:5]|, v58
	v_mul_f64 v[58:59], v[58:59], v[58:59]
	v_fmac_f64_e32 v[58:59], v[54:55], v[54:55]
	v_rsq_f64_e32 v[54:55], v[58:59]
	v_cmp_eq_f64_e32 vcc, 0, v[58:59]
	v_cmp_class_f64_e64 s[8:9], v[2:3], s83
	v_cmp_class_f64_e64 s[18:19], v[4:5], s83
	v_mul_f64 v[60:61], v[58:59], v[54:55]
	v_mul_f64 v[54:55], v[54:55], 0.5
	v_fma_f64 v[68:69], -v[54:55], v[60:61], 0.5
	v_fmac_f64_e32 v[60:61], v[60:61], v[68:69]
	v_fmac_f64_e32 v[54:55], v[54:55], v[68:69]
	v_fma_f64 v[68:69], -v[60:61], v[60:61], v[58:59]
	v_fmac_f64_e32 v[60:61], v[68:69], v[54:55]
	v_cndmask_b32_e32 v55, v61, v59, vcc
	v_cndmask_b32_e32 v54, v60, v58, vcc
	v_ldexp_f64 v[54:55], v[54:55], v19
	v_cmp_u_f64_e32 vcc, v[2:3], v[4:5]
	s_or_b64 s[14:15], s[8:9], s[18:19]
	v_cmp_ngt_f64_e64 s[10:11], 0.5, v[54:55]
	v_add_f64 v[54:55], v[2:3], 1.0
	s_or_b64 s[14:15], s[14:15], vcc
	v_max_f64 v[58:59], |v[54:55]|, v[56:57]
	v_cmp_o_f64_e64 s[8:9], v[54:55], v[4:5]
	v_cmp_class_f64_e64 s[12:13], v[54:55], s83
	s_or_b64 s[10:11], s[14:15], s[10:11]
	s_and_saveexec_b64 s[14:15], s[10:11]
	s_xor_b64 s[14:15], exec, s[14:15]
	s_cbranch_execz .LBB204_25
; %bb.24:                               ;   in Loop: Header=BB204_5 Depth=1
	v_frexp_exp_i32_f64_e32 v19, v[58:59]
	v_sub_u32_e32 v60, 0, v19
	v_ldexp_f64 v[2:3], |v[54:55]|, v60
	v_ldexp_f64 v[60:61], |v[4:5]|, v60
	v_mul_f64 v[60:61], v[60:61], v[60:61]
	v_fmac_f64_e32 v[60:61], v[2:3], v[2:3]
	v_rsq_f64_e32 v[2:3], v[60:61]
	v_cmp_eq_f64_e32 vcc, 0, v[60:61]
	v_mul_f64 v[68:69], v[60:61], v[2:3]
	v_mul_f64 v[2:3], v[2:3], 0.5
	v_fma_f64 v[70:71], -v[2:3], v[68:69], 0.5
	v_fmac_f64_e32 v[68:69], v[68:69], v[70:71]
	v_fmac_f64_e32 v[2:3], v[2:3], v[70:71]
	v_fma_f64 v[70:71], -v[68:69], v[68:69], v[60:61]
	v_fmac_f64_e32 v[68:69], v[70:71], v[2:3]
	v_cndmask_b32_e32 v3, v69, v61, vcc
	v_cndmask_b32_e32 v2, v68, v60, vcc
	v_ldexp_f64 v[2:3], v[2:3], v19
	v_cndmask_b32_e64 v82, 0, v2, s[8:9]
	v_cndmask_b32_e64 v83, v1, v3, s[8:9]
	s_or_b64 vcc, s[12:13], s[18:19]
	v_cndmask_b32_e32 v61, v83, v21, vcc
	v_cndmask_b32_e64 v60, v82, 0, vcc
	v_frexp_mant_f64_e32 v[68:69], v[60:61]
	v_cmp_gt_f64_e64 s[10:11], s[26:27], v[68:69]
	v_cndmask_b32_e64 v19, v62, 2.0, s[10:11]
	v_frexp_exp_i32_f64_e32 v70, v[60:61]
	v_mul_f64 v[68:69], v[68:69], v[18:19]
	v_subbrev_co_u32_e64 v19, s[10:11], 0, v70, s[10:11]
	v_add_f64 v[70:71], v[68:69], 1.0
	v_rcp_f64_e32 v[72:73], v[70:71]
	v_add_f64 v[76:77], v[70:71], -1.0
	v_add_f64 v[74:75], v[68:69], -1.0
	v_add_f64 v[68:69], v[68:69], -v[76:77]
	v_fma_f64 v[76:77], -v[70:71], v[72:73], 1.0
	v_fmac_f64_e32 v[72:73], v[76:77], v[72:73]
	v_fma_f64 v[76:77], -v[70:71], v[72:73], 1.0
	v_fmac_f64_e32 v[72:73], v[76:77], v[72:73]
	v_mul_f64 v[76:77], v[74:75], v[72:73]
	v_mul_f64 v[78:79], v[70:71], v[76:77]
	v_fma_f64 v[70:71], v[76:77], v[70:71], -v[78:79]
	v_fmac_f64_e32 v[70:71], v[76:77], v[68:69]
	v_add_f64 v[68:69], v[78:79], v[70:71]
	v_add_f64 v[80:81], v[74:75], -v[68:69]
	v_add_f64 v[78:79], v[68:69], -v[78:79]
	v_add_f64 v[74:75], v[74:75], -v[80:81]
	v_add_f64 v[68:69], v[74:75], -v[68:69]
	v_add_f64 v[70:71], v[78:79], -v[70:71]
	v_add_f64 v[68:69], v[70:71], v[68:69]
	v_add_f64 v[68:69], v[80:81], v[68:69]
	v_mul_f64 v[68:69], v[72:73], v[68:69]
	v_add_f64 v[70:71], v[76:77], v[68:69]
	v_add_f64 v[72:73], v[70:71], -v[76:77]
	v_add_f64 v[68:69], v[68:69], -v[72:73]
	v_mul_f64 v[72:73], v[70:71], v[70:71]
	v_pk_mov_b32 v[74:75], v[24:25], v[24:25] op_sel:[0,1]
	v_fmac_f64_e32 v[74:75], s[28:29], v[72:73]
	v_pk_mov_b32 v[76:77], v[26:27], v[26:27] op_sel:[0,1]
	v_fmac_f64_e32 v[76:77], v[72:73], v[74:75]
	;; [unrolled: 2-line block ×6, first 2 shown]
	v_ldexp_f64 v[74:75], v[70:71], 1
	v_mul_f64 v[70:71], v[70:71], v[72:73]
	v_mul_f64 v[70:71], v[70:71], v[76:77]
	v_add_f64 v[72:73], v[74:75], v[70:71]
	v_add_f64 v[74:75], v[72:73], -v[74:75]
	v_ldexp_f64 v[68:69], v[68:69], 1
	v_add_f64 v[70:71], v[70:71], -v[74:75]
	v_add_f64 v[68:69], v[68:69], v[70:71]
	v_add_f64 v[70:71], v[72:73], v[68:69]
	v_add_f64 v[72:73], v[70:71], -v[72:73]
	v_add_f64 v[68:69], v[68:69], -v[72:73]
	v_cvt_f64_i32_e32 v[72:73], v19
	v_mul_f64 v[74:75], v[72:73], s[30:31]
	v_fma_f64 v[76:77], v[72:73], s[30:31], -v[74:75]
	v_fmac_f64_e32 v[76:77], s[34:35], v[72:73]
	v_add_f64 v[72:73], v[74:75], v[76:77]
	v_add_f64 v[74:75], v[72:73], -v[74:75]
	v_add_f64 v[74:75], v[76:77], -v[74:75]
	v_add_f64 v[76:77], v[72:73], v[70:71]
	v_add_f64 v[78:79], v[76:77], -v[72:73]
	v_add_f64 v[80:81], v[76:77], -v[78:79]
	;; [unrolled: 1-line block ×4, first 2 shown]
	v_add_f64 v[70:71], v[70:71], v[72:73]
	v_add_f64 v[72:73], v[74:75], v[68:69]
	v_add_f64 v[78:79], v[72:73], -v[74:75]
	v_add_f64 v[80:81], v[72:73], -v[78:79]
	v_add_f64 v[70:71], v[72:73], v[70:71]
	v_add_f64 v[74:75], v[74:75], -v[80:81]
	v_add_f64 v[68:69], v[68:69], -v[78:79]
	v_add_f64 v[72:73], v[76:77], v[70:71]
	v_add_f64 v[68:69], v[68:69], v[74:75]
	v_add_f64 v[74:75], v[72:73], -v[76:77]
	v_add_f64 v[70:71], v[70:71], -v[74:75]
	v_and_b32_e32 v3, 0x7fffffff, v3
	v_add_f64 v[68:69], v[68:69], v[70:71]
	v_cmp_eq_f64_e64 s[10:11], s[36:37], v[2:3]
	v_add_f64 v[68:69], v[72:73], v[68:69]
	s_and_b64 s[10:11], s[8:9], s[10:11]
	v_cndmask_b32_e64 v2, v69, v83, s[10:11]
	v_cndmask_b32_e64 v3, v68, v82, s[10:11]
	v_cndmask_b32_e64 v3, v3, 0, vcc
	v_cndmask_b32_e32 v2, v2, v21, vcc
	v_cmp_ngt_f64_e32 vcc, 0, v[60:61]
	v_cndmask_b32_e32 v19, v1, v2, vcc
	v_cmp_nge_f64_e32 vcc, 0, v[60:61]
	v_cndmask_b32_e32 v2, 0, v3, vcc
	v_cmp_neq_f64_e32 vcc, 0, v[60:61]
	v_cndmask_b32_e32 v3, v63, v19, vcc
.LBB204_25:                             ;   in Loop: Header=BB204_5 Depth=1
	s_andn2_saveexec_b64 s[10:11], s[14:15]
	s_cbranch_execz .LBB204_4
; %bb.26:                               ;   in Loop: Header=BB204_5 Depth=1
	v_add_f64 v[68:69], v[2:3], 2.0
	v_mul_f64 v[60:61], v[4:5], v[4:5]
	v_fmac_f64_e32 v[60:61], v[2:3], v[68:69]
	v_cmp_neq_f64_e32 vcc, 0, v[60:61]
	s_and_saveexec_b64 s[14:15], vcc
	s_cbranch_execz .LBB204_3
; %bb.27:                               ;   in Loop: Header=BB204_5 Depth=1
	v_add_f64 v[2:3], v[60:61], 1.0
	v_add_f64 v[68:69], v[2:3], -1.0
	v_add_f64 v[70:71], v[68:69], -v[2:3]
	v_add_f64 v[70:71], v[70:71], 1.0
	v_add_f64 v[68:69], v[60:61], -v[68:69]
	v_add_f64 v[68:69], v[68:69], v[70:71]
	v_frexp_mant_f64_e32 v[70:71], v[2:3]
	v_frexp_exp_i32_f64_e32 v19, v[2:3]
	v_cmp_gt_f64_e32 vcc, s[26:27], v[70:71]
	v_subbrev_co_u32_e32 v19, vcc, 0, v19, vcc
	v_sub_u32_e32 v70, 0, v19
	v_ldexp_f64 v[2:3], v[2:3], v70
	v_ldexp_f64 v[68:69], v[68:69], v70
	v_add_f64 v[70:71], v[2:3], -1.0
	v_add_f64 v[76:77], v[2:3], 1.0
	v_add_f64 v[72:73], v[70:71], 1.0
	v_add_f64 v[78:79], v[76:77], -1.0
	v_add_f64 v[72:73], v[2:3], -v[72:73]
	v_add_f64 v[2:3], v[2:3], -v[78:79]
	v_add_f64 v[2:3], v[68:69], v[2:3]
	v_add_f64 v[72:73], v[68:69], v[72:73]
	v_add_f64 v[68:69], v[76:77], v[2:3]
	v_rcp_f64_e32 v[78:79], v[68:69]
	v_add_f64 v[74:75], v[70:71], v[72:73]
	v_add_f64 v[70:71], v[74:75], -v[70:71]
	v_add_f64 v[70:71], v[72:73], -v[70:71]
	;; [unrolled: 1-line block ×4, first 2 shown]
	v_fma_f64 v[72:73], -v[68:69], v[78:79], 1.0
	v_fmac_f64_e32 v[78:79], v[72:73], v[78:79]
	v_fma_f64 v[72:73], -v[68:69], v[78:79], 1.0
	v_fmac_f64_e32 v[78:79], v[72:73], v[78:79]
	v_mul_f64 v[72:73], v[74:75], v[78:79]
	v_mul_f64 v[76:77], v[68:69], v[72:73]
	v_fma_f64 v[80:81], v[72:73], v[68:69], -v[76:77]
	v_fmac_f64_e32 v[80:81], v[72:73], v[2:3]
	v_add_f64 v[82:83], v[76:77], v[80:81]
	v_add_f64 v[84:85], v[74:75], -v[82:83]
	v_add_f64 v[74:75], v[74:75], -v[84:85]
	;; [unrolled: 1-line block ×4, first 2 shown]
	v_add_f64 v[70:71], v[70:71], v[74:75]
	v_add_f64 v[74:75], v[76:77], -v[80:81]
	v_add_f64 v[70:71], v[74:75], v[70:71]
	v_add_f64 v[74:75], v[84:85], v[70:71]
	v_add_f64 v[76:77], v[84:85], -v[74:75]
	v_add_f64 v[70:71], v[70:71], v[76:77]
	v_mul_f64 v[76:77], v[78:79], v[74:75]
	v_mul_f64 v[80:81], v[68:69], v[76:77]
	v_fma_f64 v[68:69], v[76:77], v[68:69], -v[80:81]
	v_fmac_f64_e32 v[68:69], v[76:77], v[2:3]
	v_add_f64 v[2:3], v[80:81], v[68:69]
	v_add_f64 v[82:83], v[74:75], -v[2:3]
	v_add_f64 v[74:75], v[74:75], -v[82:83]
	;; [unrolled: 1-line block ×4, first 2 shown]
	v_add_f64 v[2:3], v[70:71], v[2:3]
	v_add_f64 v[68:69], v[80:81], -v[68:69]
	v_add_f64 v[2:3], v[68:69], v[2:3]
	v_add_f64 v[68:69], v[72:73], v[76:77]
	;; [unrolled: 1-line block ×3, first 2 shown]
	v_add_f64 v[70:71], v[68:69], -v[72:73]
	v_mul_f64 v[2:3], v[78:79], v[2:3]
	v_add_f64 v[70:71], v[76:77], -v[70:71]
	v_add_f64 v[2:3], v[70:71], v[2:3]
	v_add_f64 v[70:71], v[68:69], v[2:3]
	v_add_f64 v[68:69], v[70:71], -v[68:69]
	v_add_f64 v[2:3], v[2:3], -v[68:69]
	v_mul_f64 v[68:69], v[70:71], v[70:71]
	v_pk_mov_b32 v[72:73], v[24:25], v[24:25] op_sel:[0,1]
	v_fmac_f64_e32 v[72:73], s[28:29], v[68:69]
	v_pk_mov_b32 v[74:75], v[26:27], v[26:27] op_sel:[0,1]
	v_fmac_f64_e32 v[74:75], v[68:69], v[72:73]
	;; [unrolled: 2-line block ×6, first 2 shown]
	v_cvt_f64_i32_e32 v[72:73], v19
	v_mul_f64 v[76:77], v[72:73], s[30:31]
	v_fma_f64 v[78:79], v[72:73], s[30:31], -v[76:77]
	v_fmac_f64_e32 v[78:79], s[34:35], v[72:73]
	v_add_f64 v[72:73], v[76:77], v[78:79]
	v_add_f64 v[76:77], v[72:73], -v[76:77]
	v_mul_f64 v[68:69], v[70:71], v[68:69]
	v_add_f64 v[76:77], v[78:79], -v[76:77]
	v_ldexp_f64 v[78:79], v[70:71], 1
	v_mul_f64 v[68:69], v[68:69], v[74:75]
	v_add_f64 v[70:71], v[78:79], v[68:69]
	v_add_f64 v[74:75], v[70:71], -v[78:79]
	v_ldexp_f64 v[2:3], v[2:3], 1
	v_add_f64 v[68:69], v[68:69], -v[74:75]
	v_add_f64 v[2:3], v[2:3], v[68:69]
	v_add_f64 v[68:69], v[70:71], v[2:3]
	v_add_f64 v[70:71], v[68:69], -v[70:71]
	v_add_f64 v[2:3], v[2:3], -v[70:71]
	v_add_f64 v[70:71], v[72:73], v[68:69]
	v_add_f64 v[74:75], v[70:71], -v[72:73]
	v_add_f64 v[78:79], v[70:71], -v[74:75]
	;; [unrolled: 1-line block ×4, first 2 shown]
	v_add_f64 v[68:69], v[68:69], v[72:73]
	v_add_f64 v[72:73], v[76:77], v[2:3]
	v_add_f64 v[74:75], v[72:73], -v[76:77]
	v_add_f64 v[68:69], v[72:73], v[68:69]
	v_add_f64 v[78:79], v[72:73], -v[74:75]
	;; [unrolled: 2-line block ×3, first 2 shown]
	v_add_f64 v[2:3], v[2:3], -v[74:75]
	v_add_f64 v[70:71], v[72:73], -v[70:71]
	v_add_f64 v[2:3], v[2:3], v[76:77]
	v_add_f64 v[68:69], v[68:69], -v[70:71]
	v_add_f64 v[2:3], v[2:3], v[68:69]
	v_add_f64 v[2:3], v[72:73], v[2:3]
	v_cmp_eq_f64_e32 vcc, s[36:37], v[60:61]
	v_cndmask_b32_e32 v3, v3, v61, vcc
	v_cndmask_b32_e32 v2, v2, v60, vcc
	v_mul_f64 v[2:3], v[2:3], 0.5
	v_cmp_ngt_f64_e32 vcc, -1.0, v[60:61]
	v_cndmask_b32_e32 v3, v1, v3, vcc
	v_cmp_nge_f64_e32 vcc, -1.0, v[60:61]
	v_cndmask_b32_e32 v2, 0, v2, vcc
	v_cmp_neq_f64_e32 vcc, -1.0, v[60:61]
	v_cndmask_b32_e32 v3, v63, v3, vcc
	s_branch .LBB204_3
.LBB204_28:
	v_readlane_b32 s0, v138, 6
	v_readlane_b32 s1, v138, 7
	s_or_b64 exec, exec, s[0:1]
	v_readlane_b32 s4, v138, 4
	s_mov_b64 s[0:1], 0
	v_readlane_b32 s5, v138, 5
.LBB204_29:
	s_andn2_b64 vcc, exec, s[0:1]
	s_cbranch_vccnz .LBB204_73
; %bb.30:
	v_cmp_lt_i64_e64 s[0:1], s[24:25], 1
	s_and_b64 vcc, exec, s[0:1]
	s_cbranch_vccnz .LBB204_73
; %bb.31:
	s_load_dword s0, s[4:5], 0xc5c
	v_mov_b32_e32 v2, 0x10000
	v_mov_b32_e32 v18, 0
	;; [unrolled: 1-line block ×3, first 2 shown]
	v_cmp_lt_u64_e32 vcc, s[24:25], v[2:3]
	s_waitcnt lgkmcnt(0)
	s_and_b32 s64, s0, 0xffff
	v_lshl_or_b32 v2, v0, 4, 8
	v_mov_b32_e32 v3, v18
	v_readlane_b32 s2, v138, 0
	v_readlane_b32 s3, v138, 1
	v_mad_u64_u32 v[4:5], s[0:1], s64, 48, v[2:3]
	s_and_b64 s[0:1], vcc, exec
	v_mov_b32_e32 v6, s3
	v_readlane_b32 s4, v138, 2
	v_add_co_u32_e32 v20, vcc, s2, v4
	v_readlane_b32 s5, v138, 3
	v_addc_co_u32_e32 v21, vcc, v6, v5, vcc
	v_mov_b32_e32 v7, s5
	v_add_co_u32_e32 v22, vcc, s4, v4
	s_cselect_b32 s27, s25, 0
	s_cselect_b32 s26, s24, 0x10000
	v_addc_co_u32_e32 v23, vcc, v7, v5, vcc
	s_lshl_b32 s0, s64, 5
	v_add_co_u32_e32 v4, vcc, s0, v2
	v_addc_co_u32_e64 v5, s[0:1], 0, 0, vcc
	v_add_co_u32_e32 v74, vcc, s4, v2
	v_add_lshl_u32 v3, v0, s64, 4
	v_addc_co_u32_e32 v75, vcc, 0, v7, vcc
	v_add_co_u32_e32 v76, vcc, s4, v3
	v_addc_co_u32_e32 v77, vcc, 0, v7, vcc
	v_add_co_u32_e32 v78, vcc, s4, v4
	;; [unrolled: 2-line block ×4, first 2 shown]
	s_mov_b32 s33, 0
	v_addc_co_u32_e32 v83, vcc, 0, v6, vcc
	s_lshl_b32 s28, s64, 2
	s_mov_b32 s29, s33
	s_mov_b32 s30, 0x55555555
	;; [unrolled: 1-line block ×8, first 2 shown]
	v_add_co_u32_e32 v84, vcc, s2, v3
	v_mov_b32_e32 v1, v18
	s_lshl_b32 s65, s64, 1
	s_mov_b32 s66, s33
	s_mul_i32 s67, s64, 3
	s_mov_b32 s68, s33
	s_lshl_b32 s69, s64, 6
	s_mov_b32 s70, s33
	s_movk_i32 s71, 0x204
	s_mov_b32 s31, 0x3fe55555
	s_mov_b32 s35, 0x3fc3ab76
	;; [unrolled: 1-line block ×4, first 2 shown]
	s_brev_b32 s72, -2
	s_mov_b32 s41, 0x7ff00000
	s_mov_b32 s43, 0x3ff921fb
	;; [unrolled: 1-line block ×4, first 2 shown]
	v_mov_b32_e32 v24, 0x6b47b09a
	v_mov_b32_e32 v25, 0x3fc38538
	;; [unrolled: 1-line block ×50, first 2 shown]
	s_mov_b64 s[48:49], s[28:29]
	v_addc_co_u32_e32 v85, vcc, 0, v6, vcc
	v_mov_b32_e32 v112, 0x7ff80000
	v_mov_b32_e32 v113, 0x7ff00000
	;; [unrolled: 1-line block ×8, first 2 shown]
	s_branch .LBB204_33
.LBB204_32:                             ;   in Loop: Header=BB204_33 Depth=1
	s_or_b64 exec, exec, s[2:3]
	v_pk_mov_b32 v[2:3], s[24:25], s[24:25] op_sel:[0,1]
	v_cmp_ge_i64_e32 vcc, s[48:49], v[2:3]
	v_mov_b32_e32 v2, 0xffff
	v_mov_b32_e32 v3, 0
	v_cmp_gt_u64_e64 s[0:1], s[48:49], v[2:3]
	s_or_b64 s[0:1], vcc, s[0:1]
	v_mov_b32_e32 v2, s29
	v_add_co_u32_e32 v0, vcc, s28, v0
	v_addc_co_u32_e32 v1, vcc, v1, v2, vcc
	v_mov_b32_e32 v2, s70
	v_add_co_u32_e32 v82, vcc, s69, v82
	v_addc_co_u32_e32 v83, vcc, v83, v2, vcc
	v_add_co_u32_e32 v74, vcc, s69, v74
	v_addc_co_u32_e32 v75, vcc, v75, v2, vcc
	;; [unrolled: 2-line block ×7, first 2 shown]
	v_add_co_u32_e32 v78, vcc, s69, v78
	s_add_u32 s48, s48, s28
	v_addc_co_u32_e32 v79, vcc, v79, v2, vcc
	s_addc_u32 s49, s49, 0
	s_and_b64 vcc, exec, s[0:1]
	s_cbranch_vccnz .LBB204_73
.LBB204_33:                             ; =>This Inner Loop Header: Depth=1
	v_pk_mov_b32 v[12:13], 0, 0
	v_cmp_gt_u64_e32 vcc, s[26:27], v[0:1]
	v_pk_mov_b32 v[16:17], v[12:13], v[12:13] op_sel:[0,1]
	v_pk_mov_b32 v[14:15], v[12:13], v[12:13] op_sel:[0,1]
	s_and_saveexec_b64 s[2:3], vcc
	s_cbranch_execz .LBB204_35
; %bb.34:                               ;   in Loop: Header=BB204_33 Depth=1
	v_mov_b32_e32 v3, s23
	v_add_co_u32_e64 v2, s[0:1], s22, v82
	v_addc_co_u32_e64 v3, s[0:1], v83, v3, s[0:1]
	global_load_dwordx4 v[14:17], v[2:3], off offset:-8
.LBB204_35:                             ;   in Loop: Header=BB204_33 Depth=1
	s_or_b64 exec, exec, s[2:3]
	v_mov_b32_e32 v3, s33
	v_add_co_u32_e64 v2, s[0:1], s64, v0
	v_addc_co_u32_e64 v3, s[0:1], v3, v1, s[0:1]
	v_cmp_gt_u64_e64 s[4:5], s[26:27], v[2:3]
	v_pk_mov_b32 v[10:11], v[12:13], v[12:13] op_sel:[0,1]
	s_and_saveexec_b64 s[2:3], s[4:5]
	s_cbranch_execz .LBB204_37
; %bb.36:                               ;   in Loop: Header=BB204_33 Depth=1
	v_mov_b32_e32 v3, s23
	v_add_co_u32_e64 v2, s[0:1], s22, v84
	v_addc_co_u32_e64 v3, s[0:1], v85, v3, s[0:1]
	global_load_dwordx4 v[10:13], v[2:3], off
.LBB204_37:                             ;   in Loop: Header=BB204_33 Depth=1
	s_or_b64 exec, exec, s[2:3]
	v_mov_b32_e32 v3, s66
	v_add_co_u32_e64 v2, s[0:1], s65, v0
	v_addc_co_u32_e64 v3, s[0:1], v3, v1, s[0:1]
	v_pk_mov_b32 v[4:5], 0, 0
	v_cmp_gt_u64_e64 s[2:3], s[26:27], v[2:3]
	v_pk_mov_b32 v[8:9], v[4:5], v[4:5] op_sel:[0,1]
	v_pk_mov_b32 v[6:7], v[4:5], v[4:5] op_sel:[0,1]
	s_and_saveexec_b64 s[6:7], s[2:3]
	s_cbranch_execz .LBB204_39
; %bb.38:                               ;   in Loop: Header=BB204_33 Depth=1
	v_mov_b32_e32 v3, s23
	v_add_co_u32_e64 v2, s[0:1], s22, v80
	v_addc_co_u32_e64 v3, s[0:1], v81, v3, s[0:1]
	global_load_dwordx4 v[6:9], v[2:3], off offset:-8
.LBB204_39:                             ;   in Loop: Header=BB204_33 Depth=1
	s_or_b64 exec, exec, s[6:7]
	v_mov_b32_e32 v3, s68
	v_add_co_u32_e64 v2, s[0:1], s67, v0
	v_addc_co_u32_e64 v3, s[0:1], v3, v1, s[0:1]
	v_cmp_gt_u64_e64 s[0:1], s[26:27], v[2:3]
	v_pk_mov_b32 v[2:3], v[4:5], v[4:5] op_sel:[0,1]
	s_and_saveexec_b64 s[8:9], s[0:1]
	s_cbranch_execz .LBB204_41
; %bb.40:                               ;   in Loop: Header=BB204_33 Depth=1
	v_mov_b32_e32 v3, s23
	v_add_co_u32_e64 v2, s[6:7], s22, v20
	v_addc_co_u32_e64 v3, s[6:7], v21, v3, s[6:7]
	global_load_dwordx4 v[2:5], v[2:3], off offset:-8
.LBB204_41:                             ;   in Loop: Header=BB204_33 Depth=1
	s_or_b64 exec, exec, s[8:9]
	s_waitcnt vmcnt(0)
	v_max_f64 v[88:89], |v[14:15]|, |v[14:15]|
	v_max_f64 v[86:87], |v[16:17]|, |v[16:17]|
	v_max_f64 v[88:89], v[88:89], v[86:87]
	v_frexp_exp_i32_f64_e32 v19, v[88:89]
	v_sub_u32_e32 v90, 0, v19
	v_ldexp_f64 v[88:89], |v[14:15]|, v90
	v_ldexp_f64 v[90:91], |v[16:17]|, v90
	v_mul_f64 v[90:91], v[90:91], v[90:91]
	v_fmac_f64_e32 v[90:91], v[88:89], v[88:89]
	v_rsq_f64_e32 v[88:89], v[90:91]
	v_cmp_eq_f64_e64 s[6:7], 0, v[90:91]
	v_cmp_class_f64_e64 s[18:19], v[16:17], s71
	v_cmp_u_f64_e64 s[8:9], v[14:15], v[16:17]
	v_mul_f64 v[92:93], v[90:91], v[88:89]
	v_mul_f64 v[88:89], v[88:89], 0.5
	v_fma_f64 v[94:95], -v[88:89], v[92:93], 0.5
	v_fmac_f64_e32 v[92:93], v[92:93], v[94:95]
	v_fmac_f64_e32 v[88:89], v[88:89], v[94:95]
	v_fma_f64 v[94:95], -v[92:93], v[92:93], v[90:91]
	v_fmac_f64_e32 v[92:93], v[94:95], v[88:89]
	v_cndmask_b32_e64 v89, v93, v91, s[6:7]
	v_cndmask_b32_e64 v88, v92, v90, s[6:7]
	v_cmp_class_f64_e64 s[6:7], v[14:15], s71
	v_ldexp_f64 v[88:89], v[88:89], v19
	s_or_b64 s[12:13], s[18:19], s[6:7]
	v_cmp_ngt_f64_e64 s[10:11], 0.5, v[88:89]
	v_add_f64 v[90:91], v[14:15], 1.0
	s_or_b64 s[8:9], s[12:13], s[8:9]
	v_max_f64 v[88:89], |v[90:91]|, v[86:87]
	v_cmp_o_f64_e64 s[6:7], v[90:91], v[16:17]
	v_cmp_class_f64_e64 s[20:21], v[90:91], s71
	s_or_b64 s[8:9], s[8:9], s[10:11]
	s_and_saveexec_b64 s[10:11], s[8:9]
	s_xor_b64 s[12:13], exec, s[10:11]
	s_cbranch_execz .LBB204_43
; %bb.42:                               ;   in Loop: Header=BB204_33 Depth=1
	v_frexp_exp_i32_f64_e32 v19, v[88:89]
	v_sub_u32_e32 v92, 0, v19
	v_ldexp_f64 v[14:15], |v[90:91]|, v92
	v_ldexp_f64 v[92:93], |v[16:17]|, v92
	v_mul_f64 v[92:93], v[92:93], v[92:93]
	v_fmac_f64_e32 v[92:93], v[14:15], v[14:15]
	v_rsq_f64_e32 v[14:15], v[92:93]
	v_cmp_eq_f64_e64 s[8:9], 0, v[92:93]
	v_mul_f64 v[94:95], v[92:93], v[14:15]
	v_mul_f64 v[14:15], v[14:15], 0.5
	v_fma_f64 v[96:97], -v[14:15], v[94:95], 0.5
	v_fmac_f64_e32 v[94:95], v[94:95], v[96:97]
	v_fmac_f64_e32 v[14:15], v[14:15], v[96:97]
	v_fma_f64 v[96:97], -v[94:95], v[94:95], v[92:93]
	v_fmac_f64_e32 v[94:95], v[96:97], v[14:15]
	v_cndmask_b32_e64 v15, v95, v93, s[8:9]
	v_cndmask_b32_e64 v14, v94, v92, s[8:9]
	v_ldexp_f64 v[14:15], v[14:15], v19
	v_cndmask_b32_e64 v108, 0, v14, s[6:7]
	v_cndmask_b32_e64 v109, v112, v15, s[6:7]
	s_or_b64 s[8:9], s[18:19], s[20:21]
	v_cndmask_b32_e64 v93, v109, v113, s[8:9]
	v_cndmask_b32_e64 v92, v108, 0, s[8:9]
	v_frexp_mant_f64_e32 v[94:95], v[92:93]
	v_cmp_gt_f64_e64 s[10:11], s[30:31], v[94:95]
	v_cndmask_b32_e64 v19, v114, 2.0, s[10:11]
	v_frexp_exp_i32_f64_e32 v96, v[92:93]
	v_mul_f64 v[94:95], v[94:95], v[18:19]
	v_subbrev_co_u32_e64 v19, s[10:11], 0, v96, s[10:11]
	v_add_f64 v[96:97], v[94:95], 1.0
	v_rcp_f64_e32 v[98:99], v[96:97]
	v_add_f64 v[102:103], v[96:97], -1.0
	v_add_f64 v[100:101], v[94:95], -1.0
	v_add_f64 v[94:95], v[94:95], -v[102:103]
	v_fma_f64 v[102:103], -v[96:97], v[98:99], 1.0
	v_fmac_f64_e32 v[98:99], v[102:103], v[98:99]
	v_fma_f64 v[102:103], -v[96:97], v[98:99], 1.0
	v_fmac_f64_e32 v[98:99], v[102:103], v[98:99]
	v_mul_f64 v[102:103], v[100:101], v[98:99]
	v_mul_f64 v[104:105], v[96:97], v[102:103]
	v_fma_f64 v[96:97], v[102:103], v[96:97], -v[104:105]
	v_fmac_f64_e32 v[96:97], v[102:103], v[94:95]
	v_add_f64 v[94:95], v[104:105], v[96:97]
	v_add_f64 v[106:107], v[100:101], -v[94:95]
	v_add_f64 v[104:105], v[94:95], -v[104:105]
	;; [unrolled: 1-line block ×5, first 2 shown]
	v_add_f64 v[94:95], v[96:97], v[94:95]
	v_add_f64 v[94:95], v[106:107], v[94:95]
	v_mul_f64 v[94:95], v[98:99], v[94:95]
	v_add_f64 v[96:97], v[102:103], v[94:95]
	v_add_f64 v[98:99], v[96:97], -v[102:103]
	v_add_f64 v[94:95], v[94:95], -v[98:99]
	v_mul_f64 v[98:99], v[96:97], v[96:97]
	v_pk_mov_b32 v[100:101], v[24:25], v[24:25] op_sel:[0,1]
	v_fmac_f64_e32 v[100:101], s[34:35], v[98:99]
	v_pk_mov_b32 v[102:103], v[26:27], v[26:27] op_sel:[0,1]
	v_fmac_f64_e32 v[102:103], v[98:99], v[100:101]
	;; [unrolled: 2-line block ×6, first 2 shown]
	v_ldexp_f64 v[100:101], v[96:97], 1
	v_mul_f64 v[96:97], v[96:97], v[98:99]
	v_mul_f64 v[96:97], v[96:97], v[102:103]
	v_add_f64 v[98:99], v[100:101], v[96:97]
	v_add_f64 v[100:101], v[98:99], -v[100:101]
	v_ldexp_f64 v[94:95], v[94:95], 1
	v_add_f64 v[96:97], v[96:97], -v[100:101]
	v_add_f64 v[94:95], v[94:95], v[96:97]
	v_add_f64 v[96:97], v[98:99], v[94:95]
	v_add_f64 v[98:99], v[96:97], -v[98:99]
	v_add_f64 v[94:95], v[94:95], -v[98:99]
	v_cvt_f64_i32_e32 v[98:99], v19
	v_mul_f64 v[100:101], v[98:99], s[36:37]
	v_fma_f64 v[102:103], v[98:99], s[36:37], -v[100:101]
	v_fmac_f64_e32 v[102:103], s[38:39], v[98:99]
	v_add_f64 v[98:99], v[100:101], v[102:103]
	v_add_f64 v[100:101], v[98:99], -v[100:101]
	v_add_f64 v[100:101], v[102:103], -v[100:101]
	v_add_f64 v[102:103], v[98:99], v[96:97]
	v_add_f64 v[104:105], v[102:103], -v[98:99]
	v_add_f64 v[106:107], v[102:103], -v[104:105]
	;; [unrolled: 1-line block ×4, first 2 shown]
	v_add_f64 v[96:97], v[96:97], v[98:99]
	v_add_f64 v[98:99], v[100:101], v[94:95]
	v_add_f64 v[104:105], v[98:99], -v[100:101]
	v_add_f64 v[106:107], v[98:99], -v[104:105]
	v_add_f64 v[96:97], v[98:99], v[96:97]
	v_add_f64 v[100:101], v[100:101], -v[106:107]
	v_add_f64 v[94:95], v[94:95], -v[104:105]
	v_add_f64 v[98:99], v[102:103], v[96:97]
	v_add_f64 v[94:95], v[94:95], v[100:101]
	v_add_f64 v[100:101], v[98:99], -v[102:103]
	v_add_f64 v[96:97], v[96:97], -v[100:101]
	v_and_b32_e32 v15, 0x7fffffff, v15
	v_add_f64 v[94:95], v[94:95], v[96:97]
	v_cmp_eq_f64_e64 s[10:11], s[40:41], v[14:15]
	v_add_f64 v[94:95], v[98:99], v[94:95]
	s_and_b64 s[10:11], s[6:7], s[10:11]
	v_cndmask_b32_e64 v14, v95, v109, s[10:11]
	v_cndmask_b32_e64 v15, v94, v108, s[10:11]
	;; [unrolled: 1-line block ×4, first 2 shown]
	v_cmp_ngt_f64_e64 s[8:9], 0, v[92:93]
	v_cndmask_b32_e64 v19, v112, v14, s[8:9]
	v_cmp_nge_f64_e64 s[8:9], 0, v[92:93]
	v_cndmask_b32_e64 v14, 0, v15, s[8:9]
	v_cmp_neq_f64_e64 s[8:9], 0, v[92:93]
	v_cndmask_b32_e64 v15, v115, v19, s[8:9]
.LBB204_43:                             ;   in Loop: Header=BB204_33 Depth=1
	s_andn2_saveexec_b64 s[10:11], s[12:13]
	s_cbranch_execz .LBB204_47
; %bb.44:                               ;   in Loop: Header=BB204_33 Depth=1
	v_add_f64 v[92:93], v[14:15], 2.0
	v_mul_f64 v[92:93], v[14:15], v[92:93]
	v_fmac_f64_e32 v[92:93], v[16:17], v[16:17]
	v_cmp_neq_f64_e64 s[8:9], 0, v[92:93]
	s_and_saveexec_b64 s[12:13], s[8:9]
	s_cbranch_execz .LBB204_46
; %bb.45:                               ;   in Loop: Header=BB204_33 Depth=1
	v_add_f64 v[14:15], v[92:93], 1.0
	v_add_f64 v[94:95], v[14:15], -1.0
	v_add_f64 v[96:97], v[94:95], -v[14:15]
	v_add_f64 v[96:97], v[96:97], 1.0
	v_add_f64 v[94:95], v[92:93], -v[94:95]
	v_add_f64 v[94:95], v[94:95], v[96:97]
	v_frexp_mant_f64_e32 v[96:97], v[14:15]
	v_frexp_exp_i32_f64_e32 v19, v[14:15]
	v_cmp_gt_f64_e64 s[8:9], s[30:31], v[96:97]
	v_subbrev_co_u32_e64 v19, s[8:9], 0, v19, s[8:9]
	v_sub_u32_e32 v96, 0, v19
	v_ldexp_f64 v[14:15], v[14:15], v96
	v_ldexp_f64 v[94:95], v[94:95], v96
	v_add_f64 v[96:97], v[14:15], -1.0
	v_add_f64 v[102:103], v[14:15], 1.0
	v_add_f64 v[98:99], v[96:97], 1.0
	v_add_f64 v[104:105], v[102:103], -1.0
	v_add_f64 v[98:99], v[14:15], -v[98:99]
	v_add_f64 v[14:15], v[14:15], -v[104:105]
	v_add_f64 v[14:15], v[94:95], v[14:15]
	v_add_f64 v[98:99], v[94:95], v[98:99]
	;; [unrolled: 1-line block ×3, first 2 shown]
	v_rcp_f64_e32 v[104:105], v[94:95]
	v_add_f64 v[100:101], v[96:97], v[98:99]
	v_add_f64 v[96:97], v[100:101], -v[96:97]
	v_add_f64 v[96:97], v[98:99], -v[96:97]
	;; [unrolled: 1-line block ×4, first 2 shown]
	v_fma_f64 v[98:99], -v[94:95], v[104:105], 1.0
	v_fmac_f64_e32 v[104:105], v[98:99], v[104:105]
	v_fma_f64 v[98:99], -v[94:95], v[104:105], 1.0
	v_fmac_f64_e32 v[104:105], v[98:99], v[104:105]
	v_mul_f64 v[98:99], v[100:101], v[104:105]
	v_mul_f64 v[102:103], v[94:95], v[98:99]
	v_fma_f64 v[106:107], v[98:99], v[94:95], -v[102:103]
	v_fmac_f64_e32 v[106:107], v[98:99], v[14:15]
	v_add_f64 v[108:109], v[102:103], v[106:107]
	v_add_f64 v[110:111], v[100:101], -v[108:109]
	v_add_f64 v[100:101], v[100:101], -v[110:111]
	;; [unrolled: 1-line block ×4, first 2 shown]
	v_add_f64 v[96:97], v[96:97], v[100:101]
	v_add_f64 v[100:101], v[102:103], -v[106:107]
	v_add_f64 v[96:97], v[100:101], v[96:97]
	v_add_f64 v[100:101], v[110:111], v[96:97]
	v_add_f64 v[102:103], v[110:111], -v[100:101]
	v_add_f64 v[96:97], v[96:97], v[102:103]
	v_mul_f64 v[102:103], v[104:105], v[100:101]
	v_mul_f64 v[106:107], v[94:95], v[102:103]
	v_fma_f64 v[94:95], v[102:103], v[94:95], -v[106:107]
	v_fmac_f64_e32 v[94:95], v[102:103], v[14:15]
	v_add_f64 v[14:15], v[106:107], v[94:95]
	v_add_f64 v[108:109], v[100:101], -v[14:15]
	v_add_f64 v[100:101], v[100:101], -v[108:109]
	;; [unrolled: 1-line block ×4, first 2 shown]
	v_add_f64 v[14:15], v[96:97], v[14:15]
	v_add_f64 v[94:95], v[106:107], -v[94:95]
	v_add_f64 v[14:15], v[94:95], v[14:15]
	v_add_f64 v[94:95], v[98:99], v[102:103]
	;; [unrolled: 1-line block ×3, first 2 shown]
	v_add_f64 v[96:97], v[94:95], -v[98:99]
	v_mul_f64 v[14:15], v[104:105], v[14:15]
	v_add_f64 v[96:97], v[102:103], -v[96:97]
	v_add_f64 v[14:15], v[96:97], v[14:15]
	v_add_f64 v[96:97], v[94:95], v[14:15]
	v_add_f64 v[94:95], v[96:97], -v[94:95]
	v_add_f64 v[14:15], v[14:15], -v[94:95]
	v_mul_f64 v[94:95], v[96:97], v[96:97]
	v_pk_mov_b32 v[98:99], v[24:25], v[24:25] op_sel:[0,1]
	v_fmac_f64_e32 v[98:99], s[34:35], v[94:95]
	v_pk_mov_b32 v[100:101], v[26:27], v[26:27] op_sel:[0,1]
	v_fmac_f64_e32 v[100:101], v[94:95], v[98:99]
	;; [unrolled: 2-line block ×6, first 2 shown]
	v_cvt_f64_i32_e32 v[98:99], v19
	v_mul_f64 v[102:103], v[98:99], s[36:37]
	v_fma_f64 v[104:105], v[98:99], s[36:37], -v[102:103]
	v_fmac_f64_e32 v[104:105], s[38:39], v[98:99]
	v_add_f64 v[98:99], v[102:103], v[104:105]
	v_add_f64 v[102:103], v[98:99], -v[102:103]
	v_mul_f64 v[94:95], v[96:97], v[94:95]
	v_add_f64 v[102:103], v[104:105], -v[102:103]
	v_ldexp_f64 v[104:105], v[96:97], 1
	v_mul_f64 v[94:95], v[94:95], v[100:101]
	v_add_f64 v[96:97], v[104:105], v[94:95]
	v_add_f64 v[100:101], v[96:97], -v[104:105]
	v_ldexp_f64 v[14:15], v[14:15], 1
	v_add_f64 v[94:95], v[94:95], -v[100:101]
	v_add_f64 v[14:15], v[14:15], v[94:95]
	v_add_f64 v[94:95], v[96:97], v[14:15]
	v_add_f64 v[96:97], v[94:95], -v[96:97]
	v_add_f64 v[14:15], v[14:15], -v[96:97]
	v_add_f64 v[96:97], v[98:99], v[94:95]
	v_add_f64 v[100:101], v[96:97], -v[98:99]
	v_add_f64 v[104:105], v[96:97], -v[100:101]
	;; [unrolled: 1-line block ×4, first 2 shown]
	v_add_f64 v[94:95], v[94:95], v[98:99]
	v_add_f64 v[98:99], v[102:103], v[14:15]
	v_add_f64 v[100:101], v[98:99], -v[102:103]
	v_add_f64 v[94:95], v[98:99], v[94:95]
	v_add_f64 v[104:105], v[98:99], -v[100:101]
	;; [unrolled: 2-line block ×3, first 2 shown]
	v_add_f64 v[14:15], v[14:15], -v[100:101]
	v_add_f64 v[96:97], v[98:99], -v[96:97]
	v_add_f64 v[14:15], v[14:15], v[102:103]
	v_add_f64 v[94:95], v[94:95], -v[96:97]
	v_add_f64 v[14:15], v[14:15], v[94:95]
	v_add_f64 v[14:15], v[98:99], v[14:15]
	v_cmp_eq_f64_e64 s[8:9], s[40:41], v[92:93]
	v_cndmask_b32_e64 v15, v15, v93, s[8:9]
	v_cndmask_b32_e64 v14, v14, v92, s[8:9]
	v_mul_f64 v[14:15], v[14:15], 0.5
	v_cmp_ngt_f64_e64 s[8:9], -1.0, v[92:93]
	v_cndmask_b32_e64 v15, v112, v15, s[8:9]
	v_cmp_nge_f64_e64 s[8:9], -1.0, v[92:93]
	v_cndmask_b32_e64 v14, 0, v14, s[8:9]
	v_cmp_neq_f64_e64 s[8:9], -1.0, v[92:93]
	v_cndmask_b32_e64 v15, v115, v15, s[8:9]
.LBB204_46:                             ;   in Loop: Header=BB204_33 Depth=1
	s_or_b64 exec, exec, s[12:13]
.LBB204_47:                             ;   in Loop: Header=BB204_33 Depth=1
	s_or_b64 exec, exec, s[10:11]
	v_max_f64 v[92:93], |v[10:11]|, |v[10:11]|
	v_max_f64 v[94:95], |v[12:13]|, |v[12:13]|
	v_max_f64 v[92:93], v[92:93], v[94:95]
	v_frexp_exp_i32_f64_e32 v19, v[92:93]
	v_sub_u32_e32 v96, 0, v19
	v_ldexp_f64 v[92:93], |v[10:11]|, v96
	v_ldexp_f64 v[96:97], |v[12:13]|, v96
	v_mul_f64 v[96:97], v[96:97], v[96:97]
	v_fmac_f64_e32 v[96:97], v[92:93], v[92:93]
	v_rsq_f64_e32 v[92:93], v[96:97]
	v_cmp_eq_f64_e64 s[8:9], 0, v[96:97]
	v_cmp_class_f64_e64 s[50:51], v[12:13], s71
	v_cmp_u_f64_e64 s[10:11], v[10:11], v[12:13]
	v_mul_f64 v[98:99], v[96:97], v[92:93]
	v_mul_f64 v[92:93], v[92:93], 0.5
	v_fma_f64 v[100:101], -v[92:93], v[98:99], 0.5
	v_fmac_f64_e32 v[98:99], v[98:99], v[100:101]
	v_fmac_f64_e32 v[92:93], v[92:93], v[100:101]
	v_fma_f64 v[100:101], -v[98:99], v[98:99], v[96:97]
	v_fmac_f64_e32 v[98:99], v[100:101], v[92:93]
	v_cndmask_b32_e64 v93, v99, v97, s[8:9]
	v_cndmask_b32_e64 v92, v98, v96, s[8:9]
	v_cmp_class_f64_e64 s[8:9], v[10:11], s71
	v_ldexp_f64 v[92:93], v[92:93], v19
	s_or_b64 s[14:15], s[50:51], s[8:9]
	v_cmp_ngt_f64_e64 s[12:13], 0.5, v[92:93]
	v_add_f64 v[92:93], v[10:11], 1.0
	s_or_b64 s[10:11], s[14:15], s[10:11]
	v_max_f64 v[96:97], |v[92:93]|, v[94:95]
	v_cmp_o_f64_e64 s[8:9], v[92:93], v[12:13]
	v_cmp_class_f64_e64 s[52:53], v[92:93], s71
	s_or_b64 s[10:11], s[10:11], s[12:13]
	s_and_saveexec_b64 s[12:13], s[10:11]
	s_xor_b64 s[14:15], exec, s[12:13]
	s_cbranch_execz .LBB204_49
; %bb.48:                               ;   in Loop: Header=BB204_33 Depth=1
	v_frexp_exp_i32_f64_e32 v19, v[96:97]
	v_sub_u32_e32 v98, 0, v19
	v_ldexp_f64 v[10:11], |v[92:93]|, v98
	v_ldexp_f64 v[98:99], |v[12:13]|, v98
	v_mul_f64 v[98:99], v[98:99], v[98:99]
	v_fmac_f64_e32 v[98:99], v[10:11], v[10:11]
	v_rsq_f64_e32 v[10:11], v[98:99]
	v_cmp_eq_f64_e64 s[10:11], 0, v[98:99]
	v_mul_f64 v[100:101], v[98:99], v[10:11]
	v_mul_f64 v[10:11], v[10:11], 0.5
	v_fma_f64 v[102:103], -v[10:11], v[100:101], 0.5
	v_fmac_f64_e32 v[100:101], v[100:101], v[102:103]
	v_fmac_f64_e32 v[10:11], v[10:11], v[102:103]
	v_fma_f64 v[102:103], -v[100:101], v[100:101], v[98:99]
	v_fmac_f64_e32 v[100:101], v[102:103], v[10:11]
	v_cndmask_b32_e64 v11, v101, v99, s[10:11]
	v_cndmask_b32_e64 v10, v100, v98, s[10:11]
	v_ldexp_f64 v[10:11], v[10:11], v19
	v_cndmask_b32_e64 v122, 0, v10, s[8:9]
	v_cndmask_b32_e64 v123, v112, v11, s[8:9]
	s_or_b64 s[10:11], s[50:51], s[52:53]
	v_cndmask_b32_e64 v99, v123, v113, s[10:11]
	v_cndmask_b32_e64 v98, v122, 0, s[10:11]
	v_frexp_mant_f64_e32 v[100:101], v[98:99]
	v_cmp_gt_f64_e64 s[12:13], s[30:31], v[100:101]
	v_cndmask_b32_e64 v19, v114, 2.0, s[12:13]
	v_frexp_exp_i32_f64_e32 v102, v[98:99]
	v_mul_f64 v[100:101], v[100:101], v[18:19]
	v_subbrev_co_u32_e64 v19, s[12:13], 0, v102, s[12:13]
	v_add_f64 v[102:103], v[100:101], 1.0
	v_rcp_f64_e32 v[104:105], v[102:103]
	v_add_f64 v[108:109], v[102:103], -1.0
	v_add_f64 v[106:107], v[100:101], -1.0
	v_add_f64 v[100:101], v[100:101], -v[108:109]
	v_fma_f64 v[108:109], -v[102:103], v[104:105], 1.0
	v_fmac_f64_e32 v[104:105], v[108:109], v[104:105]
	v_fma_f64 v[108:109], -v[102:103], v[104:105], 1.0
	v_fmac_f64_e32 v[104:105], v[108:109], v[104:105]
	v_mul_f64 v[108:109], v[106:107], v[104:105]
	v_mul_f64 v[110:111], v[102:103], v[108:109]
	v_fma_f64 v[102:103], v[108:109], v[102:103], -v[110:111]
	v_fmac_f64_e32 v[102:103], v[108:109], v[100:101]
	v_add_f64 v[100:101], v[110:111], v[102:103]
	v_add_f64 v[120:121], v[106:107], -v[100:101]
	v_add_f64 v[110:111], v[100:101], -v[110:111]
	;; [unrolled: 1-line block ×5, first 2 shown]
	v_add_f64 v[100:101], v[102:103], v[100:101]
	v_add_f64 v[100:101], v[120:121], v[100:101]
	v_mul_f64 v[100:101], v[104:105], v[100:101]
	v_add_f64 v[102:103], v[108:109], v[100:101]
	v_add_f64 v[104:105], v[102:103], -v[108:109]
	v_add_f64 v[100:101], v[100:101], -v[104:105]
	v_mul_f64 v[104:105], v[102:103], v[102:103]
	v_pk_mov_b32 v[106:107], v[24:25], v[24:25] op_sel:[0,1]
	v_fmac_f64_e32 v[106:107], s[34:35], v[104:105]
	v_pk_mov_b32 v[108:109], v[26:27], v[26:27] op_sel:[0,1]
	v_fmac_f64_e32 v[108:109], v[104:105], v[106:107]
	;; [unrolled: 2-line block ×6, first 2 shown]
	v_ldexp_f64 v[106:107], v[102:103], 1
	v_mul_f64 v[102:103], v[102:103], v[104:105]
	v_mul_f64 v[102:103], v[102:103], v[108:109]
	v_add_f64 v[104:105], v[106:107], v[102:103]
	v_add_f64 v[106:107], v[104:105], -v[106:107]
	v_ldexp_f64 v[100:101], v[100:101], 1
	v_add_f64 v[102:103], v[102:103], -v[106:107]
	v_add_f64 v[100:101], v[100:101], v[102:103]
	v_add_f64 v[102:103], v[104:105], v[100:101]
	v_add_f64 v[104:105], v[102:103], -v[104:105]
	v_add_f64 v[100:101], v[100:101], -v[104:105]
	v_cvt_f64_i32_e32 v[104:105], v19
	v_mul_f64 v[106:107], v[104:105], s[36:37]
	v_fma_f64 v[108:109], v[104:105], s[36:37], -v[106:107]
	v_fmac_f64_e32 v[108:109], s[38:39], v[104:105]
	v_add_f64 v[104:105], v[106:107], v[108:109]
	v_add_f64 v[106:107], v[104:105], -v[106:107]
	v_add_f64 v[106:107], v[108:109], -v[106:107]
	v_add_f64 v[108:109], v[104:105], v[102:103]
	v_add_f64 v[110:111], v[108:109], -v[104:105]
	v_add_f64 v[120:121], v[108:109], -v[110:111]
	;; [unrolled: 1-line block ×4, first 2 shown]
	v_add_f64 v[102:103], v[102:103], v[104:105]
	v_add_f64 v[104:105], v[106:107], v[100:101]
	v_add_f64 v[110:111], v[104:105], -v[106:107]
	v_add_f64 v[120:121], v[104:105], -v[110:111]
	v_add_f64 v[102:103], v[104:105], v[102:103]
	v_add_f64 v[106:107], v[106:107], -v[120:121]
	v_add_f64 v[100:101], v[100:101], -v[110:111]
	v_add_f64 v[104:105], v[108:109], v[102:103]
	v_add_f64 v[100:101], v[100:101], v[106:107]
	v_add_f64 v[106:107], v[104:105], -v[108:109]
	v_add_f64 v[102:103], v[102:103], -v[106:107]
	v_and_b32_e32 v11, 0x7fffffff, v11
	v_add_f64 v[100:101], v[100:101], v[102:103]
	v_cmp_eq_f64_e64 s[12:13], s[40:41], v[10:11]
	v_add_f64 v[100:101], v[104:105], v[100:101]
	s_and_b64 s[12:13], s[8:9], s[12:13]
	v_cndmask_b32_e64 v10, v101, v123, s[12:13]
	v_cndmask_b32_e64 v11, v100, v122, s[12:13]
	;; [unrolled: 1-line block ×4, first 2 shown]
	v_cmp_ngt_f64_e64 s[10:11], 0, v[98:99]
	v_cndmask_b32_e64 v19, v112, v10, s[10:11]
	v_cmp_nge_f64_e64 s[10:11], 0, v[98:99]
	v_cndmask_b32_e64 v10, 0, v11, s[10:11]
	v_cmp_neq_f64_e64 s[10:11], 0, v[98:99]
	v_cndmask_b32_e64 v11, v115, v19, s[10:11]
.LBB204_49:                             ;   in Loop: Header=BB204_33 Depth=1
	s_andn2_saveexec_b64 s[12:13], s[14:15]
	s_cbranch_execz .LBB204_53
; %bb.50:                               ;   in Loop: Header=BB204_33 Depth=1
	v_add_f64 v[98:99], v[10:11], 2.0
	v_mul_f64 v[98:99], v[10:11], v[98:99]
	v_fmac_f64_e32 v[98:99], v[12:13], v[12:13]
	v_cmp_neq_f64_e64 s[10:11], 0, v[98:99]
	s_and_saveexec_b64 s[14:15], s[10:11]
	s_cbranch_execz .LBB204_52
; %bb.51:                               ;   in Loop: Header=BB204_33 Depth=1
	v_add_f64 v[10:11], v[98:99], 1.0
	v_add_f64 v[100:101], v[10:11], -1.0
	v_add_f64 v[102:103], v[100:101], -v[10:11]
	v_add_f64 v[102:103], v[102:103], 1.0
	v_add_f64 v[100:101], v[98:99], -v[100:101]
	v_add_f64 v[100:101], v[100:101], v[102:103]
	v_frexp_mant_f64_e32 v[102:103], v[10:11]
	v_frexp_exp_i32_f64_e32 v19, v[10:11]
	v_cmp_gt_f64_e64 s[10:11], s[30:31], v[102:103]
	v_subbrev_co_u32_e64 v19, s[10:11], 0, v19, s[10:11]
	v_sub_u32_e32 v102, 0, v19
	v_ldexp_f64 v[10:11], v[10:11], v102
	v_ldexp_f64 v[100:101], v[100:101], v102
	v_add_f64 v[102:103], v[10:11], -1.0
	v_add_f64 v[108:109], v[10:11], 1.0
	v_add_f64 v[104:105], v[102:103], 1.0
	v_add_f64 v[110:111], v[108:109], -1.0
	v_add_f64 v[104:105], v[10:11], -v[104:105]
	v_add_f64 v[10:11], v[10:11], -v[110:111]
	v_add_f64 v[10:11], v[100:101], v[10:11]
	v_add_f64 v[104:105], v[100:101], v[104:105]
	;; [unrolled: 1-line block ×3, first 2 shown]
	v_rcp_f64_e32 v[110:111], v[100:101]
	v_add_f64 v[106:107], v[102:103], v[104:105]
	v_add_f64 v[102:103], v[106:107], -v[102:103]
	v_add_f64 v[102:103], v[104:105], -v[102:103]
	;; [unrolled: 1-line block ×4, first 2 shown]
	v_fma_f64 v[104:105], -v[100:101], v[110:111], 1.0
	v_fmac_f64_e32 v[110:111], v[104:105], v[110:111]
	v_fma_f64 v[104:105], -v[100:101], v[110:111], 1.0
	v_fmac_f64_e32 v[110:111], v[104:105], v[110:111]
	v_mul_f64 v[104:105], v[106:107], v[110:111]
	v_mul_f64 v[108:109], v[100:101], v[104:105]
	v_fma_f64 v[120:121], v[104:105], v[100:101], -v[108:109]
	v_fmac_f64_e32 v[120:121], v[104:105], v[10:11]
	v_add_f64 v[122:123], v[108:109], v[120:121]
	v_add_f64 v[124:125], v[106:107], -v[122:123]
	v_add_f64 v[106:107], v[106:107], -v[124:125]
	;; [unrolled: 1-line block ×4, first 2 shown]
	v_add_f64 v[102:103], v[102:103], v[106:107]
	v_add_f64 v[106:107], v[108:109], -v[120:121]
	v_add_f64 v[102:103], v[106:107], v[102:103]
	v_add_f64 v[106:107], v[124:125], v[102:103]
	v_add_f64 v[108:109], v[124:125], -v[106:107]
	v_add_f64 v[102:103], v[102:103], v[108:109]
	v_mul_f64 v[108:109], v[110:111], v[106:107]
	v_mul_f64 v[120:121], v[100:101], v[108:109]
	v_fma_f64 v[100:101], v[108:109], v[100:101], -v[120:121]
	v_fmac_f64_e32 v[100:101], v[108:109], v[10:11]
	v_add_f64 v[10:11], v[120:121], v[100:101]
	v_add_f64 v[122:123], v[106:107], -v[10:11]
	v_add_f64 v[106:107], v[106:107], -v[122:123]
	;; [unrolled: 1-line block ×4, first 2 shown]
	v_add_f64 v[10:11], v[102:103], v[10:11]
	v_add_f64 v[100:101], v[120:121], -v[100:101]
	v_add_f64 v[10:11], v[100:101], v[10:11]
	v_add_f64 v[100:101], v[104:105], v[108:109]
	;; [unrolled: 1-line block ×3, first 2 shown]
	v_add_f64 v[102:103], v[100:101], -v[104:105]
	v_mul_f64 v[10:11], v[110:111], v[10:11]
	v_add_f64 v[102:103], v[108:109], -v[102:103]
	v_add_f64 v[10:11], v[102:103], v[10:11]
	v_add_f64 v[102:103], v[100:101], v[10:11]
	v_add_f64 v[100:101], v[102:103], -v[100:101]
	v_add_f64 v[10:11], v[10:11], -v[100:101]
	v_mul_f64 v[100:101], v[102:103], v[102:103]
	v_pk_mov_b32 v[104:105], v[24:25], v[24:25] op_sel:[0,1]
	v_fmac_f64_e32 v[104:105], s[34:35], v[100:101]
	v_pk_mov_b32 v[106:107], v[26:27], v[26:27] op_sel:[0,1]
	v_fmac_f64_e32 v[106:107], v[100:101], v[104:105]
	v_pk_mov_b32 v[104:105], v[28:29], v[28:29] op_sel:[0,1]
	v_fmac_f64_e32 v[104:105], v[100:101], v[106:107]
	v_pk_mov_b32 v[106:107], v[30:31], v[30:31] op_sel:[0,1]
	v_fmac_f64_e32 v[106:107], v[100:101], v[104:105]
	v_pk_mov_b32 v[104:105], v[32:33], v[32:33] op_sel:[0,1]
	v_fmac_f64_e32 v[104:105], v[100:101], v[106:107]
	v_pk_mov_b32 v[106:107], v[34:35], v[34:35] op_sel:[0,1]
	v_fmac_f64_e32 v[106:107], v[100:101], v[104:105]
	v_cvt_f64_i32_e32 v[104:105], v19
	v_mul_f64 v[108:109], v[104:105], s[36:37]
	v_fma_f64 v[110:111], v[104:105], s[36:37], -v[108:109]
	v_fmac_f64_e32 v[110:111], s[38:39], v[104:105]
	v_add_f64 v[104:105], v[108:109], v[110:111]
	v_add_f64 v[108:109], v[104:105], -v[108:109]
	v_mul_f64 v[100:101], v[102:103], v[100:101]
	v_add_f64 v[108:109], v[110:111], -v[108:109]
	v_ldexp_f64 v[110:111], v[102:103], 1
	v_mul_f64 v[100:101], v[100:101], v[106:107]
	v_add_f64 v[102:103], v[110:111], v[100:101]
	v_add_f64 v[106:107], v[102:103], -v[110:111]
	v_ldexp_f64 v[10:11], v[10:11], 1
	v_add_f64 v[100:101], v[100:101], -v[106:107]
	v_add_f64 v[10:11], v[10:11], v[100:101]
	v_add_f64 v[100:101], v[102:103], v[10:11]
	v_add_f64 v[102:103], v[100:101], -v[102:103]
	v_add_f64 v[10:11], v[10:11], -v[102:103]
	v_add_f64 v[102:103], v[104:105], v[100:101]
	v_add_f64 v[106:107], v[102:103], -v[104:105]
	v_add_f64 v[110:111], v[102:103], -v[106:107]
	;; [unrolled: 1-line block ×4, first 2 shown]
	v_add_f64 v[100:101], v[100:101], v[104:105]
	v_add_f64 v[104:105], v[108:109], v[10:11]
	v_add_f64 v[106:107], v[104:105], -v[108:109]
	v_add_f64 v[100:101], v[104:105], v[100:101]
	v_add_f64 v[110:111], v[104:105], -v[106:107]
	v_add_f64 v[104:105], v[102:103], v[100:101]
	v_add_f64 v[108:109], v[108:109], -v[110:111]
	v_add_f64 v[10:11], v[10:11], -v[106:107]
	v_add_f64 v[102:103], v[104:105], -v[102:103]
	v_add_f64 v[10:11], v[10:11], v[108:109]
	v_add_f64 v[100:101], v[100:101], -v[102:103]
	v_add_f64 v[10:11], v[10:11], v[100:101]
	v_add_f64 v[10:11], v[104:105], v[10:11]
	v_cmp_eq_f64_e64 s[10:11], s[40:41], v[98:99]
	v_cndmask_b32_e64 v11, v11, v99, s[10:11]
	v_cndmask_b32_e64 v10, v10, v98, s[10:11]
	v_mul_f64 v[10:11], v[10:11], 0.5
	v_cmp_ngt_f64_e64 s[10:11], -1.0, v[98:99]
	v_cndmask_b32_e64 v11, v112, v11, s[10:11]
	v_cmp_nge_f64_e64 s[10:11], -1.0, v[98:99]
	v_cndmask_b32_e64 v10, 0, v10, s[10:11]
	v_cmp_neq_f64_e64 s[10:11], -1.0, v[98:99]
	v_cndmask_b32_e64 v11, v115, v11, s[10:11]
.LBB204_52:                             ;   in Loop: Header=BB204_33 Depth=1
	s_or_b64 exec, exec, s[14:15]
.LBB204_53:                             ;   in Loop: Header=BB204_33 Depth=1
	s_or_b64 exec, exec, s[12:13]
	v_max_f64 v[98:99], |v[6:7]|, |v[6:7]|
	v_max_f64 v[100:101], |v[8:9]|, |v[8:9]|
	v_max_f64 v[98:99], v[98:99], v[100:101]
	v_frexp_exp_i32_f64_e32 v19, v[98:99]
	v_sub_u32_e32 v102, 0, v19
	v_ldexp_f64 v[98:99], |v[6:7]|, v102
	v_ldexp_f64 v[102:103], |v[8:9]|, v102
	v_mul_f64 v[102:103], v[102:103], v[102:103]
	v_fmac_f64_e32 v[102:103], v[98:99], v[98:99]
	v_rsq_f64_e32 v[98:99], v[102:103]
	v_cmp_eq_f64_e64 s[10:11], 0, v[102:103]
	v_cmp_class_f64_e64 s[54:55], v[8:9], s71
	v_cmp_u_f64_e64 s[12:13], v[6:7], v[8:9]
	v_mul_f64 v[104:105], v[102:103], v[98:99]
	v_mul_f64 v[98:99], v[98:99], 0.5
	v_fma_f64 v[106:107], -v[98:99], v[104:105], 0.5
	v_fmac_f64_e32 v[104:105], v[104:105], v[106:107]
	v_fmac_f64_e32 v[98:99], v[98:99], v[106:107]
	v_fma_f64 v[106:107], -v[104:105], v[104:105], v[102:103]
	v_fmac_f64_e32 v[104:105], v[106:107], v[98:99]
	v_cndmask_b32_e64 v99, v105, v103, s[10:11]
	v_cndmask_b32_e64 v98, v104, v102, s[10:11]
	v_cmp_class_f64_e64 s[10:11], v[6:7], s71
	v_ldexp_f64 v[98:99], v[98:99], v19
	s_or_b64 s[16:17], s[54:55], s[10:11]
	v_cmp_ngt_f64_e64 s[14:15], 0.5, v[98:99]
	v_add_f64 v[98:99], v[6:7], 1.0
	s_or_b64 s[12:13], s[16:17], s[12:13]
	v_max_f64 v[102:103], |v[98:99]|, v[100:101]
	v_cmp_o_f64_e64 s[10:11], v[98:99], v[8:9]
	v_cmp_class_f64_e64 s[56:57], v[98:99], s71
	s_or_b64 s[12:13], s[12:13], s[14:15]
	s_and_saveexec_b64 s[14:15], s[12:13]
	s_xor_b64 s[16:17], exec, s[14:15]
	s_cbranch_execz .LBB204_55
; %bb.54:                               ;   in Loop: Header=BB204_33 Depth=1
	v_frexp_exp_i32_f64_e32 v19, v[102:103]
	v_sub_u32_e32 v104, 0, v19
	v_ldexp_f64 v[6:7], |v[98:99]|, v104
	v_ldexp_f64 v[104:105], |v[8:9]|, v104
	v_mul_f64 v[104:105], v[104:105], v[104:105]
	v_fmac_f64_e32 v[104:105], v[6:7], v[6:7]
	v_rsq_f64_e32 v[6:7], v[104:105]
	v_cmp_eq_f64_e64 s[12:13], 0, v[104:105]
	v_mul_f64 v[106:107], v[104:105], v[6:7]
	v_mul_f64 v[6:7], v[6:7], 0.5
	v_fma_f64 v[108:109], -v[6:7], v[106:107], 0.5
	v_fmac_f64_e32 v[106:107], v[106:107], v[108:109]
	v_fmac_f64_e32 v[6:7], v[6:7], v[108:109]
	v_fma_f64 v[108:109], -v[106:107], v[106:107], v[104:105]
	v_fmac_f64_e32 v[106:107], v[108:109], v[6:7]
	v_cndmask_b32_e64 v7, v107, v105, s[12:13]
	v_cndmask_b32_e64 v6, v106, v104, s[12:13]
	v_ldexp_f64 v[6:7], v[6:7], v19
	v_cndmask_b32_e64 v128, 0, v6, s[10:11]
	v_cndmask_b32_e64 v129, v112, v7, s[10:11]
	s_or_b64 s[12:13], s[54:55], s[56:57]
	v_cndmask_b32_e64 v105, v129, v113, s[12:13]
	v_cndmask_b32_e64 v104, v128, 0, s[12:13]
	v_frexp_mant_f64_e32 v[106:107], v[104:105]
	v_cmp_gt_f64_e64 s[14:15], s[30:31], v[106:107]
	v_cndmask_b32_e64 v19, v114, 2.0, s[14:15]
	v_frexp_exp_i32_f64_e32 v108, v[104:105]
	v_mul_f64 v[106:107], v[106:107], v[18:19]
	v_subbrev_co_u32_e64 v19, s[14:15], 0, v108, s[14:15]
	v_add_f64 v[108:109], v[106:107], 1.0
	v_rcp_f64_e32 v[110:111], v[108:109]
	v_add_f64 v[122:123], v[108:109], -1.0
	v_add_f64 v[120:121], v[106:107], -1.0
	v_add_f64 v[106:107], v[106:107], -v[122:123]
	v_fma_f64 v[122:123], -v[108:109], v[110:111], 1.0
	v_fmac_f64_e32 v[110:111], v[122:123], v[110:111]
	v_fma_f64 v[122:123], -v[108:109], v[110:111], 1.0
	v_fmac_f64_e32 v[110:111], v[122:123], v[110:111]
	v_mul_f64 v[122:123], v[120:121], v[110:111]
	v_mul_f64 v[124:125], v[108:109], v[122:123]
	v_fma_f64 v[108:109], v[122:123], v[108:109], -v[124:125]
	v_fmac_f64_e32 v[108:109], v[122:123], v[106:107]
	v_add_f64 v[106:107], v[124:125], v[108:109]
	v_add_f64 v[126:127], v[120:121], -v[106:107]
	v_add_f64 v[124:125], v[106:107], -v[124:125]
	;; [unrolled: 1-line block ×5, first 2 shown]
	v_add_f64 v[106:107], v[108:109], v[106:107]
	v_add_f64 v[106:107], v[126:127], v[106:107]
	v_mul_f64 v[106:107], v[110:111], v[106:107]
	v_add_f64 v[108:109], v[122:123], v[106:107]
	v_add_f64 v[110:111], v[108:109], -v[122:123]
	v_add_f64 v[106:107], v[106:107], -v[110:111]
	v_mul_f64 v[110:111], v[108:109], v[108:109]
	v_pk_mov_b32 v[120:121], v[24:25], v[24:25] op_sel:[0,1]
	v_fmac_f64_e32 v[120:121], s[34:35], v[110:111]
	v_pk_mov_b32 v[122:123], v[26:27], v[26:27] op_sel:[0,1]
	v_fmac_f64_e32 v[122:123], v[110:111], v[120:121]
	;; [unrolled: 2-line block ×6, first 2 shown]
	v_ldexp_f64 v[120:121], v[108:109], 1
	v_mul_f64 v[108:109], v[108:109], v[110:111]
	v_mul_f64 v[108:109], v[108:109], v[122:123]
	v_add_f64 v[110:111], v[120:121], v[108:109]
	v_add_f64 v[120:121], v[110:111], -v[120:121]
	v_ldexp_f64 v[106:107], v[106:107], 1
	v_add_f64 v[108:109], v[108:109], -v[120:121]
	v_add_f64 v[106:107], v[106:107], v[108:109]
	v_add_f64 v[108:109], v[110:111], v[106:107]
	v_add_f64 v[110:111], v[108:109], -v[110:111]
	v_add_f64 v[106:107], v[106:107], -v[110:111]
	v_cvt_f64_i32_e32 v[110:111], v19
	v_mul_f64 v[120:121], v[110:111], s[36:37]
	v_fma_f64 v[122:123], v[110:111], s[36:37], -v[120:121]
	v_fmac_f64_e32 v[122:123], s[38:39], v[110:111]
	v_add_f64 v[110:111], v[120:121], v[122:123]
	v_add_f64 v[120:121], v[110:111], -v[120:121]
	v_add_f64 v[120:121], v[122:123], -v[120:121]
	v_add_f64 v[122:123], v[110:111], v[108:109]
	v_add_f64 v[124:125], v[122:123], -v[110:111]
	v_add_f64 v[126:127], v[122:123], -v[124:125]
	;; [unrolled: 1-line block ×4, first 2 shown]
	v_add_f64 v[108:109], v[108:109], v[110:111]
	v_add_f64 v[110:111], v[120:121], v[106:107]
	v_add_f64 v[124:125], v[110:111], -v[120:121]
	v_add_f64 v[126:127], v[110:111], -v[124:125]
	v_add_f64 v[108:109], v[110:111], v[108:109]
	v_add_f64 v[120:121], v[120:121], -v[126:127]
	v_add_f64 v[106:107], v[106:107], -v[124:125]
	v_add_f64 v[110:111], v[122:123], v[108:109]
	v_add_f64 v[106:107], v[106:107], v[120:121]
	v_add_f64 v[120:121], v[110:111], -v[122:123]
	v_add_f64 v[108:109], v[108:109], -v[120:121]
	v_and_b32_e32 v7, 0x7fffffff, v7
	v_add_f64 v[106:107], v[106:107], v[108:109]
	v_cmp_eq_f64_e64 s[14:15], s[40:41], v[6:7]
	v_add_f64 v[106:107], v[110:111], v[106:107]
	s_and_b64 s[14:15], s[10:11], s[14:15]
	v_cndmask_b32_e64 v6, v107, v129, s[14:15]
	v_cndmask_b32_e64 v7, v106, v128, s[14:15]
	;; [unrolled: 1-line block ×4, first 2 shown]
	v_cmp_ngt_f64_e64 s[12:13], 0, v[104:105]
	v_cndmask_b32_e64 v19, v112, v6, s[12:13]
	v_cmp_nge_f64_e64 s[12:13], 0, v[104:105]
	v_cndmask_b32_e64 v6, 0, v7, s[12:13]
	v_cmp_neq_f64_e64 s[12:13], 0, v[104:105]
	v_cndmask_b32_e64 v7, v115, v19, s[12:13]
.LBB204_55:                             ;   in Loop: Header=BB204_33 Depth=1
	s_andn2_saveexec_b64 s[14:15], s[16:17]
	s_cbranch_execz .LBB204_59
; %bb.56:                               ;   in Loop: Header=BB204_33 Depth=1
	v_add_f64 v[104:105], v[6:7], 2.0
	v_mul_f64 v[104:105], v[6:7], v[104:105]
	v_fmac_f64_e32 v[104:105], v[8:9], v[8:9]
	v_cmp_neq_f64_e64 s[12:13], 0, v[104:105]
	s_and_saveexec_b64 s[16:17], s[12:13]
	s_cbranch_execz .LBB204_58
; %bb.57:                               ;   in Loop: Header=BB204_33 Depth=1
	v_add_f64 v[6:7], v[104:105], 1.0
	v_add_f64 v[106:107], v[6:7], -1.0
	v_add_f64 v[108:109], v[106:107], -v[6:7]
	v_add_f64 v[108:109], v[108:109], 1.0
	v_add_f64 v[106:107], v[104:105], -v[106:107]
	v_add_f64 v[106:107], v[106:107], v[108:109]
	v_frexp_mant_f64_e32 v[108:109], v[6:7]
	v_frexp_exp_i32_f64_e32 v19, v[6:7]
	v_cmp_gt_f64_e64 s[12:13], s[30:31], v[108:109]
	v_subbrev_co_u32_e64 v19, s[12:13], 0, v19, s[12:13]
	v_sub_u32_e32 v108, 0, v19
	v_ldexp_f64 v[6:7], v[6:7], v108
	v_ldexp_f64 v[106:107], v[106:107], v108
	v_add_f64 v[108:109], v[6:7], -1.0
	v_add_f64 v[122:123], v[6:7], 1.0
	v_add_f64 v[110:111], v[108:109], 1.0
	v_add_f64 v[124:125], v[122:123], -1.0
	v_add_f64 v[110:111], v[6:7], -v[110:111]
	v_add_f64 v[6:7], v[6:7], -v[124:125]
	v_add_f64 v[6:7], v[106:107], v[6:7]
	v_add_f64 v[110:111], v[106:107], v[110:111]
	;; [unrolled: 1-line block ×3, first 2 shown]
	v_rcp_f64_e32 v[124:125], v[106:107]
	v_add_f64 v[120:121], v[108:109], v[110:111]
	v_add_f64 v[108:109], v[120:121], -v[108:109]
	v_add_f64 v[108:109], v[110:111], -v[108:109]
	;; [unrolled: 1-line block ×4, first 2 shown]
	v_fma_f64 v[110:111], -v[106:107], v[124:125], 1.0
	v_fmac_f64_e32 v[124:125], v[110:111], v[124:125]
	v_fma_f64 v[110:111], -v[106:107], v[124:125], 1.0
	v_fmac_f64_e32 v[124:125], v[110:111], v[124:125]
	v_mul_f64 v[110:111], v[120:121], v[124:125]
	v_mul_f64 v[122:123], v[106:107], v[110:111]
	v_fma_f64 v[126:127], v[110:111], v[106:107], -v[122:123]
	v_fmac_f64_e32 v[126:127], v[110:111], v[6:7]
	v_add_f64 v[128:129], v[122:123], v[126:127]
	v_add_f64 v[130:131], v[120:121], -v[128:129]
	v_add_f64 v[120:121], v[120:121], -v[130:131]
	v_add_f64 v[122:123], v[128:129], -v[122:123]
	v_add_f64 v[120:121], v[120:121], -v[128:129]
	v_add_f64 v[108:109], v[108:109], v[120:121]
	v_add_f64 v[120:121], v[122:123], -v[126:127]
	v_add_f64 v[108:109], v[120:121], v[108:109]
	v_add_f64 v[120:121], v[130:131], v[108:109]
	v_add_f64 v[122:123], v[130:131], -v[120:121]
	v_add_f64 v[108:109], v[108:109], v[122:123]
	v_mul_f64 v[122:123], v[124:125], v[120:121]
	v_mul_f64 v[126:127], v[106:107], v[122:123]
	v_fma_f64 v[106:107], v[122:123], v[106:107], -v[126:127]
	v_fmac_f64_e32 v[106:107], v[122:123], v[6:7]
	v_add_f64 v[6:7], v[126:127], v[106:107]
	v_add_f64 v[128:129], v[120:121], -v[6:7]
	v_add_f64 v[120:121], v[120:121], -v[128:129]
	;; [unrolled: 1-line block ×4, first 2 shown]
	v_add_f64 v[6:7], v[108:109], v[6:7]
	v_add_f64 v[106:107], v[126:127], -v[106:107]
	v_add_f64 v[6:7], v[106:107], v[6:7]
	v_add_f64 v[106:107], v[110:111], v[122:123]
	;; [unrolled: 1-line block ×3, first 2 shown]
	v_add_f64 v[108:109], v[106:107], -v[110:111]
	v_mul_f64 v[6:7], v[124:125], v[6:7]
	v_add_f64 v[108:109], v[122:123], -v[108:109]
	v_add_f64 v[6:7], v[108:109], v[6:7]
	v_add_f64 v[108:109], v[106:107], v[6:7]
	v_add_f64 v[106:107], v[108:109], -v[106:107]
	v_add_f64 v[6:7], v[6:7], -v[106:107]
	v_mul_f64 v[106:107], v[108:109], v[108:109]
	v_pk_mov_b32 v[110:111], v[24:25], v[24:25] op_sel:[0,1]
	v_fmac_f64_e32 v[110:111], s[34:35], v[106:107]
	v_pk_mov_b32 v[120:121], v[26:27], v[26:27] op_sel:[0,1]
	v_fmac_f64_e32 v[120:121], v[106:107], v[110:111]
	;; [unrolled: 2-line block ×6, first 2 shown]
	v_cvt_f64_i32_e32 v[110:111], v19
	v_mul_f64 v[122:123], v[110:111], s[36:37]
	v_fma_f64 v[124:125], v[110:111], s[36:37], -v[122:123]
	v_fmac_f64_e32 v[124:125], s[38:39], v[110:111]
	v_add_f64 v[110:111], v[122:123], v[124:125]
	v_add_f64 v[122:123], v[110:111], -v[122:123]
	v_mul_f64 v[106:107], v[108:109], v[106:107]
	v_add_f64 v[122:123], v[124:125], -v[122:123]
	v_ldexp_f64 v[124:125], v[108:109], 1
	v_mul_f64 v[106:107], v[106:107], v[120:121]
	v_add_f64 v[108:109], v[124:125], v[106:107]
	v_add_f64 v[120:121], v[108:109], -v[124:125]
	v_ldexp_f64 v[6:7], v[6:7], 1
	v_add_f64 v[106:107], v[106:107], -v[120:121]
	v_add_f64 v[6:7], v[6:7], v[106:107]
	v_add_f64 v[106:107], v[108:109], v[6:7]
	v_add_f64 v[108:109], v[106:107], -v[108:109]
	v_add_f64 v[6:7], v[6:7], -v[108:109]
	v_add_f64 v[108:109], v[110:111], v[106:107]
	v_add_f64 v[120:121], v[108:109], -v[110:111]
	v_add_f64 v[124:125], v[108:109], -v[120:121]
	;; [unrolled: 1-line block ×4, first 2 shown]
	v_add_f64 v[106:107], v[106:107], v[110:111]
	v_add_f64 v[110:111], v[122:123], v[6:7]
	v_add_f64 v[120:121], v[110:111], -v[122:123]
	v_add_f64 v[106:107], v[110:111], v[106:107]
	v_add_f64 v[124:125], v[110:111], -v[120:121]
	;; [unrolled: 2-line block ×3, first 2 shown]
	v_add_f64 v[6:7], v[6:7], -v[120:121]
	v_add_f64 v[108:109], v[110:111], -v[108:109]
	v_add_f64 v[6:7], v[6:7], v[122:123]
	v_add_f64 v[106:107], v[106:107], -v[108:109]
	v_add_f64 v[6:7], v[6:7], v[106:107]
	v_add_f64 v[6:7], v[110:111], v[6:7]
	v_cmp_eq_f64_e64 s[12:13], s[40:41], v[104:105]
	v_cndmask_b32_e64 v7, v7, v105, s[12:13]
	v_cndmask_b32_e64 v6, v6, v104, s[12:13]
	v_mul_f64 v[6:7], v[6:7], 0.5
	v_cmp_ngt_f64_e64 s[12:13], -1.0, v[104:105]
	v_cndmask_b32_e64 v7, v112, v7, s[12:13]
	v_cmp_nge_f64_e64 s[12:13], -1.0, v[104:105]
	v_cndmask_b32_e64 v6, 0, v6, s[12:13]
	v_cmp_neq_f64_e64 s[12:13], -1.0, v[104:105]
	v_cndmask_b32_e64 v7, v115, v7, s[12:13]
.LBB204_58:                             ;   in Loop: Header=BB204_33 Depth=1
	s_or_b64 exec, exec, s[16:17]
.LBB204_59:                             ;   in Loop: Header=BB204_33 Depth=1
	s_or_b64 exec, exec, s[14:15]
	v_max_f64 v[104:105], |v[2:3]|, |v[2:3]|
	v_max_f64 v[106:107], |v[4:5]|, |v[4:5]|
	v_max_f64 v[104:105], v[104:105], v[106:107]
	v_frexp_exp_i32_f64_e32 v19, v[104:105]
	v_sub_u32_e32 v108, 0, v19
	v_ldexp_f64 v[104:105], |v[2:3]|, v108
	v_ldexp_f64 v[108:109], |v[4:5]|, v108
	v_mul_f64 v[108:109], v[108:109], v[108:109]
	v_fmac_f64_e32 v[108:109], v[104:105], v[104:105]
	v_rsq_f64_e32 v[104:105], v[108:109]
	v_cmp_eq_f64_e64 s[12:13], 0, v[108:109]
	v_cmp_class_f64_e64 s[58:59], v[4:5], s71
	v_cmp_u_f64_e64 s[14:15], v[2:3], v[4:5]
	v_mul_f64 v[110:111], v[108:109], v[104:105]
	v_mul_f64 v[104:105], v[104:105], 0.5
	v_fma_f64 v[120:121], -v[104:105], v[110:111], 0.5
	v_fmac_f64_e32 v[110:111], v[110:111], v[120:121]
	v_fmac_f64_e32 v[104:105], v[104:105], v[120:121]
	v_fma_f64 v[120:121], -v[110:111], v[110:111], v[108:109]
	v_fmac_f64_e32 v[110:111], v[120:121], v[104:105]
	v_cndmask_b32_e64 v105, v111, v109, s[12:13]
	v_cndmask_b32_e64 v104, v110, v108, s[12:13]
	v_cmp_class_f64_e64 s[12:13], v[2:3], s71
	v_ldexp_f64 v[104:105], v[104:105], v19
	s_or_b64 s[62:63], s[58:59], s[12:13]
	v_cmp_ngt_f64_e64 s[16:17], 0.5, v[104:105]
	v_add_f64 v[104:105], v[2:3], 1.0
	s_or_b64 s[14:15], s[62:63], s[14:15]
	v_max_f64 v[108:109], |v[104:105]|, v[106:107]
	v_cmp_o_f64_e64 s[12:13], v[104:105], v[4:5]
	v_cmp_class_f64_e64 s[60:61], v[104:105], s71
	s_or_b64 s[14:15], s[14:15], s[16:17]
	s_and_saveexec_b64 s[16:17], s[14:15]
	s_xor_b64 s[62:63], exec, s[16:17]
	s_cbranch_execnz .LBB204_65
; %bb.60:                               ;   in Loop: Header=BB204_33 Depth=1
	s_andn2_saveexec_b64 s[16:17], s[62:63]
	s_cbranch_execnz .LBB204_66
.LBB204_61:                             ;   in Loop: Header=BB204_33 Depth=1
	s_or_b64 exec, exec, s[16:17]
	s_and_saveexec_b64 s[14:15], vcc
	s_xor_b64 s[62:63], exec, s[14:15]
	s_cbranch_execnz .LBB204_69
.LBB204_62:                             ;   in Loop: Header=BB204_33 Depth=1
	s_or_b64 exec, exec, s[62:63]
	s_and_saveexec_b64 s[6:7], s[4:5]
	s_cbranch_execnz .LBB204_70
.LBB204_63:                             ;   in Loop: Header=BB204_33 Depth=1
	s_or_b64 exec, exec, s[6:7]
	s_and_saveexec_b64 s[4:5], s[2:3]
	s_cbranch_execnz .LBB204_71
.LBB204_64:                             ;   in Loop: Header=BB204_33 Depth=1
	s_or_b64 exec, exec, s[4:5]
	s_and_saveexec_b64 s[2:3], s[0:1]
	s_cbranch_execz .LBB204_32
	s_branch .LBB204_72
.LBB204_65:                             ;   in Loop: Header=BB204_33 Depth=1
	v_frexp_exp_i32_f64_e32 v19, v[108:109]
	v_sub_u32_e32 v110, 0, v19
	v_ldexp_f64 v[2:3], |v[104:105]|, v110
	v_ldexp_f64 v[110:111], |v[4:5]|, v110
	v_mul_f64 v[110:111], v[110:111], v[110:111]
	v_fmac_f64_e32 v[110:111], v[2:3], v[2:3]
	v_rsq_f64_e32 v[2:3], v[110:111]
	v_cmp_eq_f64_e64 s[14:15], 0, v[110:111]
	v_mul_f64 v[120:121], v[110:111], v[2:3]
	v_mul_f64 v[2:3], v[2:3], 0.5
	v_fma_f64 v[122:123], -v[2:3], v[120:121], 0.5
	v_fmac_f64_e32 v[120:121], v[120:121], v[122:123]
	v_fmac_f64_e32 v[2:3], v[2:3], v[122:123]
	v_fma_f64 v[122:123], -v[120:121], v[120:121], v[110:111]
	v_fmac_f64_e32 v[120:121], v[122:123], v[2:3]
	v_cndmask_b32_e64 v3, v121, v111, s[14:15]
	v_cndmask_b32_e64 v2, v120, v110, s[14:15]
	v_ldexp_f64 v[2:3], v[2:3], v19
	v_cndmask_b32_e64 v134, 0, v2, s[12:13]
	v_cndmask_b32_e64 v135, v112, v3, s[12:13]
	s_or_b64 s[14:15], s[58:59], s[60:61]
	v_cndmask_b32_e64 v111, v135, v113, s[14:15]
	v_cndmask_b32_e64 v110, v134, 0, s[14:15]
	v_frexp_mant_f64_e32 v[120:121], v[110:111]
	v_cmp_gt_f64_e64 s[16:17], s[30:31], v[120:121]
	v_cndmask_b32_e64 v19, v114, 2.0, s[16:17]
	v_frexp_exp_i32_f64_e32 v122, v[110:111]
	v_mul_f64 v[120:121], v[120:121], v[18:19]
	v_subbrev_co_u32_e64 v19, s[16:17], 0, v122, s[16:17]
	v_add_f64 v[122:123], v[120:121], 1.0
	v_rcp_f64_e32 v[124:125], v[122:123]
	v_add_f64 v[128:129], v[122:123], -1.0
	v_add_f64 v[126:127], v[120:121], -1.0
	v_add_f64 v[120:121], v[120:121], -v[128:129]
	v_fma_f64 v[128:129], -v[122:123], v[124:125], 1.0
	v_fmac_f64_e32 v[124:125], v[128:129], v[124:125]
	v_fma_f64 v[128:129], -v[122:123], v[124:125], 1.0
	v_fmac_f64_e32 v[124:125], v[128:129], v[124:125]
	v_mul_f64 v[128:129], v[126:127], v[124:125]
	v_mul_f64 v[130:131], v[122:123], v[128:129]
	v_fma_f64 v[122:123], v[128:129], v[122:123], -v[130:131]
	v_fmac_f64_e32 v[122:123], v[128:129], v[120:121]
	v_add_f64 v[120:121], v[130:131], v[122:123]
	v_add_f64 v[132:133], v[126:127], -v[120:121]
	v_add_f64 v[130:131], v[120:121], -v[130:131]
	;; [unrolled: 1-line block ×5, first 2 shown]
	v_add_f64 v[120:121], v[122:123], v[120:121]
	v_add_f64 v[120:121], v[132:133], v[120:121]
	v_mul_f64 v[120:121], v[124:125], v[120:121]
	v_add_f64 v[122:123], v[128:129], v[120:121]
	v_add_f64 v[124:125], v[122:123], -v[128:129]
	v_add_f64 v[120:121], v[120:121], -v[124:125]
	v_mul_f64 v[124:125], v[122:123], v[122:123]
	v_pk_mov_b32 v[126:127], v[24:25], v[24:25] op_sel:[0,1]
	v_fmac_f64_e32 v[126:127], s[34:35], v[124:125]
	v_pk_mov_b32 v[128:129], v[26:27], v[26:27] op_sel:[0,1]
	v_fmac_f64_e32 v[128:129], v[124:125], v[126:127]
	;; [unrolled: 2-line block ×6, first 2 shown]
	v_ldexp_f64 v[126:127], v[122:123], 1
	v_mul_f64 v[122:123], v[122:123], v[124:125]
	v_mul_f64 v[122:123], v[122:123], v[128:129]
	v_add_f64 v[124:125], v[126:127], v[122:123]
	v_add_f64 v[126:127], v[124:125], -v[126:127]
	v_ldexp_f64 v[120:121], v[120:121], 1
	v_add_f64 v[122:123], v[122:123], -v[126:127]
	v_add_f64 v[120:121], v[120:121], v[122:123]
	v_add_f64 v[122:123], v[124:125], v[120:121]
	v_add_f64 v[124:125], v[122:123], -v[124:125]
	v_add_f64 v[120:121], v[120:121], -v[124:125]
	v_cvt_f64_i32_e32 v[124:125], v19
	v_mul_f64 v[126:127], v[124:125], s[36:37]
	v_fma_f64 v[128:129], v[124:125], s[36:37], -v[126:127]
	v_fmac_f64_e32 v[128:129], s[38:39], v[124:125]
	v_add_f64 v[124:125], v[126:127], v[128:129]
	v_add_f64 v[126:127], v[124:125], -v[126:127]
	v_add_f64 v[126:127], v[128:129], -v[126:127]
	v_add_f64 v[128:129], v[124:125], v[122:123]
	v_add_f64 v[130:131], v[128:129], -v[124:125]
	v_add_f64 v[132:133], v[128:129], -v[130:131]
	;; [unrolled: 1-line block ×4, first 2 shown]
	v_add_f64 v[122:123], v[122:123], v[124:125]
	v_add_f64 v[124:125], v[126:127], v[120:121]
	v_add_f64 v[130:131], v[124:125], -v[126:127]
	v_add_f64 v[132:133], v[124:125], -v[130:131]
	v_add_f64 v[122:123], v[124:125], v[122:123]
	v_add_f64 v[126:127], v[126:127], -v[132:133]
	v_add_f64 v[120:121], v[120:121], -v[130:131]
	v_add_f64 v[124:125], v[128:129], v[122:123]
	v_add_f64 v[120:121], v[120:121], v[126:127]
	v_add_f64 v[126:127], v[124:125], -v[128:129]
	v_add_f64 v[122:123], v[122:123], -v[126:127]
	v_and_b32_e32 v3, 0x7fffffff, v3
	v_add_f64 v[120:121], v[120:121], v[122:123]
	v_cmp_eq_f64_e64 s[16:17], s[40:41], v[2:3]
	v_add_f64 v[120:121], v[124:125], v[120:121]
	s_and_b64 s[16:17], s[12:13], s[16:17]
	v_cndmask_b32_e64 v2, v121, v135, s[16:17]
	v_cndmask_b32_e64 v3, v120, v134, s[16:17]
	;; [unrolled: 1-line block ×4, first 2 shown]
	v_cmp_ngt_f64_e64 s[14:15], 0, v[110:111]
	v_cndmask_b32_e64 v19, v112, v2, s[14:15]
	v_cmp_nge_f64_e64 s[14:15], 0, v[110:111]
	v_cndmask_b32_e64 v2, 0, v3, s[14:15]
	v_cmp_neq_f64_e64 s[14:15], 0, v[110:111]
	v_cndmask_b32_e64 v3, v115, v19, s[14:15]
	s_andn2_saveexec_b64 s[16:17], s[62:63]
	s_cbranch_execz .LBB204_61
.LBB204_66:                             ;   in Loop: Header=BB204_33 Depth=1
	v_add_f64 v[110:111], v[2:3], 2.0
	v_mul_f64 v[110:111], v[2:3], v[110:111]
	v_fmac_f64_e32 v[110:111], v[4:5], v[4:5]
	v_cmp_neq_f64_e64 s[14:15], 0, v[110:111]
	s_and_saveexec_b64 s[62:63], s[14:15]
	s_cbranch_execz .LBB204_68
; %bb.67:                               ;   in Loop: Header=BB204_33 Depth=1
	v_add_f64 v[2:3], v[110:111], 1.0
	v_add_f64 v[120:121], v[2:3], -1.0
	v_add_f64 v[122:123], v[120:121], -v[2:3]
	v_add_f64 v[122:123], v[122:123], 1.0
	v_add_f64 v[120:121], v[110:111], -v[120:121]
	v_add_f64 v[120:121], v[120:121], v[122:123]
	v_frexp_mant_f64_e32 v[122:123], v[2:3]
	v_frexp_exp_i32_f64_e32 v19, v[2:3]
	v_cmp_gt_f64_e64 s[14:15], s[30:31], v[122:123]
	v_subbrev_co_u32_e64 v19, s[14:15], 0, v19, s[14:15]
	v_sub_u32_e32 v122, 0, v19
	v_ldexp_f64 v[2:3], v[2:3], v122
	v_ldexp_f64 v[120:121], v[120:121], v122
	v_add_f64 v[122:123], v[2:3], -1.0
	v_add_f64 v[128:129], v[2:3], 1.0
	v_add_f64 v[124:125], v[122:123], 1.0
	v_add_f64 v[130:131], v[128:129], -1.0
	v_add_f64 v[124:125], v[2:3], -v[124:125]
	v_add_f64 v[2:3], v[2:3], -v[130:131]
	v_add_f64 v[2:3], v[120:121], v[2:3]
	v_add_f64 v[124:125], v[120:121], v[124:125]
	;; [unrolled: 1-line block ×3, first 2 shown]
	v_rcp_f64_e32 v[130:131], v[120:121]
	v_add_f64 v[126:127], v[122:123], v[124:125]
	v_add_f64 v[122:123], v[126:127], -v[122:123]
	v_add_f64 v[122:123], v[124:125], -v[122:123]
	;; [unrolled: 1-line block ×4, first 2 shown]
	v_fma_f64 v[124:125], -v[120:121], v[130:131], 1.0
	v_fmac_f64_e32 v[130:131], v[124:125], v[130:131]
	v_fma_f64 v[124:125], -v[120:121], v[130:131], 1.0
	v_fmac_f64_e32 v[130:131], v[124:125], v[130:131]
	v_mul_f64 v[124:125], v[126:127], v[130:131]
	v_mul_f64 v[128:129], v[120:121], v[124:125]
	v_fma_f64 v[132:133], v[124:125], v[120:121], -v[128:129]
	v_fmac_f64_e32 v[132:133], v[124:125], v[2:3]
	v_add_f64 v[134:135], v[128:129], v[132:133]
	v_add_f64 v[136:137], v[126:127], -v[134:135]
	v_add_f64 v[126:127], v[126:127], -v[136:137]
	;; [unrolled: 1-line block ×4, first 2 shown]
	v_add_f64 v[122:123], v[122:123], v[126:127]
	v_add_f64 v[126:127], v[128:129], -v[132:133]
	v_add_f64 v[122:123], v[126:127], v[122:123]
	v_add_f64 v[126:127], v[136:137], v[122:123]
	v_add_f64 v[128:129], v[136:137], -v[126:127]
	v_add_f64 v[122:123], v[122:123], v[128:129]
	v_mul_f64 v[128:129], v[130:131], v[126:127]
	v_mul_f64 v[132:133], v[120:121], v[128:129]
	v_fma_f64 v[120:121], v[128:129], v[120:121], -v[132:133]
	v_fmac_f64_e32 v[120:121], v[128:129], v[2:3]
	v_add_f64 v[2:3], v[132:133], v[120:121]
	v_add_f64 v[134:135], v[126:127], -v[2:3]
	v_add_f64 v[126:127], v[126:127], -v[134:135]
	;; [unrolled: 1-line block ×4, first 2 shown]
	v_add_f64 v[2:3], v[122:123], v[2:3]
	v_add_f64 v[120:121], v[132:133], -v[120:121]
	v_add_f64 v[2:3], v[120:121], v[2:3]
	v_add_f64 v[120:121], v[124:125], v[128:129]
	;; [unrolled: 1-line block ×3, first 2 shown]
	v_add_f64 v[122:123], v[120:121], -v[124:125]
	v_mul_f64 v[2:3], v[130:131], v[2:3]
	v_add_f64 v[122:123], v[128:129], -v[122:123]
	v_add_f64 v[2:3], v[122:123], v[2:3]
	v_add_f64 v[122:123], v[120:121], v[2:3]
	v_add_f64 v[120:121], v[122:123], -v[120:121]
	v_add_f64 v[2:3], v[2:3], -v[120:121]
	v_mul_f64 v[120:121], v[122:123], v[122:123]
	v_pk_mov_b32 v[124:125], v[24:25], v[24:25] op_sel:[0,1]
	v_fmac_f64_e32 v[124:125], s[34:35], v[120:121]
	v_pk_mov_b32 v[126:127], v[26:27], v[26:27] op_sel:[0,1]
	v_fmac_f64_e32 v[126:127], v[120:121], v[124:125]
	;; [unrolled: 2-line block ×6, first 2 shown]
	v_cvt_f64_i32_e32 v[124:125], v19
	v_mul_f64 v[128:129], v[124:125], s[36:37]
	v_fma_f64 v[130:131], v[124:125], s[36:37], -v[128:129]
	v_fmac_f64_e32 v[130:131], s[38:39], v[124:125]
	v_add_f64 v[124:125], v[128:129], v[130:131]
	v_add_f64 v[128:129], v[124:125], -v[128:129]
	v_mul_f64 v[120:121], v[122:123], v[120:121]
	v_add_f64 v[128:129], v[130:131], -v[128:129]
	v_ldexp_f64 v[130:131], v[122:123], 1
	v_mul_f64 v[120:121], v[120:121], v[126:127]
	v_add_f64 v[122:123], v[130:131], v[120:121]
	v_add_f64 v[126:127], v[122:123], -v[130:131]
	v_ldexp_f64 v[2:3], v[2:3], 1
	v_add_f64 v[120:121], v[120:121], -v[126:127]
	v_add_f64 v[2:3], v[2:3], v[120:121]
	v_add_f64 v[120:121], v[122:123], v[2:3]
	v_add_f64 v[122:123], v[120:121], -v[122:123]
	v_add_f64 v[2:3], v[2:3], -v[122:123]
	v_add_f64 v[122:123], v[124:125], v[120:121]
	v_add_f64 v[126:127], v[122:123], -v[124:125]
	v_add_f64 v[130:131], v[122:123], -v[126:127]
	;; [unrolled: 1-line block ×4, first 2 shown]
	v_add_f64 v[120:121], v[120:121], v[124:125]
	v_add_f64 v[124:125], v[128:129], v[2:3]
	v_add_f64 v[126:127], v[124:125], -v[128:129]
	v_add_f64 v[120:121], v[124:125], v[120:121]
	v_add_f64 v[130:131], v[124:125], -v[126:127]
	;; [unrolled: 2-line block ×3, first 2 shown]
	v_add_f64 v[2:3], v[2:3], -v[126:127]
	v_add_f64 v[122:123], v[124:125], -v[122:123]
	v_add_f64 v[2:3], v[2:3], v[128:129]
	v_add_f64 v[120:121], v[120:121], -v[122:123]
	v_add_f64 v[2:3], v[2:3], v[120:121]
	v_add_f64 v[2:3], v[124:125], v[2:3]
	v_cmp_eq_f64_e64 s[14:15], s[40:41], v[110:111]
	v_cndmask_b32_e64 v3, v3, v111, s[14:15]
	v_cndmask_b32_e64 v2, v2, v110, s[14:15]
	v_mul_f64 v[2:3], v[2:3], 0.5
	v_cmp_ngt_f64_e64 s[14:15], -1.0, v[110:111]
	v_cndmask_b32_e64 v3, v112, v3, s[14:15]
	v_cmp_nge_f64_e64 s[14:15], -1.0, v[110:111]
	v_cndmask_b32_e64 v2, 0, v2, s[14:15]
	v_cmp_neq_f64_e64 s[14:15], -1.0, v[110:111]
	v_cndmask_b32_e64 v3, v115, v3, s[14:15]
.LBB204_68:                             ;   in Loop: Header=BB204_33 Depth=1
	s_or_b64 exec, exec, s[62:63]
	s_or_b64 exec, exec, s[16:17]
	s_and_saveexec_b64 s[14:15], vcc
	s_xor_b64 s[62:63], exec, s[14:15]
	s_cbranch_execz .LBB204_62
.LBB204_69:                             ;   in Loop: Header=BB204_33 Depth=1
	v_cmp_gt_i32_e64 s[16:17], 0, v91
	v_cndmask_b32_e64 v110, v118, v119, s[16:17]
	s_and_b64 s[14:15], s[18:19], s[20:21]
	v_bfi_b32 v124, s72, v110, v17
	v_ashrrev_i32_e32 v110, 31, v91
	v_cmp_lt_f64_e64 s[20:21], |v[90:91]|, |v[16:17]|
	v_max_f64 v[90:91], |v[90:91]|, |v[90:91]|
	v_min_f64 v[86:87], v[90:91], v[86:87]
	v_div_scale_f64 v[90:91], s[74:75], v[88:89], v[88:89], v[86:87]
	v_and_b32_e32 v125, 0x400921fb, v110
	v_and_b32_e32 v126, 0x54442d18, v110
	v_rcp_f64_e32 v[110:111], v[90:91]
	s_mov_b32 s44, s42
	v_cmp_eq_f64_e64 s[18:19], 0, v[16:17]
	v_cndmask_b32_e64 v19, v116, v117, s[16:17]
	v_fma_f64 v[120:121], -v[90:91], v[110:111], 1.0
	v_fmac_f64_e32 v[110:111], v[110:111], v[120:121]
	v_fma_f64 v[120:121], -v[90:91], v[110:111], 1.0
	v_fmac_f64_e32 v[110:111], v[110:111], v[120:121]
	v_div_scale_f64 v[120:121], vcc, v[86:87], v[88:89], v[86:87]
	v_mul_f64 v[122:123], v[120:121], v[110:111]
	v_fma_f64 v[90:91], -v[90:91], v[122:123], v[120:121]
	s_nop 1
	v_div_fmas_f64 v[90:91], v[90:91], v[110:111], v[122:123]
	v_div_fixup_f64 v[86:87], v[90:91], v[88:89], v[86:87]
	v_mul_f64 v[88:89], v[86:87], v[86:87]
	v_pk_mov_b32 v[90:91], v[36:37], v[36:37] op_sel:[0,1]
	v_fmac_f64_e32 v[90:91], s[46:47], v[88:89]
	v_pk_mov_b32 v[110:111], v[38:39], v[38:39] op_sel:[0,1]
	v_fmac_f64_e32 v[110:111], v[88:89], v[90:91]
	;; [unrolled: 2-line block ×19, first 2 shown]
	v_mul_f64 v[88:89], v[88:89], v[90:91]
	v_fmac_f64_e32 v[86:87], v[86:87], v[88:89]
	v_add_f64 v[88:89], -v[86:87], s[42:43]
	v_cndmask_b32_e64 v87, v87, v89, s[20:21]
	v_cndmask_b32_e64 v86, v86, v88, s[20:21]
	v_add_f64 v[88:89], -v[86:87], s[44:45]
	v_cndmask_b32_e64 v16, v87, v89, s[16:17]
	v_cndmask_b32_e64 v86, v86, v88, s[16:17]
	;; [unrolled: 1-line block ×7, first 2 shown]
	v_bfi_b32 v17, s72, v19, v17
	v_add_co_u32_e32 v86, vcc, s22, v74
	v_mov_b32_e32 v19, s23
	v_cndmask_b32_e64 v16, 0, v16, s[6:7]
	v_addc_co_u32_e32 v87, vcc, v75, v19, vcc
	global_store_dwordx4 v[86:87], v[14:17], off offset:-8
	s_or_b64 exec, exec, s[62:63]
	s_and_saveexec_b64 s[6:7], s[4:5]
	s_cbranch_execz .LBB204_63
.LBB204_70:                             ;   in Loop: Header=BB204_33 Depth=1
	v_cmp_gt_i32_e64 s[4:5], 0, v93
	v_cndmask_b32_e64 v14, v118, v119, s[4:5]
	v_bfi_b32 v110, s72, v14, v13
	v_max_f64 v[14:15], |v[92:93]|, |v[92:93]|
	v_min_f64 v[14:15], v[14:15], v[94:95]
	v_div_scale_f64 v[16:17], s[14:15], v[96:97], v[96:97], v[14:15]
	v_rcp_f64_e32 v[86:87], v[16:17]
	v_ashrrev_i32_e32 v88, 31, v93
	v_and_b32_e32 v94, 0x400921fb, v88
	v_and_b32_e32 v95, 0x54442d18, v88
	v_fma_f64 v[88:89], -v[16:17], v[86:87], 1.0
	v_fmac_f64_e32 v[86:87], v[86:87], v[88:89]
	v_fma_f64 v[88:89], -v[16:17], v[86:87], 1.0
	v_fmac_f64_e32 v[86:87], v[86:87], v[88:89]
	v_div_scale_f64 v[88:89], vcc, v[14:15], v[96:97], v[14:15]
	v_mul_f64 v[90:91], v[88:89], v[86:87]
	v_fma_f64 v[16:17], -v[16:17], v[90:91], v[88:89]
	v_pk_mov_b32 v[88:89], v[38:39], v[38:39] op_sel:[0,1]
	s_nop 0
	v_div_fmas_f64 v[16:17], v[16:17], v[86:87], v[90:91]
	v_div_fixup_f64 v[14:15], v[16:17], v[96:97], v[14:15]
	v_mul_f64 v[16:17], v[14:15], v[14:15]
	v_pk_mov_b32 v[86:87], v[36:37], v[36:37] op_sel:[0,1]
	v_fmac_f64_e32 v[86:87], s[46:47], v[16:17]
	v_fmac_f64_e32 v[88:89], v[16:17], v[86:87]
	v_pk_mov_b32 v[86:87], v[40:41], v[40:41] op_sel:[0,1]
	v_fmac_f64_e32 v[86:87], v[16:17], v[88:89]
	v_pk_mov_b32 v[88:89], v[42:43], v[42:43] op_sel:[0,1]
	;; [unrolled: 2-line block ×17, first 2 shown]
	v_fmac_f64_e32 v[86:87], v[16:17], v[88:89]
	v_mul_f64 v[16:17], v[16:17], v[86:87]
	v_fmac_f64_e32 v[14:15], v[14:15], v[16:17]
	v_add_f64 v[16:17], -v[14:15], s[42:43]
	v_cmp_lt_f64_e64 vcc, |v[92:93]|, |v[12:13]|
	v_cndmask_b32_e32 v15, v15, v17, vcc
	v_cndmask_b32_e32 v14, v14, v16, vcc
	s_mov_b32 s44, s42
	v_add_f64 v[16:17], -v[14:15], s[44:45]
	v_cndmask_b32_e64 v15, v15, v17, s[4:5]
	v_cndmask_b32_e64 v14, v14, v16, s[4:5]
	v_cmp_eq_f64_e32 vcc, 0, v[12:13]
	v_cndmask_b32_e32 v12, v14, v95, vcc
	v_cndmask_b32_e32 v14, v15, v94, vcc
	s_and_b64 vcc, s[50:51], s[52:53]
	v_cndmask_b32_e32 v14, v14, v110, vcc
	v_cndmask_b32_e64 v19, v116, v117, s[4:5]
	v_cndmask_b32_e64 v14, v112, v14, s[8:9]
	v_cndmask_b32_e32 v12, v12, v19, vcc
	v_bfi_b32 v13, s72, v14, v13
	v_mov_b32_e32 v15, s23
	v_add_co_u32_e32 v14, vcc, s22, v76
	v_cndmask_b32_e64 v12, 0, v12, s[8:9]
	v_addc_co_u32_e32 v15, vcc, v77, v15, vcc
	global_store_dwordx4 v[14:15], v[10:13], off
	s_or_b64 exec, exec, s[6:7]
	s_and_saveexec_b64 s[4:5], s[2:3]
	s_cbranch_execz .LBB204_64
.LBB204_71:                             ;   in Loop: Header=BB204_33 Depth=1
	v_cmp_gt_i32_e64 s[2:3], 0, v99
	v_cndmask_b32_e64 v10, v118, v119, s[2:3]
	v_bfi_b32 v88, s72, v10, v9
	v_max_f64 v[10:11], |v[98:99]|, |v[98:99]|
	v_min_f64 v[10:11], v[10:11], v[100:101]
	v_div_scale_f64 v[12:13], s[6:7], v[102:103], v[102:103], v[10:11]
	v_rcp_f64_e32 v[14:15], v[12:13]
	v_ashrrev_i32_e32 v16, 31, v99
	v_and_b32_e32 v89, 0x400921fb, v16
	v_and_b32_e32 v90, 0x54442d18, v16
	v_fma_f64 v[16:17], -v[12:13], v[14:15], 1.0
	v_fmac_f64_e32 v[14:15], v[14:15], v[16:17]
	v_fma_f64 v[16:17], -v[12:13], v[14:15], 1.0
	v_fmac_f64_e32 v[14:15], v[14:15], v[16:17]
	v_div_scale_f64 v[16:17], vcc, v[10:11], v[102:103], v[10:11]
	v_mul_f64 v[86:87], v[16:17], v[14:15]
	v_fma_f64 v[12:13], -v[12:13], v[86:87], v[16:17]
	v_pk_mov_b32 v[16:17], v[38:39], v[38:39] op_sel:[0,1]
	s_nop 0
	v_div_fmas_f64 v[12:13], v[12:13], v[14:15], v[86:87]
	v_div_fixup_f64 v[10:11], v[12:13], v[102:103], v[10:11]
	v_mul_f64 v[12:13], v[10:11], v[10:11]
	v_pk_mov_b32 v[14:15], v[36:37], v[36:37] op_sel:[0,1]
	v_fmac_f64_e32 v[14:15], s[46:47], v[12:13]
	v_fmac_f64_e32 v[16:17], v[12:13], v[14:15]
	v_pk_mov_b32 v[14:15], v[40:41], v[40:41] op_sel:[0,1]
	v_fmac_f64_e32 v[14:15], v[12:13], v[16:17]
	v_pk_mov_b32 v[16:17], v[42:43], v[42:43] op_sel:[0,1]
	;; [unrolled: 2-line block ×17, first 2 shown]
	v_fmac_f64_e32 v[14:15], v[12:13], v[16:17]
	v_mul_f64 v[12:13], v[12:13], v[14:15]
	v_fmac_f64_e32 v[10:11], v[10:11], v[12:13]
	v_add_f64 v[12:13], -v[10:11], s[42:43]
	v_cmp_lt_f64_e64 vcc, |v[98:99]|, |v[8:9]|
	v_cndmask_b32_e32 v11, v11, v13, vcc
	v_cndmask_b32_e32 v10, v10, v12, vcc
	s_mov_b32 s44, s42
	v_add_f64 v[12:13], -v[10:11], s[44:45]
	v_cndmask_b32_e64 v11, v11, v13, s[2:3]
	v_cndmask_b32_e64 v10, v10, v12, s[2:3]
	v_cmp_eq_f64_e32 vcc, 0, v[8:9]
	v_cndmask_b32_e32 v8, v10, v90, vcc
	v_cndmask_b32_e32 v10, v11, v89, vcc
	s_and_b64 vcc, s[54:55], s[56:57]
	v_cndmask_b32_e32 v10, v10, v88, vcc
	v_cndmask_b32_e64 v19, v116, v117, s[2:3]
	v_cndmask_b32_e64 v10, v112, v10, s[10:11]
	v_cndmask_b32_e32 v8, v8, v19, vcc
	v_bfi_b32 v9, s72, v10, v9
	v_mov_b32_e32 v11, s23
	v_add_co_u32_e32 v10, vcc, s22, v78
	v_cndmask_b32_e64 v8, 0, v8, s[10:11]
	v_addc_co_u32_e32 v11, vcc, v79, v11, vcc
	global_store_dwordx4 v[10:11], v[6:9], off offset:-8
	s_or_b64 exec, exec, s[4:5]
	s_and_saveexec_b64 s[2:3], s[0:1]
	s_cbranch_execz .LBB204_32
.LBB204_72:                             ;   in Loop: Header=BB204_33 Depth=1
	v_cmp_gt_i32_e64 s[0:1], 0, v105
	v_cndmask_b32_e64 v6, v118, v119, s[0:1]
	v_bfi_b32 v17, s72, v6, v5
	v_max_f64 v[6:7], |v[104:105]|, |v[104:105]|
	v_min_f64 v[6:7], v[6:7], v[106:107]
	v_div_scale_f64 v[8:9], s[4:5], v[108:109], v[108:109], v[6:7]
	v_rcp_f64_e32 v[10:11], v[8:9]
	v_ashrrev_i32_e32 v12, 31, v105
	v_and_b32_e32 v19, 0x400921fb, v12
	v_and_b32_e32 v86, 0x54442d18, v12
	v_fma_f64 v[12:13], -v[8:9], v[10:11], 1.0
	v_fmac_f64_e32 v[10:11], v[10:11], v[12:13]
	v_fma_f64 v[12:13], -v[8:9], v[10:11], 1.0
	v_fmac_f64_e32 v[10:11], v[10:11], v[12:13]
	v_div_scale_f64 v[12:13], vcc, v[6:7], v[108:109], v[6:7]
	v_mul_f64 v[14:15], v[12:13], v[10:11]
	v_fma_f64 v[8:9], -v[8:9], v[14:15], v[12:13]
	v_pk_mov_b32 v[12:13], v[38:39], v[38:39] op_sel:[0,1]
	s_nop 0
	v_div_fmas_f64 v[8:9], v[8:9], v[10:11], v[14:15]
	v_div_fixup_f64 v[6:7], v[8:9], v[108:109], v[6:7]
	v_mul_f64 v[8:9], v[6:7], v[6:7]
	v_pk_mov_b32 v[10:11], v[36:37], v[36:37] op_sel:[0,1]
	v_fmac_f64_e32 v[10:11], s[46:47], v[8:9]
	v_fmac_f64_e32 v[12:13], v[8:9], v[10:11]
	v_pk_mov_b32 v[10:11], v[40:41], v[40:41] op_sel:[0,1]
	v_fmac_f64_e32 v[10:11], v[8:9], v[12:13]
	v_pk_mov_b32 v[12:13], v[42:43], v[42:43] op_sel:[0,1]
	;; [unrolled: 2-line block ×17, first 2 shown]
	v_fmac_f64_e32 v[10:11], v[8:9], v[12:13]
	v_mul_f64 v[8:9], v[8:9], v[10:11]
	v_fmac_f64_e32 v[6:7], v[6:7], v[8:9]
	v_add_f64 v[8:9], -v[6:7], s[42:43]
	v_cmp_lt_f64_e64 vcc, |v[104:105]|, |v[4:5]|
	v_cndmask_b32_e32 v7, v7, v9, vcc
	v_cndmask_b32_e32 v6, v6, v8, vcc
	s_mov_b32 s44, s42
	v_add_f64 v[8:9], -v[6:7], s[44:45]
	v_cndmask_b32_e64 v7, v7, v9, s[0:1]
	v_cndmask_b32_e64 v6, v6, v8, s[0:1]
	v_cmp_eq_f64_e32 vcc, 0, v[4:5]
	v_cndmask_b32_e32 v4, v6, v86, vcc
	v_cndmask_b32_e32 v6, v7, v19, vcc
	s_and_b64 vcc, s[58:59], s[60:61]
	v_cndmask_b32_e32 v6, v6, v17, vcc
	v_cndmask_b32_e64 v16, v116, v117, s[0:1]
	v_cndmask_b32_e64 v6, v112, v6, s[12:13]
	v_cndmask_b32_e32 v4, v4, v16, vcc
	v_bfi_b32 v5, s72, v6, v5
	v_mov_b32_e32 v7, s23
	v_add_co_u32_e32 v6, vcc, s22, v22
	v_cndmask_b32_e64 v4, 0, v4, s[12:13]
	v_addc_co_u32_e32 v7, vcc, v23, v7, vcc
	global_store_dwordx4 v[6:7], v[2:5], off offset:-8
	s_branch .LBB204_32
.LBB204_73:
	s_endpgm
	.section	.rodata,"a",@progbits
	.p2align	6, 0x0
	.amdhsa_kernel _ZN2at6native12_GLOBAL__N_125multi_tensor_apply_kernelINS1_18TensorListMetadataILi2EEENS1_14UnaryOpFunctorIN3c107complexIdEELi2ELi1ELi1EEEJNS0_5Log1pIS8_EEEEEvT_T0_DpT1_
		.amdhsa_group_segment_fixed_size 0
		.amdhsa_private_segment_fixed_size 0
		.amdhsa_kernarg_size 3408
		.amdhsa_user_sgpr_count 6
		.amdhsa_user_sgpr_private_segment_buffer 1
		.amdhsa_user_sgpr_dispatch_ptr 0
		.amdhsa_user_sgpr_queue_ptr 0
		.amdhsa_user_sgpr_kernarg_segment_ptr 1
		.amdhsa_user_sgpr_dispatch_id 0
		.amdhsa_user_sgpr_flat_scratch_init 0
		.amdhsa_user_sgpr_kernarg_preload_length 0
		.amdhsa_user_sgpr_kernarg_preload_offset 0
		.amdhsa_user_sgpr_private_segment_size 0
		.amdhsa_uses_dynamic_stack 0
		.amdhsa_system_sgpr_private_segment_wavefront_offset 0
		.amdhsa_system_sgpr_workgroup_id_x 1
		.amdhsa_system_sgpr_workgroup_id_y 0
		.amdhsa_system_sgpr_workgroup_id_z 0
		.amdhsa_system_sgpr_workgroup_info 0
		.amdhsa_system_vgpr_workitem_id 0
		.amdhsa_next_free_vgpr 139
		.amdhsa_next_free_sgpr 96
		.amdhsa_accum_offset 140
		.amdhsa_reserve_vcc 1
		.amdhsa_reserve_flat_scratch 0
		.amdhsa_float_round_mode_32 0
		.amdhsa_float_round_mode_16_64 0
		.amdhsa_float_denorm_mode_32 3
		.amdhsa_float_denorm_mode_16_64 3
		.amdhsa_dx10_clamp 1
		.amdhsa_ieee_mode 1
		.amdhsa_fp16_overflow 0
		.amdhsa_tg_split 0
		.amdhsa_exception_fp_ieee_invalid_op 0
		.amdhsa_exception_fp_denorm_src 0
		.amdhsa_exception_fp_ieee_div_zero 0
		.amdhsa_exception_fp_ieee_overflow 0
		.amdhsa_exception_fp_ieee_underflow 0
		.amdhsa_exception_fp_ieee_inexact 0
		.amdhsa_exception_int_div_zero 0
	.end_amdhsa_kernel
	.section	.text._ZN2at6native12_GLOBAL__N_125multi_tensor_apply_kernelINS1_18TensorListMetadataILi2EEENS1_14UnaryOpFunctorIN3c107complexIdEELi2ELi1ELi1EEEJNS0_5Log1pIS8_EEEEEvT_T0_DpT1_,"axG",@progbits,_ZN2at6native12_GLOBAL__N_125multi_tensor_apply_kernelINS1_18TensorListMetadataILi2EEENS1_14UnaryOpFunctorIN3c107complexIdEELi2ELi1ELi1EEEJNS0_5Log1pIS8_EEEEEvT_T0_DpT1_,comdat
.Lfunc_end204:
	.size	_ZN2at6native12_GLOBAL__N_125multi_tensor_apply_kernelINS1_18TensorListMetadataILi2EEENS1_14UnaryOpFunctorIN3c107complexIdEELi2ELi1ELi1EEEJNS0_5Log1pIS8_EEEEEvT_T0_DpT1_, .Lfunc_end204-_ZN2at6native12_GLOBAL__N_125multi_tensor_apply_kernelINS1_18TensorListMetadataILi2EEENS1_14UnaryOpFunctorIN3c107complexIdEELi2ELi1ELi1EEEJNS0_5Log1pIS8_EEEEEvT_T0_DpT1_
                                        ; -- End function
	.section	.AMDGPU.csdata,"",@progbits
; Kernel info:
; codeLenInByte = 22440
; NumSgprs: 100
; NumVgprs: 139
; NumAgprs: 0
; TotalNumVgprs: 139
; ScratchSize: 0
; MemoryBound: 1
; FloatMode: 240
; IeeeMode: 1
; LDSByteSize: 0 bytes/workgroup (compile time only)
; SGPRBlocks: 12
; VGPRBlocks: 17
; NumSGPRsForWavesPerEU: 100
; NumVGPRsForWavesPerEU: 139
; AccumOffset: 140
; Occupancy: 3
; WaveLimiterHint : 0
; COMPUTE_PGM_RSRC2:SCRATCH_EN: 0
; COMPUTE_PGM_RSRC2:USER_SGPR: 6
; COMPUTE_PGM_RSRC2:TRAP_HANDLER: 0
; COMPUTE_PGM_RSRC2:TGID_X_EN: 1
; COMPUTE_PGM_RSRC2:TGID_Y_EN: 0
; COMPUTE_PGM_RSRC2:TGID_Z_EN: 0
; COMPUTE_PGM_RSRC2:TIDIG_COMP_CNT: 0
; COMPUTE_PGM_RSRC3_GFX90A:ACCUM_OFFSET: 34
; COMPUTE_PGM_RSRC3_GFX90A:TG_SPLIT: 0
	.section	.text._ZN2at6native12_GLOBAL__N_125multi_tensor_apply_kernelINS1_18TensorListMetadataILi2EEENS1_14UnaryOpFunctorIN3c107complexIfEELi2ELi1ELi1EEEJNS0_5Log1pIS8_EEEEEvT_T0_DpT1_,"axG",@progbits,_ZN2at6native12_GLOBAL__N_125multi_tensor_apply_kernelINS1_18TensorListMetadataILi2EEENS1_14UnaryOpFunctorIN3c107complexIfEELi2ELi1ELi1EEEJNS0_5Log1pIS8_EEEEEvT_T0_DpT1_,comdat
	.globl	_ZN2at6native12_GLOBAL__N_125multi_tensor_apply_kernelINS1_18TensorListMetadataILi2EEENS1_14UnaryOpFunctorIN3c107complexIfEELi2ELi1ELi1EEEJNS0_5Log1pIS8_EEEEEvT_T0_DpT1_ ; -- Begin function _ZN2at6native12_GLOBAL__N_125multi_tensor_apply_kernelINS1_18TensorListMetadataILi2EEENS1_14UnaryOpFunctorIN3c107complexIfEELi2ELi1ELi1EEEJNS0_5Log1pIS8_EEEEEvT_T0_DpT1_
	.p2align	8
	.type	_ZN2at6native12_GLOBAL__N_125multi_tensor_apply_kernelINS1_18TensorListMetadataILi2EEENS1_14UnaryOpFunctorIN3c107complexIfEELi2ELi1ELi1EEEJNS0_5Log1pIS8_EEEEEvT_T0_DpT1_,@function
_ZN2at6native12_GLOBAL__N_125multi_tensor_apply_kernelINS1_18TensorListMetadataILi2EEENS1_14UnaryOpFunctorIN3c107complexIfEELi2ELi1ELi1EEEJNS0_5Log1pIS8_EEEEEvT_T0_DpT1_: ; @_ZN2at6native12_GLOBAL__N_125multi_tensor_apply_kernelINS1_18TensorListMetadataILi2EEENS1_14UnaryOpFunctorIN3c107complexIfEELi2ELi1ELi1EEEJNS0_5Log1pIS8_EEEEEvT_T0_DpT1_
; %bb.0:
	v_mov_b32_e32 v1, s6
	global_load_ubyte v1, v1, s[4:5] offset:1536
	s_add_u32 s0, s4, s6
	s_mul_hi_u32 s3, s6, 3
	s_mul_i32 s6, s6, 3
	s_addc_u32 s7, s5, 0
	s_add_u32 s2, s0, s6
	s_addc_u32 s3, s7, s3
	s_load_dword s12, s[2:3], 0x740
	s_mov_b32 s9, 0
	s_mov_b32 s1, s9
	;; [unrolled: 1-line block ×3, first 2 shown]
	s_waitcnt lgkmcnt(0)
	s_ashr_i32 s13, s12, 31
	s_lshl_b64 s[10:11], s[12:13], 19
	s_waitcnt vmcnt(0)
	v_readfirstlane_b32 s0, v1
	s_lshl_b32 s0, s0, 3
	s_load_dwordx2 s[2:3], s[4:5], s0 offset:0x0
	s_load_dwordx2 s[14:15], s[4:5], s0 offset:0x400
	s_load_dwordx2 s[6:7], s[4:5], s0 offset:0x200
	s_waitcnt lgkmcnt(0)
	s_add_u32 s22, s2, s10
	s_addc_u32 s23, s3, s11
	s_add_u32 s24, s6, s10
	s_addc_u32 s25, s7, s11
	s_and_b32 s0, s22, 31
	s_and_b32 s16, s14, 3
	s_and_b32 s8, s24, 31
	s_or_b64 s[0:1], s[0:1], s[16:17]
	s_lshl_b64 s[12:13], s[12:13], 16
	s_or_b64 s[0:1], s[8:9], s[0:1]
	s_sub_u32 s12, s14, s12
	s_subb_u32 s13, s15, s13
	s_cmp_eq_u64 s[0:1], 0
	s_mov_b64 s[0:1], -1
	s_cbranch_scc0 .LBB205_29
; %bb.1:
	v_mov_b32_e32 v19, 0
	v_lshlrev_b32_e32 v18, 2, v0
	v_cmp_gt_i64_e32 vcc, s[12:13], v[18:19]
	s_and_saveexec_b64 s[14:15], vcc
	s_cbranch_execz .LBB205_28
; %bb.2:
	s_load_dword s0, s[4:5], 0xc5c
	v_lshlrev_b32_e32 v20, 5, v0
	s_mov_b64 s[16:17], 0
	s_mov_b32 s27, 0x7f800000
	s_mov_b32 s28, 0x800000
	s_waitcnt lgkmcnt(0)
	s_and_b32 s0, s0, 0xffff
	v_add_lshl_u32 v18, v0, s0, 2
	s_lshl_b32 s8, s0, 2
	s_lshl_b32 s26, s0, 5
	s_mov_b32 s29, 0x3f317217
	s_mov_b32 s30, 0x3f2aaaab
	v_mov_b32_e32 v1, 0x3f2aaada
	s_mov_b32 s31, 0x3f317218
	s_mov_b32 s33, 0x33800000
	s_movk_i32 s34, 0x204
	v_mov_b32_e32 v21, 0x3d29fb3f
	v_mov_b32_e32 v24, 0xbd97d4d7
	;; [unrolled: 1-line block ×6, first 2 shown]
	s_brev_b32 s35, -2
	s_mov_b64 s[18:19], 0xffff
	v_mov_b32_e32 v29, 0x7f800000
	v_mov_b32_e32 v30, 0x4f800000
	v_mov_b32_e32 v31, 0x41b17218
	v_mov_b32_e32 v22, 0x3f317218
	v_mov_b32_e32 v32, 0x7fc00000
	v_mov_b32_e32 v33, 0xff800000
	v_mov_b32_e32 v34, 0x3f490fdb
	v_mov_b32_e32 v35, 0x4016cbe4
	v_mov_b32_e32 v36, 0x40490fdb
	s_branch .LBB205_5
.LBB205_3:                              ;   in Loop: Header=BB205_5 Depth=1
	s_or_b64 exec, exec, s[20:21]
	v_mov_b32_e32 v16, v4
.LBB205_4:                              ;   in Loop: Header=BB205_5 Depth=1
	s_or_b64 exec, exec, s[0:1]
	v_max_f32_e64 v42, |v8|, |v8|
	v_min_f32_e32 v15, v42, v15
	v_frexp_mant_f32_e32 v42, v39
	v_rcp_f32_e32 v42, v42
	v_frexp_exp_i32_f32_e32 v39, v39
	v_frexp_exp_i32_f32_e32 v43, v15
	v_frexp_mant_f32_e32 v15, v15
	v_mul_f32_e32 v15, v15, v42
	v_sub_u32_e32 v39, v43, v39
	v_ldexp_f32 v15, v15, v39
	v_mul_f32_e32 v39, v15, v15
	v_mov_b32_e32 v42, 0xbc7a590c
	v_fmac_f32_e32 v42, 0x3b2d2a58, v39
	v_fma_f32 v42, v39, v42, v21
	v_fma_f32 v42, v39, v42, v24
	;; [unrolled: 1-line block ×6, first 2 shown]
	v_mul_f32_e32 v39, v39, v42
	v_cmp_gt_i32_e64 s[0:1], 0, v8
	v_fmac_f32_e32 v15, v15, v39
	v_cndmask_b32_e64 v23, 0, v36, s[0:1]
	v_sub_f32_e32 v39, 0x3fc90fdb, v15
	v_cmp_gt_f32_e64 s[0:1], |v3|, |v8|
	v_cndmask_b32_e64 v15, v15, v39, s[0:1]
	v_cmp_gt_f32_e32 vcc, 0, v8
	v_sub_f32_e32 v39, 0x40490fdb, v15
	v_cmp_class_f32_e64 s[20:21], v3, s34
	v_cmp_class_f32_e64 s[36:37], v8, s34
	v_cndmask_b32_e32 v4, v34, v35, vcc
	v_cndmask_b32_e32 v15, v15, v39, vcc
	v_cmp_eq_f32_e32 vcc, 0, v3
	v_cndmask_b32_e32 v15, v15, v23, vcc
	s_and_b64 vcc, s[20:21], s[36:37]
	v_cndmask_b32_e32 v4, v15, v4, vcc
	v_cmp_o_f32_e32 vcc, v8, v3
	v_max_f32_e64 v8, |v6|, |v6|
	v_min_f32_e32 v8, v8, v13
	v_frexp_mant_f32_e32 v13, v38
	v_rcp_f32_e32 v13, v13
	v_frexp_exp_i32_f32_e32 v23, v38
	v_frexp_exp_i32_f32_e32 v38, v8
	v_frexp_mant_f32_e32 v8, v8
	v_mul_f32_e32 v8, v8, v13
	v_sub_u32_e32 v13, v38, v23
	v_ldexp_f32 v8, v8, v13
	v_mul_f32_e32 v13, v8, v8
	v_mov_b32_e32 v23, 0xbc7a590c
	v_fmac_f32_e32 v23, 0x3b2d2a58, v13
	v_fma_f32 v23, v13, v23, v21
	v_fma_f32 v23, v13, v23, v24
	;; [unrolled: 1-line block ×6, first 2 shown]
	v_mul_f32_e32 v13, v13, v23
	v_cndmask_b32_e32 v4, v32, v4, vcc
	v_cmp_gt_i32_e64 s[0:1], 0, v6
	v_fmac_f32_e32 v8, v8, v13
	v_bfi_b32 v15, s35, v4, v3
	v_cndmask_b32_e64 v4, 0, v36, s[0:1]
	v_sub_f32_e32 v13, 0x3fc90fdb, v8
	v_cmp_gt_f32_e64 s[0:1], |v9|, |v6|
	v_cndmask_b32_e64 v8, v8, v13, s[0:1]
	v_cmp_gt_f32_e32 vcc, 0, v6
	v_sub_f32_e32 v13, 0x40490fdb, v8
	v_cndmask_b32_e32 v3, v34, v35, vcc
	v_cndmask_b32_e32 v8, v8, v13, vcc
	v_cmp_eq_f32_e32 vcc, 0, v9
	v_cmp_class_f32_e64 s[20:21], v9, s34
	v_cmp_class_f32_e64 s[36:37], v6, s34
	v_cndmask_b32_e32 v4, v8, v4, vcc
	v_frexp_mant_f32_e32 v8, v37
	s_and_b64 vcc, s[20:21], s[36:37]
	v_rcp_f32_e32 v8, v8
	v_cndmask_b32_e32 v3, v4, v3, vcc
	v_cmp_o_f32_e32 vcc, v6, v9
	v_max_f32_e64 v6, |v11|, |v11|
	v_cndmask_b32_e32 v3, v32, v3, vcc
	v_min_f32_e32 v6, v6, v17
	v_bfi_b32 v13, s35, v3, v9
	v_frexp_exp_i32_f32_e32 v9, v37
	v_frexp_exp_i32_f32_e32 v17, v6
	v_frexp_mant_f32_e32 v6, v6
	v_mul_f32_e32 v6, v6, v8
	v_sub_u32_e32 v8, v17, v9
	v_ldexp_f32 v6, v6, v8
	v_mul_f32_e32 v8, v6, v6
	v_mov_b32_e32 v9, 0xbc7a590c
	v_fmac_f32_e32 v9, 0x3b2d2a58, v8
	v_fma_f32 v9, v8, v9, v21
	v_fma_f32 v9, v8, v9, v24
	;; [unrolled: 1-line block ×6, first 2 shown]
	v_mul_f32_e32 v8, v8, v9
	v_cmp_gt_i32_e64 s[0:1], 0, v11
	v_fmac_f32_e32 v6, v6, v8
	v_cndmask_b32_e64 v4, 0, v36, s[0:1]
	v_sub_f32_e32 v8, 0x3fc90fdb, v6
	v_cmp_gt_f32_e64 s[0:1], |v7|, |v11|
	v_cndmask_b32_e64 v6, v6, v8, s[0:1]
	v_cmp_gt_f32_e32 vcc, 0, v11
	v_sub_f32_e32 v8, 0x40490fdb, v6
	v_cmp_class_f32_e64 s[20:21], v7, s34
	v_cmp_class_f32_e64 s[36:37], v11, s34
	v_cndmask_b32_e32 v3, v34, v35, vcc
	v_cndmask_b32_e32 v6, v6, v8, vcc
	v_cmp_eq_f32_e32 vcc, 0, v7
	v_cndmask_b32_e32 v4, v6, v4, vcc
	s_and_b64 vcc, s[20:21], s[36:37]
	v_cndmask_b32_e32 v3, v4, v3, vcc
	v_cmp_o_f32_e32 vcc, v11, v7
	v_cndmask_b32_e32 v3, v32, v3, vcc
	v_bfi_b32 v11, s35, v3, v7
	v_frexp_mant_f32_e32 v7, v41
	v_rcp_f32_e32 v7, v7
	v_max_f32_e64 v6, |v2|, |v2|
	v_min_f32_e32 v6, v6, v40
	v_frexp_exp_i32_f32_e32 v8, v41
	v_frexp_exp_i32_f32_e32 v9, v6
	v_frexp_mant_f32_e32 v6, v6
	v_mul_f32_e32 v6, v6, v7
	v_sub_u32_e32 v7, v9, v8
	v_ldexp_f32 v6, v6, v7
	v_mul_f32_e32 v7, v6, v6
	v_mov_b32_e32 v8, 0xbc7a590c
	v_fmac_f32_e32 v8, 0x3b2d2a58, v7
	v_fma_f32 v8, v7, v8, v21
	v_fma_f32 v8, v7, v8, v24
	;; [unrolled: 1-line block ×6, first 2 shown]
	v_mul_f32_e32 v7, v7, v8
	v_cmp_gt_i32_e64 s[0:1], 0, v2
	v_fmac_f32_e32 v6, v6, v7
	v_cndmask_b32_e64 v4, 0, v36, s[0:1]
	v_sub_f32_e32 v7, 0x3fc90fdb, v6
	v_cmp_gt_f32_e64 s[0:1], |v5|, |v2|
	v_cndmask_b32_e64 v6, v6, v7, s[0:1]
	v_cmp_gt_f32_e32 vcc, 0, v2
	v_sub_f32_e32 v7, 0x40490fdb, v6
	v_cmp_class_f32_e64 s[20:21], v5, s34
	v_cmp_class_f32_e64 s[36:37], v2, s34
	v_cndmask_b32_e32 v3, v34, v35, vcc
	v_cndmask_b32_e32 v6, v6, v7, vcc
	v_cmp_eq_f32_e32 vcc, 0, v5
	v_cndmask_b32_e32 v4, v6, v4, vcc
	s_and_b64 vcc, s[20:21], s[36:37]
	v_cndmask_b32_e32 v3, v4, v3, vcc
	v_cmp_o_f32_e32 vcc, v2, v5
	v_cndmask_b32_e32 v2, v32, v3, vcc
	v_bfi_b32 v17, s35, v2, v5
	v_mov_b32_e32 v3, s25
	v_add_co_u32_e32 v2, vcc, s24, v20
	v_addc_co_u32_e32 v3, vcc, 0, v3, vcc
	v_cmp_le_i64_e32 vcc, s[12:13], v[18:19]
	v_cmp_lt_u64_e64 s[0:1], s[18:19], v[18:19]
	s_or_b64 s[0:1], vcc, s[0:1]
	s_add_u32 s22, s22, s26
	s_addc_u32 s23, s23, 0
	s_add_u32 s24, s24, s26
	s_addc_u32 s25, s25, 0
	global_store_dwordx4 v[2:3], v[10:13], off
	global_store_dwordx4 v[2:3], v[14:17], off offset:16
	v_mov_b32_e32 v2, s9
	s_and_b64 s[0:1], exec, s[0:1]
	v_add_co_u32_e32 v18, vcc, s8, v18
	s_or_b64 s[16:17], s[0:1], s[16:17]
	v_addc_co_u32_e32 v19, vcc, v19, v2, vcc
	s_andn2_b64 exec, exec, s[16:17]
	s_cbranch_execz .LBB205_28
.LBB205_5:                              ; =>This Inner Loop Header: Depth=1
	v_mov_b32_e32 v2, s23
	v_add_co_u32_e32 v10, vcc, s22, v20
	v_addc_co_u32_e32 v11, vcc, 0, v2, vcc
	global_load_dwordx4 v[6:9], v[10:11], off
	global_load_dwordx4 v[2:5], v[10:11], off offset:16
	s_waitcnt vmcnt(1)
	v_max_f32_e64 v10, |v6|, |v6|
	v_max_f32_e64 v17, |v7|, |v7|
	v_max_f32_e32 v12, v10, v17
	v_cvt_f64_f32_e32 v[10:11], v12
	v_frexp_exp_i32_f64_e32 v10, v[10:11]
	v_sub_u32_e32 v11, 0, v10
	v_ldexp_f32 v13, |v6|, v11
	v_ldexp_f32 v11, |v7|, v11
	v_mul_f32_e32 v11, v11, v11
	v_fmac_f32_e32 v11, v13, v13
	v_sqrt_f32_e32 v13, v11
	v_add_f32_e32 v11, 1.0, v6
	v_cmp_eq_f32_e32 vcc, s27, v12
	v_max_f32_e64 v37, |v11|, v17
	v_ldexp_f32 v10, v13, v10
	v_cmp_ngt_f32_e64 s[0:1], 0.5, v10
	s_or_b64 s[0:1], vcc, s[0:1]
                                        ; implicit-def: $vgpr10
	s_and_saveexec_b64 s[20:21], s[0:1]
	s_xor_b64 s[20:21], exec, s[20:21]
	s_cbranch_execz .LBB205_7
; %bb.6:                                ;   in Loop: Header=BB205_5 Depth=1
	v_cvt_f64_f32_e32 v[12:13], v37
	v_frexp_exp_i32_f64_e32 v10, v[12:13]
	v_sub_u32_e32 v12, 0, v10
	v_ldexp_f32 v13, |v11|, v12
	v_ldexp_f32 v12, |v7|, v12
	v_mul_f32_e32 v12, v12, v12
	v_fmac_f32_e32 v12, v13, v13
	v_sqrt_f32_e32 v12, v12
	v_cmp_neq_f32_e32 vcc, s27, v37
	v_ldexp_f32 v10, v12, v10
	v_cndmask_b32_e32 v10, v29, v10, vcc
	v_cmp_gt_f32_e32 vcc, s28, v10
	v_cndmask_b32_e32 v12, 1.0, v30, vcc
	v_mul_f32_e32 v10, v10, v12
	v_log_f32_e32 v10, v10
	v_mul_f32_e32 v12, 0x3f317217, v10
	v_fma_f32 v13, v10, s29, -v12
	v_fmac_f32_e32 v13, 0x3377d1cf, v10
	v_add_f32_e32 v12, v12, v13
	v_cmp_lt_f32_e64 s[0:1], |v10|, s27
	v_cndmask_b32_e64 v10, v10, v12, s[0:1]
	v_cndmask_b32_e32 v12, 0, v31, vcc
	v_sub_f32_e32 v10, v10, v12
.LBB205_7:                              ;   in Loop: Header=BB205_5 Depth=1
	s_andn2_saveexec_b64 s[0:1], s[20:21]
	s_cbranch_execz .LBB205_11
; %bb.8:                                ;   in Loop: Header=BB205_5 Depth=1
	v_add_f32_e32 v10, 2.0, v6
	v_mul_f32_e32 v10, v6, v10
	v_fmac_f32_e32 v10, v7, v7
	v_cmp_neq_f32_e32 vcc, 0, v10
	s_and_saveexec_b64 s[20:21], vcc
	s_cbranch_execz .LBB205_10
; %bb.9:                                ;   in Loop: Header=BB205_5 Depth=1
	v_add_f32_e32 v6, 1.0, v10
	v_add_f32_e32 v12, -1.0, v6
	v_sub_f32_e32 v13, v12, v6
	v_add_f32_e32 v13, 1.0, v13
	v_sub_f32_e32 v12, v10, v12
	v_add_f32_e32 v14, v12, v13
	v_frexp_mant_f32_e32 v15, v6
	v_cvt_f64_f32_e32 v[12:13], v6
	v_frexp_exp_i32_f64_e32 v12, v[12:13]
	v_cmp_gt_f32_e32 vcc, s30, v15
	v_subbrev_co_u32_e32 v16, vcc, 0, v12, vcc
	v_sub_u32_e32 v12, 0, v16
	v_ldexp_f32 v6, v6, v12
	v_ldexp_f32 v12, v14, v12
	v_add_f32_e32 v14, -1.0, v6
	v_add_f32_e32 v13, 1.0, v14
	v_sub_f32_e32 v13, v6, v13
	v_add_f32_e32 v15, v12, v13
	v_add_f32_e32 v13, 1.0, v6
	v_add_f32_e32 v23, -1.0, v13
	v_sub_f32_e32 v6, v6, v23
	v_add_f32_e32 v6, v12, v6
	v_add_f32_e32 v23, v13, v6
	v_rcp_f32_e32 v42, v23
	v_sub_f32_e32 v12, v23, v13
	v_add_f32_e32 v13, v14, v15
	v_sub_f32_e32 v6, v6, v12
	v_mul_f32_e32 v44, v13, v42
	v_sub_f32_e32 v12, v13, v14
	v_mul_f32_e32 v14, v23, v44
	v_fma_f32 v38, v44, v23, -v14
	v_fmac_f32_e32 v38, v44, v6
	v_sub_f32_e32 v43, v15, v12
	v_add_f32_e32 v12, v14, v38
	v_sub_f32_e32 v15, v13, v12
	v_pk_add_f32 v[40:41], v[12:13], v[14:15] neg_lo:[0,1] neg_hi:[0,1]
	v_mov_b32_e32 v39, v12
	v_pk_add_f32 v[12:13], v[40:41], v[38:39] neg_lo:[0,1] neg_hi:[0,1]
	v_add_f32_e32 v13, v43, v13
	v_add_f32_e32 v12, v12, v13
	;; [unrolled: 1-line block ×3, first 2 shown]
	v_mul_f32_e32 v43, v42, v13
	v_mul_f32_e32 v14, v23, v43
	v_fma_f32 v38, v43, v23, -v14
	v_fmac_f32_e32 v38, v43, v6
	v_sub_f32_e32 v6, v15, v13
	v_add_f32_e32 v6, v12, v6
	v_add_f32_e32 v12, v14, v38
	v_sub_f32_e32 v15, v13, v12
	v_pk_add_f32 v[40:41], v[12:13], v[14:15] neg_lo:[0,1] neg_hi:[0,1]
	v_mov_b32_e32 v39, v12
	v_pk_add_f32 v[12:13], v[40:41], v[38:39] neg_lo:[0,1] neg_hi:[0,1]
	v_add_f32_e32 v6, v6, v13
	v_add_f32_e32 v6, v12, v6
	;; [unrolled: 1-line block ×4, first 2 shown]
	v_sub_f32_e32 v12, v13, v44
	v_mul_f32_e32 v6, v42, v6
	v_sub_f32_e32 v12, v43, v12
	v_add_f32_e32 v6, v12, v6
	v_add_f32_e32 v14, v13, v6
	v_mul_f32_e32 v38, v14, v14
	v_mov_b32_e32 v12, 0x3ecc95a3
	v_fmac_f32_e32 v12, 0x3e9b6dac, v38
	v_fma_f32 v23, v38, v12, v1
	v_cvt_f32_i32_e32 v12, v16
	v_sub_f32_e32 v13, v14, v13
	v_sub_f32_e32 v6, v6, v13
	v_mul_f32_e32 v13, v14, v38
	v_pk_mul_f32 v[38:39], v[12:13], v[22:23]
	v_ldexp_f32 v15, v14, 1
	v_fma_f32 v14, v12, s31, -v38
	v_fmac_f32_e32 v14, 0xb102e308, v12
	v_pk_add_f32 v[12:13], v[38:39], v[14:15]
	v_sub_f32_e32 v15, v13, v15
	v_ldexp_f32 v6, v6, 1
	v_sub_f32_e32 v15, v39, v15
	v_add_f32_e32 v41, v6, v15
	v_mov_b32_e32 v40, v38
	v_pk_add_f32 v[38:39], v[12:13], v[38:39] neg_lo:[0,1] neg_hi:[0,1]
	v_pk_add_f32 v[42:43], v[12:13], v[40:41]
	v_mov_b32_e32 v39, v43
	v_mov_b32_e32 v15, v12
	v_pk_add_f32 v[44:45], v[14:15], v[38:39] neg_lo:[0,1] neg_hi:[0,1]
	v_pk_add_f32 v[14:15], v[14:15], v[38:39]
	v_mov_b32_e32 v6, v15
	v_pk_add_f32 v[38:39], v[6:7], v[12:13] neg_lo:[0,1] neg_hi:[0,1]
	v_mov_b32_e32 v23, v38
	v_pk_add_f32 v[46:47], v[42:43], v[22:23] neg_lo:[0,1] neg_hi:[0,1]
	v_mov_b32_e32 v14, v43
	v_mov_b32_e32 v42, v13
	;; [unrolled: 1-line block ×4, first 2 shown]
	v_pk_add_f32 v[14:15], v[14:15], v[42:43] neg_lo:[0,1] neg_hi:[0,1]
	v_mov_b32_e32 v38, v41
	v_mov_b32_e32 v39, v12
	v_pk_add_f32 v[12:13], v[38:39], v[14:15] neg_lo:[0,1] neg_hi:[0,1]
	v_mov_b32_e32 v46, v44
	v_pk_add_f32 v[14:15], v[46:47], v[12:13]
	v_mov_b32_e32 v16, v15
	v_pk_add_f32 v[38:39], v[14:15], v[16:17]
	v_pk_add_f32 v[40:41], v[6:7], v[38:39]
	v_mov_b32_e32 v15, v40
	v_pk_add_f32 v[42:43], v[14:15], v[44:45] neg_lo:[0,1] neg_hi:[0,1]
	v_mov_b32_e32 v13, v38
	v_sub_f32_e32 v6, v14, v42
	v_pk_add_f32 v[12:13], v[12:13], v[42:43] neg_lo:[0,1] neg_hi:[0,1]
	v_sub_f32_e32 v6, v44, v6
	v_add_f32_e32 v6, v12, v6
	v_add_f32_e32 v6, v6, v13
	;; [unrolled: 1-line block ×3, first 2 shown]
	v_cmp_eq_f32_e32 vcc, s27, v10
	v_cndmask_b32_e32 v6, v6, v10, vcc
	v_cmp_ngt_f32_e32 vcc, -1.0, v10
	v_cndmask_b32_e32 v6, v32, v6, vcc
	v_cmp_neq_f32_e32 vcc, -1.0, v10
	v_cndmask_b32_e32 v6, v33, v6, vcc
	v_cmp_lt_f32_e64 vcc, |v10|, s33
	v_cndmask_b32_e32 v6, v6, v10, vcc
	v_mul_f32_e32 v6, 0.5, v6
.LBB205_10:                             ;   in Loop: Header=BB205_5 Depth=1
	s_or_b64 exec, exec, s[20:21]
	v_mov_b32_e32 v10, v6
.LBB205_11:                             ;   in Loop: Header=BB205_5 Depth=1
	s_or_b64 exec, exec, s[0:1]
	v_max_f32_e64 v6, |v8|, |v8|
	v_max_f32_e64 v13, |v9|, |v9|
	v_max_f32_e32 v6, v6, v13
	v_cvt_f64_f32_e32 v[14:15], v6
	v_frexp_exp_i32_f64_e32 v12, v[14:15]
	v_sub_u32_e32 v14, 0, v12
	v_ldexp_f32 v15, |v8|, v14
	v_ldexp_f32 v14, |v9|, v14
	v_mul_f32_e32 v14, v14, v14
	v_fmac_f32_e32 v14, v15, v15
	v_sqrt_f32_e32 v14, v14
	v_cmp_eq_f32_e32 vcc, s27, v6
	v_ldexp_f32 v6, v14, v12
	v_cmp_ngt_f32_e64 s[0:1], 0.5, v6
	v_add_f32_e32 v6, 1.0, v8
	v_max_f32_e64 v38, |v6|, v13
	s_or_b64 s[0:1], vcc, s[0:1]
	s_and_saveexec_b64 s[20:21], s[0:1]
	s_xor_b64 s[20:21], exec, s[20:21]
	s_cbranch_execz .LBB205_13
; %bb.12:                               ;   in Loop: Header=BB205_5 Depth=1
	v_cvt_f64_f32_e32 v[14:15], v38
	v_frexp_exp_i32_f64_e32 v12, v[14:15]
	v_sub_u32_e32 v14, 0, v12
	v_ldexp_f32 v15, |v6|, v14
	v_ldexp_f32 v14, |v9|, v14
	v_mul_f32_e32 v14, v14, v14
	v_fmac_f32_e32 v14, v15, v15
	v_sqrt_f32_e32 v14, v14
	v_cmp_neq_f32_e32 vcc, s27, v38
	v_ldexp_f32 v12, v14, v12
	v_cndmask_b32_e32 v12, v29, v12, vcc
	v_cmp_gt_f32_e32 vcc, s28, v12
	v_cndmask_b32_e32 v14, 1.0, v30, vcc
	v_mul_f32_e32 v12, v12, v14
	v_log_f32_e32 v12, v12
	v_mul_f32_e32 v14, 0x3f317217, v12
	v_fma_f32 v15, v12, s29, -v14
	v_fmac_f32_e32 v15, 0x3377d1cf, v12
	v_add_f32_e32 v14, v14, v15
	v_cmp_lt_f32_e64 s[0:1], |v12|, s27
	v_cndmask_b32_e64 v12, v12, v14, s[0:1]
	v_cndmask_b32_e32 v14, 0, v31, vcc
	v_sub_f32_e32 v12, v12, v14
.LBB205_13:                             ;   in Loop: Header=BB205_5 Depth=1
	s_andn2_saveexec_b64 s[0:1], s[20:21]
	s_cbranch_execz .LBB205_17
; %bb.14:                               ;   in Loop: Header=BB205_5 Depth=1
	v_add_f32_e32 v12, 2.0, v8
	v_mul_f32_e32 v12, v8, v12
	v_fmac_f32_e32 v12, v9, v9
	v_cmp_neq_f32_e32 vcc, 0, v12
	s_and_saveexec_b64 s[20:21], vcc
	s_cbranch_execz .LBB205_16
; %bb.15:                               ;   in Loop: Header=BB205_5 Depth=1
	v_add_f32_e32 v8, 1.0, v12
	v_add_f32_e32 v14, -1.0, v8
	v_sub_f32_e32 v15, v14, v8
	v_add_f32_e32 v15, 1.0, v15
	v_sub_f32_e32 v14, v12, v14
	v_add_f32_e32 v16, v14, v15
	v_frexp_mant_f32_e32 v23, v8
	v_cvt_f64_f32_e32 v[14:15], v8
	v_frexp_exp_i32_f64_e32 v14, v[14:15]
	v_cmp_gt_f32_e32 vcc, s30, v23
	v_subbrev_co_u32_e32 v39, vcc, 0, v14, vcc
	v_sub_u32_e32 v14, 0, v39
	v_ldexp_f32 v8, v8, v14
	v_ldexp_f32 v14, v16, v14
	v_add_f32_e32 v16, -1.0, v8
	v_add_f32_e32 v15, 1.0, v16
	v_sub_f32_e32 v15, v8, v15
	v_add_f32_e32 v23, v14, v15
	v_add_f32_e32 v15, 1.0, v8
	v_add_f32_e32 v40, -1.0, v15
	v_sub_f32_e32 v8, v8, v40
	v_add_f32_e32 v8, v14, v8
	v_add_f32_e32 v46, v15, v8
	v_rcp_f32_e32 v47, v46
	v_sub_f32_e32 v14, v46, v15
	v_add_f32_e32 v15, v16, v23
	v_sub_f32_e32 v8, v8, v14
	v_sub_f32_e32 v14, v15, v16
	;; [unrolled: 1-line block ×3, first 2 shown]
	v_mul_f32_e32 v23, v15, v47
	v_mul_f32_e32 v40, v46, v23
	v_fma_f32 v42, v23, v46, -v40
	v_fmac_f32_e32 v42, v23, v8
	v_add_f32_e32 v14, v40, v42
	v_sub_f32_e32 v41, v15, v14
	v_pk_add_f32 v[44:45], v[14:15], v[40:41] neg_lo:[0,1] neg_hi:[0,1]
	v_mov_b32_e32 v43, v14
	v_pk_add_f32 v[14:15], v[44:45], v[42:43] neg_lo:[0,1] neg_hi:[0,1]
	v_add_f32_e32 v15, v16, v15
	v_add_f32_e32 v14, v14, v15
	;; [unrolled: 1-line block ×3, first 2 shown]
	v_mul_f32_e32 v16, v47, v15
	v_mul_f32_e32 v40, v46, v16
	v_fma_f32 v42, v16, v46, -v40
	v_fmac_f32_e32 v42, v16, v8
	v_sub_f32_e32 v8, v41, v15
	v_add_f32_e32 v8, v14, v8
	v_add_f32_e32 v14, v40, v42
	v_sub_f32_e32 v41, v15, v14
	v_pk_add_f32 v[44:45], v[14:15], v[40:41] neg_lo:[0,1] neg_hi:[0,1]
	v_mov_b32_e32 v43, v14
	v_pk_add_f32 v[14:15], v[44:45], v[42:43] neg_lo:[0,1] neg_hi:[0,1]
	v_add_f32_e32 v8, v8, v15
	v_add_f32_e32 v8, v14, v8
	;; [unrolled: 1-line block ×4, first 2 shown]
	v_sub_f32_e32 v14, v15, v23
	v_mul_f32_e32 v8, v47, v8
	v_sub_f32_e32 v14, v16, v14
	v_add_f32_e32 v8, v14, v8
	v_add_f32_e32 v16, v15, v8
	v_mul_f32_e32 v40, v16, v16
	v_mov_b32_e32 v14, 0x3ecc95a3
	v_fmac_f32_e32 v14, 0x3e9b6dac, v40
	v_fma_f32 v23, v40, v14, v1
	v_cvt_f32_i32_e32 v14, v39
	v_sub_f32_e32 v15, v16, v15
	v_sub_f32_e32 v8, v8, v15
	v_mul_f32_e32 v15, v16, v40
	v_pk_mul_f32 v[42:43], v[14:15], v[22:23]
	v_fma_f32 v40, v14, s31, -v42
	v_ldexp_f32 v41, v16, 1
	v_fmac_f32_e32 v40, 0xb102e308, v14
	v_pk_add_f32 v[14:15], v[42:43], v[40:41]
	v_sub_f32_e32 v16, v15, v41
	v_ldexp_f32 v8, v8, 1
	v_sub_f32_e32 v16, v43, v16
	v_add_f32_e32 v45, v8, v16
	v_mov_b32_e32 v44, v42
	v_pk_add_f32 v[42:43], v[14:15], v[42:43] neg_lo:[0,1] neg_hi:[0,1]
	v_pk_add_f32 v[46:47], v[14:15], v[44:45]
	v_mov_b32_e32 v43, v47
	v_mov_b32_e32 v41, v14
	v_pk_add_f32 v[48:49], v[40:41], v[42:43] neg_lo:[0,1] neg_hi:[0,1]
	v_pk_add_f32 v[40:41], v[40:41], v[42:43]
	v_mov_b32_e32 v8, v41
	v_pk_add_f32 v[42:43], v[8:9], v[14:15] neg_lo:[0,1] neg_hi:[0,1]
	v_mov_b32_e32 v23, v42
	v_pk_add_f32 v[50:51], v[46:47], v[22:23] neg_lo:[0,1] neg_hi:[0,1]
	v_mov_b32_e32 v40, v47
	v_mov_b32_e32 v46, v15
	v_mov_b32_e32 v47, v42
	v_mov_b32_e32 v49, v41
	v_pk_add_f32 v[40:41], v[40:41], v[46:47] neg_lo:[0,1] neg_hi:[0,1]
	v_mov_b32_e32 v42, v45
	v_mov_b32_e32 v43, v14
	v_pk_add_f32 v[14:15], v[42:43], v[40:41] neg_lo:[0,1] neg_hi:[0,1]
	v_mov_b32_e32 v50, v48
	v_pk_add_f32 v[40:41], v[50:51], v[14:15]
	v_mov_b32_e32 v16, v41
	v_pk_add_f32 v[42:43], v[40:41], v[16:17]
	v_pk_add_f32 v[44:45], v[8:9], v[42:43]
	v_mov_b32_e32 v41, v44
	v_pk_add_f32 v[46:47], v[40:41], v[48:49] neg_lo:[0,1] neg_hi:[0,1]
	v_mov_b32_e32 v15, v42
	v_sub_f32_e32 v8, v40, v46
	v_pk_add_f32 v[14:15], v[14:15], v[46:47] neg_lo:[0,1] neg_hi:[0,1]
	v_sub_f32_e32 v8, v48, v8
	v_add_f32_e32 v8, v14, v8
	v_add_f32_e32 v8, v8, v15
	;; [unrolled: 1-line block ×3, first 2 shown]
	v_cmp_eq_f32_e32 vcc, s27, v12
	v_cndmask_b32_e32 v8, v8, v12, vcc
	v_cmp_ngt_f32_e32 vcc, -1.0, v12
	v_cndmask_b32_e32 v8, v32, v8, vcc
	v_cmp_neq_f32_e32 vcc, -1.0, v12
	v_cndmask_b32_e32 v8, v33, v8, vcc
	v_cmp_lt_f32_e64 vcc, |v12|, s33
	v_cndmask_b32_e32 v8, v8, v12, vcc
	v_mul_f32_e32 v8, 0.5, v8
.LBB205_16:                             ;   in Loop: Header=BB205_5 Depth=1
	s_or_b64 exec, exec, s[20:21]
	v_mov_b32_e32 v12, v8
.LBB205_17:                             ;   in Loop: Header=BB205_5 Depth=1
	s_or_b64 exec, exec, s[0:1]
	s_waitcnt vmcnt(0)
	v_max_f32_e64 v8, |v2|, |v2|
	v_max_f32_e64 v15, |v3|, |v3|
	v_max_f32_e32 v8, v8, v15
	v_cvt_f64_f32_e32 v[40:41], v8
	v_frexp_exp_i32_f64_e32 v14, v[40:41]
	v_sub_u32_e32 v16, 0, v14
	v_ldexp_f32 v23, |v2|, v16
	v_ldexp_f32 v16, |v3|, v16
	v_mul_f32_e32 v16, v16, v16
	v_fmac_f32_e32 v16, v23, v23
	v_sqrt_f32_e32 v16, v16
	v_cmp_eq_f32_e32 vcc, s27, v8
	v_ldexp_f32 v8, v16, v14
	v_cmp_ngt_f32_e64 s[0:1], 0.5, v8
	v_add_f32_e32 v8, 1.0, v2
	v_max_f32_e64 v39, |v8|, v15
	s_or_b64 s[0:1], vcc, s[0:1]
                                        ; implicit-def: $vgpr14
	s_and_saveexec_b64 s[20:21], s[0:1]
	s_xor_b64 s[20:21], exec, s[20:21]
	s_cbranch_execz .LBB205_19
; %bb.18:                               ;   in Loop: Header=BB205_5 Depth=1
	v_cvt_f64_f32_e32 v[40:41], v39
	v_frexp_exp_i32_f64_e32 v14, v[40:41]
	v_sub_u32_e32 v16, 0, v14
	v_ldexp_f32 v23, |v8|, v16
	v_ldexp_f32 v16, |v3|, v16
	v_mul_f32_e32 v16, v16, v16
	v_fmac_f32_e32 v16, v23, v23
	v_sqrt_f32_e32 v16, v16
	v_cmp_neq_f32_e32 vcc, s27, v39
	v_ldexp_f32 v14, v16, v14
	v_cndmask_b32_e32 v14, v29, v14, vcc
	v_cmp_gt_f32_e32 vcc, s28, v14
	v_cndmask_b32_e32 v16, 1.0, v30, vcc
	v_mul_f32_e32 v14, v14, v16
	v_log_f32_e32 v14, v14
	v_mul_f32_e32 v16, 0x3f317217, v14
	v_fma_f32 v23, v14, s29, -v16
	v_fmac_f32_e32 v23, 0x3377d1cf, v14
	v_add_f32_e32 v16, v16, v23
	v_cmp_lt_f32_e64 s[0:1], |v14|, s27
	v_cndmask_b32_e64 v14, v14, v16, s[0:1]
	v_cndmask_b32_e32 v16, 0, v31, vcc
	v_sub_f32_e32 v14, v14, v16
.LBB205_19:                             ;   in Loop: Header=BB205_5 Depth=1
	s_andn2_saveexec_b64 s[0:1], s[20:21]
	s_cbranch_execz .LBB205_23
; %bb.20:                               ;   in Loop: Header=BB205_5 Depth=1
	v_add_f32_e32 v14, 2.0, v2
	v_mul_f32_e32 v14, v2, v14
	v_fmac_f32_e32 v14, v3, v3
	v_cmp_neq_f32_e32 vcc, 0, v14
	s_and_saveexec_b64 s[20:21], vcc
	s_cbranch_execz .LBB205_22
; %bb.21:                               ;   in Loop: Header=BB205_5 Depth=1
	v_add_f32_e32 v2, 1.0, v14
	v_add_f32_e32 v16, -1.0, v2
	v_sub_f32_e32 v23, v16, v2
	v_add_f32_e32 v23, 1.0, v23
	v_sub_f32_e32 v16, v14, v16
	v_add_f32_e32 v16, v16, v23
	v_frexp_mant_f32_e32 v23, v2
	v_cvt_f64_f32_e32 v[40:41], v2
	v_frexp_exp_i32_f64_e32 v40, v[40:41]
	v_cmp_gt_f32_e32 vcc, s30, v23
	v_subbrev_co_u32_e32 v48, vcc, 0, v40, vcc
	v_sub_u32_e32 v23, 0, v48
	v_ldexp_f32 v2, v2, v23
	v_ldexp_f32 v16, v16, v23
	v_add_f32_e32 v23, -1.0, v2
	v_add_f32_e32 v41, 1.0, v2
	v_add_f32_e32 v40, 1.0, v23
	v_add_f32_e32 v42, -1.0, v41
	v_sub_f32_e32 v40, v2, v40
	v_sub_f32_e32 v2, v2, v42
	v_add_f32_e32 v2, v16, v2
	v_add_f32_e32 v40, v16, v40
	;; [unrolled: 1-line block ×3, first 2 shown]
	v_rcp_f32_e32 v49, v16
	v_sub_f32_e32 v41, v16, v41
	v_sub_f32_e32 v2, v2, v41
	v_add_f32_e32 v41, v23, v40
	v_mul_f32_e32 v50, v41, v49
	v_mul_f32_e32 v42, v16, v50
	v_fma_f32 v44, v50, v16, -v42
	v_sub_f32_e32 v23, v41, v23
	v_fmac_f32_e32 v44, v50, v2
	v_sub_f32_e32 v23, v40, v23
	v_add_f32_e32 v40, v42, v44
	v_sub_f32_e32 v43, v41, v40
	v_pk_add_f32 v[46:47], v[40:41], v[42:43] neg_lo:[0,1] neg_hi:[0,1]
	v_mov_b32_e32 v45, v40
	v_pk_add_f32 v[40:41], v[46:47], v[44:45] neg_lo:[0,1] neg_hi:[0,1]
	v_add_f32_e32 v23, v23, v41
	v_add_f32_e32 v23, v40, v23
	;; [unrolled: 1-line block ×3, first 2 shown]
	v_mul_f32_e32 v51, v49, v41
	v_mul_f32_e32 v42, v16, v51
	v_fma_f32 v44, v51, v16, -v42
	v_fmac_f32_e32 v44, v51, v2
	v_add_f32_e32 v40, v42, v44
	v_sub_f32_e32 v2, v43, v41
	v_sub_f32_e32 v43, v41, v40
	v_pk_add_f32 v[46:47], v[40:41], v[42:43] neg_lo:[0,1] neg_hi:[0,1]
	v_mov_b32_e32 v45, v40
	v_add_f32_e32 v2, v23, v2
	v_pk_add_f32 v[40:41], v[46:47], v[44:45] neg_lo:[0,1] neg_hi:[0,1]
	v_add_f32_e32 v2, v2, v41
	v_add_f32_e32 v2, v40, v2
	;; [unrolled: 1-line block ×4, first 2 shown]
	v_sub_f32_e32 v23, v16, v50
	v_mul_f32_e32 v2, v49, v2
	v_sub_f32_e32 v23, v51, v23
	v_add_f32_e32 v2, v23, v2
	v_add_f32_e32 v41, v16, v2
	v_cvt_f32_i32_e32 v40, v48
	v_mul_f32_e32 v42, v41, v41
	v_mov_b32_e32 v23, 0x3ecc95a3
	v_fmac_f32_e32 v23, 0x3e9b6dac, v42
	v_fma_f32 v23, v42, v23, v1
	v_sub_f32_e32 v16, v41, v16
	v_ldexp_f32 v43, v41, 1
	v_mul_f32_e32 v41, v41, v42
	v_pk_mul_f32 v[44:45], v[40:41], v[22:23]
	v_fma_f32 v42, v40, s31, -v44
	v_fmac_f32_e32 v42, 0xb102e308, v40
	v_pk_add_f32 v[40:41], v[44:45], v[42:43]
	v_sub_f32_e32 v2, v2, v16
	v_sub_f32_e32 v16, v41, v43
	v_ldexp_f32 v2, v2, 1
	v_sub_f32_e32 v16, v45, v16
	v_add_f32_e32 v47, v2, v16
	v_mov_b32_e32 v46, v44
	v_pk_add_f32 v[44:45], v[40:41], v[44:45] neg_lo:[0,1] neg_hi:[0,1]
	v_pk_add_f32 v[48:49], v[40:41], v[46:47]
	v_mov_b32_e32 v45, v49
	v_mov_b32_e32 v43, v40
	v_pk_add_f32 v[50:51], v[42:43], v[44:45] neg_lo:[0,1] neg_hi:[0,1]
	v_pk_add_f32 v[42:43], v[42:43], v[44:45]
	v_mov_b32_e32 v2, v43
	v_pk_add_f32 v[44:45], v[2:3], v[40:41] neg_lo:[0,1] neg_hi:[0,1]
	v_mov_b32_e32 v23, v44
	v_pk_add_f32 v[52:53], v[48:49], v[22:23] neg_lo:[0,1] neg_hi:[0,1]
	v_mov_b32_e32 v42, v49
	v_mov_b32_e32 v48, v41
	;; [unrolled: 1-line block ×4, first 2 shown]
	v_pk_add_f32 v[42:43], v[42:43], v[48:49] neg_lo:[0,1] neg_hi:[0,1]
	v_mov_b32_e32 v44, v47
	v_mov_b32_e32 v45, v40
	v_pk_add_f32 v[40:41], v[44:45], v[42:43] neg_lo:[0,1] neg_hi:[0,1]
	v_mov_b32_e32 v52, v50
	v_pk_add_f32 v[42:43], v[52:53], v[40:41]
	v_mov_b32_e32 v16, v43
	v_pk_add_f32 v[44:45], v[42:43], v[16:17]
	v_pk_add_f32 v[46:47], v[2:3], v[44:45]
	v_mov_b32_e32 v43, v46
	v_pk_add_f32 v[48:49], v[42:43], v[50:51] neg_lo:[0,1] neg_hi:[0,1]
	v_mov_b32_e32 v41, v44
	v_sub_f32_e32 v2, v42, v48
	v_pk_add_f32 v[40:41], v[40:41], v[48:49] neg_lo:[0,1] neg_hi:[0,1]
	v_sub_f32_e32 v2, v50, v2
	v_add_f32_e32 v2, v40, v2
	v_add_f32_e32 v2, v2, v41
	;; [unrolled: 1-line block ×3, first 2 shown]
	v_cmp_eq_f32_e32 vcc, s27, v14
	v_cndmask_b32_e32 v2, v2, v14, vcc
	v_cmp_ngt_f32_e32 vcc, -1.0, v14
	v_cndmask_b32_e32 v2, v32, v2, vcc
	v_cmp_neq_f32_e32 vcc, -1.0, v14
	v_cndmask_b32_e32 v2, v33, v2, vcc
	v_cmp_lt_f32_e64 vcc, |v14|, s33
	v_cndmask_b32_e32 v2, v2, v14, vcc
	v_mul_f32_e32 v2, 0.5, v2
.LBB205_22:                             ;   in Loop: Header=BB205_5 Depth=1
	s_or_b64 exec, exec, s[20:21]
	v_mov_b32_e32 v14, v2
.LBB205_23:                             ;   in Loop: Header=BB205_5 Depth=1
	s_or_b64 exec, exec, s[0:1]
	v_max_f32_e64 v2, |v4|, |v4|
	v_max_f32_e64 v40, |v5|, |v5|
	v_max_f32_e32 v2, v2, v40
	v_cvt_f64_f32_e32 v[42:43], v2
	v_frexp_exp_i32_f64_e32 v16, v[42:43]
	v_sub_u32_e32 v23, 0, v16
	v_ldexp_f32 v41, |v4|, v23
	v_ldexp_f32 v23, |v5|, v23
	v_mul_f32_e32 v23, v23, v23
	v_fmac_f32_e32 v23, v41, v41
	v_sqrt_f32_e32 v23, v23
	v_cmp_eq_f32_e32 vcc, s27, v2
	v_ldexp_f32 v2, v23, v16
	v_cmp_ngt_f32_e64 s[0:1], 0.5, v2
	v_add_f32_e32 v2, 1.0, v4
	v_max_f32_e64 v41, |v2|, v40
	s_or_b64 s[0:1], vcc, s[0:1]
	s_and_saveexec_b64 s[20:21], s[0:1]
	s_xor_b64 s[20:21], exec, s[20:21]
	s_cbranch_execz .LBB205_25
; %bb.24:                               ;   in Loop: Header=BB205_5 Depth=1
	v_cvt_f64_f32_e32 v[42:43], v41
	v_frexp_exp_i32_f64_e32 v16, v[42:43]
	v_sub_u32_e32 v23, 0, v16
	v_ldexp_f32 v42, |v2|, v23
	v_ldexp_f32 v23, |v5|, v23
	v_mul_f32_e32 v23, v23, v23
	v_fmac_f32_e32 v23, v42, v42
	v_sqrt_f32_e32 v23, v23
	v_cmp_neq_f32_e32 vcc, s27, v41
	v_ldexp_f32 v16, v23, v16
	v_cndmask_b32_e32 v16, v29, v16, vcc
	v_cmp_gt_f32_e32 vcc, s28, v16
	v_cndmask_b32_e32 v23, 1.0, v30, vcc
	v_mul_f32_e32 v16, v16, v23
	v_log_f32_e32 v16, v16
	v_mul_f32_e32 v23, 0x3f317217, v16
	v_fma_f32 v42, v16, s29, -v23
	v_fmac_f32_e32 v42, 0x3377d1cf, v16
	v_add_f32_e32 v23, v23, v42
	v_cmp_lt_f32_e64 s[0:1], |v16|, s27
	v_cndmask_b32_e64 v16, v16, v23, s[0:1]
	v_cndmask_b32_e32 v23, 0, v31, vcc
	v_sub_f32_e32 v16, v16, v23
.LBB205_25:                             ;   in Loop: Header=BB205_5 Depth=1
	s_andn2_saveexec_b64 s[0:1], s[20:21]
	s_cbranch_execz .LBB205_4
; %bb.26:                               ;   in Loop: Header=BB205_5 Depth=1
	v_add_f32_e32 v16, 2.0, v4
	v_mul_f32_e32 v16, v4, v16
	v_fmac_f32_e32 v16, v5, v5
	v_cmp_neq_f32_e32 vcc, 0, v16
	s_and_saveexec_b64 s[20:21], vcc
	s_cbranch_execz .LBB205_3
; %bb.27:                               ;   in Loop: Header=BB205_5 Depth=1
	v_add_f32_e32 v4, 1.0, v16
	v_add_f32_e32 v23, -1.0, v4
	v_sub_f32_e32 v42, v23, v4
	v_add_f32_e32 v42, 1.0, v42
	v_sub_f32_e32 v23, v16, v23
	v_add_f32_e32 v23, v23, v42
	v_frexp_mant_f32_e32 v44, v4
	v_cvt_f64_f32_e32 v[42:43], v4
	v_frexp_exp_i32_f64_e32 v42, v[42:43]
	v_cmp_gt_f32_e32 vcc, s30, v44
	v_subbrev_co_u32_e32 v50, vcc, 0, v42, vcc
	v_sub_u32_e32 v42, 0, v50
	v_ldexp_f32 v4, v4, v42
	v_ldexp_f32 v23, v23, v42
	v_add_f32_e32 v42, -1.0, v4
	v_add_f32_e32 v43, 1.0, v42
	v_sub_f32_e32 v43, v4, v43
	v_add_f32_e32 v44, v23, v43
	v_add_f32_e32 v43, 1.0, v4
	v_add_f32_e32 v45, -1.0, v43
	v_sub_f32_e32 v4, v4, v45
	v_add_f32_e32 v4, v23, v4
	v_add_f32_e32 v23, v43, v4
	v_rcp_f32_e32 v51, v23
	v_sub_f32_e32 v43, v23, v43
	v_sub_f32_e32 v4, v4, v43
	v_add_f32_e32 v43, v42, v44
	v_sub_f32_e32 v42, v43, v42
	v_mul_f32_e32 v53, v43, v51
	v_sub_f32_e32 v52, v44, v42
	v_mul_f32_e32 v44, v23, v53
	v_fma_f32 v46, v53, v23, -v44
	v_fmac_f32_e32 v46, v53, v4
	v_add_f32_e32 v42, v44, v46
	v_sub_f32_e32 v45, v43, v42
	v_pk_add_f32 v[48:49], v[42:43], v[44:45] neg_lo:[0,1] neg_hi:[0,1]
	v_mov_b32_e32 v47, v42
	v_pk_add_f32 v[42:43], v[48:49], v[46:47] neg_lo:[0,1] neg_hi:[0,1]
	v_add_f32_e32 v43, v52, v43
	v_add_f32_e32 v42, v42, v43
	v_add_f32_e32 v43, v45, v42
	v_mul_f32_e32 v52, v51, v43
	v_mul_f32_e32 v44, v23, v52
	v_fma_f32 v46, v52, v23, -v44
	v_fmac_f32_e32 v46, v52, v4
	v_sub_f32_e32 v4, v45, v43
	v_add_f32_e32 v4, v42, v4
	v_add_f32_e32 v42, v44, v46
	v_sub_f32_e32 v45, v43, v42
	v_pk_add_f32 v[48:49], v[42:43], v[44:45] neg_lo:[0,1] neg_hi:[0,1]
	v_mov_b32_e32 v47, v42
	v_pk_add_f32 v[42:43], v[48:49], v[46:47] neg_lo:[0,1] neg_hi:[0,1]
	v_add_f32_e32 v4, v4, v43
	v_add_f32_e32 v4, v42, v4
	;; [unrolled: 1-line block ×4, first 2 shown]
	v_sub_f32_e32 v23, v43, v53
	v_mul_f32_e32 v4, v51, v4
	v_sub_f32_e32 v23, v52, v23
	v_add_f32_e32 v4, v23, v4
	v_add_f32_e32 v44, v43, v4
	v_cvt_f32_i32_e32 v42, v50
	v_mul_f32_e32 v46, v44, v44
	v_mov_b32_e32 v23, 0x3ecc95a3
	v_fmac_f32_e32 v23, 0x3e9b6dac, v46
	v_sub_f32_e32 v43, v44, v43
	v_fma_f32 v23, v46, v23, v1
	v_sub_f32_e32 v4, v4, v43
	v_mul_f32_e32 v43, v44, v46
	v_pk_mul_f32 v[46:47], v[42:43], v[22:23]
	v_ldexp_f32 v45, v44, 1
	v_fma_f32 v44, v42, s31, -v46
	v_fmac_f32_e32 v44, 0xb102e308, v42
	v_pk_add_f32 v[42:43], v[46:47], v[44:45]
	v_sub_f32_e32 v23, v43, v45
	v_ldexp_f32 v4, v4, 1
	v_sub_f32_e32 v23, v47, v23
	v_add_f32_e32 v49, v4, v23
	v_mov_b32_e32 v48, v46
	v_pk_add_f32 v[46:47], v[42:43], v[46:47] neg_lo:[0,1] neg_hi:[0,1]
	v_pk_add_f32 v[50:51], v[42:43], v[48:49]
	v_mov_b32_e32 v47, v51
	v_mov_b32_e32 v45, v42
	v_pk_add_f32 v[52:53], v[44:45], v[46:47] neg_lo:[0,1] neg_hi:[0,1]
	v_pk_add_f32 v[44:45], v[44:45], v[46:47]
	v_mov_b32_e32 v4, v45
	v_pk_add_f32 v[46:47], v[4:5], v[42:43] neg_lo:[0,1] neg_hi:[0,1]
	v_mov_b32_e32 v23, v46
	v_pk_add_f32 v[54:55], v[50:51], v[22:23] neg_lo:[0,1] neg_hi:[0,1]
	v_mov_b32_e32 v44, v51
	v_mov_b32_e32 v50, v43
	;; [unrolled: 1-line block ×4, first 2 shown]
	v_pk_add_f32 v[44:45], v[44:45], v[50:51] neg_lo:[0,1] neg_hi:[0,1]
	v_mov_b32_e32 v46, v49
	v_mov_b32_e32 v47, v42
	v_pk_add_f32 v[42:43], v[46:47], v[44:45] neg_lo:[0,1] neg_hi:[0,1]
	v_mov_b32_e32 v54, v52
	v_pk_add_f32 v[44:45], v[54:55], v[42:43]
	v_mov_b32_e32 v46, v45
	v_pk_add_f32 v[46:47], v[44:45], v[46:47]
	v_pk_add_f32 v[48:49], v[4:5], v[46:47]
	v_mov_b32_e32 v45, v48
	v_pk_add_f32 v[50:51], v[44:45], v[52:53] neg_lo:[0,1] neg_hi:[0,1]
	v_mov_b32_e32 v43, v46
	v_sub_f32_e32 v4, v44, v50
	v_pk_add_f32 v[42:43], v[42:43], v[50:51] neg_lo:[0,1] neg_hi:[0,1]
	v_sub_f32_e32 v4, v52, v4
	v_add_f32_e32 v4, v42, v4
	v_add_f32_e32 v4, v4, v43
	;; [unrolled: 1-line block ×3, first 2 shown]
	v_cmp_eq_f32_e32 vcc, s27, v16
	v_cndmask_b32_e32 v4, v4, v16, vcc
	v_cmp_ngt_f32_e32 vcc, -1.0, v16
	v_cndmask_b32_e32 v4, v32, v4, vcc
	v_cmp_neq_f32_e32 vcc, -1.0, v16
	v_cndmask_b32_e32 v4, v33, v4, vcc
	v_cmp_lt_f32_e64 vcc, |v16|, s33
	v_cndmask_b32_e32 v4, v4, v16, vcc
	v_mul_f32_e32 v4, 0.5, v4
	s_branch .LBB205_3
.LBB205_28:
	s_or_b64 exec, exec, s[14:15]
	s_mov_b64 s[0:1], 0
.LBB205_29:
	s_andn2_b64 vcc, exec, s[0:1]
	s_cbranch_vccnz .LBB205_73
; %bb.30:
	v_cmp_lt_i64_e64 s[0:1], s[12:13], 1
	s_and_b64 vcc, exec, s[0:1]
	s_cbranch_vccnz .LBB205_73
; %bb.31:
	s_load_dword s0, s[4:5], 0xc5c
	v_mov_b32_e32 v2, 0x10000
	v_mov_b32_e32 v3, 0
	v_cmp_lt_u64_e32 vcc, s[12:13], v[2:3]
	v_lshlrev_b32_e32 v10, 3, v0
	s_waitcnt lgkmcnt(0)
	s_and_b32 s23, s0, 0xffff
	s_and_b64 s[0:1], vcc, exec
	v_mov_b32_e32 v17, s3
	v_add_co_u32_e32 v2, vcc, s2, v10
	v_addc_co_u32_e32 v3, vcc, 0, v17, vcc
	v_mov_b32_e32 v14, s7
	v_add_co_u32_e32 v4, vcc, s6, v10
	v_mov_b32_e32 v1, 0
	v_addc_co_u32_e32 v5, vcc, 0, v14, vcc
	v_mov_b32_e32 v11, v1
	v_add_co_u32_e32 v4, vcc, 4, v4
	v_addc_co_u32_e32 v5, vcc, 0, v5, vcc
	v_mad_u64_u32 v[8:9], s[0:1], s23, 24, v[10:11]
	v_add_co_u32_e32 v6, vcc, s2, v8
	v_addc_co_u32_e32 v7, vcc, v17, v9, vcc
	v_add_co_u32_e32 v8, vcc, s6, v8
	v_addc_co_u32_e32 v9, vcc, v9, v14, vcc
	v_add_co_u32_e32 v8, vcc, 4, v8
	s_cselect_b32 s15, s13, 0
	s_cselect_b32 s14, s12, 0x10000
	v_addc_co_u32_e32 v9, vcc, 0, v9, vcc
	s_lshl_b32 s0, s23, 4
	v_add_co_u32_e32 v15, vcc, s0, v10
	v_addc_co_u32_e64 v16, s[0:1], 0, 0, vcc
	v_add_co_u32_e32 v10, vcc, s2, v15
	v_addc_co_u32_e32 v11, vcc, v17, v16, vcc
	v_add_lshl_u32 v18, v0, s23, 3
	v_mov_b32_e32 v13, s7
	v_add_co_u32_e32 v12, vcc, s6, v18
	v_addc_co_u32_e32 v13, vcc, 0, v13, vcc
	v_add_co_u32_e32 v15, vcc, s6, v15
	v_addc_co_u32_e32 v16, vcc, v16, v14, vcc
	v_add_co_u32_e32 v14, vcc, 4, v15
	s_mov_b32 s22, 0
	v_addc_co_u32_e32 v15, vcc, 0, v16, vcc
	s_lshl_b32 s16, s23, 2
	s_mov_b32 s17, s22
	v_add_co_u32_e32 v16, vcc, s2, v18
	s_lshl_b32 s24, s23, 1
	s_mov_b32 s25, s22
	s_mul_i32 s26, s23, 3
	s_mov_b32 s27, s22
	s_lshl_b32 s28, s23, 5
	s_mov_b32 s29, s22
	v_addc_co_u32_e32 v17, vcc, 0, v17, vcc
	s_mov_b32 s30, 0x7f800000
	s_mov_b32 s31, 0x800000
	;; [unrolled: 1-line block ×4, first 2 shown]
	v_mov_b32_e32 v28, 0x3f2aaada
	s_mov_b32 s35, 0x3f317218
	s_mov_b32 s36, 0x33800000
	s_movk_i32 s37, 0x204
	v_mov_b32_e32 v29, 0x3d29fb3f
	v_mov_b32_e32 v30, 0xbd97d4d7
	;; [unrolled: 1-line block ×6, first 2 shown]
	s_brev_b32 s38, -2
	v_mov_b32_e32 v35, 0x7f800000
	v_mov_b32_e32 v36, 0x4f800000
	;; [unrolled: 1-line block ×9, first 2 shown]
	s_mov_b64 s[18:19], s[16:17]
	s_branch .LBB205_33
.LBB205_32:                             ;   in Loop: Header=BB205_33 Depth=1
	s_or_b64 exec, exec, s[2:3]
	v_pk_mov_b32 v[20:21], s[12:13], s[12:13] op_sel:[0,1]
	v_cmp_ge_i64_e32 vcc, s[18:19], v[20:21]
	v_mov_b32_e32 v20, 0xffff
	v_mov_b32_e32 v21, 0
	v_cmp_gt_u64_e64 s[0:1], s[18:19], v[20:21]
	s_or_b64 s[0:1], vcc, s[0:1]
	v_mov_b32_e32 v19, s29
	v_add_co_u32_e32 v2, vcc, s28, v2
	v_addc_co_u32_e32 v3, vcc, v3, v19, vcc
	v_mov_b32_e32 v20, s17
	v_add_co_u32_e32 v0, vcc, s16, v0
	v_addc_co_u32_e32 v1, vcc, v1, v20, vcc
	v_add_co_u32_e32 v4, vcc, s28, v4
	v_addc_co_u32_e32 v5, vcc, v5, v19, vcc
	v_add_co_u32_e32 v6, vcc, s28, v6
	v_addc_co_u32_e32 v7, vcc, v7, v19, vcc
	v_add_co_u32_e32 v8, vcc, s28, v8
	v_addc_co_u32_e32 v9, vcc, v9, v19, vcc
	v_add_co_u32_e32 v10, vcc, s28, v10
	v_addc_co_u32_e32 v11, vcc, v11, v19, vcc
	v_add_co_u32_e32 v12, vcc, s28, v12
	v_addc_co_u32_e32 v13, vcc, v13, v19, vcc
	v_add_co_u32_e32 v14, vcc, s28, v14
	v_addc_co_u32_e32 v15, vcc, v15, v19, vcc
	v_add_co_u32_e32 v16, vcc, s28, v16
	s_add_u32 s18, s18, s16
	v_addc_co_u32_e32 v17, vcc, v17, v19, vcc
	s_addc_u32 s19, s19, 0
	s_and_b64 vcc, exec, s[0:1]
	s_cbranch_vccnz .LBB205_73
.LBB205_33:                             ; =>This Inner Loop Header: Depth=1
	v_cmp_gt_u64_e64 s[4:5], s[14:15], v[0:1]
	v_mov_b32_e32 v26, 0
	v_mov_b32_e32 v27, 0
	s_and_saveexec_b64 s[0:1], s[4:5]
	s_cbranch_execz .LBB205_35
; %bb.34:                               ;   in Loop: Header=BB205_33 Depth=1
	v_mov_b32_e32 v19, s11
	v_add_co_u32_e32 v20, vcc, s10, v2
	v_addc_co_u32_e32 v21, vcc, v3, v19, vcc
	global_load_dwordx2 v[26:27], v[20:21], off
.LBB205_35:                             ;   in Loop: Header=BB205_33 Depth=1
	s_or_b64 exec, exec, s[0:1]
	v_mov_b32_e32 v19, s22
	v_add_co_u32_e32 v20, vcc, s23, v0
	v_addc_co_u32_e32 v21, vcc, v19, v1, vcc
	v_cmp_gt_u64_e64 s[2:3], s[14:15], v[20:21]
	v_mov_b32_e32 v22, 0
	v_mov_b32_e32 v24, 0
	;; [unrolled: 1-line block ×3, first 2 shown]
	s_and_saveexec_b64 s[0:1], s[2:3]
	s_cbranch_execz .LBB205_37
; %bb.36:                               ;   in Loop: Header=BB205_33 Depth=1
	v_mov_b32_e32 v19, s11
	v_add_co_u32_e32 v20, vcc, s10, v16
	v_addc_co_u32_e32 v21, vcc, v17, v19, vcc
	global_load_dwordx2 v[24:25], v[20:21], off
.LBB205_37:                             ;   in Loop: Header=BB205_33 Depth=1
	s_or_b64 exec, exec, s[0:1]
	v_mov_b32_e32 v19, s25
	v_add_co_u32_e32 v20, vcc, s24, v0
	v_addc_co_u32_e32 v21, vcc, v19, v1, vcc
	v_cmp_gt_u64_e64 s[0:1], s[14:15], v[20:21]
	v_mov_b32_e32 v23, 0
	s_and_saveexec_b64 s[6:7], s[0:1]
	s_cbranch_execz .LBB205_39
; %bb.38:                               ;   in Loop: Header=BB205_33 Depth=1
	v_mov_b32_e32 v19, s11
	v_add_co_u32_e32 v20, vcc, s10, v10
	v_addc_co_u32_e32 v21, vcc, v11, v19, vcc
	global_load_dwordx2 v[22:23], v[20:21], off
.LBB205_39:                             ;   in Loop: Header=BB205_33 Depth=1
	s_or_b64 exec, exec, s[6:7]
	v_mov_b32_e32 v19, s27
	v_add_co_u32_e32 v20, vcc, s26, v0
	v_addc_co_u32_e32 v21, vcc, v19, v1, vcc
	v_cmp_gt_u64_e32 vcc, s[14:15], v[20:21]
	v_mov_b32_e32 v20, 0
	v_mov_b32_e32 v21, 0
	s_and_saveexec_b64 s[8:9], vcc
	s_cbranch_execz .LBB205_41
; %bb.40:                               ;   in Loop: Header=BB205_33 Depth=1
	v_mov_b32_e32 v19, s11
	v_add_co_u32_e64 v20, s[6:7], s10, v6
	v_addc_co_u32_e64 v21, s[6:7], v7, v19, s[6:7]
	global_load_dwordx2 v[20:21], v[20:21], off
.LBB205_41:                             ;   in Loop: Header=BB205_33 Depth=1
	s_or_b64 exec, exec, s[8:9]
	s_waitcnt vmcnt(0)
	v_max_f32_e64 v19, |v26|, |v26|
	v_max_f32_e64 v44, |v27|, |v27|
	v_max_f32_e32 v19, v19, v44
	v_cvt_f64_f32_e32 v[46:47], v19
	v_frexp_exp_i32_f64_e32 v43, v[46:47]
	v_sub_u32_e32 v45, 0, v43
	v_ldexp_f32 v46, |v26|, v45
	v_ldexp_f32 v45, |v27|, v45
	v_mul_f32_e32 v45, v45, v45
	v_fmac_f32_e32 v45, v46, v46
	v_sqrt_f32_e32 v45, v45
	v_cmp_eq_f32_e64 s[6:7], s30, v19
	v_ldexp_f32 v19, v45, v43
	v_cmp_ngt_f32_e64 s[8:9], 0.5, v19
	v_add_f32_e32 v43, 1.0, v26
	v_max_f32_e64 v45, |v43|, v44
	s_or_b64 s[6:7], s[6:7], s[8:9]
	s_and_saveexec_b64 s[8:9], s[6:7]
	s_xor_b64 s[20:21], exec, s[8:9]
	s_cbranch_execz .LBB205_43
; %bb.42:                               ;   in Loop: Header=BB205_33 Depth=1
	v_cvt_f64_f32_e32 v[46:47], v45
	v_frexp_exp_i32_f64_e32 v19, v[46:47]
	v_sub_u32_e32 v26, 0, v19
	v_ldexp_f32 v46, |v43|, v26
	v_ldexp_f32 v26, |v27|, v26
	v_mul_f32_e32 v26, v26, v26
	v_fmac_f32_e32 v26, v46, v46
	v_sqrt_f32_e32 v26, v26
	v_cmp_neq_f32_e64 s[6:7], s30, v45
	v_ldexp_f32 v19, v26, v19
	v_cndmask_b32_e64 v19, v35, v19, s[6:7]
	v_cmp_gt_f32_e64 s[6:7], s31, v19
	v_cndmask_b32_e64 v26, 1.0, v36, s[6:7]
	v_mul_f32_e32 v19, v19, v26
	v_log_f32_e32 v19, v19
	v_mul_f32_e32 v26, 0x3f317217, v19
	v_fma_f32 v46, v19, s33, -v26
	v_fmac_f32_e32 v46, 0x3377d1cf, v19
	v_add_f32_e32 v26, v26, v46
	v_cmp_lt_f32_e64 s[8:9], |v19|, s30
	v_cndmask_b32_e64 v19, v19, v26, s[8:9]
	v_cndmask_b32_e64 v26, 0, v37, s[6:7]
	v_sub_f32_e32 v26, v19, v26
.LBB205_43:                             ;   in Loop: Header=BB205_33 Depth=1
	s_andn2_saveexec_b64 s[8:9], s[20:21]
	s_cbranch_execz .LBB205_47
; %bb.44:                               ;   in Loop: Header=BB205_33 Depth=1
	v_add_f32_e32 v19, 2.0, v26
	v_mul_f32_e32 v46, v27, v27
	v_fmac_f32_e32 v46, v26, v19
	v_cmp_neq_f32_e64 s[6:7], 0, v46
	s_and_saveexec_b64 s[20:21], s[6:7]
	s_cbranch_execz .LBB205_46
; %bb.45:                               ;   in Loop: Header=BB205_33 Depth=1
	v_add_f32_e32 v19, 1.0, v46
	v_add_f32_e32 v26, -1.0, v19
	v_sub_f32_e32 v47, v26, v19
	v_add_f32_e32 v47, 1.0, v47
	v_sub_f32_e32 v26, v46, v26
	v_add_f32_e32 v26, v26, v47
	v_frexp_mant_f32_e32 v47, v19
	v_cvt_f64_f32_e32 v[48:49], v19
	v_frexp_exp_i32_f64_e32 v48, v[48:49]
	v_cmp_gt_f32_e64 s[6:7], s34, v47
	v_subbrev_co_u32_e64 v47, s[6:7], 0, v48, s[6:7]
	v_sub_u32_e32 v48, 0, v47
	v_ldexp_f32 v19, v19, v48
	v_ldexp_f32 v26, v26, v48
	v_add_f32_e32 v48, -1.0, v19
	v_add_f32_e32 v49, 1.0, v48
	v_sub_f32_e32 v49, v19, v49
	v_add_f32_e32 v50, v26, v49
	v_add_f32_e32 v49, 1.0, v19
	v_add_f32_e32 v51, -1.0, v49
	v_sub_f32_e32 v19, v19, v51
	v_add_f32_e32 v19, v26, v19
	v_add_f32_e32 v26, v49, v19
	v_rcp_f32_e32 v56, v26
	v_sub_f32_e32 v49, v26, v49
	v_sub_f32_e32 v19, v19, v49
	v_add_f32_e32 v49, v48, v50
	v_sub_f32_e32 v48, v49, v48
	v_mul_f32_e32 v58, v49, v56
	v_sub_f32_e32 v57, v50, v48
	v_mul_f32_e32 v50, v26, v58
	v_fma_f32 v52, v58, v26, -v50
	v_fmac_f32_e32 v52, v58, v19
	v_add_f32_e32 v48, v50, v52
	v_sub_f32_e32 v51, v49, v48
	v_pk_add_f32 v[54:55], v[48:49], v[50:51] neg_lo:[0,1] neg_hi:[0,1]
	v_mov_b32_e32 v53, v48
	v_pk_add_f32 v[48:49], v[54:55], v[52:53] neg_lo:[0,1] neg_hi:[0,1]
	v_add_f32_e32 v49, v57, v49
	v_add_f32_e32 v48, v48, v49
	;; [unrolled: 1-line block ×3, first 2 shown]
	v_mul_f32_e32 v57, v56, v49
	v_mul_f32_e32 v50, v26, v57
	v_fma_f32 v52, v57, v26, -v50
	v_fmac_f32_e32 v52, v57, v19
	v_sub_f32_e32 v19, v51, v49
	v_add_f32_e32 v19, v48, v19
	v_add_f32_e32 v48, v50, v52
	v_sub_f32_e32 v51, v49, v48
	v_pk_add_f32 v[54:55], v[48:49], v[50:51] neg_lo:[0,1] neg_hi:[0,1]
	v_mov_b32_e32 v53, v48
	v_pk_add_f32 v[48:49], v[54:55], v[52:53] neg_lo:[0,1] neg_hi:[0,1]
	v_add_f32_e32 v19, v19, v49
	v_add_f32_e32 v19, v48, v19
	v_add_f32_e32 v26, v58, v57
	v_add_f32_e32 v19, v51, v19
	v_sub_f32_e32 v48, v26, v58
	v_mul_f32_e32 v19, v56, v19
	v_sub_f32_e32 v48, v57, v48
	v_add_f32_e32 v49, v48, v19
	v_add_f32_e32 v50, v26, v49
	v_cvt_f32_i32_e32 v48, v47
	v_mul_f32_e32 v52, v50, v50
	v_mov_b32_e32 v19, 0x3ecc95a3
	v_fmac_f32_e32 v19, 0x3e9b6dac, v52
	v_sub_f32_e32 v26, v50, v26
	v_fma_f32 v19, v52, v19, v28
	v_sub_f32_e32 v26, v49, v26
	v_mul_f32_e32 v49, v50, v52
	v_pk_mul_f32 v[52:53], v[48:49], v[18:19]
	v_ldexp_f32 v51, v50, 1
	v_fma_f32 v50, v48, s35, -v52
	v_fmac_f32_e32 v50, 0xb102e308, v48
	v_pk_add_f32 v[48:49], v[52:53], v[50:51]
	v_sub_f32_e32 v19, v49, v51
	v_ldexp_f32 v26, v26, 1
	v_sub_f32_e32 v19, v53, v19
	v_add_f32_e32 v55, v26, v19
	v_mov_b32_e32 v54, v52
	v_pk_add_f32 v[52:53], v[48:49], v[52:53] neg_lo:[0,1] neg_hi:[0,1]
	v_pk_add_f32 v[56:57], v[48:49], v[54:55]
	v_mov_b32_e32 v53, v57
	v_mov_b32_e32 v51, v48
	v_pk_add_f32 v[58:59], v[50:51], v[52:53] neg_lo:[0,1] neg_hi:[0,1]
	v_pk_add_f32 v[50:51], v[50:51], v[52:53]
	v_mov_b32_e32 v26, v51
	v_pk_add_f32 v[52:53], v[26:27], v[48:49] neg_lo:[0,1] neg_hi:[0,1]
	v_mov_b32_e32 v19, v52
	v_pk_add_f32 v[60:61], v[56:57], v[18:19] neg_lo:[0,1] neg_hi:[0,1]
	v_mov_b32_e32 v50, v57
	v_mov_b32_e32 v56, v49
	;; [unrolled: 1-line block ×4, first 2 shown]
	v_pk_add_f32 v[50:51], v[50:51], v[56:57] neg_lo:[0,1] neg_hi:[0,1]
	v_mov_b32_e32 v52, v55
	v_mov_b32_e32 v53, v48
	v_pk_add_f32 v[48:49], v[52:53], v[50:51] neg_lo:[0,1] neg_hi:[0,1]
	v_mov_b32_e32 v60, v58
	v_pk_add_f32 v[50:51], v[60:61], v[48:49]
	v_mov_b32_e32 v52, v51
	v_pk_add_f32 v[52:53], v[50:51], v[52:53]
	v_pk_add_f32 v[54:55], v[26:27], v[52:53]
	v_mov_b32_e32 v51, v54
	v_pk_add_f32 v[56:57], v[50:51], v[58:59] neg_lo:[0,1] neg_hi:[0,1]
	v_mov_b32_e32 v49, v52
	v_sub_f32_e32 v19, v50, v56
	v_pk_add_f32 v[48:49], v[48:49], v[56:57] neg_lo:[0,1] neg_hi:[0,1]
	v_sub_f32_e32 v19, v58, v19
	v_add_f32_e32 v19, v48, v19
	v_add_f32_e32 v19, v19, v49
	v_add_f32_e32 v19, v54, v19
	v_cmp_eq_f32_e64 s[6:7], s30, v46
	v_cndmask_b32_e64 v19, v19, v46, s[6:7]
	v_cmp_ngt_f32_e64 s[6:7], -1.0, v46
	v_cndmask_b32_e64 v19, v38, v19, s[6:7]
	v_cmp_neq_f32_e64 s[6:7], -1.0, v46
	v_cndmask_b32_e64 v19, v39, v19, s[6:7]
	v_cmp_lt_f32_e64 s[6:7], |v46|, s36
	v_cndmask_b32_e64 v19, v19, v46, s[6:7]
	v_mul_f32_e32 v26, 0.5, v19
.LBB205_46:                             ;   in Loop: Header=BB205_33 Depth=1
	s_or_b64 exec, exec, s[20:21]
.LBB205_47:                             ;   in Loop: Header=BB205_33 Depth=1
	s_or_b64 exec, exec, s[8:9]
	v_max_f32_e64 v19, |v24|, |v24|
	v_max_f32_e64 v47, |v25|, |v25|
	v_max_f32_e32 v19, v19, v47
	v_cvt_f64_f32_e32 v[48:49], v19
	v_frexp_exp_i32_f64_e32 v46, v[48:49]
	v_sub_u32_e32 v48, 0, v46
	v_ldexp_f32 v49, |v24|, v48
	v_ldexp_f32 v48, |v25|, v48
	v_mul_f32_e32 v48, v48, v48
	v_fmac_f32_e32 v48, v49, v49
	v_sqrt_f32_e32 v48, v48
	v_cmp_eq_f32_e64 s[6:7], s30, v19
	v_ldexp_f32 v19, v48, v46
	v_cmp_ngt_f32_e64 s[8:9], 0.5, v19
	v_add_f32_e32 v46, 1.0, v24
	v_max_f32_e64 v48, |v46|, v47
	s_or_b64 s[6:7], s[6:7], s[8:9]
	s_and_saveexec_b64 s[8:9], s[6:7]
	s_xor_b64 s[20:21], exec, s[8:9]
	s_cbranch_execz .LBB205_49
; %bb.48:                               ;   in Loop: Header=BB205_33 Depth=1
	v_cvt_f64_f32_e32 v[50:51], v48
	v_frexp_exp_i32_f64_e32 v19, v[50:51]
	v_sub_u32_e32 v24, 0, v19
	v_ldexp_f32 v49, |v46|, v24
	v_ldexp_f32 v24, |v25|, v24
	v_mul_f32_e32 v24, v24, v24
	v_fmac_f32_e32 v24, v49, v49
	v_sqrt_f32_e32 v24, v24
	v_cmp_neq_f32_e64 s[6:7], s30, v48
	v_ldexp_f32 v19, v24, v19
	v_cndmask_b32_e64 v19, v35, v19, s[6:7]
	v_cmp_gt_f32_e64 s[6:7], s31, v19
	v_cndmask_b32_e64 v24, 1.0, v36, s[6:7]
	v_mul_f32_e32 v19, v19, v24
	v_log_f32_e32 v19, v19
	v_mul_f32_e32 v24, 0x3f317217, v19
	v_fma_f32 v49, v19, s33, -v24
	v_fmac_f32_e32 v49, 0x3377d1cf, v19
	v_add_f32_e32 v24, v24, v49
	v_cmp_lt_f32_e64 s[8:9], |v19|, s30
	v_cndmask_b32_e64 v19, v19, v24, s[8:9]
	v_cndmask_b32_e64 v24, 0, v37, s[6:7]
	v_sub_f32_e32 v24, v19, v24
.LBB205_49:                             ;   in Loop: Header=BB205_33 Depth=1
	s_andn2_saveexec_b64 s[8:9], s[20:21]
	s_cbranch_execz .LBB205_53
; %bb.50:                               ;   in Loop: Header=BB205_33 Depth=1
	v_add_f32_e32 v19, 2.0, v24
	v_mul_f32_e32 v49, v25, v25
	v_fmac_f32_e32 v49, v24, v19
	v_cmp_neq_f32_e64 s[6:7], 0, v49
	s_and_saveexec_b64 s[20:21], s[6:7]
	s_cbranch_execz .LBB205_52
; %bb.51:                               ;   in Loop: Header=BB205_33 Depth=1
	v_add_f32_e32 v19, 1.0, v49
	v_add_f32_e32 v24, -1.0, v19
	v_sub_f32_e32 v50, v24, v19
	v_add_f32_e32 v50, 1.0, v50
	v_sub_f32_e32 v24, v49, v24
	v_add_f32_e32 v24, v24, v50
	v_frexp_mant_f32_e32 v52, v19
	v_cvt_f64_f32_e32 v[50:51], v19
	v_frexp_exp_i32_f64_e32 v50, v[50:51]
	v_cmp_gt_f32_e64 s[6:7], s34, v52
	v_subbrev_co_u32_e64 v58, s[6:7], 0, v50, s[6:7]
	v_sub_u32_e32 v50, 0, v58
	v_ldexp_f32 v19, v19, v50
	v_ldexp_f32 v24, v24, v50
	v_add_f32_e32 v50, -1.0, v19
	v_add_f32_e32 v51, 1.0, v50
	v_sub_f32_e32 v51, v19, v51
	v_add_f32_e32 v52, v24, v51
	v_add_f32_e32 v51, 1.0, v19
	v_add_f32_e32 v53, -1.0, v51
	v_sub_f32_e32 v19, v19, v53
	v_add_f32_e32 v19, v24, v19
	v_add_f32_e32 v24, v51, v19
	v_rcp_f32_e32 v59, v24
	v_sub_f32_e32 v51, v24, v51
	v_sub_f32_e32 v19, v19, v51
	v_add_f32_e32 v51, v50, v52
	v_sub_f32_e32 v50, v51, v50
	v_mul_f32_e32 v61, v51, v59
	v_sub_f32_e32 v60, v52, v50
	v_mul_f32_e32 v52, v24, v61
	v_fma_f32 v54, v61, v24, -v52
	v_fmac_f32_e32 v54, v61, v19
	v_add_f32_e32 v50, v52, v54
	v_sub_f32_e32 v53, v51, v50
	v_pk_add_f32 v[56:57], v[50:51], v[52:53] neg_lo:[0,1] neg_hi:[0,1]
	v_mov_b32_e32 v55, v50
	v_pk_add_f32 v[50:51], v[56:57], v[54:55] neg_lo:[0,1] neg_hi:[0,1]
	v_add_f32_e32 v51, v60, v51
	v_add_f32_e32 v50, v50, v51
	;; [unrolled: 1-line block ×3, first 2 shown]
	v_mul_f32_e32 v60, v59, v51
	v_mul_f32_e32 v52, v24, v60
	v_fma_f32 v54, v60, v24, -v52
	v_fmac_f32_e32 v54, v60, v19
	v_sub_f32_e32 v19, v53, v51
	v_add_f32_e32 v19, v50, v19
	v_add_f32_e32 v50, v52, v54
	v_sub_f32_e32 v53, v51, v50
	v_pk_add_f32 v[56:57], v[50:51], v[52:53] neg_lo:[0,1] neg_hi:[0,1]
	v_mov_b32_e32 v55, v50
	v_pk_add_f32 v[50:51], v[56:57], v[54:55] neg_lo:[0,1] neg_hi:[0,1]
	v_add_f32_e32 v19, v19, v51
	v_add_f32_e32 v19, v50, v19
	;; [unrolled: 1-line block ×4, first 2 shown]
	v_sub_f32_e32 v50, v24, v61
	v_mul_f32_e32 v19, v59, v19
	v_sub_f32_e32 v50, v60, v50
	v_add_f32_e32 v51, v50, v19
	v_add_f32_e32 v52, v24, v51
	v_cvt_f32_i32_e32 v50, v58
	v_mul_f32_e32 v54, v52, v52
	v_mov_b32_e32 v19, 0x3ecc95a3
	v_fmac_f32_e32 v19, 0x3e9b6dac, v54
	v_sub_f32_e32 v24, v52, v24
	v_fma_f32 v19, v54, v19, v28
	v_sub_f32_e32 v24, v51, v24
	v_mul_f32_e32 v51, v52, v54
	v_pk_mul_f32 v[54:55], v[50:51], v[18:19]
	v_ldexp_f32 v53, v52, 1
	v_fma_f32 v52, v50, s35, -v54
	v_fmac_f32_e32 v52, 0xb102e308, v50
	v_pk_add_f32 v[50:51], v[54:55], v[52:53]
	v_sub_f32_e32 v19, v51, v53
	v_ldexp_f32 v24, v24, 1
	v_sub_f32_e32 v19, v55, v19
	v_add_f32_e32 v57, v24, v19
	v_mov_b32_e32 v56, v54
	v_pk_add_f32 v[54:55], v[50:51], v[54:55] neg_lo:[0,1] neg_hi:[0,1]
	v_pk_add_f32 v[58:59], v[50:51], v[56:57]
	v_mov_b32_e32 v55, v59
	v_mov_b32_e32 v53, v50
	v_pk_add_f32 v[60:61], v[52:53], v[54:55] neg_lo:[0,1] neg_hi:[0,1]
	v_pk_add_f32 v[52:53], v[52:53], v[54:55]
	v_mov_b32_e32 v24, v53
	v_pk_add_f32 v[54:55], v[24:25], v[50:51] neg_lo:[0,1] neg_hi:[0,1]
	v_mov_b32_e32 v19, v54
	v_pk_add_f32 v[62:63], v[58:59], v[18:19] neg_lo:[0,1] neg_hi:[0,1]
	v_mov_b32_e32 v52, v59
	v_mov_b32_e32 v58, v51
	;; [unrolled: 1-line block ×4, first 2 shown]
	v_pk_add_f32 v[52:53], v[52:53], v[58:59] neg_lo:[0,1] neg_hi:[0,1]
	v_mov_b32_e32 v54, v57
	v_mov_b32_e32 v55, v50
	v_pk_add_f32 v[50:51], v[54:55], v[52:53] neg_lo:[0,1] neg_hi:[0,1]
	v_mov_b32_e32 v62, v60
	v_pk_add_f32 v[52:53], v[62:63], v[50:51]
	v_mov_b32_e32 v54, v53
	v_pk_add_f32 v[54:55], v[52:53], v[54:55]
	v_pk_add_f32 v[56:57], v[24:25], v[54:55]
	v_mov_b32_e32 v53, v56
	v_pk_add_f32 v[58:59], v[52:53], v[60:61] neg_lo:[0,1] neg_hi:[0,1]
	v_mov_b32_e32 v51, v54
	v_sub_f32_e32 v19, v52, v58
	v_pk_add_f32 v[50:51], v[50:51], v[58:59] neg_lo:[0,1] neg_hi:[0,1]
	v_sub_f32_e32 v19, v60, v19
	v_add_f32_e32 v19, v50, v19
	v_add_f32_e32 v19, v19, v51
	v_add_f32_e32 v19, v56, v19
	v_cmp_eq_f32_e64 s[6:7], s30, v49
	v_cndmask_b32_e64 v19, v19, v49, s[6:7]
	v_cmp_ngt_f32_e64 s[6:7], -1.0, v49
	v_cndmask_b32_e64 v19, v38, v19, s[6:7]
	v_cmp_neq_f32_e64 s[6:7], -1.0, v49
	v_cndmask_b32_e64 v19, v39, v19, s[6:7]
	v_cmp_lt_f32_e64 s[6:7], |v49|, s36
	v_cndmask_b32_e64 v19, v19, v49, s[6:7]
	v_mul_f32_e32 v24, 0.5, v19
.LBB205_52:                             ;   in Loop: Header=BB205_33 Depth=1
	s_or_b64 exec, exec, s[20:21]
.LBB205_53:                             ;   in Loop: Header=BB205_33 Depth=1
	s_or_b64 exec, exec, s[8:9]
	v_max_f32_e64 v19, |v22|, |v22|
	v_max_f32_e64 v50, |v23|, |v23|
	v_max_f32_e32 v19, v19, v50
	v_cvt_f64_f32_e32 v[52:53], v19
	v_frexp_exp_i32_f64_e32 v49, v[52:53]
	v_sub_u32_e32 v51, 0, v49
	v_ldexp_f32 v52, |v22|, v51
	v_ldexp_f32 v51, |v23|, v51
	v_mul_f32_e32 v51, v51, v51
	v_fmac_f32_e32 v51, v52, v52
	v_sqrt_f32_e32 v51, v51
	v_cmp_eq_f32_e64 s[6:7], s30, v19
	v_ldexp_f32 v19, v51, v49
	v_cmp_ngt_f32_e64 s[8:9], 0.5, v19
	v_add_f32_e32 v49, 1.0, v22
	v_max_f32_e64 v51, |v49|, v50
	s_or_b64 s[6:7], s[6:7], s[8:9]
	s_and_saveexec_b64 s[8:9], s[6:7]
	s_xor_b64 s[20:21], exec, s[8:9]
	s_cbranch_execz .LBB205_55
; %bb.54:                               ;   in Loop: Header=BB205_33 Depth=1
	v_cvt_f64_f32_e32 v[52:53], v51
	v_frexp_exp_i32_f64_e32 v19, v[52:53]
	v_sub_u32_e32 v22, 0, v19
	v_ldexp_f32 v52, |v49|, v22
	v_ldexp_f32 v22, |v23|, v22
	v_mul_f32_e32 v22, v22, v22
	v_fmac_f32_e32 v22, v52, v52
	v_sqrt_f32_e32 v22, v22
	v_cmp_neq_f32_e64 s[6:7], s30, v51
	v_ldexp_f32 v19, v22, v19
	v_cndmask_b32_e64 v19, v35, v19, s[6:7]
	v_cmp_gt_f32_e64 s[6:7], s31, v19
	v_cndmask_b32_e64 v22, 1.0, v36, s[6:7]
	v_mul_f32_e32 v19, v19, v22
	v_log_f32_e32 v19, v19
	v_mul_f32_e32 v22, 0x3f317217, v19
	v_fma_f32 v52, v19, s33, -v22
	v_fmac_f32_e32 v52, 0x3377d1cf, v19
	v_add_f32_e32 v22, v22, v52
	v_cmp_lt_f32_e64 s[8:9], |v19|, s30
	v_cndmask_b32_e64 v19, v19, v22, s[8:9]
	v_cndmask_b32_e64 v22, 0, v37, s[6:7]
	v_sub_f32_e32 v22, v19, v22
.LBB205_55:                             ;   in Loop: Header=BB205_33 Depth=1
	s_andn2_saveexec_b64 s[8:9], s[20:21]
	s_cbranch_execz .LBB205_59
; %bb.56:                               ;   in Loop: Header=BB205_33 Depth=1
	v_add_f32_e32 v19, 2.0, v22
	v_mul_f32_e32 v52, v23, v23
	v_fmac_f32_e32 v52, v22, v19
	v_cmp_neq_f32_e64 s[6:7], 0, v52
	s_and_saveexec_b64 s[20:21], s[6:7]
	s_cbranch_execz .LBB205_58
; %bb.57:                               ;   in Loop: Header=BB205_33 Depth=1
	v_add_f32_e32 v19, 1.0, v52
	v_add_f32_e32 v22, -1.0, v19
	v_sub_f32_e32 v53, v22, v19
	v_add_f32_e32 v53, 1.0, v53
	v_sub_f32_e32 v22, v52, v22
	v_add_f32_e32 v22, v22, v53
	v_frexp_mant_f32_e32 v53, v19
	v_cvt_f64_f32_e32 v[54:55], v19
	v_frexp_exp_i32_f64_e32 v54, v[54:55]
	v_cmp_gt_f32_e64 s[6:7], s34, v53
	v_subbrev_co_u32_e64 v53, s[6:7], 0, v54, s[6:7]
	v_sub_u32_e32 v54, 0, v53
	v_ldexp_f32 v19, v19, v54
	v_ldexp_f32 v22, v22, v54
	v_add_f32_e32 v54, -1.0, v19
	v_add_f32_e32 v55, 1.0, v54
	v_sub_f32_e32 v55, v19, v55
	v_add_f32_e32 v56, v22, v55
	v_add_f32_e32 v55, 1.0, v19
	v_add_f32_e32 v57, -1.0, v55
	v_sub_f32_e32 v19, v19, v57
	v_add_f32_e32 v19, v22, v19
	v_add_f32_e32 v22, v55, v19
	v_rcp_f32_e32 v62, v22
	v_sub_f32_e32 v55, v22, v55
	v_sub_f32_e32 v19, v19, v55
	v_add_f32_e32 v55, v54, v56
	v_sub_f32_e32 v54, v55, v54
	v_mul_f32_e32 v64, v55, v62
	v_sub_f32_e32 v63, v56, v54
	v_mul_f32_e32 v56, v22, v64
	v_fma_f32 v58, v64, v22, -v56
	v_fmac_f32_e32 v58, v64, v19
	v_add_f32_e32 v54, v56, v58
	v_sub_f32_e32 v57, v55, v54
	v_pk_add_f32 v[60:61], v[54:55], v[56:57] neg_lo:[0,1] neg_hi:[0,1]
	v_mov_b32_e32 v59, v54
	v_pk_add_f32 v[54:55], v[60:61], v[58:59] neg_lo:[0,1] neg_hi:[0,1]
	v_add_f32_e32 v55, v63, v55
	v_add_f32_e32 v54, v54, v55
	;; [unrolled: 1-line block ×3, first 2 shown]
	v_mul_f32_e32 v63, v62, v55
	v_mul_f32_e32 v56, v22, v63
	v_fma_f32 v58, v63, v22, -v56
	v_fmac_f32_e32 v58, v63, v19
	v_sub_f32_e32 v19, v57, v55
	v_add_f32_e32 v19, v54, v19
	v_add_f32_e32 v54, v56, v58
	v_sub_f32_e32 v57, v55, v54
	v_pk_add_f32 v[60:61], v[54:55], v[56:57] neg_lo:[0,1] neg_hi:[0,1]
	v_mov_b32_e32 v59, v54
	v_pk_add_f32 v[54:55], v[60:61], v[58:59] neg_lo:[0,1] neg_hi:[0,1]
	v_add_f32_e32 v19, v19, v55
	v_add_f32_e32 v19, v54, v19
	;; [unrolled: 1-line block ×4, first 2 shown]
	v_sub_f32_e32 v54, v22, v64
	v_mul_f32_e32 v19, v62, v19
	v_sub_f32_e32 v54, v63, v54
	v_add_f32_e32 v55, v54, v19
	v_add_f32_e32 v56, v22, v55
	v_cvt_f32_i32_e32 v54, v53
	v_mul_f32_e32 v58, v56, v56
	v_mov_b32_e32 v19, 0x3ecc95a3
	v_fmac_f32_e32 v19, 0x3e9b6dac, v58
	v_sub_f32_e32 v22, v56, v22
	v_fma_f32 v19, v58, v19, v28
	v_sub_f32_e32 v22, v55, v22
	v_mul_f32_e32 v55, v56, v58
	v_pk_mul_f32 v[58:59], v[54:55], v[18:19]
	v_ldexp_f32 v57, v56, 1
	v_fma_f32 v56, v54, s35, -v58
	v_fmac_f32_e32 v56, 0xb102e308, v54
	v_pk_add_f32 v[54:55], v[58:59], v[56:57]
	v_sub_f32_e32 v19, v55, v57
	v_ldexp_f32 v22, v22, 1
	v_sub_f32_e32 v19, v59, v19
	v_add_f32_e32 v61, v22, v19
	v_mov_b32_e32 v60, v58
	v_pk_add_f32 v[58:59], v[54:55], v[58:59] neg_lo:[0,1] neg_hi:[0,1]
	v_pk_add_f32 v[62:63], v[54:55], v[60:61]
	v_mov_b32_e32 v59, v63
	v_mov_b32_e32 v57, v54
	v_pk_add_f32 v[64:65], v[56:57], v[58:59] neg_lo:[0,1] neg_hi:[0,1]
	v_pk_add_f32 v[56:57], v[56:57], v[58:59]
	v_mov_b32_e32 v22, v57
	v_pk_add_f32 v[58:59], v[22:23], v[54:55] neg_lo:[0,1] neg_hi:[0,1]
	v_mov_b32_e32 v19, v58
	v_pk_add_f32 v[66:67], v[62:63], v[18:19] neg_lo:[0,1] neg_hi:[0,1]
	v_mov_b32_e32 v56, v63
	v_mov_b32_e32 v62, v55
	;; [unrolled: 1-line block ×4, first 2 shown]
	v_pk_add_f32 v[56:57], v[56:57], v[62:63] neg_lo:[0,1] neg_hi:[0,1]
	v_mov_b32_e32 v58, v61
	v_mov_b32_e32 v59, v54
	v_pk_add_f32 v[54:55], v[58:59], v[56:57] neg_lo:[0,1] neg_hi:[0,1]
	v_mov_b32_e32 v66, v64
	v_pk_add_f32 v[56:57], v[66:67], v[54:55]
	v_mov_b32_e32 v58, v57
	v_pk_add_f32 v[58:59], v[56:57], v[58:59]
	v_pk_add_f32 v[60:61], v[22:23], v[58:59]
	v_mov_b32_e32 v57, v60
	v_pk_add_f32 v[62:63], v[56:57], v[64:65] neg_lo:[0,1] neg_hi:[0,1]
	v_mov_b32_e32 v55, v58
	v_sub_f32_e32 v19, v56, v62
	v_pk_add_f32 v[54:55], v[54:55], v[62:63] neg_lo:[0,1] neg_hi:[0,1]
	v_sub_f32_e32 v19, v64, v19
	v_add_f32_e32 v19, v54, v19
	v_add_f32_e32 v19, v19, v55
	;; [unrolled: 1-line block ×3, first 2 shown]
	v_cmp_eq_f32_e64 s[6:7], s30, v52
	v_cndmask_b32_e64 v19, v19, v52, s[6:7]
	v_cmp_ngt_f32_e64 s[6:7], -1.0, v52
	v_cndmask_b32_e64 v19, v38, v19, s[6:7]
	v_cmp_neq_f32_e64 s[6:7], -1.0, v52
	v_cndmask_b32_e64 v19, v39, v19, s[6:7]
	v_cmp_lt_f32_e64 s[6:7], |v52|, s36
	v_cndmask_b32_e64 v19, v19, v52, s[6:7]
	v_mul_f32_e32 v22, 0.5, v19
.LBB205_58:                             ;   in Loop: Header=BB205_33 Depth=1
	s_or_b64 exec, exec, s[20:21]
.LBB205_59:                             ;   in Loop: Header=BB205_33 Depth=1
	s_or_b64 exec, exec, s[8:9]
	v_max_f32_e64 v19, |v20|, |v20|
	v_max_f32_e64 v53, |v21|, |v21|
	v_max_f32_e32 v19, v19, v53
	v_cvt_f64_f32_e32 v[54:55], v19
	v_frexp_exp_i32_f64_e32 v52, v[54:55]
	v_sub_u32_e32 v54, 0, v52
	v_ldexp_f32 v55, |v20|, v54
	v_ldexp_f32 v54, |v21|, v54
	v_mul_f32_e32 v54, v54, v54
	v_fmac_f32_e32 v54, v55, v55
	v_sqrt_f32_e32 v54, v54
	v_cmp_eq_f32_e64 s[6:7], s30, v19
	v_ldexp_f32 v19, v54, v52
	v_cmp_ngt_f32_e64 s[8:9], 0.5, v19
	v_add_f32_e32 v52, 1.0, v20
	v_max_f32_e64 v54, |v52|, v53
	s_or_b64 s[6:7], s[6:7], s[8:9]
	s_and_saveexec_b64 s[8:9], s[6:7]
	s_xor_b64 s[20:21], exec, s[8:9]
	s_cbranch_execnz .LBB205_65
; %bb.60:                               ;   in Loop: Header=BB205_33 Depth=1
	s_andn2_saveexec_b64 s[8:9], s[20:21]
	s_cbranch_execnz .LBB205_66
.LBB205_61:                             ;   in Loop: Header=BB205_33 Depth=1
	s_or_b64 exec, exec, s[8:9]
	s_and_saveexec_b64 s[6:7], s[4:5]
	s_xor_b64 s[8:9], exec, s[6:7]
	s_cbranch_execnz .LBB205_69
.LBB205_62:                             ;   in Loop: Header=BB205_33 Depth=1
	s_or_b64 exec, exec, s[8:9]
	s_and_saveexec_b64 s[6:7], s[2:3]
	s_cbranch_execnz .LBB205_70
.LBB205_63:                             ;   in Loop: Header=BB205_33 Depth=1
	s_or_b64 exec, exec, s[6:7]
	s_and_saveexec_b64 s[4:5], s[0:1]
	s_cbranch_execnz .LBB205_71
.LBB205_64:                             ;   in Loop: Header=BB205_33 Depth=1
	s_or_b64 exec, exec, s[4:5]
	s_and_saveexec_b64 s[2:3], vcc
	s_cbranch_execz .LBB205_32
	s_branch .LBB205_72
.LBB205_65:                             ;   in Loop: Header=BB205_33 Depth=1
	v_cvt_f64_f32_e32 v[56:57], v54
	v_frexp_exp_i32_f64_e32 v19, v[56:57]
	v_sub_u32_e32 v20, 0, v19
	v_ldexp_f32 v55, |v52|, v20
	v_ldexp_f32 v20, |v21|, v20
	v_mul_f32_e32 v20, v20, v20
	v_fmac_f32_e32 v20, v55, v55
	v_sqrt_f32_e32 v20, v20
	v_cmp_neq_f32_e64 s[6:7], s30, v54
	v_ldexp_f32 v19, v20, v19
	v_cndmask_b32_e64 v19, v35, v19, s[6:7]
	v_cmp_gt_f32_e64 s[6:7], s31, v19
	v_cndmask_b32_e64 v20, 1.0, v36, s[6:7]
	v_mul_f32_e32 v19, v19, v20
	v_log_f32_e32 v19, v19
	v_mul_f32_e32 v20, 0x3f317217, v19
	v_fma_f32 v55, v19, s33, -v20
	v_fmac_f32_e32 v55, 0x3377d1cf, v19
	v_add_f32_e32 v20, v20, v55
	v_cmp_lt_f32_e64 s[8:9], |v19|, s30
	v_cndmask_b32_e64 v19, v19, v20, s[8:9]
	v_cndmask_b32_e64 v20, 0, v37, s[6:7]
	v_sub_f32_e32 v20, v19, v20
	s_andn2_saveexec_b64 s[8:9], s[20:21]
	s_cbranch_execz .LBB205_61
.LBB205_66:                             ;   in Loop: Header=BB205_33 Depth=1
	v_add_f32_e32 v19, 2.0, v20
	v_mul_f32_e32 v55, v21, v21
	v_fmac_f32_e32 v55, v20, v19
	v_cmp_neq_f32_e64 s[6:7], 0, v55
	s_and_saveexec_b64 s[20:21], s[6:7]
	s_cbranch_execz .LBB205_68
; %bb.67:                               ;   in Loop: Header=BB205_33 Depth=1
	v_add_f32_e32 v19, 1.0, v55
	v_add_f32_e32 v20, -1.0, v19
	v_sub_f32_e32 v56, v20, v19
	v_add_f32_e32 v56, 1.0, v56
	v_sub_f32_e32 v20, v55, v20
	v_add_f32_e32 v20, v20, v56
	v_frexp_mant_f32_e32 v58, v19
	v_cvt_f64_f32_e32 v[56:57], v19
	v_frexp_exp_i32_f64_e32 v56, v[56:57]
	v_cmp_gt_f32_e64 s[6:7], s34, v58
	v_subbrev_co_u32_e64 v64, s[6:7], 0, v56, s[6:7]
	v_sub_u32_e32 v56, 0, v64
	v_ldexp_f32 v19, v19, v56
	v_ldexp_f32 v20, v20, v56
	v_add_f32_e32 v56, -1.0, v19
	v_add_f32_e32 v57, 1.0, v56
	v_sub_f32_e32 v57, v19, v57
	v_add_f32_e32 v58, v20, v57
	v_add_f32_e32 v57, 1.0, v19
	v_add_f32_e32 v59, -1.0, v57
	v_sub_f32_e32 v19, v19, v59
	v_add_f32_e32 v19, v20, v19
	v_add_f32_e32 v20, v57, v19
	v_rcp_f32_e32 v65, v20
	v_sub_f32_e32 v57, v20, v57
	v_sub_f32_e32 v19, v19, v57
	v_add_f32_e32 v57, v56, v58
	v_sub_f32_e32 v56, v57, v56
	v_mul_f32_e32 v67, v57, v65
	v_sub_f32_e32 v66, v58, v56
	v_mul_f32_e32 v58, v20, v67
	v_fma_f32 v60, v67, v20, -v58
	v_fmac_f32_e32 v60, v67, v19
	v_add_f32_e32 v56, v58, v60
	v_sub_f32_e32 v59, v57, v56
	v_pk_add_f32 v[62:63], v[56:57], v[58:59] neg_lo:[0,1] neg_hi:[0,1]
	v_mov_b32_e32 v61, v56
	v_pk_add_f32 v[56:57], v[62:63], v[60:61] neg_lo:[0,1] neg_hi:[0,1]
	v_add_f32_e32 v57, v66, v57
	v_add_f32_e32 v56, v56, v57
	;; [unrolled: 1-line block ×3, first 2 shown]
	v_mul_f32_e32 v66, v65, v57
	v_mul_f32_e32 v58, v20, v66
	v_fma_f32 v60, v66, v20, -v58
	v_fmac_f32_e32 v60, v66, v19
	v_sub_f32_e32 v19, v59, v57
	v_add_f32_e32 v19, v56, v19
	v_add_f32_e32 v56, v58, v60
	v_sub_f32_e32 v59, v57, v56
	v_pk_add_f32 v[62:63], v[56:57], v[58:59] neg_lo:[0,1] neg_hi:[0,1]
	v_mov_b32_e32 v61, v56
	v_pk_add_f32 v[56:57], v[62:63], v[60:61] neg_lo:[0,1] neg_hi:[0,1]
	v_add_f32_e32 v19, v19, v57
	v_add_f32_e32 v19, v56, v19
	v_add_f32_e32 v20, v67, v66
	v_add_f32_e32 v19, v59, v19
	v_sub_f32_e32 v56, v20, v67
	v_mul_f32_e32 v19, v65, v19
	v_sub_f32_e32 v56, v66, v56
	v_add_f32_e32 v57, v56, v19
	v_add_f32_e32 v58, v20, v57
	v_cvt_f32_i32_e32 v56, v64
	v_mul_f32_e32 v60, v58, v58
	v_mov_b32_e32 v19, 0x3ecc95a3
	v_fmac_f32_e32 v19, 0x3e9b6dac, v60
	v_sub_f32_e32 v20, v58, v20
	v_fma_f32 v19, v60, v19, v28
	v_sub_f32_e32 v20, v57, v20
	v_mul_f32_e32 v57, v58, v60
	v_pk_mul_f32 v[60:61], v[56:57], v[18:19]
	v_ldexp_f32 v59, v58, 1
	v_fma_f32 v58, v56, s35, -v60
	v_fmac_f32_e32 v58, 0xb102e308, v56
	v_pk_add_f32 v[56:57], v[60:61], v[58:59]
	v_sub_f32_e32 v19, v57, v59
	v_ldexp_f32 v20, v20, 1
	v_sub_f32_e32 v19, v61, v19
	v_add_f32_e32 v63, v20, v19
	v_mov_b32_e32 v62, v60
	v_pk_add_f32 v[60:61], v[56:57], v[60:61] neg_lo:[0,1] neg_hi:[0,1]
	v_pk_add_f32 v[64:65], v[56:57], v[62:63]
	v_mov_b32_e32 v61, v65
	v_mov_b32_e32 v59, v56
	v_pk_add_f32 v[66:67], v[58:59], v[60:61] neg_lo:[0,1] neg_hi:[0,1]
	v_pk_add_f32 v[58:59], v[58:59], v[60:61]
	v_mov_b32_e32 v20, v59
	v_pk_add_f32 v[60:61], v[20:21], v[56:57] neg_lo:[0,1] neg_hi:[0,1]
	v_mov_b32_e32 v19, v60
	v_pk_add_f32 v[68:69], v[64:65], v[18:19] neg_lo:[0,1] neg_hi:[0,1]
	v_mov_b32_e32 v58, v65
	v_mov_b32_e32 v64, v57
	;; [unrolled: 1-line block ×4, first 2 shown]
	v_pk_add_f32 v[58:59], v[58:59], v[64:65] neg_lo:[0,1] neg_hi:[0,1]
	v_mov_b32_e32 v60, v63
	v_mov_b32_e32 v61, v56
	v_pk_add_f32 v[56:57], v[60:61], v[58:59] neg_lo:[0,1] neg_hi:[0,1]
	v_mov_b32_e32 v68, v66
	v_pk_add_f32 v[58:59], v[68:69], v[56:57]
	v_mov_b32_e32 v60, v59
	v_pk_add_f32 v[60:61], v[58:59], v[60:61]
	v_pk_add_f32 v[62:63], v[20:21], v[60:61]
	v_mov_b32_e32 v59, v62
	v_pk_add_f32 v[64:65], v[58:59], v[66:67] neg_lo:[0,1] neg_hi:[0,1]
	v_mov_b32_e32 v57, v60
	v_sub_f32_e32 v19, v58, v64
	v_pk_add_f32 v[56:57], v[56:57], v[64:65] neg_lo:[0,1] neg_hi:[0,1]
	v_sub_f32_e32 v19, v66, v19
	v_add_f32_e32 v19, v56, v19
	v_add_f32_e32 v19, v19, v57
	;; [unrolled: 1-line block ×3, first 2 shown]
	v_cmp_eq_f32_e64 s[6:7], s30, v55
	v_cndmask_b32_e64 v19, v19, v55, s[6:7]
	v_cmp_ngt_f32_e64 s[6:7], -1.0, v55
	v_cndmask_b32_e64 v19, v38, v19, s[6:7]
	v_cmp_neq_f32_e64 s[6:7], -1.0, v55
	v_cndmask_b32_e64 v19, v39, v19, s[6:7]
	v_cmp_lt_f32_e64 s[6:7], |v55|, s36
	v_cndmask_b32_e64 v19, v19, v55, s[6:7]
	v_mul_f32_e32 v20, 0.5, v19
.LBB205_68:                             ;   in Loop: Header=BB205_33 Depth=1
	s_or_b64 exec, exec, s[20:21]
	s_or_b64 exec, exec, s[8:9]
	s_and_saveexec_b64 s[6:7], s[4:5]
	s_xor_b64 s[8:9], exec, s[6:7]
	s_cbranch_execz .LBB205_62
.LBB205_69:                             ;   in Loop: Header=BB205_33 Depth=1
	v_max_f32_e64 v56, |v43|, |v43|
	v_min_f32_e32 v44, v56, v44
	v_frexp_mant_f32_e32 v56, v45
	v_rcp_f32_e32 v56, v56
	v_frexp_exp_i32_f32_e32 v45, v45
	v_frexp_exp_i32_f32_e32 v57, v44
	v_frexp_mant_f32_e32 v44, v44
	v_mul_f32_e32 v44, v44, v56
	v_sub_u32_e32 v45, v57, v45
	v_ldexp_f32 v44, v44, v45
	v_mul_f32_e32 v45, v44, v44
	v_mov_b32_e32 v56, 0xbc7a590c
	v_fmac_f32_e32 v56, 0x3b2d2a58, v45
	v_fma_f32 v56, v45, v56, v29
	v_fma_f32 v56, v45, v56, v30
	;; [unrolled: 1-line block ×6, first 2 shown]
	v_mul_f32_e32 v45, v45, v56
	v_cmp_gt_i32_e64 s[6:7], 0, v43
	v_fmac_f32_e32 v44, v44, v45
	v_cndmask_b32_e64 v55, 0, v42, s[6:7]
	v_sub_f32_e32 v45, 0x3fc90fdb, v44
	v_cmp_gt_f32_e64 s[6:7], |v27|, |v43|
	v_cndmask_b32_e64 v44, v44, v45, s[6:7]
	v_cmp_gt_f32_e64 s[4:5], 0, v43
	v_sub_f32_e32 v45, 0x40490fdb, v44
	v_cmp_class_f32_e64 s[20:21], v27, s37
	v_cmp_class_f32_e64 s[40:41], v43, s37
	v_cndmask_b32_e64 v19, v40, v41, s[4:5]
	v_cndmask_b32_e64 v44, v44, v45, s[4:5]
	v_cmp_eq_f32_e64 s[4:5], 0, v27
	v_cndmask_b32_e64 v44, v44, v55, s[4:5]
	s_and_b64 s[4:5], s[20:21], s[40:41]
	v_cndmask_b32_e64 v19, v44, v19, s[4:5]
	v_cmp_o_f32_e64 s[4:5], v43, v27
	v_cndmask_b32_e64 v19, v38, v19, s[4:5]
	v_bfi_b32 v27, s38, v19, v27
	v_mov_b32_e32 v19, s11
	v_add_co_u32_e64 v44, s[4:5], s10, v4
	v_addc_co_u32_e64 v45, s[4:5], v5, v19, s[4:5]
	global_store_dwordx2 v[44:45], v[26:27], off offset:-4
	s_or_b64 exec, exec, s[8:9]
	s_and_saveexec_b64 s[6:7], s[2:3]
	s_cbranch_execz .LBB205_63
.LBB205_70:                             ;   in Loop: Header=BB205_33 Depth=1
	v_frexp_mant_f32_e32 v43, v48
	v_rcp_f32_e32 v43, v43
	v_max_f32_e64 v27, |v46|, |v46|
	v_min_f32_e32 v27, v27, v47
	v_frexp_exp_i32_f32_e32 v44, v48
	v_frexp_exp_i32_f32_e32 v45, v27
	v_frexp_mant_f32_e32 v27, v27
	v_mul_f32_e32 v27, v27, v43
	v_sub_u32_e32 v43, v45, v44
	v_ldexp_f32 v27, v27, v43
	v_mul_f32_e32 v43, v27, v27
	v_mov_b32_e32 v44, 0xbc7a590c
	v_fmac_f32_e32 v44, 0x3b2d2a58, v43
	v_fma_f32 v44, v43, v44, v29
	v_fma_f32 v44, v43, v44, v30
	;; [unrolled: 1-line block ×6, first 2 shown]
	v_mul_f32_e32 v43, v43, v44
	v_cmp_gt_i32_e64 s[4:5], 0, v46
	v_fmac_f32_e32 v27, v27, v43
	v_cndmask_b32_e64 v26, 0, v42, s[4:5]
	v_sub_f32_e32 v43, 0x3fc90fdb, v27
	v_cmp_gt_f32_e64 s[4:5], |v25|, |v46|
	v_cndmask_b32_e64 v27, v27, v43, s[4:5]
	v_cmp_gt_f32_e64 s[2:3], 0, v46
	v_sub_f32_e32 v43, 0x40490fdb, v27
	v_cmp_class_f32_e64 s[8:9], v25, s37
	v_cmp_class_f32_e64 s[20:21], v46, s37
	v_cndmask_b32_e64 v19, v40, v41, s[2:3]
	v_cndmask_b32_e64 v27, v27, v43, s[2:3]
	v_cmp_eq_f32_e64 s[2:3], 0, v25
	v_cndmask_b32_e64 v26, v27, v26, s[2:3]
	s_and_b64 s[2:3], s[8:9], s[20:21]
	v_cndmask_b32_e64 v19, v26, v19, s[2:3]
	v_cmp_o_f32_e64 s[2:3], v46, v25
	v_cndmask_b32_e64 v19, v38, v19, s[2:3]
	v_bfi_b32 v25, s38, v19, v25
	v_mov_b32_e32 v19, s11
	v_add_co_u32_e64 v26, s[2:3], s10, v12
	v_addc_co_u32_e64 v27, s[2:3], v13, v19, s[2:3]
	global_store_dwordx2 v[26:27], v[24:25], off
	s_or_b64 exec, exec, s[6:7]
	s_and_saveexec_b64 s[4:5], s[0:1]
	s_cbranch_execz .LBB205_64
.LBB205_71:                             ;   in Loop: Header=BB205_33 Depth=1
	v_frexp_mant_f32_e32 v26, v51
	v_rcp_f32_e32 v26, v26
	v_max_f32_e64 v25, |v49|, |v49|
	v_min_f32_e32 v25, v25, v50
	v_frexp_exp_i32_f32_e32 v27, v51
	v_frexp_exp_i32_f32_e32 v43, v25
	v_frexp_mant_f32_e32 v25, v25
	v_mul_f32_e32 v25, v25, v26
	v_sub_u32_e32 v26, v43, v27
	v_ldexp_f32 v25, v25, v26
	v_mul_f32_e32 v26, v25, v25
	v_mov_b32_e32 v27, 0xbc7a590c
	v_fmac_f32_e32 v27, 0x3b2d2a58, v26
	v_fma_f32 v27, v26, v27, v29
	v_fma_f32 v27, v26, v27, v30
	;; [unrolled: 1-line block ×6, first 2 shown]
	v_mul_f32_e32 v26, v26, v27
	v_cmp_gt_i32_e64 s[2:3], 0, v49
	v_fmac_f32_e32 v25, v25, v26
	v_cndmask_b32_e64 v24, 0, v42, s[2:3]
	v_sub_f32_e32 v26, 0x3fc90fdb, v25
	v_cmp_gt_f32_e64 s[2:3], |v23|, |v49|
	v_cndmask_b32_e64 v25, v25, v26, s[2:3]
	v_cmp_gt_f32_e64 s[0:1], 0, v49
	v_sub_f32_e32 v26, 0x40490fdb, v25
	v_cmp_class_f32_e64 s[6:7], v23, s37
	v_cmp_class_f32_e64 s[8:9], v49, s37
	v_cndmask_b32_e64 v19, v40, v41, s[0:1]
	v_cndmask_b32_e64 v25, v25, v26, s[0:1]
	v_cmp_eq_f32_e64 s[0:1], 0, v23
	v_cndmask_b32_e64 v24, v25, v24, s[0:1]
	s_and_b64 s[0:1], s[6:7], s[8:9]
	v_cndmask_b32_e64 v19, v24, v19, s[0:1]
	v_cmp_o_f32_e64 s[0:1], v49, v23
	v_cndmask_b32_e64 v19, v38, v19, s[0:1]
	v_bfi_b32 v23, s38, v19, v23
	v_mov_b32_e32 v19, s11
	v_add_co_u32_e64 v24, s[0:1], s10, v14
	v_addc_co_u32_e64 v25, s[0:1], v15, v19, s[0:1]
	global_store_dwordx2 v[24:25], v[22:23], off offset:-4
	s_or_b64 exec, exec, s[4:5]
	s_and_saveexec_b64 s[2:3], vcc
	s_cbranch_execz .LBB205_32
.LBB205_72:                             ;   in Loop: Header=BB205_33 Depth=1
	v_frexp_mant_f32_e32 v24, v54
	v_rcp_f32_e32 v24, v24
	v_max_f32_e64 v23, |v52|, |v52|
	v_min_f32_e32 v23, v23, v53
	v_frexp_exp_i32_f32_e32 v25, v54
	v_frexp_exp_i32_f32_e32 v26, v23
	v_frexp_mant_f32_e32 v23, v23
	v_mul_f32_e32 v23, v23, v24
	v_sub_u32_e32 v24, v26, v25
	v_ldexp_f32 v23, v23, v24
	v_mul_f32_e32 v24, v23, v23
	v_mov_b32_e32 v25, 0xbc7a590c
	v_fmac_f32_e32 v25, 0x3b2d2a58, v24
	v_fma_f32 v25, v24, v25, v29
	v_fma_f32 v25, v24, v25, v30
	;; [unrolled: 1-line block ×6, first 2 shown]
	v_mul_f32_e32 v24, v24, v25
	v_cmp_gt_i32_e64 s[0:1], 0, v52
	v_fmac_f32_e32 v23, v23, v24
	v_cndmask_b32_e64 v22, 0, v42, s[0:1]
	v_sub_f32_e32 v24, 0x3fc90fdb, v23
	v_cmp_gt_f32_e64 s[0:1], |v21|, |v52|
	v_cndmask_b32_e64 v23, v23, v24, s[0:1]
	v_cmp_gt_f32_e32 vcc, 0, v52
	v_sub_f32_e32 v24, 0x40490fdb, v23
	v_cmp_class_f32_e64 s[4:5], v21, s37
	v_cmp_class_f32_e64 s[6:7], v52, s37
	v_cndmask_b32_e32 v19, v40, v41, vcc
	v_cndmask_b32_e32 v23, v23, v24, vcc
	v_cmp_eq_f32_e32 vcc, 0, v21
	v_cndmask_b32_e32 v22, v23, v22, vcc
	s_and_b64 vcc, s[4:5], s[6:7]
	v_cndmask_b32_e32 v19, v22, v19, vcc
	v_cmp_o_f32_e32 vcc, v52, v21
	v_cndmask_b32_e32 v19, v38, v19, vcc
	v_bfi_b32 v21, s38, v19, v21
	v_mov_b32_e32 v19, s11
	v_add_co_u32_e32 v22, vcc, s10, v8
	v_addc_co_u32_e32 v23, vcc, v9, v19, vcc
	global_store_dwordx2 v[22:23], v[20:21], off offset:-4
	s_branch .LBB205_32
.LBB205_73:
	s_endpgm
	.section	.rodata,"a",@progbits
	.p2align	6, 0x0
	.amdhsa_kernel _ZN2at6native12_GLOBAL__N_125multi_tensor_apply_kernelINS1_18TensorListMetadataILi2EEENS1_14UnaryOpFunctorIN3c107complexIfEELi2ELi1ELi1EEEJNS0_5Log1pIS8_EEEEEvT_T0_DpT1_
		.amdhsa_group_segment_fixed_size 0
		.amdhsa_private_segment_fixed_size 0
		.amdhsa_kernarg_size 3408
		.amdhsa_user_sgpr_count 6
		.amdhsa_user_sgpr_private_segment_buffer 1
		.amdhsa_user_sgpr_dispatch_ptr 0
		.amdhsa_user_sgpr_queue_ptr 0
		.amdhsa_user_sgpr_kernarg_segment_ptr 1
		.amdhsa_user_sgpr_dispatch_id 0
		.amdhsa_user_sgpr_flat_scratch_init 0
		.amdhsa_user_sgpr_kernarg_preload_length 0
		.amdhsa_user_sgpr_kernarg_preload_offset 0
		.amdhsa_user_sgpr_private_segment_size 0
		.amdhsa_uses_dynamic_stack 0
		.amdhsa_system_sgpr_private_segment_wavefront_offset 0
		.amdhsa_system_sgpr_workgroup_id_x 1
		.amdhsa_system_sgpr_workgroup_id_y 0
		.amdhsa_system_sgpr_workgroup_id_z 0
		.amdhsa_system_sgpr_workgroup_info 0
		.amdhsa_system_vgpr_workitem_id 0
		.amdhsa_next_free_vgpr 70
		.amdhsa_next_free_sgpr 42
		.amdhsa_accum_offset 72
		.amdhsa_reserve_vcc 1
		.amdhsa_reserve_flat_scratch 0
		.amdhsa_float_round_mode_32 0
		.amdhsa_float_round_mode_16_64 0
		.amdhsa_float_denorm_mode_32 3
		.amdhsa_float_denorm_mode_16_64 3
		.amdhsa_dx10_clamp 1
		.amdhsa_ieee_mode 1
		.amdhsa_fp16_overflow 0
		.amdhsa_tg_split 0
		.amdhsa_exception_fp_ieee_invalid_op 0
		.amdhsa_exception_fp_denorm_src 0
		.amdhsa_exception_fp_ieee_div_zero 0
		.amdhsa_exception_fp_ieee_overflow 0
		.amdhsa_exception_fp_ieee_underflow 0
		.amdhsa_exception_fp_ieee_inexact 0
		.amdhsa_exception_int_div_zero 0
	.end_amdhsa_kernel
	.section	.text._ZN2at6native12_GLOBAL__N_125multi_tensor_apply_kernelINS1_18TensorListMetadataILi2EEENS1_14UnaryOpFunctorIN3c107complexIfEELi2ELi1ELi1EEEJNS0_5Log1pIS8_EEEEEvT_T0_DpT1_,"axG",@progbits,_ZN2at6native12_GLOBAL__N_125multi_tensor_apply_kernelINS1_18TensorListMetadataILi2EEENS1_14UnaryOpFunctorIN3c107complexIfEELi2ELi1ELi1EEEJNS0_5Log1pIS8_EEEEEvT_T0_DpT1_,comdat
.Lfunc_end205:
	.size	_ZN2at6native12_GLOBAL__N_125multi_tensor_apply_kernelINS1_18TensorListMetadataILi2EEENS1_14UnaryOpFunctorIN3c107complexIfEELi2ELi1ELi1EEEJNS0_5Log1pIS8_EEEEEvT_T0_DpT1_, .Lfunc_end205-_ZN2at6native12_GLOBAL__N_125multi_tensor_apply_kernelINS1_18TensorListMetadataILi2EEENS1_14UnaryOpFunctorIN3c107complexIfEELi2ELi1ELi1EEEJNS0_5Log1pIS8_EEEEEvT_T0_DpT1_
                                        ; -- End function
	.section	.AMDGPU.csdata,"",@progbits
; Kernel info:
; codeLenInByte = 10840
; NumSgprs: 46
; NumVgprs: 70
; NumAgprs: 0
; TotalNumVgprs: 70
; ScratchSize: 0
; MemoryBound: 0
; FloatMode: 240
; IeeeMode: 1
; LDSByteSize: 0 bytes/workgroup (compile time only)
; SGPRBlocks: 5
; VGPRBlocks: 8
; NumSGPRsForWavesPerEU: 46
; NumVGPRsForWavesPerEU: 70
; AccumOffset: 72
; Occupancy: 7
; WaveLimiterHint : 0
; COMPUTE_PGM_RSRC2:SCRATCH_EN: 0
; COMPUTE_PGM_RSRC2:USER_SGPR: 6
; COMPUTE_PGM_RSRC2:TRAP_HANDLER: 0
; COMPUTE_PGM_RSRC2:TGID_X_EN: 1
; COMPUTE_PGM_RSRC2:TGID_Y_EN: 0
; COMPUTE_PGM_RSRC2:TGID_Z_EN: 0
; COMPUTE_PGM_RSRC2:TIDIG_COMP_CNT: 0
; COMPUTE_PGM_RSRC3_GFX90A:ACCUM_OFFSET: 17
; COMPUTE_PGM_RSRC3_GFX90A:TG_SPLIT: 0
	.section	.text._ZN2at6native12_GLOBAL__N_125multi_tensor_apply_kernelINS1_18TensorListMetadataILi2EEENS1_14UnaryOpFunctorIN3c104HalfELi2ELi1ELi1EEEJNS0_5Log1pIfEEEEEvT_T0_DpT1_,"axG",@progbits,_ZN2at6native12_GLOBAL__N_125multi_tensor_apply_kernelINS1_18TensorListMetadataILi2EEENS1_14UnaryOpFunctorIN3c104HalfELi2ELi1ELi1EEEJNS0_5Log1pIfEEEEEvT_T0_DpT1_,comdat
	.globl	_ZN2at6native12_GLOBAL__N_125multi_tensor_apply_kernelINS1_18TensorListMetadataILi2EEENS1_14UnaryOpFunctorIN3c104HalfELi2ELi1ELi1EEEJNS0_5Log1pIfEEEEEvT_T0_DpT1_ ; -- Begin function _ZN2at6native12_GLOBAL__N_125multi_tensor_apply_kernelINS1_18TensorListMetadataILi2EEENS1_14UnaryOpFunctorIN3c104HalfELi2ELi1ELi1EEEJNS0_5Log1pIfEEEEEvT_T0_DpT1_
	.p2align	8
	.type	_ZN2at6native12_GLOBAL__N_125multi_tensor_apply_kernelINS1_18TensorListMetadataILi2EEENS1_14UnaryOpFunctorIN3c104HalfELi2ELi1ELi1EEEJNS0_5Log1pIfEEEEEvT_T0_DpT1_,@function
_ZN2at6native12_GLOBAL__N_125multi_tensor_apply_kernelINS1_18TensorListMetadataILi2EEENS1_14UnaryOpFunctorIN3c104HalfELi2ELi1ELi1EEEJNS0_5Log1pIfEEEEEvT_T0_DpT1_: ; @_ZN2at6native12_GLOBAL__N_125multi_tensor_apply_kernelINS1_18TensorListMetadataILi2EEENS1_14UnaryOpFunctorIN3c104HalfELi2ELi1ELi1EEEJNS0_5Log1pIfEEEEEvT_T0_DpT1_
; %bb.0:
	v_mov_b32_e32 v1, s6
	global_load_ubyte v1, v1, s[4:5] offset:1536
	s_add_u32 s0, s4, s6
	s_mul_hi_u32 s2, s6, 3
	s_mul_i32 s6, s6, 3
	s_addc_u32 s7, s5, 0
	s_add_u32 s6, s0, s6
	s_addc_u32 s7, s7, s2
	s_mov_b32 s1, 0
	s_mov_b32 s3, s1
	s_waitcnt vmcnt(0)
	v_readfirstlane_b32 s0, v1
	s_lshl_b32 s0, s0, 3
	s_load_dword s8, s[6:7], 0x740
	s_load_dwordx2 s[16:17], s[4:5], s0 offset:0x0
	s_load_dwordx2 s[12:13], s[4:5], s0 offset:0x400
	;; [unrolled: 1-line block ×3, first 2 shown]
	s_mov_b32 s7, s1
	s_waitcnt lgkmcnt(0)
	s_ashr_i32 s9, s8, 31
	s_and_b32 s0, s16, 7
	s_and_b32 s6, s12, 3
	s_and_b32 s2, s14, 7
	s_or_b64 s[6:7], s[0:1], s[6:7]
	s_lshl_b64 s[10:11], s[8:9], 17
	s_or_b64 s[2:3], s[2:3], s[6:7]
	s_lshl_b64 s[6:7], s[8:9], 16
	s_sub_u32 s12, s12, s6
	s_subb_u32 s13, s13, s7
	s_cmp_eq_u64 s[2:3], 0
	s_mov_b64 s[2:3], -1
	s_cbranch_scc0 .LBB206_5
; %bb.1:
	v_mov_b32_e32 v3, 0
	v_lshlrev_b32_e32 v2, 2, v0
	v_cmp_gt_i64_e32 vcc, s[12:13], v[2:3]
	s_and_saveexec_b64 s[18:19], vcc
	s_cbranch_execz .LBB206_4
; %bb.2:
	s_load_dword s0, s[4:5], 0xc5c
	v_lshlrev_b32_e32 v1, 3, v0
	v_mov_b32_e32 v2, s11
	v_add_co_u32_e32 v4, vcc, s10, v1
	s_waitcnt lgkmcnt(0)
	s_and_b32 s0, s0, 0xffff
	v_addc_co_u32_e32 v1, vcc, 0, v2, vcc
	s_lshl_b32 s23, s0, 3
	v_add_lshl_u32 v2, v0, s0, 2
	s_lshl_b32 s25, s0, 2
	s_mov_b32 s0, 0x3ecc95a3
	s_mov_b64 s[20:21], 0
	v_mov_b32_e32 v5, s17
	v_mov_b32_e32 v24, s15
	s_mov_b32 s27, 0x3f2aaaab
	s_mov_b32 s22, 0x3f317218
	;; [unrolled: 1-line block ×3, first 2 shown]
	v_pk_mov_b32 v[6:7], s[0:1], s[0:1] op_sel:[0,1]
	s_mov_b32 s26, 0x3f2aaada
	s_mov_b32 s28, 0xb102e308
	s_movk_i32 s29, 0x7c00
	v_mov_b32_e32 v25, 0x7e00
	s_mov_b32 s33, 0x33800000
	v_mov_b32_e32 v26, 0xfc00
	s_mov_b32 s34, 0x5040100
	s_mov_b64 s[30:31], 0xffff
	v_mov_b32_e32 v27, s1
	v_mov_b32_e32 v28, s1
.LBB206_3:                              ; =>This Inner Loop Header: Depth=1
	v_add_co_u32_e32 v10, vcc, s16, v4
	v_addc_co_u32_e32 v11, vcc, v5, v1, vcc
	global_load_dwordx2 v[10:11], v[10:11], off
	v_add_co_u32_e32 v8, vcc, s14, v4
	v_addc_co_u32_e32 v9, vcc, v24, v1, vcc
	s_waitcnt vmcnt(0)
	v_cvt_f32_f16_e32 v34, v10
	v_lshrrev_b32_e32 v30, 16, v10
	v_cvt_f32_f16_e32 v33, v30
	v_cvt_f32_f16_e32 v32, v11
	v_add_f32_e32 v14, 1.0, v34
	v_add_f32_e32 v12, -1.0, v14
	v_sub_f32_e32 v13, v12, v14
	v_add_f32_e32 v13, 1.0, v13
	v_sub_f32_e32 v12, v34, v12
	v_add_f32_e32 v15, v12, v13
	v_frexp_mant_f32_e32 v12, v14
	v_cmp_gt_f32_e32 vcc, s27, v12
	v_cvt_f64_f32_e32 v[12:13], v14
	v_frexp_exp_i32_f64_e32 v12, v[12:13]
	v_subbrev_co_u32_e32 v18, vcc, 0, v12, vcc
	v_sub_u32_e32 v12, 0, v18
	v_add_f32_e32 v21, 1.0, v33
	v_ldexp_f32 v20, v14, v12
	v_ldexp_f32 v22, v15, v12
	v_frexp_mant_f32_e32 v12, v21
	v_cmp_gt_f32_e32 vcc, s27, v12
	v_cvt_f64_f32_e32 v[12:13], v21
	v_frexp_exp_i32_f64_e32 v12, v[12:13]
	v_add_f32_e32 v36, -1.0, v21
	v_subbrev_co_u32_e32 v23, vcc, 0, v12, vcc
	v_sub_f32_e32 v37, v36, v21
	v_cvt_f32_i32_e32 v19, v23
	v_add_f32_e32 v37, 1.0, v37
	v_sub_f32_e32 v36, v33, v36
	v_sub_u32_e32 v23, 0, v23
	v_add_f32_e32 v36, v36, v37
	v_ldexp_f32 v21, v21, v23
	v_ldexp_f32 v23, v36, v23
	v_pk_add_f32 v[36:37], v[20:21], 1.0 op_sel_hi:[1,0]
	v_pk_add_f32 v[38:39], -1.0, v[36:37] op_sel_hi:[0,1]
	v_pk_add_f32 v[38:39], v[20:21], v[38:39] neg_lo:[0,1] neg_hi:[0,1]
	v_pk_add_f32 v[38:39], v[22:23], v[38:39]
	v_pk_add_f32 v[40:41], v[36:37], v[38:39]
	v_pk_add_f32 v[44:45], -1.0, v[20:21] op_sel_hi:[0,1]
	v_rcp_f32_e32 v42, v40
	v_pk_add_f32 v[46:47], v[44:45], 1.0 op_sel_hi:[1,0]
	v_rcp_f32_e32 v43, v41
	v_pk_add_f32 v[20:21], v[20:21], v[46:47] neg_lo:[0,1] neg_hi:[0,1]
	v_pk_add_f32 v[20:21], v[22:23], v[20:21]
	v_pk_add_f32 v[22:23], v[44:45], v[20:21]
	v_pk_add_f32 v[36:37], v[40:41], v[36:37] neg_lo:[0,1] neg_hi:[0,1]
	v_pk_add_f32 v[44:45], v[22:23], v[44:45] neg_lo:[0,1] neg_hi:[0,1]
	;; [unrolled: 1-line block ×3, first 2 shown]
	v_pk_mul_f32 v[38:39], v[22:23], v[42:43]
	v_pk_add_f32 v[20:21], v[20:21], v[44:45] neg_lo:[0,1] neg_hi:[0,1]
	v_pk_mul_f32 v[44:45], v[40:41], v[38:39]
	v_pk_fma_f32 v[46:47], v[38:39], v[40:41], v[44:45] neg_lo:[0,0,1] neg_hi:[0,0,1]
	v_pk_fma_f32 v[46:47], v[38:39], v[36:37], v[46:47]
	v_pk_add_f32 v[48:49], v[44:45], v[46:47]
	v_pk_add_f32 v[50:51], v[22:23], v[48:49] neg_lo:[0,1] neg_hi:[0,1]
	v_pk_add_f32 v[22:23], v[22:23], v[50:51] neg_lo:[0,1] neg_hi:[0,1]
	;; [unrolled: 1-line block ×4, first 2 shown]
	v_pk_add_f32 v[20:21], v[20:21], v[22:23]
	v_pk_add_f32 v[22:23], v[44:45], v[46:47] neg_lo:[0,1] neg_hi:[0,1]
	v_pk_add_f32 v[20:21], v[22:23], v[20:21]
	v_pk_add_f32 v[22:23], v[50:51], v[20:21]
	v_pk_mul_f32 v[44:45], v[42:43], v[22:23]
	v_pk_mul_f32 v[46:47], v[40:41], v[44:45]
	v_pk_fma_f32 v[40:41], v[44:45], v[40:41], v[46:47] neg_lo:[0,0,1] neg_hi:[0,0,1]
	v_pk_fma_f32 v[36:37], v[44:45], v[36:37], v[40:41]
	v_pk_add_f32 v[40:41], v[50:51], v[22:23] neg_lo:[0,1] neg_hi:[0,1]
	v_lshrrev_b32_e32 v29, 16, v11
	v_pk_add_f32 v[20:21], v[20:21], v[40:41]
	v_pk_add_f32 v[40:41], v[46:47], v[36:37]
	v_cvt_f32_f16_e32 v31, v29
	v_pk_add_f32 v[48:49], v[22:23], v[40:41] neg_lo:[0,1] neg_hi:[0,1]
	v_add_f32_e32 v35, 1.0, v32
	v_pk_add_f32 v[22:23], v[22:23], v[48:49] neg_lo:[0,1] neg_hi:[0,1]
	v_frexp_mant_f32_e32 v12, v35
	v_pk_add_f32 v[46:47], v[40:41], v[46:47] neg_lo:[0,1] neg_hi:[0,1]
	v_pk_add_f32 v[22:23], v[22:23], v[40:41] neg_lo:[0,1] neg_hi:[0,1]
	v_cmp_gt_f32_e32 vcc, s27, v12
	v_cvt_f64_f32_e32 v[12:13], v35
	v_pk_add_f32 v[20:21], v[20:21], v[22:23]
	v_pk_add_f32 v[22:23], v[46:47], v[36:37] neg_lo:[0,1] neg_hi:[0,1]
	v_frexp_exp_i32_f64_e32 v12, v[12:13]
	v_add_f32_e32 v53, 1.0, v31
	v_pk_add_f32 v[20:21], v[22:23], v[20:21]
	v_add_f32_e32 v40, -1.0, v35
	v_subbrev_co_u32_e32 v52, vcc, 0, v12, vcc
	v_frexp_mant_f32_e32 v12, v53
	v_pk_add_f32 v[20:21], v[48:49], v[20:21]
	v_sub_f32_e32 v41, v40, v35
	v_cmp_gt_f32_e32 vcc, s27, v12
	v_cvt_f64_f32_e32 v[12:13], v53
	v_pk_mul_f32 v[20:21], v[42:43], v[20:21]
	v_add_f32_e32 v41, 1.0, v41
	v_sub_f32_e32 v40, v32, v40
	v_sub_u32_e32 v42, 0, v52
	v_frexp_exp_i32_f64_e32 v12, v[12:13]
	v_add_f32_e32 v41, v40, v41
	v_ldexp_f32 v40, v35, v42
	v_add_f32_e32 v35, -1.0, v53
	v_subbrev_co_u32_e32 v54, vcc, 0, v12, vcc
	v_ldexp_f32 v42, v41, v42
	v_sub_f32_e32 v41, v35, v53
	v_pk_add_f32 v[22:23], v[38:39], v[44:45]
	v_add_f32_e32 v41, 1.0, v41
	v_sub_f32_e32 v35, v31, v35
	v_sub_u32_e32 v43, 0, v54
	v_pk_add_f32 v[36:37], v[22:23], v[38:39] neg_lo:[0,1] neg_hi:[0,1]
	v_add_f32_e32 v35, v35, v41
	v_ldexp_f32 v41, v53, v43
	v_pk_add_f32 v[36:37], v[44:45], v[36:37] neg_lo:[0,1] neg_hi:[0,1]
	v_pk_add_f32 v[44:45], v[40:41], 1.0 op_sel_hi:[1,0]
	v_pk_add_f32 v[46:47], -1.0, v[44:45] op_sel_hi:[0,1]
	v_ldexp_f32 v43, v35, v43
	v_pk_add_f32 v[46:47], v[40:41], v[46:47] neg_lo:[0,1] neg_hi:[0,1]
	v_pk_add_f32 v[46:47], v[42:43], v[46:47]
	v_cvt_f32_i32_e32 v16, v52
	v_pk_add_f32 v[48:49], v[44:45], v[46:47]
	v_pk_add_f32 v[52:53], -1.0, v[40:41] op_sel_hi:[0,1]
	v_cvt_f32_i32_e32 v17, v54
	v_rcp_f32_e32 v50, v48
	v_pk_add_f32 v[54:55], v[52:53], 1.0 op_sel_hi:[1,0]
	v_rcp_f32_e32 v51, v49
	v_pk_add_f32 v[40:41], v[40:41], v[54:55] neg_lo:[0,1] neg_hi:[0,1]
	v_pk_add_f32 v[40:41], v[42:43], v[40:41]
	v_pk_add_f32 v[42:43], v[52:53], v[40:41]
	v_pk_add_f32 v[44:45], v[48:49], v[44:45] neg_lo:[0,1] neg_hi:[0,1]
	v_pk_add_f32 v[52:53], v[42:43], v[52:53] neg_lo:[0,1] neg_hi:[0,1]
	;; [unrolled: 1-line block ×3, first 2 shown]
	v_pk_mul_f32 v[46:47], v[42:43], v[50:51]
	v_pk_add_f32 v[40:41], v[40:41], v[52:53] neg_lo:[0,1] neg_hi:[0,1]
	v_pk_mul_f32 v[52:53], v[48:49], v[46:47]
	v_pk_fma_f32 v[54:55], v[46:47], v[48:49], v[52:53] neg_lo:[0,0,1] neg_hi:[0,0,1]
	v_pk_fma_f32 v[54:55], v[46:47], v[44:45], v[54:55]
	v_pk_add_f32 v[56:57], v[52:53], v[54:55]
	v_pk_add_f32 v[58:59], v[42:43], v[56:57] neg_lo:[0,1] neg_hi:[0,1]
	v_pk_add_f32 v[42:43], v[42:43], v[58:59] neg_lo:[0,1] neg_hi:[0,1]
	;; [unrolled: 1-line block ×4, first 2 shown]
	v_pk_add_f32 v[40:41], v[40:41], v[42:43]
	v_pk_add_f32 v[42:43], v[52:53], v[54:55] neg_lo:[0,1] neg_hi:[0,1]
	v_pk_add_f32 v[40:41], v[42:43], v[40:41]
	v_pk_add_f32 v[42:43], v[58:59], v[40:41]
	v_pk_mul_f32 v[52:53], v[50:51], v[42:43]
	v_pk_mul_f32 v[54:55], v[48:49], v[52:53]
	v_pk_fma_f32 v[48:49], v[52:53], v[48:49], v[54:55] neg_lo:[0,0,1] neg_hi:[0,0,1]
	v_pk_fma_f32 v[44:45], v[52:53], v[44:45], v[48:49]
	v_pk_add_f32 v[48:49], v[58:59], v[42:43] neg_lo:[0,1] neg_hi:[0,1]
	v_pk_add_f32 v[40:41], v[40:41], v[48:49]
	v_pk_add_f32 v[48:49], v[54:55], v[44:45]
	v_pk_add_f32 v[56:57], v[42:43], v[48:49] neg_lo:[0,1] neg_hi:[0,1]
	v_pk_add_f32 v[42:43], v[42:43], v[56:57] neg_lo:[0,1] neg_hi:[0,1]
	;; [unrolled: 1-line block ×4, first 2 shown]
	v_pk_add_f32 v[40:41], v[40:41], v[42:43]
	v_pk_add_f32 v[42:43], v[54:55], v[44:45] neg_lo:[0,1] neg_hi:[0,1]
	v_pk_add_f32 v[40:41], v[42:43], v[40:41]
	v_pk_add_f32 v[42:43], v[46:47], v[52:53]
	;; [unrolled: 1-line block ×3, first 2 shown]
	v_pk_add_f32 v[44:45], v[42:43], v[46:47] neg_lo:[0,1] neg_hi:[0,1]
	v_pk_mul_f32 v[40:41], v[50:51], v[40:41]
	v_pk_add_f32 v[44:45], v[52:53], v[44:45] neg_lo:[0,1] neg_hi:[0,1]
	v_pk_add_f32 v[20:21], v[36:37], v[20:21]
	v_pk_add_f32 v[40:41], v[44:45], v[40:41]
	;; [unrolled: 1-line block ×4, first 2 shown]
	v_pk_mul_f32 v[38:39], v[36:37], v[36:37]
	v_pk_mul_f32 v[48:49], v[44:45], v[44:45]
	v_cvt_f32_i32_e32 v18, v18
	v_pk_add_f32 v[22:23], v[36:37], v[22:23] neg_lo:[0,1] neg_hi:[0,1]
	v_pk_fma_f32 v[52:53], v[48:49], s[24:25], v[6:7] op_sel_hi:[1,0,0]
	v_pk_fma_f32 v[54:55], v[38:39], s[24:25], v[6:7] op_sel_hi:[1,0,0]
	v_pk_add_f32 v[20:21], v[20:21], v[22:23] neg_lo:[0,1] neg_hi:[0,1]
	v_ldexp_f32 v22, v36, 1
	v_ldexp_f32 v23, v37, 1
	v_pk_mul_f32 v[36:37], v[36:37], v[38:39]
	v_pk_mul_f32 v[50:51], v[44:45], v[48:49]
	v_pk_fma_f32 v[38:39], v[38:39], v[54:55], s[26:27] op_sel_hi:[1,1,0]
	v_pk_fma_f32 v[48:49], v[48:49], v[52:53], s[26:27] op_sel_hi:[1,1,0]
	v_ldexp_f32 v46, v44, 1
	v_ldexp_f32 v47, v45, 1
	v_pk_mul_f32 v[48:49], v[50:51], v[48:49]
	v_pk_mul_f32 v[36:37], v[36:37], v[38:39]
	v_pk_add_f32 v[38:39], v[22:23], v[36:37]
	v_pk_add_f32 v[50:51], v[46:47], v[48:49]
	v_pk_add_f32 v[42:43], v[44:45], v[42:43] neg_lo:[0,1] neg_hi:[0,1]
	v_pk_mul_f32 v[12:13], v[18:19], s[22:23] op_sel_hi:[1,0]
	v_pk_mul_f32 v[14:15], v[16:17], s[22:23] op_sel_hi:[1,0]
	v_pk_add_f32 v[40:41], v[40:41], v[42:43] neg_lo:[0,1] neg_hi:[0,1]
	v_sub_f32_e32 v35, v50, v46
	v_sub_f32_e32 v46, v51, v47
	;; [unrolled: 1-line block ×4, first 2 shown]
	v_ldexp_f32 v20, v20, 1
	v_ldexp_f32 v21, v21, 1
	;; [unrolled: 1-line block ×3, first 2 shown]
	v_pk_fma_f32 v[42:43], v[18:19], s[22:23], v[12:13] op_sel_hi:[1,0,1] neg_lo:[0,0,1] neg_hi:[0,0,1]
	v_pk_fma_f32 v[44:45], v[16:17], s[22:23], v[14:15] op_sel_hi:[1,0,1] neg_lo:[0,0,1] neg_hi:[0,0,1]
	v_ldexp_f32 v41, v41, 1
	v_sub_f32_e32 v23, v37, v23
	v_sub_f32_e32 v22, v36, v22
	;; [unrolled: 1-line block ×4, first 2 shown]
	v_pk_fma_f32 v[16:17], v[16:17], s[28:29], v[44:45] op_sel_hi:[1,0,1]
	v_pk_fma_f32 v[18:19], v[18:19], s[28:29], v[42:43] op_sel_hi:[1,0,1]
	v_pk_add_f32 v[36:37], v[40:41], v[36:37]
	v_pk_add_f32 v[20:21], v[20:21], v[22:23]
	;; [unrolled: 1-line block ×8, first 2 shown]
	v_sub_f32_e32 v35, v48, v42
	v_sub_f32_e32 v57, v46, v44
	;; [unrolled: 1-line block ×32, first 2 shown]
	v_pk_add_f32 v[22:23], v[16:17], v[12:13]
	v_pk_add_f32 v[38:39], v[52:53], v[56:57]
	v_sub_f32_e32 v17, v39, v53
	v_sub_f32_e32 v35, v22, v12
	v_pk_add_f32 v[20:21], v[18:19], v[14:15]
	v_sub_f32_e32 v44, v22, v35
	v_sub_f32_e32 v13, v39, v17
	;; [unrolled: 1-line block ×10, first 2 shown]
	v_pk_add_f32 v[12:13], v[16:17], v[12:13]
	v_pk_add_f32 v[16:17], v[38:39], v[22:23]
	;; [unrolled: 1-line block ×3, first 2 shown]
	v_sub_f32_e32 v15, v15, v43
	v_sub_f32_e32 v14, v14, v42
	;; [unrolled: 1-line block ×4, first 2 shown]
	v_pk_add_f32 v[22:23], v[46:47], v[16:17]
	v_pk_add_f32 v[14:15], v[18:19], v[14:15]
	;; [unrolled: 1-line block ×3, first 2 shown]
	v_sub_f32_e32 v35, v22, v46
	v_sub_f32_e32 v36, v23, v47
	v_pk_add_f32 v[20:21], v[48:49], v[18:19]
	v_sub_f32_e32 v17, v17, v36
	v_sub_f32_e32 v16, v16, v35
	;; [unrolled: 1-line block ×4, first 2 shown]
	v_pk_add_f32 v[12:13], v[12:13], v[16:17]
	v_sub_f32_e32 v19, v19, v38
	v_sub_f32_e32 v18, v18, v37
	v_pk_add_f32 v[12:13], v[22:23], v[12:13]
	v_pk_add_f32 v[14:15], v[14:15], v[18:19]
	v_cvt_f16_f32_e32 v12, v12
	v_pk_add_f32 v[14:15], v[20:21], v[14:15]
	v_cvt_f16_f32_e32 v13, v13
	v_cvt_f16_f32_e32 v14, v14
	v_cmp_eq_f16_e32 vcc, s29, v11
	v_cvt_f16_f32_e32 v15, v15
	v_cmp_eq_f16_e64 s[0:1], s29, v29
	v_cndmask_b32_e32 v12, v12, v11, vcc
	v_cmp_ngt_f16_e32 vcc, -1.0, v11
	v_cmp_eq_f16_e64 s[2:3], s29, v10
	v_cndmask_b32_e64 v13, v13, v29, s[0:1]
	v_cndmask_b32_e32 v12, v25, v12, vcc
	v_cmp_ngt_f16_e32 vcc, -1.0, v29
	v_cmp_eq_f16_e64 s[6:7], s29, v30
	v_cndmask_b32_e64 v14, v14, v10, s[2:3]
	v_cndmask_b32_e32 v13, v25, v13, vcc
	v_cmp_ngt_f16_e32 vcc, -1.0, v10
	v_cndmask_b32_e64 v15, v15, v30, s[6:7]
	v_cndmask_b32_e32 v14, v25, v14, vcc
	v_cmp_ngt_f16_e32 vcc, -1.0, v30
	v_cndmask_b32_e32 v15, v25, v15, vcc
	v_cmp_neq_f16_e64 s[8:9], -1.0, v30
	v_cndmask_b32_e64 v15, v26, v15, s[8:9]
	v_cmp_neq_f16_e64 s[8:9], -1.0, v10
	v_cndmask_b32_e64 v14, v26, v14, s[8:9]
	;; [unrolled: 2-line block ×3, first 2 shown]
	v_cmp_neq_f16_e64 s[8:9], -1.0, v11
	v_cmp_lt_f32_e64 s[2:3], |v31|, s33
	v_cmp_lt_f32_e64 s[6:7], |v32|, s33
	v_cndmask_b32_e64 v12, v26, v12, s[8:9]
	v_cmp_lt_f32_e64 vcc, |v33|, s33
	v_cmp_lt_f32_e64 s[0:1], |v34|, s33
	v_cndmask_b32_e64 v11, v12, v11, s[6:7]
	v_cndmask_b32_e64 v12, v13, v29, s[2:3]
	v_perm_b32 v11, v12, v11, s34
	v_cndmask_b32_e64 v10, v14, v10, s[0:1]
	v_cndmask_b32_e32 v12, v15, v30, vcc
	v_cmp_le_i64_e32 vcc, s[12:13], v[2:3]
	v_cmp_lt_u64_e64 s[0:1], s[30:31], v[2:3]
	s_or_b64 s[0:1], vcc, s[0:1]
	v_add_co_u32_e32 v4, vcc, s23, v4
	v_addc_co_u32_e32 v1, vcc, v1, v27, vcc
	v_add_co_u32_e32 v2, vcc, s25, v2
	s_and_b64 s[0:1], exec, s[0:1]
	v_perm_b32 v10, v12, v10, s34
	v_addc_co_u32_e32 v3, vcc, v3, v28, vcc
	s_or_b64 s[20:21], s[0:1], s[20:21]
	global_store_dwordx2 v[8:9], v[10:11], off
	s_andn2_b64 exec, exec, s[20:21]
	s_cbranch_execnz .LBB206_3
.LBB206_4:
	s_or_b64 exec, exec, s[18:19]
	s_mov_b64 s[2:3], 0
.LBB206_5:
	s_andn2_b64 vcc, exec, s[2:3]
	s_cbranch_vccnz .LBB206_25
; %bb.6:
	v_cmp_lt_i64_e64 s[0:1], s[12:13], 1
	s_and_b64 vcc, exec, s[0:1]
	s_cbranch_vccnz .LBB206_25
; %bb.7:
	s_load_dword s0, s[4:5], 0xc5c
	v_mov_b32_e32 v2, 0x10000
	v_mov_b32_e32 v3, 0
	v_cmp_lt_u64_e32 vcc, s[12:13], v[2:3]
	v_lshlrev_b32_e32 v10, 1, v0
	s_waitcnt lgkmcnt(0)
	s_and_b32 s2, s0, 0xffff
	s_and_b64 s[0:1], vcc, exec
	v_mov_b32_e32 v13, s17
	v_add_co_u32_e32 v2, vcc, s16, v10
	v_addc_co_u32_e32 v1, vcc, 0, v13, vcc
	v_mov_b32_e32 v11, 0
	v_mov_b32_e32 v15, s15
	v_add_co_u32_e32 v4, vcc, s14, v10
	v_addc_co_u32_e32 v3, vcc, 0, v15, vcc
	v_mad_u64_u32 v[8:9], s[0:1], s2, 6, v[10:11]
	v_add_co_u32_e32 v6, vcc, s16, v8
	v_addc_co_u32_e32 v5, vcc, v13, v9, vcc
	v_add_co_u32_e32 v8, vcc, s14, v8
	s_mul_i32 s4, s2, 3
	v_addc_co_u32_e32 v7, vcc, v15, v9, vcc
	s_cselect_b32 s9, s13, 0
	s_cselect_b32 s8, s12, 0x10000
	s_lshl_b32 s19, s2, 2
	v_add_co_u32_e32 v17, vcc, s4, v0
	v_addc_co_u32_e64 v20, s[0:1], 0, 0, vcc
	v_add_co_u32_e32 v11, vcc, s19, v10
	v_addc_co_u32_e64 v14, s[0:1], 0, 0, vcc
	v_add_co_u32_e32 v10, vcc, s16, v11
	v_addc_co_u32_e32 v9, vcc, v13, v14, vcc
	v_add_co_u32_e32 v12, vcc, s14, v11
	s_lshl_b32 s3, s2, 1
	v_addc_co_u32_e32 v11, vcc, v15, v14, vcc
	v_add_co_u32_e32 v21, vcc, s3, v0
	v_addc_co_u32_e64 v22, s[0:1], 0, 0, vcc
	v_add_co_u32_e32 v23, vcc, s2, v0
	v_lshlrev_b32_e32 v16, 1, v23
	v_addc_co_u32_e64 v24, s[0:1], 0, 0, vcc
	v_add_co_u32_e32 v14, vcc, s16, v16
	v_addc_co_u32_e32 v13, vcc, 0, v13, vcc
	v_add_co_u32_e32 v16, vcc, s14, v16
	s_mov_b32 s18, 0
	s_lshl_b32 s20, s2, 3
	v_addc_co_u32_e32 v15, vcc, 0, v15, vcc
	s_mov_b64 s[14:15], 0
	s_mov_b32 s21, 0x33800000
	s_movk_i32 s22, 0x7c00
	s_mov_b32 s23, 0x3f2aaaab
	v_mov_b32_e32 v25, 0x3f2aaada
	s_mov_b32 s24, 0x3f317218
	v_mov_b32_e32 v18, 0x3f317218
	v_mov_b32_e32 v26, 0x7e00
	;; [unrolled: 1-line block ×3, first 2 shown]
	s_branch .LBB206_9
.LBB206_8:                              ;   in Loop: Header=BB206_9 Depth=1
	s_or_b64 exec, exec, s[0:1]
	s_add_u32 s14, s14, s19
	s_addc_u32 s15, s15, 0
	s_waitcnt vmcnt(0)
	v_pk_mov_b32 v[28:29], s[12:13], s[12:13] op_sel:[0,1]
	v_cmp_ge_i64_e32 vcc, s[14:15], v[28:29]
	v_mov_b32_e32 v28, 0xffff
	v_mov_b32_e32 v29, 0
	v_cmp_gt_u64_e64 s[0:1], s[14:15], v[28:29]
	s_or_b64 s[0:1], vcc, s[0:1]
	v_mov_b32_e32 v19, s18
	v_add_co_u32_e32 v2, vcc, s20, v2
	v_addc_co_u32_e32 v1, vcc, v1, v19, vcc
	v_add_co_u32_e32 v4, vcc, s20, v4
	v_addc_co_u32_e32 v3, vcc, v3, v19, vcc
	;; [unrolled: 2-line block ×8, first 2 shown]
	s_and_b64 vcc, exec, s[0:1]
	s_cbranch_vccnz .LBB206_25
.LBB206_9:                              ; =>This Inner Loop Header: Depth=1
	v_mov_b32_e32 v19, s15
	v_add_co_u32_e32 v28, vcc, s14, v0
	v_addc_co_u32_e32 v29, vcc, 0, v19, vcc
	v_cmp_gt_u64_e64 s[4:5], s[8:9], v[28:29]
	v_mov_b32_e32 v31, 0
	s_and_saveexec_b64 s[0:1], s[4:5]
	s_cbranch_execz .LBB206_11
; %bb.10:                               ;   in Loop: Header=BB206_9 Depth=1
	v_mov_b32_e32 v19, s11
	v_add_co_u32_e32 v28, vcc, s10, v2
	v_addc_co_u32_e32 v29, vcc, v1, v19, vcc
	global_load_ushort v31, v[28:29], off
.LBB206_11:                             ;   in Loop: Header=BB206_9 Depth=1
	s_or_b64 exec, exec, s[0:1]
	v_mov_b32_e32 v19, s15
	v_add_co_u32_e32 v28, vcc, s14, v23
	v_addc_co_u32_e32 v29, vcc, v24, v19, vcc
	v_cmp_gt_u64_e64 s[2:3], s[8:9], v[28:29]
	v_mov_b32_e32 v30, 0
	s_and_saveexec_b64 s[0:1], s[2:3]
	s_cbranch_execz .LBB206_13
; %bb.12:                               ;   in Loop: Header=BB206_9 Depth=1
	v_mov_b32_e32 v19, s11
	v_add_co_u32_e32 v28, vcc, s10, v14
	v_addc_co_u32_e32 v29, vcc, v13, v19, vcc
	global_load_ushort v30, v[28:29], off
.LBB206_13:                             ;   in Loop: Header=BB206_9 Depth=1
	s_or_b64 exec, exec, s[0:1]
	v_mov_b32_e32 v19, s15
	v_add_co_u32_e32 v28, vcc, s14, v21
	v_addc_co_u32_e32 v29, vcc, v22, v19, vcc
	v_cmp_gt_u64_e64 s[0:1], s[8:9], v[28:29]
	v_mov_b32_e32 v28, 0
	v_mov_b32_e32 v29, 0
	s_and_saveexec_b64 s[6:7], s[0:1]
	s_cbranch_execz .LBB206_15
; %bb.14:                               ;   in Loop: Header=BB206_9 Depth=1
	v_mov_b32_e32 v19, s11
	v_add_co_u32_e32 v32, vcc, s10, v10
	v_addc_co_u32_e32 v33, vcc, v9, v19, vcc
	global_load_ushort v29, v[32:33], off
.LBB206_15:                             ;   in Loop: Header=BB206_9 Depth=1
	s_or_b64 exec, exec, s[6:7]
	v_mov_b32_e32 v19, s15
	v_add_co_u32_e32 v32, vcc, s14, v17
	v_addc_co_u32_e32 v33, vcc, v20, v19, vcc
	v_cmp_gt_u64_e32 vcc, s[8:9], v[32:33]
	s_and_saveexec_b64 s[16:17], vcc
	s_cbranch_execnz .LBB206_20
; %bb.16:                               ;   in Loop: Header=BB206_9 Depth=1
	s_or_b64 exec, exec, s[16:17]
	s_and_saveexec_b64 s[6:7], s[4:5]
	s_cbranch_execnz .LBB206_21
.LBB206_17:                             ;   in Loop: Header=BB206_9 Depth=1
	s_or_b64 exec, exec, s[6:7]
	s_and_saveexec_b64 s[4:5], s[2:3]
	s_cbranch_execnz .LBB206_22
.LBB206_18:                             ;   in Loop: Header=BB206_9 Depth=1
	s_or_b64 exec, exec, s[4:5]
	s_and_saveexec_b64 s[2:3], s[0:1]
	s_cbranch_execnz .LBB206_23
.LBB206_19:                             ;   in Loop: Header=BB206_9 Depth=1
	s_or_b64 exec, exec, s[2:3]
	s_and_saveexec_b64 s[0:1], vcc
	s_cbranch_execz .LBB206_8
	s_branch .LBB206_24
.LBB206_20:                             ;   in Loop: Header=BB206_9 Depth=1
	v_mov_b32_e32 v19, s11
	v_add_co_u32_e64 v32, s[6:7], s10, v6
	v_addc_co_u32_e64 v33, s[6:7], v5, v19, s[6:7]
	global_load_ushort v28, v[32:33], off
	s_or_b64 exec, exec, s[16:17]
	s_and_saveexec_b64 s[6:7], s[4:5]
	s_cbranch_execz .LBB206_17
.LBB206_21:                             ;   in Loop: Header=BB206_9 Depth=1
	s_waitcnt vmcnt(0)
	v_cvt_f32_f16_e32 v48, v31
	v_add_f32_e32 v19, 1.0, v48
	v_cvt_f64_f32_e32 v[32:33], v19
	v_frexp_mant_f32_e32 v34, v19
	v_frexp_exp_i32_f64_e32 v32, v[32:33]
	v_cmp_gt_f32_e64 s[4:5], s23, v34
	v_subbrev_co_u32_e64 v33, s[4:5], 0, v32, s[4:5]
	v_cvt_f32_i32_e32 v32, v33
	v_sub_u32_e32 v33, 0, v33
	v_add_f32_e32 v35, -1.0, v19
	v_ldexp_f32 v34, v19, v33
	v_sub_f32_e32 v19, v35, v19
	v_sub_f32_e32 v36, v48, v35
	v_add_f32_e32 v19, 1.0, v19
	v_add_f32_e32 v39, -1.0, v34
	v_add_f32_e32 v19, v36, v19
	v_add_f32_e32 v35, 1.0, v34
	v_ldexp_f32 v19, v19, v33
	v_add_f32_e32 v33, 1.0, v39
	v_add_f32_e32 v36, -1.0, v35
	v_sub_f32_e32 v33, v34, v33
	v_sub_f32_e32 v34, v34, v36
	v_add_f32_e32 v33, v19, v33
	v_add_f32_e32 v19, v19, v34
	;; [unrolled: 1-line block ×3, first 2 shown]
	v_rcp_f32_e32 v43, v42
	v_sub_f32_e32 v34, v42, v35
	v_add_f32_e32 v35, v39, v33
	v_sub_f32_e32 v19, v19, v34
	v_mul_f32_e32 v44, v35, v43
	v_mul_f32_e32 v36, v42, v44
	v_fma_f32 v38, v44, v42, -v36
	v_fmac_f32_e32 v38, v44, v19
	v_add_f32_e32 v34, v36, v38
	v_sub_f32_e32 v37, v35, v34
	v_sub_f32_e32 v39, v35, v39
	;; [unrolled: 1-line block ×3, first 2 shown]
	v_pk_add_f32 v[40:41], v[34:35], v[36:37] neg_lo:[0,1] neg_hi:[0,1]
	v_mov_b32_e32 v39, v34
	v_pk_add_f32 v[34:35], v[40:41], v[38:39] neg_lo:[0,1] neg_hi:[0,1]
	v_add_f32_e32 v33, v33, v35
	v_add_f32_e32 v33, v34, v33
	;; [unrolled: 1-line block ×3, first 2 shown]
	v_mul_f32_e32 v34, v43, v35
	v_add_f32_e32 v45, v44, v34
	v_sub_f32_e32 v36, v45, v44
	v_mul_f32_e32 v38, v42, v34
	v_sub_f32_e32 v44, v34, v36
	v_fma_f32 v36, v34, v42, -v38
	v_fmac_f32_e32 v36, v34, v19
	v_add_f32_e32 v34, v38, v36
	v_sub_f32_e32 v39, v35, v34
	v_sub_f32_e32 v19, v37, v35
	v_pk_add_f32 v[40:41], v[34:35], v[38:39] neg_lo:[0,1] neg_hi:[0,1]
	v_mov_b32_e32 v37, v34
	v_add_f32_e32 v19, v33, v19
	v_pk_add_f32 v[34:35], v[40:41], v[36:37] neg_lo:[0,1] neg_hi:[0,1]
	v_add_f32_e32 v19, v19, v35
	v_add_f32_e32 v19, v34, v19
	;; [unrolled: 1-line block ×3, first 2 shown]
	v_mul_f32_e32 v19, v43, v19
	v_add_f32_e32 v34, v44, v19
	v_add_f32_e32 v36, v45, v34
	v_mul_f32_e32 v19, v36, v36
	v_mov_b32_e32 v37, 0x3ecc95a3
	v_fmac_f32_e32 v37, 0x3e9b6dac, v19
	v_ldexp_f32 v35, v36, 1
	v_mul_f32_e32 v33, v36, v19
	v_fma_f32 v19, v19, v37, v25
	v_sub_f32_e32 v36, v36, v45
	v_sub_f32_e32 v34, v34, v36
	v_pk_mul_f32 v[36:37], v[32:33], v[18:19]
	v_ldexp_f32 v38, v34, 1
	v_fma_f32 v34, v32, s24, -v36
	v_fmac_f32_e32 v34, 0xb102e308, v32
	v_pk_add_f32 v[32:33], v[36:37], v[34:35]
	v_sub_f32_e32 v19, v33, v35
	v_sub_f32_e32 v19, v37, v19
	v_add_f32_e32 v39, v38, v19
	v_mov_b32_e32 v38, v36
	v_pk_add_f32 v[36:37], v[32:33], v[36:37] neg_lo:[0,1] neg_hi:[0,1]
	v_pk_add_f32 v[40:41], v[32:33], v[38:39]
	v_mov_b32_e32 v37, v41
	v_mov_b32_e32 v35, v32
	v_pk_add_f32 v[42:43], v[34:35], v[36:37] neg_lo:[0,1] neg_hi:[0,1]
	v_pk_add_f32 v[34:35], v[34:35], v[36:37]
	v_mov_b32_e32 v36, v35
	v_pk_add_f32 v[44:45], v[36:37], v[32:33] neg_lo:[0,1] neg_hi:[0,1]
	v_mov_b32_e32 v19, v44
	v_pk_add_f32 v[46:47], v[40:41], v[18:19] neg_lo:[0,1] neg_hi:[0,1]
	v_mov_b32_e32 v34, v41
	v_mov_b32_e32 v40, v33
	;; [unrolled: 1-line block ×4, first 2 shown]
	v_pk_add_f32 v[34:35], v[34:35], v[40:41] neg_lo:[0,1] neg_hi:[0,1]
	v_mov_b32_e32 v38, v39
	v_mov_b32_e32 v39, v32
	v_pk_add_f32 v[32:33], v[38:39], v[34:35] neg_lo:[0,1] neg_hi:[0,1]
	v_mov_b32_e32 v46, v42
	v_pk_add_f32 v[34:35], v[46:47], v[32:33]
	v_mov_b32_e32 v38, v35
	v_pk_add_f32 v[38:39], v[34:35], v[38:39]
	v_pk_add_f32 v[36:37], v[36:37], v[38:39]
	v_mov_b32_e32 v35, v36
	v_pk_add_f32 v[40:41], v[34:35], v[42:43] neg_lo:[0,1] neg_hi:[0,1]
	v_mov_b32_e32 v33, v38
	v_sub_f32_e32 v19, v34, v40
	v_pk_add_f32 v[32:33], v[32:33], v[40:41] neg_lo:[0,1] neg_hi:[0,1]
	v_sub_f32_e32 v19, v42, v19
	v_add_f32_e32 v19, v32, v19
	v_add_f32_e32 v19, v19, v33
	;; [unrolled: 1-line block ×3, first 2 shown]
	v_cvt_f16_f32_e32 v19, v19
	v_cmp_eq_f16_e64 s[4:5], s22, v31
	v_cndmask_b32_e64 v19, v19, v31, s[4:5]
	v_cmp_ngt_f16_e64 s[4:5], -1.0, v31
	v_cndmask_b32_e64 v19, v26, v19, s[4:5]
	v_cmp_neq_f16_e64 s[4:5], -1.0, v31
	v_cndmask_b32_e64 v19, v27, v19, s[4:5]
	v_cmp_lt_f32_e64 s[4:5], |v48|, s21
	v_cndmask_b32_e64 v19, v19, v31, s[4:5]
	v_mov_b32_e32 v31, s11
	v_add_co_u32_e64 v32, s[4:5], s10, v4
	v_addc_co_u32_e64 v33, s[4:5], v3, v31, s[4:5]
	global_store_short v[32:33], v19, off
	s_or_b64 exec, exec, s[6:7]
	s_and_saveexec_b64 s[4:5], s[2:3]
	s_cbranch_execz .LBB206_18
.LBB206_22:                             ;   in Loop: Header=BB206_9 Depth=1
	s_waitcnt vmcnt(0)
	v_cvt_f32_f16_e32 v19, v30
	v_add_f32_e32 v31, 1.0, v19
	v_frexp_mant_f32_e32 v35, v31
	v_cvt_f64_f32_e32 v[32:33], v31
	v_add_f32_e32 v34, -1.0, v31
	v_frexp_exp_i32_f64_e32 v32, v[32:33]
	v_cmp_gt_f32_e64 s[2:3], s23, v35
	v_sub_f32_e32 v36, v34, v31
	v_subbrev_co_u32_e64 v32, s[2:3], 0, v32, s[2:3]
	v_sub_f32_e32 v34, v19, v34
	v_add_f32_e32 v36, 1.0, v36
	v_sub_u32_e32 v33, 0, v32
	v_add_f32_e32 v34, v34, v36
	v_ldexp_f32 v31, v31, v33
	v_ldexp_f32 v33, v34, v33
	v_add_f32_e32 v34, -1.0, v31
	v_add_f32_e32 v37, 1.0, v31
	v_add_f32_e32 v35, 1.0, v34
	v_add_f32_e32 v38, -1.0, v37
	v_sub_f32_e32 v35, v31, v35
	v_sub_f32_e32 v31, v31, v38
	v_add_f32_e32 v31, v33, v31
	v_add_f32_e32 v35, v33, v35
	;; [unrolled: 1-line block ×3, first 2 shown]
	v_rcp_f32_e32 v38, v33
	v_add_f32_e32 v36, v34, v35
	v_sub_f32_e32 v34, v36, v34
	v_sub_f32_e32 v34, v35, v34
	;; [unrolled: 1-line block ×4, first 2 shown]
	v_mul_f32_e32 v35, v36, v38
	v_mul_f32_e32 v37, v33, v35
	v_fma_f32 v39, v35, v33, -v37
	v_fmac_f32_e32 v39, v35, v31
	v_add_f32_e32 v40, v37, v39
	v_sub_f32_e32 v41, v36, v40
	v_sub_f32_e32 v36, v36, v41
	v_sub_f32_e32 v37, v40, v37
	v_sub_f32_e32 v36, v36, v40
	v_add_f32_e32 v34, v34, v36
	v_sub_f32_e32 v36, v37, v39
	v_add_f32_e32 v34, v36, v34
	v_add_f32_e32 v36, v41, v34
	v_mul_f32_e32 v37, v38, v36
	v_mul_f32_e32 v39, v33, v37
	v_fma_f32 v33, v37, v33, -v39
	v_fmac_f32_e32 v33, v37, v31
	v_sub_f32_e32 v31, v41, v36
	v_add_f32_e32 v31, v34, v31
	v_add_f32_e32 v34, v39, v33
	v_sub_f32_e32 v40, v36, v34
	v_sub_f32_e32 v36, v36, v40
	;; [unrolled: 1-line block ×4, first 2 shown]
	v_add_f32_e32 v31, v31, v34
	v_sub_f32_e32 v33, v39, v33
	v_cvt_f32_i32_e32 v32, v32
	v_add_f32_e32 v31, v33, v31
	v_add_f32_e32 v33, v35, v37
	;; [unrolled: 1-line block ×3, first 2 shown]
	v_sub_f32_e32 v34, v33, v35
	v_mul_f32_e32 v31, v38, v31
	v_sub_f32_e32 v34, v37, v34
	v_add_f32_e32 v31, v34, v31
	v_mul_f32_e32 v37, 0x3f317218, v32
	v_add_f32_e32 v34, v33, v31
	v_fma_f32 v38, v32, s24, -v37
	v_mul_f32_e32 v35, v34, v34
	v_mov_b32_e32 v36, 0x3ecc95a3
	v_fmac_f32_e32 v38, 0xb102e308, v32
	v_sub_f32_e32 v32, v34, v33
	v_fmac_f32_e32 v36, 0x3e9b6dac, v35
	v_sub_f32_e32 v31, v31, v32
	v_add_f32_e32 v32, v37, v38
	v_fma_f32 v36, v35, v36, v25
	v_sub_f32_e32 v33, v32, v37
	v_ldexp_f32 v37, v34, 1
	v_mul_f32_e32 v34, v34, v35
	v_mul_f32_e32 v34, v34, v36
	v_add_f32_e32 v35, v37, v34
	v_sub_f32_e32 v36, v35, v37
	v_ldexp_f32 v31, v31, 1
	v_sub_f32_e32 v34, v34, v36
	v_add_f32_e32 v31, v31, v34
	v_add_f32_e32 v34, v35, v31
	v_sub_f32_e32 v35, v34, v35
	v_sub_f32_e32 v31, v31, v35
	v_add_f32_e32 v35, v32, v34
	v_sub_f32_e32 v36, v35, v32
	v_sub_f32_e32 v37, v35, v36
	;; [unrolled: 1-line block ×5, first 2 shown]
	v_add_f32_e32 v32, v34, v32
	v_add_f32_e32 v34, v33, v31
	v_sub_f32_e32 v36, v34, v33
	v_sub_f32_e32 v37, v34, v36
	;; [unrolled: 1-line block ×4, first 2 shown]
	v_add_f32_e32 v32, v34, v32
	v_add_f32_e32 v31, v31, v33
	;; [unrolled: 1-line block ×3, first 2 shown]
	v_sub_f32_e32 v34, v33, v35
	v_sub_f32_e32 v32, v32, v34
	v_add_f32_e32 v31, v31, v32
	v_add_f32_e32 v31, v33, v31
	v_cvt_f16_f32_e32 v31, v31
	v_cmp_eq_f16_e64 s[2:3], s22, v30
	v_cndmask_b32_e64 v31, v31, v30, s[2:3]
	v_cmp_ngt_f16_e64 s[2:3], -1.0, v30
	v_cndmask_b32_e64 v31, v26, v31, s[2:3]
	v_cmp_neq_f16_e64 s[2:3], -1.0, v30
	v_cndmask_b32_e64 v31, v27, v31, s[2:3]
	v_cmp_lt_f32_e64 s[2:3], |v19|, s21
	v_cndmask_b32_e64 v19, v31, v30, s[2:3]
	v_mov_b32_e32 v31, s11
	v_add_co_u32_e64 v30, s[2:3], s10, v16
	v_addc_co_u32_e64 v31, s[2:3], v15, v31, s[2:3]
	global_store_short v[30:31], v19, off
	s_or_b64 exec, exec, s[4:5]
	s_and_saveexec_b64 s[2:3], s[0:1]
	s_cbranch_execz .LBB206_19
.LBB206_23:                             ;   in Loop: Header=BB206_9 Depth=1
	s_waitcnt vmcnt(0)
	v_cvt_f32_f16_e32 v19, v29
	v_add_f32_e32 v32, 1.0, v19
	v_frexp_mant_f32_e32 v34, v32
	v_cvt_f64_f32_e32 v[30:31], v32
	v_add_f32_e32 v33, -1.0, v32
	v_frexp_exp_i32_f64_e32 v30, v[30:31]
	v_cmp_gt_f32_e64 s[0:1], s23, v34
	v_sub_f32_e32 v35, v33, v32
	v_subbrev_co_u32_e64 v30, s[0:1], 0, v30, s[0:1]
	v_sub_f32_e32 v33, v19, v33
	v_add_f32_e32 v35, 1.0, v35
	v_sub_u32_e32 v31, 0, v30
	v_add_f32_e32 v33, v33, v35
	v_ldexp_f32 v32, v32, v31
	v_ldexp_f32 v31, v33, v31
	v_add_f32_e32 v33, -1.0, v32
	v_add_f32_e32 v36, 1.0, v32
	v_add_f32_e32 v34, 1.0, v33
	v_add_f32_e32 v37, -1.0, v36
	v_sub_f32_e32 v34, v32, v34
	v_sub_f32_e32 v32, v32, v37
	v_add_f32_e32 v34, v31, v34
	v_add_f32_e32 v31, v31, v32
	v_add_f32_e32 v32, v36, v31
	v_rcp_f32_e32 v37, v32
	v_add_f32_e32 v35, v33, v34
	v_sub_f32_e32 v33, v35, v33
	v_sub_f32_e32 v33, v34, v33
	v_sub_f32_e32 v34, v32, v36
	v_sub_f32_e32 v31, v31, v34
	v_mul_f32_e32 v34, v35, v37
	v_mul_f32_e32 v36, v32, v34
	v_fma_f32 v38, v34, v32, -v36
	v_fmac_f32_e32 v38, v34, v31
	v_add_f32_e32 v39, v36, v38
	v_sub_f32_e32 v40, v35, v39
	v_sub_f32_e32 v35, v35, v40
	;; [unrolled: 1-line block ×4, first 2 shown]
	v_add_f32_e32 v33, v33, v35
	v_sub_f32_e32 v35, v36, v38
	v_add_f32_e32 v33, v35, v33
	v_add_f32_e32 v35, v40, v33
	v_mul_f32_e32 v36, v37, v35
	v_mul_f32_e32 v38, v32, v36
	v_fma_f32 v32, v36, v32, -v38
	v_fmac_f32_e32 v32, v36, v31
	v_sub_f32_e32 v31, v40, v35
	v_add_f32_e32 v31, v33, v31
	v_add_f32_e32 v33, v38, v32
	v_sub_f32_e32 v39, v35, v33
	v_sub_f32_e32 v35, v35, v39
	;; [unrolled: 1-line block ×4, first 2 shown]
	v_add_f32_e32 v31, v31, v33
	v_sub_f32_e32 v32, v38, v32
	v_cvt_f32_i32_e32 v30, v30
	v_add_f32_e32 v31, v32, v31
	v_add_f32_e32 v32, v34, v36
	;; [unrolled: 1-line block ×3, first 2 shown]
	v_sub_f32_e32 v33, v32, v34
	v_mul_f32_e32 v31, v37, v31
	v_sub_f32_e32 v33, v36, v33
	v_add_f32_e32 v31, v33, v31
	v_mul_f32_e32 v36, 0x3f317218, v30
	v_add_f32_e32 v33, v32, v31
	v_fma_f32 v37, v30, s24, -v36
	v_mul_f32_e32 v34, v33, v33
	v_mov_b32_e32 v35, 0x3ecc95a3
	v_fmac_f32_e32 v37, 0xb102e308, v30
	v_sub_f32_e32 v30, v33, v32
	v_fmac_f32_e32 v35, 0x3e9b6dac, v34
	v_sub_f32_e32 v30, v31, v30
	v_add_f32_e32 v31, v36, v37
	v_fma_f32 v35, v34, v35, v25
	v_sub_f32_e32 v32, v31, v36
	v_ldexp_f32 v36, v33, 1
	v_mul_f32_e32 v33, v33, v34
	v_mul_f32_e32 v33, v33, v35
	v_add_f32_e32 v34, v36, v33
	v_sub_f32_e32 v35, v34, v36
	v_ldexp_f32 v30, v30, 1
	v_sub_f32_e32 v33, v33, v35
	v_add_f32_e32 v30, v30, v33
	v_add_f32_e32 v33, v34, v30
	v_sub_f32_e32 v34, v33, v34
	v_sub_f32_e32 v30, v30, v34
	v_add_f32_e32 v34, v31, v33
	v_sub_f32_e32 v35, v34, v31
	v_sub_f32_e32 v36, v34, v35
	;; [unrolled: 1-line block ×5, first 2 shown]
	v_add_f32_e32 v31, v33, v31
	v_add_f32_e32 v33, v32, v30
	v_sub_f32_e32 v35, v33, v32
	v_sub_f32_e32 v36, v33, v35
	;; [unrolled: 1-line block ×4, first 2 shown]
	v_add_f32_e32 v31, v33, v31
	v_add_f32_e32 v30, v30, v32
	;; [unrolled: 1-line block ×3, first 2 shown]
	v_sub_f32_e32 v33, v32, v34
	v_sub_f32_e32 v31, v31, v33
	v_add_f32_e32 v30, v30, v31
	v_add_f32_e32 v30, v32, v30
	v_cvt_f16_f32_e32 v30, v30
	v_cmp_eq_f16_e64 s[0:1], s22, v29
	v_cndmask_b32_e64 v30, v30, v29, s[0:1]
	v_cmp_ngt_f16_e64 s[0:1], -1.0, v29
	v_cndmask_b32_e64 v30, v26, v30, s[0:1]
	v_cmp_neq_f16_e64 s[0:1], -1.0, v29
	v_cndmask_b32_e64 v30, v27, v30, s[0:1]
	v_cmp_lt_f32_e64 s[0:1], |v19|, s21
	v_cndmask_b32_e64 v19, v30, v29, s[0:1]
	v_mov_b32_e32 v29, s11
	v_add_co_u32_e64 v30, s[0:1], s10, v12
	v_addc_co_u32_e64 v31, s[0:1], v11, v29, s[0:1]
	global_store_short v[30:31], v19, off
	s_or_b64 exec, exec, s[2:3]
	s_and_saveexec_b64 s[0:1], vcc
	s_cbranch_execz .LBB206_8
.LBB206_24:                             ;   in Loop: Header=BB206_9 Depth=1
	s_waitcnt vmcnt(0)
	v_cvt_f32_f16_e32 v19, v28
	v_add_f32_e32 v29, 1.0, v19
	v_frexp_mant_f32_e32 v33, v29
	v_cvt_f64_f32_e32 v[30:31], v29
	v_add_f32_e32 v32, -1.0, v29
	v_frexp_exp_i32_f64_e32 v30, v[30:31]
	v_cmp_gt_f32_e32 vcc, s23, v33
	v_sub_f32_e32 v34, v32, v29
	v_subbrev_co_u32_e32 v30, vcc, 0, v30, vcc
	v_sub_f32_e32 v32, v19, v32
	v_add_f32_e32 v34, 1.0, v34
	v_sub_u32_e32 v31, 0, v30
	v_add_f32_e32 v32, v32, v34
	v_ldexp_f32 v29, v29, v31
	v_ldexp_f32 v31, v32, v31
	v_add_f32_e32 v32, -1.0, v29
	v_add_f32_e32 v35, 1.0, v29
	v_add_f32_e32 v33, 1.0, v32
	v_add_f32_e32 v36, -1.0, v35
	v_sub_f32_e32 v33, v29, v33
	v_sub_f32_e32 v29, v29, v36
	v_add_f32_e32 v29, v31, v29
	v_add_f32_e32 v33, v31, v33
	;; [unrolled: 1-line block ×3, first 2 shown]
	v_rcp_f32_e32 v36, v31
	v_add_f32_e32 v34, v32, v33
	v_sub_f32_e32 v32, v34, v32
	v_sub_f32_e32 v32, v33, v32
	;; [unrolled: 1-line block ×4, first 2 shown]
	v_mul_f32_e32 v33, v34, v36
	v_mul_f32_e32 v35, v31, v33
	v_fma_f32 v37, v33, v31, -v35
	v_fmac_f32_e32 v37, v33, v29
	v_add_f32_e32 v38, v35, v37
	v_sub_f32_e32 v39, v34, v38
	v_sub_f32_e32 v34, v34, v39
	;; [unrolled: 1-line block ×4, first 2 shown]
	v_add_f32_e32 v32, v32, v34
	v_sub_f32_e32 v34, v35, v37
	v_add_f32_e32 v32, v34, v32
	v_add_f32_e32 v34, v39, v32
	v_mul_f32_e32 v35, v36, v34
	v_mul_f32_e32 v37, v31, v35
	v_fma_f32 v31, v35, v31, -v37
	v_fmac_f32_e32 v31, v35, v29
	v_sub_f32_e32 v29, v39, v34
	v_add_f32_e32 v29, v32, v29
	v_add_f32_e32 v32, v37, v31
	v_sub_f32_e32 v38, v34, v32
	v_sub_f32_e32 v34, v34, v38
	;; [unrolled: 1-line block ×4, first 2 shown]
	v_add_f32_e32 v29, v29, v32
	v_sub_f32_e32 v31, v37, v31
	v_cvt_f32_i32_e32 v30, v30
	v_add_f32_e32 v29, v31, v29
	v_add_f32_e32 v31, v33, v35
	;; [unrolled: 1-line block ×3, first 2 shown]
	v_sub_f32_e32 v32, v31, v33
	v_mul_f32_e32 v29, v36, v29
	v_sub_f32_e32 v32, v35, v32
	v_add_f32_e32 v29, v32, v29
	v_mul_f32_e32 v35, 0x3f317218, v30
	v_add_f32_e32 v32, v31, v29
	v_fma_f32 v36, v30, s24, -v35
	v_mul_f32_e32 v33, v32, v32
	v_mov_b32_e32 v34, 0x3ecc95a3
	v_fmac_f32_e32 v36, 0xb102e308, v30
	v_sub_f32_e32 v30, v32, v31
	v_fmac_f32_e32 v34, 0x3e9b6dac, v33
	v_sub_f32_e32 v29, v29, v30
	v_add_f32_e32 v30, v35, v36
	v_fma_f32 v34, v33, v34, v25
	v_sub_f32_e32 v31, v30, v35
	v_ldexp_f32 v35, v32, 1
	v_mul_f32_e32 v32, v32, v33
	v_mul_f32_e32 v32, v32, v34
	v_add_f32_e32 v33, v35, v32
	v_sub_f32_e32 v34, v33, v35
	v_ldexp_f32 v29, v29, 1
	v_sub_f32_e32 v32, v32, v34
	v_add_f32_e32 v29, v29, v32
	v_add_f32_e32 v32, v33, v29
	v_sub_f32_e32 v33, v32, v33
	v_sub_f32_e32 v29, v29, v33
	v_add_f32_e32 v33, v30, v32
	v_sub_f32_e32 v34, v33, v30
	v_sub_f32_e32 v35, v33, v34
	;; [unrolled: 1-line block ×5, first 2 shown]
	v_add_f32_e32 v30, v32, v30
	v_add_f32_e32 v32, v31, v29
	v_sub_f32_e32 v34, v32, v31
	v_sub_f32_e32 v35, v32, v34
	;; [unrolled: 1-line block ×4, first 2 shown]
	v_add_f32_e32 v30, v32, v30
	v_add_f32_e32 v29, v29, v31
	v_add_f32_e32 v31, v33, v30
	v_sub_f32_e32 v32, v31, v33
	v_sub_f32_e32 v30, v30, v32
	v_add_f32_e32 v29, v29, v30
	v_add_f32_e32 v29, v31, v29
	v_cvt_f16_f32_e32 v29, v29
	v_cmp_eq_f16_e32 vcc, s22, v28
	v_cndmask_b32_e32 v29, v29, v28, vcc
	v_cmp_ngt_f16_e32 vcc, -1.0, v28
	v_cndmask_b32_e32 v29, v26, v29, vcc
	v_cmp_neq_f16_e32 vcc, -1.0, v28
	v_cndmask_b32_e32 v29, v27, v29, vcc
	v_cmp_lt_f32_e64 vcc, |v19|, s21
	v_cndmask_b32_e32 v19, v29, v28, vcc
	v_mov_b32_e32 v29, s11
	v_add_co_u32_e32 v28, vcc, s10, v8
	v_addc_co_u32_e32 v29, vcc, v7, v29, vcc
	global_store_short v[28:29], v19, off
	s_branch .LBB206_8
.LBB206_25:
	s_endpgm
	.section	.rodata,"a",@progbits
	.p2align	6, 0x0
	.amdhsa_kernel _ZN2at6native12_GLOBAL__N_125multi_tensor_apply_kernelINS1_18TensorListMetadataILi2EEENS1_14UnaryOpFunctorIN3c104HalfELi2ELi1ELi1EEEJNS0_5Log1pIfEEEEEvT_T0_DpT1_
		.amdhsa_group_segment_fixed_size 0
		.amdhsa_private_segment_fixed_size 0
		.amdhsa_kernarg_size 3408
		.amdhsa_user_sgpr_count 6
		.amdhsa_user_sgpr_private_segment_buffer 1
		.amdhsa_user_sgpr_dispatch_ptr 0
		.amdhsa_user_sgpr_queue_ptr 0
		.amdhsa_user_sgpr_kernarg_segment_ptr 1
		.amdhsa_user_sgpr_dispatch_id 0
		.amdhsa_user_sgpr_flat_scratch_init 0
		.amdhsa_user_sgpr_kernarg_preload_length 0
		.amdhsa_user_sgpr_kernarg_preload_offset 0
		.amdhsa_user_sgpr_private_segment_size 0
		.amdhsa_uses_dynamic_stack 0
		.amdhsa_system_sgpr_private_segment_wavefront_offset 0
		.amdhsa_system_sgpr_workgroup_id_x 1
		.amdhsa_system_sgpr_workgroup_id_y 0
		.amdhsa_system_sgpr_workgroup_id_z 0
		.amdhsa_system_sgpr_workgroup_info 0
		.amdhsa_system_vgpr_workitem_id 0
		.amdhsa_next_free_vgpr 60
		.amdhsa_next_free_sgpr 35
		.amdhsa_accum_offset 60
		.amdhsa_reserve_vcc 1
		.amdhsa_reserve_flat_scratch 0
		.amdhsa_float_round_mode_32 0
		.amdhsa_float_round_mode_16_64 0
		.amdhsa_float_denorm_mode_32 3
		.amdhsa_float_denorm_mode_16_64 3
		.amdhsa_dx10_clamp 1
		.amdhsa_ieee_mode 1
		.amdhsa_fp16_overflow 0
		.amdhsa_tg_split 0
		.amdhsa_exception_fp_ieee_invalid_op 0
		.amdhsa_exception_fp_denorm_src 0
		.amdhsa_exception_fp_ieee_div_zero 0
		.amdhsa_exception_fp_ieee_overflow 0
		.amdhsa_exception_fp_ieee_underflow 0
		.amdhsa_exception_fp_ieee_inexact 0
		.amdhsa_exception_int_div_zero 0
	.end_amdhsa_kernel
	.section	.text._ZN2at6native12_GLOBAL__N_125multi_tensor_apply_kernelINS1_18TensorListMetadataILi2EEENS1_14UnaryOpFunctorIN3c104HalfELi2ELi1ELi1EEEJNS0_5Log1pIfEEEEEvT_T0_DpT1_,"axG",@progbits,_ZN2at6native12_GLOBAL__N_125multi_tensor_apply_kernelINS1_18TensorListMetadataILi2EEENS1_14UnaryOpFunctorIN3c104HalfELi2ELi1ELi1EEEJNS0_5Log1pIfEEEEEvT_T0_DpT1_,comdat
.Lfunc_end206:
	.size	_ZN2at6native12_GLOBAL__N_125multi_tensor_apply_kernelINS1_18TensorListMetadataILi2EEENS1_14UnaryOpFunctorIN3c104HalfELi2ELi1ELi1EEEJNS0_5Log1pIfEEEEEvT_T0_DpT1_, .Lfunc_end206-_ZN2at6native12_GLOBAL__N_125multi_tensor_apply_kernelINS1_18TensorListMetadataILi2EEENS1_14UnaryOpFunctorIN3c104HalfELi2ELi1ELi1EEEJNS0_5Log1pIfEEEEEvT_T0_DpT1_
                                        ; -- End function
	.section	.AMDGPU.csdata,"",@progbits
; Kernel info:
; codeLenInByte = 5564
; NumSgprs: 39
; NumVgprs: 60
; NumAgprs: 0
; TotalNumVgprs: 60
; ScratchSize: 0
; MemoryBound: 0
; FloatMode: 240
; IeeeMode: 1
; LDSByteSize: 0 bytes/workgroup (compile time only)
; SGPRBlocks: 4
; VGPRBlocks: 7
; NumSGPRsForWavesPerEU: 39
; NumVGPRsForWavesPerEU: 60
; AccumOffset: 60
; Occupancy: 8
; WaveLimiterHint : 0
; COMPUTE_PGM_RSRC2:SCRATCH_EN: 0
; COMPUTE_PGM_RSRC2:USER_SGPR: 6
; COMPUTE_PGM_RSRC2:TRAP_HANDLER: 0
; COMPUTE_PGM_RSRC2:TGID_X_EN: 1
; COMPUTE_PGM_RSRC2:TGID_Y_EN: 0
; COMPUTE_PGM_RSRC2:TGID_Z_EN: 0
; COMPUTE_PGM_RSRC2:TIDIG_COMP_CNT: 0
; COMPUTE_PGM_RSRC3_GFX90A:ACCUM_OFFSET: 14
; COMPUTE_PGM_RSRC3_GFX90A:TG_SPLIT: 0
	.section	.text._ZN2at6native12_GLOBAL__N_125multi_tensor_apply_kernelINS1_18TensorListMetadataILi2EEENS1_14UnaryOpFunctorIN3c108BFloat16ELi2ELi1ELi1EEEJNS0_5Log1pIfEEEEEvT_T0_DpT1_,"axG",@progbits,_ZN2at6native12_GLOBAL__N_125multi_tensor_apply_kernelINS1_18TensorListMetadataILi2EEENS1_14UnaryOpFunctorIN3c108BFloat16ELi2ELi1ELi1EEEJNS0_5Log1pIfEEEEEvT_T0_DpT1_,comdat
	.globl	_ZN2at6native12_GLOBAL__N_125multi_tensor_apply_kernelINS1_18TensorListMetadataILi2EEENS1_14UnaryOpFunctorIN3c108BFloat16ELi2ELi1ELi1EEEJNS0_5Log1pIfEEEEEvT_T0_DpT1_ ; -- Begin function _ZN2at6native12_GLOBAL__N_125multi_tensor_apply_kernelINS1_18TensorListMetadataILi2EEENS1_14UnaryOpFunctorIN3c108BFloat16ELi2ELi1ELi1EEEJNS0_5Log1pIfEEEEEvT_T0_DpT1_
	.p2align	8
	.type	_ZN2at6native12_GLOBAL__N_125multi_tensor_apply_kernelINS1_18TensorListMetadataILi2EEENS1_14UnaryOpFunctorIN3c108BFloat16ELi2ELi1ELi1EEEJNS0_5Log1pIfEEEEEvT_T0_DpT1_,@function
_ZN2at6native12_GLOBAL__N_125multi_tensor_apply_kernelINS1_18TensorListMetadataILi2EEENS1_14UnaryOpFunctorIN3c108BFloat16ELi2ELi1ELi1EEEJNS0_5Log1pIfEEEEEvT_T0_DpT1_: ; @_ZN2at6native12_GLOBAL__N_125multi_tensor_apply_kernelINS1_18TensorListMetadataILi2EEENS1_14UnaryOpFunctorIN3c108BFloat16ELi2ELi1ELi1EEEJNS0_5Log1pIfEEEEEvT_T0_DpT1_
; %bb.0:
	v_mov_b32_e32 v1, s6
	global_load_ubyte v1, v1, s[4:5] offset:1536
	s_add_u32 s0, s4, s6
	s_mul_hi_u32 s2, s6, 3
	s_mul_i32 s6, s6, 3
	s_addc_u32 s7, s5, 0
	s_add_u32 s6, s0, s6
	s_addc_u32 s7, s7, s2
	s_mov_b32 s1, 0
	s_mov_b32 s3, s1
	s_waitcnt vmcnt(0)
	v_readfirstlane_b32 s0, v1
	s_lshl_b32 s0, s0, 3
	s_load_dword s10, s[6:7], 0x740
	s_load_dwordx2 s[16:17], s[4:5], s0 offset:0x0
	s_load_dwordx2 s[12:13], s[4:5], s0 offset:0x400
	s_load_dwordx2 s[14:15], s[4:5], s0 offset:0x200
	s_mov_b32 s7, s1
	s_waitcnt lgkmcnt(0)
	s_ashr_i32 s11, s10, 31
	s_and_b32 s0, s16, 7
	s_and_b32 s6, s12, 3
	;; [unrolled: 1-line block ×3, first 2 shown]
	s_or_b64 s[6:7], s[0:1], s[6:7]
	s_lshl_b64 s[8:9], s[10:11], 17
	s_or_b64 s[2:3], s[2:3], s[6:7]
	s_lshl_b64 s[6:7], s[10:11], 16
	s_sub_u32 s10, s12, s6
	s_subb_u32 s11, s13, s7
	s_cmp_eq_u64 s[2:3], 0
	s_mov_b64 s[2:3], -1
	s_cbranch_scc0 .LBB207_5
; %bb.1:
	v_mov_b32_e32 v3, 0
	v_lshlrev_b32_e32 v2, 2, v0
	v_cmp_gt_i64_e32 vcc, s[10:11], v[2:3]
	s_and_saveexec_b64 s[12:13], vcc
	s_cbranch_execz .LBB207_4
; %bb.2:
	s_load_dword s0, s[4:5], 0xc5c
	v_lshlrev_b32_e32 v1, 3, v0
	v_mov_b32_e32 v2, s9
	v_add_co_u32_e32 v4, vcc, s8, v1
	s_waitcnt lgkmcnt(0)
	s_and_b32 s0, s0, 0xffff
	v_addc_co_u32_e32 v1, vcc, 0, v2, vcc
	s_lshl_b32 s21, s0, 3
	v_add_lshl_u32 v2, v0, s0, 2
	s_lshl_b32 s23, s0, 2
	s_mov_b32 s0, 0x3ecc95a3
	s_mov_b64 s[18:19], 0
	v_mov_b32_e32 v5, s17
	v_mov_b32_e32 v22, s15
	s_mov_b32 s25, 0x3f2aaaab
	s_mov_b32 s20, 0x3f317218
	;; [unrolled: 1-line block ×3, first 2 shown]
	v_pk_mov_b32 v[6:7], s[0:1], s[0:1] op_sel:[0,1]
	s_mov_b32 s24, 0x3f2aaada
	s_mov_b32 s26, 0xb102e308
	;; [unrolled: 1-line block ×3, first 2 shown]
	v_mov_b32_e32 v23, 0x7fc00000
	v_mov_b32_e32 v24, 0xff800000
	s_mov_b32 s30, 0x33800000
	s_movk_i32 s31, 0x7fff
	v_mov_b32_e32 v25, 0x7fc0
	s_mov_b64 s[28:29], 0xffff
	v_mov_b32_e32 v26, s1
	v_mov_b32_e32 v27, s1
.LBB207_3:                              ; =>This Inner Loop Header: Depth=1
	v_add_co_u32_e32 v8, vcc, s16, v4
	v_addc_co_u32_e32 v9, vcc, v5, v1, vcc
	global_load_dwordx2 v[8:9], v[8:9], off
	s_waitcnt vmcnt(0)
	v_and_b32_e32 v29, 0xffff0000, v9
	v_and_b32_e32 v31, 0xffff0000, v8
	v_alignbit_b32 v10, v9, v8, 16
	v_lshlrev_b32_e32 v28, 16, v8
	v_add_f32_e32 v15, 1.0, v31
	v_add_f32_e32 v16, 1.0, v29
	v_and_b32_e32 v30, 0xffff0000, v10
	v_add_f32_e32 v14, 1.0, v28
	v_frexp_mant_f32_e32 v19, v15
	v_cvt_f64_f32_e32 v[10:11], v15
	v_frexp_mant_f32_e32 v20, v16
	v_cvt_f64_f32_e32 v[12:13], v16
	v_add_f32_e32 v17, -1.0, v14
	v_frexp_mant_f32_e32 v18, v14
	v_cvt_f64_f32_e32 v[8:9], v14
	v_add_f32_e32 v34, 1.0, v30
	v_frexp_exp_i32_f64_e32 v10, v[10:11]
	v_cmp_gt_f32_e32 vcc, s25, v19
	v_frexp_exp_i32_f64_e32 v12, v[12:13]
	v_cmp_gt_f32_e64 s[0:1], s25, v20
	v_add_f32_e32 v21, -1.0, v15
	v_add_f32_e32 v32, -1.0, v16
	v_sub_f32_e32 v33, v17, v14
	v_frexp_exp_i32_f64_e32 v35, v[8:9]
	v_frexp_mant_f32_e32 v11, v34
	v_cvt_f64_f32_e32 v[8:9], v34
	v_cmp_gt_f32_e64 s[2:3], s25, v18
	v_subbrev_co_u32_e32 v10, vcc, 0, v10, vcc
	v_subbrev_co_u32_e64 v12, vcc, 0, v12, s[0:1]
	v_sub_f32_e32 v17, v28, v17
	v_sub_f32_e32 v13, v21, v15
	v_sub_f32_e32 v19, v31, v21
	v_add_f32_e32 v20, -1.0, v34
	v_sub_f32_e32 v21, v32, v16
	v_add_f32_e32 v18, 1.0, v33
	v_subbrev_co_u32_e64 v33, s[2:3], 0, v35, s[2:3]
	v_frexp_exp_i32_f64_e32 v8, v[8:9]
	v_cmp_gt_f32_e32 vcc, s25, v11
	v_sub_f32_e32 v32, v29, v32
	v_add_f32_e32 v35, 1.0, v13
	v_sub_f32_e32 v36, v20, v34
	v_add_f32_e32 v21, 1.0, v21
	v_add_f32_e32 v11, v17, v18
	v_sub_u32_e32 v17, 0, v33
	v_subbrev_co_u32_e32 v18, vcc, 0, v8, vcc
	v_cvt_f32_i32_e32 v8, v33
	v_sub_u32_e32 v33, 0, v10
	v_sub_f32_e32 v20, v30, v20
	v_cvt_f32_i32_e32 v9, v10
	v_add_f32_e32 v19, v19, v35
	v_add_f32_e32 v35, 1.0, v36
	v_add_f32_e32 v21, v32, v21
	v_sub_u32_e32 v32, 0, v12
	v_ldexp_f32 v10, v14, v17
	v_ldexp_f32 v14, v11, v17
	v_ldexp_f32 v11, v15, v33
	v_cvt_f32_i32_e32 v13, v12
	v_cvt_f32_i32_e32 v12, v18
	v_ldexp_f32 v15, v19, v33
	v_add_f32_e32 v35, v20, v35
	v_sub_u32_e32 v18, 0, v18
	v_ldexp_f32 v19, v21, v32
	v_pk_add_f32 v[20:21], v[10:11], 1.0 op_sel_hi:[1,0]
	v_ldexp_f32 v17, v16, v32
	v_pk_add_f32 v[32:33], -1.0, v[10:11] op_sel_hi:[0,1]
	v_ldexp_f32 v16, v34, v18
	v_ldexp_f32 v18, v35, v18
	v_pk_add_f32 v[34:35], -1.0, v[20:21] op_sel_hi:[0,1]
	v_pk_add_f32 v[36:37], v[32:33], 1.0 op_sel_hi:[1,0]
	v_pk_add_f32 v[38:39], v[16:17], 1.0 op_sel_hi:[1,0]
	v_pk_add_f32 v[40:41], -1.0, v[16:17] op_sel_hi:[0,1]
	v_pk_add_f32 v[34:35], v[10:11], v[34:35] neg_lo:[0,1] neg_hi:[0,1]
	v_pk_add_f32 v[36:37], v[10:11], v[36:37] neg_lo:[0,1] neg_hi:[0,1]
	v_pk_add_f32 v[44:45], -1.0, v[38:39] op_sel_hi:[0,1]
	v_pk_add_f32 v[46:47], v[40:41], 1.0 op_sel_hi:[1,0]
	v_pk_add_f32 v[34:35], v[14:15], v[34:35]
	v_pk_add_f32 v[14:15], v[14:15], v[36:37]
	v_pk_add_f32 v[36:37], v[16:17], v[44:45] neg_lo:[0,1] neg_hi:[0,1]
	v_pk_add_f32 v[16:17], v[16:17], v[46:47] neg_lo:[0,1] neg_hi:[0,1]
	v_pk_add_f32 v[46:47], v[20:21], v[34:35]
	v_pk_mul_f32 v[42:43], v[8:9], s[20:21] op_sel_hi:[1,0]
	v_pk_add_f32 v[50:51], v[18:19], v[16:17]
	v_rcp_f32_e32 v16, v46
	v_rcp_f32_e32 v17, v47
	v_pk_mul_f32 v[10:11], v[12:13], s[20:21] op_sel_hi:[1,0]
	v_pk_fma_f32 v[44:45], v[8:9], s[20:21], v[42:43] op_sel_hi:[1,0,1] neg_lo:[0,0,1] neg_hi:[0,0,1]
	v_pk_add_f32 v[36:37], v[18:19], v[36:37]
	v_pk_add_f32 v[48:49], v[32:33], v[14:15]
	v_pk_fma_f32 v[18:19], v[12:13], s[20:21], v[10:11] op_sel_hi:[1,0,1] neg_lo:[0,0,1] neg_hi:[0,0,1]
	v_pk_fma_f32 v[8:9], v[8:9], s[26:27], v[44:45] op_sel_hi:[1,0,1]
	v_pk_add_f32 v[52:53], v[38:39], v[36:37]
	v_pk_add_f32 v[32:33], v[48:49], v[32:33] neg_lo:[0,1] neg_hi:[0,1]
	v_pk_add_f32 v[44:45], v[46:47], v[20:21] neg_lo:[0,1] neg_hi:[0,1]
	v_pk_add_f32 v[54:55], v[40:41], v[50:51]
	v_pk_fma_f32 v[20:21], v[12:13], s[26:27], v[18:19] op_sel_hi:[1,0,1]
	v_pk_add_f32 v[12:13], v[42:43], v[8:9]
	v_pk_add_f32 v[38:39], v[52:53], v[38:39] neg_lo:[0,1] neg_hi:[0,1]
	v_pk_add_f32 v[32:33], v[14:15], v[32:33] neg_lo:[0,1] neg_hi:[0,1]
	v_rcp_f32_e32 v18, v52
	v_pk_add_f32 v[14:15], v[54:55], v[40:41] neg_lo:[0,1] neg_hi:[0,1]
	v_rcp_f32_e32 v19, v53
	v_sub_f32_e32 v42, v12, v42
	v_sub_f32_e32 v43, v13, v43
	v_pk_add_f32 v[36:37], v[36:37], v[38:39] neg_lo:[0,1] neg_hi:[0,1]
	v_pk_mul_f32 v[38:39], v[48:49], v[16:17]
	v_pk_add_f32 v[40:41], v[50:51], v[14:15] neg_lo:[0,1] neg_hi:[0,1]
	v_sub_f32_e32 v15, v9, v43
	v_sub_f32_e32 v14, v8, v42
	v_pk_mul_f32 v[8:9], v[46:47], v[38:39]
	v_pk_add_f32 v[34:35], v[34:35], v[44:45] neg_lo:[0,1] neg_hi:[0,1]
	v_pk_fma_f32 v[44:45], v[38:39], v[46:47], v[8:9] neg_lo:[0,0,1] neg_hi:[0,0,1]
	v_pk_fma_f32 v[44:45], v[38:39], v[34:35], v[44:45]
	v_pk_mul_f32 v[42:43], v[54:55], v[18:19]
	v_pk_add_f32 v[56:57], v[8:9], v[44:45]
	v_pk_mul_f32 v[50:51], v[52:53], v[42:43]
	v_pk_add_f32 v[8:9], v[56:57], v[8:9] neg_lo:[0,1] neg_hi:[0,1]
	v_pk_add_f32 v[58:59], v[48:49], v[56:57] neg_lo:[0,1] neg_hi:[0,1]
	;; [unrolled: 1-line block ×4, first 2 shown]
	v_pk_fma_f32 v[48:49], v[42:43], v[52:53], v[50:51] neg_lo:[0,0,1] neg_hi:[0,0,1]
	v_pk_fma_f32 v[48:49], v[42:43], v[36:37], v[48:49]
	v_pk_add_f32 v[8:9], v[8:9], v[56:57] neg_lo:[0,1] neg_hi:[0,1]
	v_pk_add_f32 v[56:57], v[50:51], v[48:49]
	v_pk_add_f32 v[50:51], v[56:57], v[50:51] neg_lo:[0,1] neg_hi:[0,1]
	v_pk_add_f32 v[48:49], v[50:51], v[48:49] neg_lo:[0,1] neg_hi:[0,1]
	;; [unrolled: 1-line block ×3, first 2 shown]
	v_pk_add_f32 v[32:33], v[32:33], v[8:9]
	v_pk_add_f32 v[8:9], v[54:55], v[50:51] neg_lo:[0,1] neg_hi:[0,1]
	v_pk_add_f32 v[54:55], v[8:9], v[56:57] neg_lo:[0,1] neg_hi:[0,1]
	v_pk_add_f32 v[32:33], v[44:45], v[32:33]
	v_pk_add_f32 v[40:41], v[40:41], v[54:55]
	;; [unrolled: 1-line block ×4, first 2 shown]
	v_pk_mul_f32 v[48:49], v[16:17], v[44:45]
	v_pk_add_f32 v[54:55], v[58:59], v[44:45] neg_lo:[0,1] neg_hi:[0,1]
	v_pk_add_f32 v[56:57], v[50:51], v[40:41]
	v_pk_add_f32 v[32:33], v[32:33], v[54:55]
	v_pk_mul_f32 v[54:55], v[46:47], v[48:49]
	v_pk_add_f32 v[50:51], v[50:51], v[56:57] neg_lo:[0,1] neg_hi:[0,1]
	v_pk_add_f32 v[40:41], v[40:41], v[50:51]
	v_pk_add_f32 v[50:51], v[38:39], v[48:49]
	v_pk_fma_f32 v[46:47], v[48:49], v[46:47], v[54:55] neg_lo:[0,0,1] neg_hi:[0,0,1]
	v_pk_fma_f32 v[34:35], v[48:49], v[34:35], v[46:47]
	v_pk_mul_f32 v[46:47], v[18:19], v[56:57]
	v_pk_add_f32 v[38:39], v[50:51], v[38:39] neg_lo:[0,1] neg_hi:[0,1]
	v_pk_add_f32 v[38:39], v[48:49], v[38:39] neg_lo:[0,1] neg_hi:[0,1]
	v_pk_mul_f32 v[48:49], v[52:53], v[46:47]
	v_pk_fma_f32 v[52:53], v[46:47], v[52:53], v[48:49] neg_lo:[0,0,1] neg_hi:[0,0,1]
	v_pk_fma_f32 v[36:37], v[46:47], v[36:37], v[52:53]
	v_pk_add_f32 v[52:53], v[42:43], v[46:47]
	v_pk_add_f32 v[42:43], v[52:53], v[42:43] neg_lo:[0,1] neg_hi:[0,1]
	v_pk_add_f32 v[42:43], v[46:47], v[42:43] neg_lo:[0,1] neg_hi:[0,1]
	v_pk_add_f32 v[46:47], v[54:55], v[34:35]
	v_pk_add_f32 v[54:55], v[46:47], v[54:55] neg_lo:[0,1] neg_hi:[0,1]
	v_pk_add_f32 v[34:35], v[54:55], v[34:35] neg_lo:[0,1] neg_hi:[0,1]
	;; [unrolled: 1-line block ×5, first 2 shown]
	v_pk_add_f32 v[46:47], v[48:49], v[36:37]
	v_pk_add_f32 v[32:33], v[32:33], v[44:45]
	v_pk_add_f32 v[44:45], v[56:57], v[46:47] neg_lo:[0,1] neg_hi:[0,1]
	v_pk_add_f32 v[56:57], v[56:57], v[44:45] neg_lo:[0,1] neg_hi:[0,1]
	;; [unrolled: 1-line block ×5, first 2 shown]
	v_pk_add_f32 v[32:33], v[34:35], v[32:33]
	v_pk_add_f32 v[34:35], v[40:41], v[46:47]
	;; [unrolled: 1-line block ×4, first 2 shown]
	v_pk_mul_f32 v[16:17], v[16:17], v[32:33]
	v_pk_add_f32 v[32:33], v[44:45], v[34:35]
	v_pk_add_f32 v[16:17], v[38:39], v[16:17]
	v_pk_mul_f32 v[18:19], v[18:19], v[32:33]
	v_pk_add_f32 v[32:33], v[50:51], v[16:17]
	v_pk_add_f32 v[18:19], v[42:43], v[18:19]
	v_pk_mul_f32 v[38:39], v[32:33], v[32:33]
	v_pk_add_f32 v[40:41], v[52:53], v[18:19]
	v_pk_mul_f32 v[42:43], v[40:41], v[40:41]
	v_pk_fma_f32 v[44:45], v[38:39], s[22:23], v[6:7] op_sel_hi:[1,0,0]
	v_pk_add_f32 v[34:35], v[32:33], v[50:51] neg_lo:[0,1] neg_hi:[0,1]
	v_ldexp_f32 v36, v32, 1
	v_ldexp_f32 v37, v33, 1
	v_pk_mul_f32 v[32:33], v[32:33], v[38:39]
	v_pk_fma_f32 v[50:51], v[42:43], s[22:23], v[6:7] op_sel_hi:[1,0,0]
	v_pk_fma_f32 v[38:39], v[38:39], v[44:45], s[24:25] op_sel_hi:[1,1,0]
	v_pk_add_f32 v[48:49], v[10:11], v[20:21]
	v_pk_add_f32 v[16:17], v[16:17], v[34:35] neg_lo:[0,1] neg_hi:[0,1]
	v_ldexp_f32 v34, v40, 1
	v_ldexp_f32 v35, v41, 1
	v_pk_add_f32 v[46:47], v[40:41], v[52:53] neg_lo:[0,1] neg_hi:[0,1]
	v_pk_mul_f32 v[40:41], v[40:41], v[42:43]
	v_pk_fma_f32 v[42:43], v[42:43], v[50:51], s[24:25] op_sel_hi:[1,1,0]
	v_pk_mul_f32 v[32:33], v[32:33], v[38:39]
	v_sub_f32_e32 v11, v49, v11
	v_sub_f32_e32 v10, v48, v10
	v_pk_mul_f32 v[38:39], v[40:41], v[42:43]
	v_pk_add_f32 v[40:41], v[36:37], v[32:33]
	v_sub_f32_e32 v11, v21, v11
	v_sub_f32_e32 v20, v20, v10
	v_pk_add_f32 v[42:43], v[34:35], v[38:39]
	v_sub_f32_e32 v10, v40, v36
	v_sub_f32_e32 v21, v41, v37
	v_ldexp_f32 v16, v16, 1
	v_ldexp_f32 v17, v17, 1
	v_pk_add_f32 v[18:19], v[18:19], v[46:47] neg_lo:[0,1] neg_hi:[0,1]
	v_sub_f32_e32 v34, v42, v34
	v_sub_f32_e32 v35, v43, v35
	;; [unrolled: 1-line block ×4, first 2 shown]
	v_ldexp_f32 v18, v18, 1
	v_ldexp_f32 v19, v19, 1
	v_sub_f32_e32 v35, v39, v35
	v_sub_f32_e32 v34, v38, v34
	v_pk_add_f32 v[16:17], v[16:17], v[32:33]
	v_pk_add_f32 v[18:19], v[18:19], v[34:35]
	;; [unrolled: 1-line block ×5, first 2 shown]
	v_sub_f32_e32 v10, v32, v40
	v_sub_f32_e32 v21, v33, v41
	v_pk_add_f32 v[38:39], v[48:49], v[34:35]
	v_sub_f32_e32 v40, v36, v12
	v_sub_f32_e32 v41, v37, v13
	;; [unrolled: 1-line block ×14, first 2 shown]
	v_pk_add_f32 v[42:43], v[16:17], v[14:15]
	v_sub_f32_e32 v10, v34, v21
	v_sub_f32_e32 v18, v38, v21
	;; [unrolled: 1-line block ×10, first 2 shown]
	v_pk_add_f32 v[12:13], v[32:33], v[12:13]
	v_sub_f32_e32 v44, v42, v35
	v_sub_f32_e32 v45, v43, v34
	v_add_co_u32_e32 v8, vcc, s14, v4
	v_sub_f32_e32 v17, v17, v34
	v_sub_f32_e32 v16, v16, v35
	v_pk_add_f32 v[32:33], v[40:41], v[20:21]
	v_pk_add_f32 v[34:35], v[10:11], v[18:19]
	v_sub_f32_e32 v15, v15, v45
	v_sub_f32_e32 v14, v14, v44
	v_pk_add_f32 v[12:13], v[12:13], v[42:43]
	v_addc_co_u32_e32 v9, vcc, v22, v1, vcc
	v_sub_f32_e32 v10, v35, v11
	v_sub_f32_e32 v18, v32, v20
	v_pk_add_f32 v[14:15], v[16:17], v[14:15]
	v_pk_add_f32 v[16:17], v[34:35], v[32:33]
	;; [unrolled: 1-line block ×3, first 2 shown]
	v_cmp_le_i64_e32 vcc, s[10:11], v[2:3]
	v_cmp_lt_u64_e64 s[0:1], s[28:29], v[2:3]
	v_add_co_u32_e64 v4, s[2:3], s21, v4
	v_sub_f32_e32 v21, v32, v18
	v_sub_f32_e32 v34, v35, v10
	v_pk_add_f32 v[32:33], v[38:39], v[16:17]
	v_sub_f32_e32 v35, v42, v36
	v_sub_f32_e32 v36, v43, v37
	v_addc_co_u32_e64 v1, s[2:3], v1, v26, s[2:3]
	s_or_b64 s[0:1], vcc, s[0:1]
	v_sub_f32_e32 v19, v19, v10
	v_sub_f32_e32 v18, v40, v18
	;; [unrolled: 1-line block ×8, first 2 shown]
	v_add_co_u32_e64 v2, s[2:3], s23, v2
	s_and_b64 s[0:1], exec, s[0:1]
	v_pk_add_f32 v[10:11], v[18:19], v[10:11]
	v_sub_f32_e32 v17, v17, v21
	v_sub_f32_e32 v16, v16, v20
	v_pk_add_f32 v[12:13], v[14:15], v[12:13]
	v_addc_co_u32_e64 v3, s[2:3], v3, v27, s[2:3]
	s_or_b64 s[18:19], s[0:1], s[18:19]
	v_pk_add_f32 v[10:11], v[10:11], v[16:17]
	v_pk_add_f32 v[12:13], v[42:43], v[12:13]
	v_cmp_eq_f32_e32 vcc, s27, v31
	v_cmp_eq_f32_e64 s[0:1], s27, v28
	v_pk_add_f32 v[10:11], v[32:33], v[10:11]
	v_cmp_eq_f32_e64 s[2:3], s27, v29
	v_cndmask_b32_e64 v12, v12, v28, s[0:1]
	v_cndmask_b32_e32 v13, v13, v31, vcc
	v_cmp_ngt_f32_e32 vcc, -1.0, v31
	v_cmp_ngt_f32_e64 s[0:1], -1.0, v28
	v_cmp_eq_f32_e64 s[6:7], s27, v30
	v_cndmask_b32_e64 v10, v10, v30, s[6:7]
	v_cndmask_b32_e64 v11, v11, v29, s[2:3]
	v_cmp_ngt_f32_e64 s[2:3], -1.0, v30
	v_cndmask_b32_e32 v13, v23, v13, vcc
	v_cndmask_b32_e64 v12, v23, v12, s[0:1]
	v_cmp_neq_f32_e32 vcc, -1.0, v28
	v_cmp_neq_f32_e64 s[0:1], -1.0, v31
	v_cmp_ngt_f32_e64 s[6:7], -1.0, v29
	v_cndmask_b32_e64 v11, v23, v11, s[6:7]
	v_cndmask_b32_e64 v10, v23, v10, s[2:3]
	v_cndmask_b32_e32 v12, v24, v12, vcc
	v_cndmask_b32_e64 v13, v24, v13, s[0:1]
	v_cmp_neq_f32_e32 vcc, -1.0, v29
	v_cmp_lt_f32_e64 s[0:1], |v28|, s30
	v_cmp_lt_f32_e64 s[2:3], |v31|, s30
	v_cmp_neq_f32_e64 s[6:7], -1.0, v30
	v_cndmask_b32_e64 v10, v24, v10, s[6:7]
	v_cndmask_b32_e32 v11, v24, v11, vcc
	v_cmp_lt_f32_e64 vcc, |v30|, s30
	v_cndmask_b32_e64 v13, v13, v31, s[2:3]
	v_cndmask_b32_e64 v12, v12, v28, s[0:1]
	v_cmp_lt_f32_e64 s[0:1], |v29|, s30
	v_cndmask_b32_e64 v11, v11, v29, s[0:1]
	v_cndmask_b32_e32 v10, v10, v30, vcc
	v_bfe_u32 v14, v12, 16, 1
	v_bfe_u32 v15, v13, 16, 1
	v_add3_u32 v14, v12, v14, s31
	v_add3_u32 v15, v13, v15, s31
	v_bfe_u32 v16, v10, 16, 1
	v_bfe_u32 v17, v11, 16, 1
	v_lshrrev_b32_e32 v14, 16, v14
	v_and_b32_e32 v15, 0xffff0000, v15
	v_add3_u32 v17, v11, v17, s31
	v_add3_u32 v16, v10, v16, s31
	v_cmp_o_f32_e32 vcc, v13, v13
	v_cmp_o_f32_e64 s[0:1], v12, v12
	v_lshrrev_b32_e32 v12, 16, v16
	v_and_b32_e32 v13, 0xffff0000, v17
	v_cndmask_b32_e64 v14, v25, v14, s[0:1]
	v_cmp_o_f32_e64 s[0:1], v11, v11
	v_cndmask_b32_e32 v11, v23, v15, vcc
	v_cmp_o_f32_e32 vcc, v10, v10
	v_cndmask_b32_e32 v12, v25, v12, vcc
	v_cndmask_b32_e64 v13, v23, v13, s[0:1]
	v_or3_b32 v10, v14, 0, v11
	v_or3_b32 v11, 0, v12, v13
	global_store_dwordx2 v[8:9], v[10:11], off
	s_andn2_b64 exec, exec, s[18:19]
	s_cbranch_execnz .LBB207_3
.LBB207_4:
	s_or_b64 exec, exec, s[12:13]
	s_mov_b64 s[2:3], 0
.LBB207_5:
	s_andn2_b64 vcc, exec, s[2:3]
	s_cbranch_vccnz .LBB207_25
; %bb.6:
	v_cmp_lt_i64_e64 s[0:1], s[10:11], 1
	s_and_b64 vcc, exec, s[0:1]
	s_cbranch_vccnz .LBB207_25
; %bb.7:
	s_load_dword s0, s[4:5], 0xc5c
	v_mov_b32_e32 v2, 0x10000
	v_mov_b32_e32 v3, 0
	v_cmp_lt_u64_e32 vcc, s[10:11], v[2:3]
	v_lshlrev_b32_e32 v10, 1, v0
	s_waitcnt lgkmcnt(0)
	s_and_b32 s2, s0, 0xffff
	s_and_b64 s[0:1], vcc, exec
	v_mov_b32_e32 v13, s17
	v_add_co_u32_e32 v2, vcc, s16, v10
	v_addc_co_u32_e32 v1, vcc, 0, v13, vcc
	v_mov_b32_e32 v11, 0
	v_mov_b32_e32 v15, s15
	v_add_co_u32_e32 v4, vcc, s14, v10
	v_addc_co_u32_e32 v3, vcc, 0, v15, vcc
	v_mad_u64_u32 v[8:9], s[0:1], s2, 6, v[10:11]
	v_add_co_u32_e32 v6, vcc, s16, v8
	v_addc_co_u32_e32 v5, vcc, v13, v9, vcc
	v_add_co_u32_e32 v8, vcc, s14, v8
	s_mul_i32 s4, s2, 3
	v_addc_co_u32_e32 v7, vcc, v15, v9, vcc
	s_cselect_b32 s13, s11, 0
	s_cselect_b32 s12, s10, 0x10000
	s_lshl_b32 s19, s2, 2
	v_add_co_u32_e32 v17, vcc, s4, v0
	v_addc_co_u32_e64 v20, s[0:1], 0, 0, vcc
	v_add_co_u32_e32 v11, vcc, s19, v10
	v_addc_co_u32_e64 v14, s[0:1], 0, 0, vcc
	v_add_co_u32_e32 v10, vcc, s16, v11
	v_addc_co_u32_e32 v9, vcc, v13, v14, vcc
	v_add_co_u32_e32 v12, vcc, s14, v11
	s_lshl_b32 s3, s2, 1
	v_addc_co_u32_e32 v11, vcc, v15, v14, vcc
	v_add_co_u32_e32 v21, vcc, s3, v0
	v_addc_co_u32_e64 v22, s[0:1], 0, 0, vcc
	v_add_co_u32_e32 v23, vcc, s2, v0
	v_lshlrev_b32_e32 v16, 1, v23
	v_addc_co_u32_e64 v24, s[0:1], 0, 0, vcc
	v_add_co_u32_e32 v14, vcc, s16, v16
	v_addc_co_u32_e32 v13, vcc, 0, v13, vcc
	v_add_co_u32_e32 v16, vcc, s14, v16
	s_mov_b32 s18, 0
	s_lshl_b32 s20, s2, 3
	v_addc_co_u32_e32 v15, vcc, 0, v15, vcc
	s_mov_b64 s[14:15], 0
	s_mov_b32 s21, 0x33800000
	s_mov_b32 s22, 0x7f800000
	;; [unrolled: 1-line block ×3, first 2 shown]
	v_mov_b32_e32 v25, 0x3f2aaada
	s_mov_b32 s24, 0x3f317218
	s_movk_i32 s25, 0x7fff
	v_mov_b32_e32 v18, 0x3f317218
	v_mov_b32_e32 v26, 0x7fc00000
	;; [unrolled: 1-line block ×4, first 2 shown]
	s_branch .LBB207_9
.LBB207_8:                              ;   in Loop: Header=BB207_9 Depth=1
	s_or_b64 exec, exec, s[0:1]
	s_add_u32 s14, s14, s19
	s_addc_u32 s15, s15, 0
	s_waitcnt vmcnt(0)
	v_pk_mov_b32 v[30:31], s[10:11], s[10:11] op_sel:[0,1]
	v_cmp_ge_i64_e32 vcc, s[14:15], v[30:31]
	v_mov_b32_e32 v30, 0xffff
	v_mov_b32_e32 v31, 0
	v_cmp_gt_u64_e64 s[0:1], s[14:15], v[30:31]
	s_or_b64 s[0:1], vcc, s[0:1]
	v_mov_b32_e32 v19, s18
	v_add_co_u32_e32 v2, vcc, s20, v2
	v_addc_co_u32_e32 v1, vcc, v1, v19, vcc
	v_add_co_u32_e32 v4, vcc, s20, v4
	v_addc_co_u32_e32 v3, vcc, v3, v19, vcc
	;; [unrolled: 2-line block ×8, first 2 shown]
	s_and_b64 vcc, exec, s[0:1]
	s_cbranch_vccnz .LBB207_25
.LBB207_9:                              ; =>This Inner Loop Header: Depth=1
	v_mov_b32_e32 v19, s15
	v_add_co_u32_e32 v30, vcc, s14, v0
	v_addc_co_u32_e32 v31, vcc, 0, v19, vcc
	v_cmp_gt_u64_e64 s[4:5], s[12:13], v[30:31]
	v_mov_b32_e32 v19, 0
	s_and_saveexec_b64 s[0:1], s[4:5]
	s_cbranch_execz .LBB207_11
; %bb.10:                               ;   in Loop: Header=BB207_9 Depth=1
	v_mov_b32_e32 v19, s9
	v_add_co_u32_e32 v30, vcc, s8, v2
	v_addc_co_u32_e32 v31, vcc, v1, v19, vcc
	global_load_ushort v19, v[30:31], off
.LBB207_11:                             ;   in Loop: Header=BB207_9 Depth=1
	s_or_b64 exec, exec, s[0:1]
	v_mov_b32_e32 v29, s15
	v_add_co_u32_e32 v30, vcc, s14, v23
	v_addc_co_u32_e32 v31, vcc, v24, v29, vcc
	v_cmp_gt_u64_e64 s[2:3], s[12:13], v[30:31]
	v_mov_b32_e32 v31, 0
	s_and_saveexec_b64 s[0:1], s[2:3]
	s_cbranch_execz .LBB207_13
; %bb.12:                               ;   in Loop: Header=BB207_9 Depth=1
	v_mov_b32_e32 v29, s9
	v_add_co_u32_e32 v30, vcc, s8, v14
	v_addc_co_u32_e32 v31, vcc, v13, v29, vcc
	global_load_ushort v31, v[30:31], off
.LBB207_13:                             ;   in Loop: Header=BB207_9 Depth=1
	s_or_b64 exec, exec, s[0:1]
	v_mov_b32_e32 v29, s15
	v_add_co_u32_e32 v32, vcc, s14, v21
	v_addc_co_u32_e32 v33, vcc, v22, v29, vcc
	v_cmp_gt_u64_e64 s[0:1], s[12:13], v[32:33]
	v_mov_b32_e32 v29, 0
	v_mov_b32_e32 v30, 0
	s_and_saveexec_b64 s[6:7], s[0:1]
	s_cbranch_execz .LBB207_15
; %bb.14:                               ;   in Loop: Header=BB207_9 Depth=1
	v_mov_b32_e32 v30, s9
	v_add_co_u32_e32 v32, vcc, s8, v10
	v_addc_co_u32_e32 v33, vcc, v9, v30, vcc
	global_load_ushort v30, v[32:33], off
.LBB207_15:                             ;   in Loop: Header=BB207_9 Depth=1
	s_or_b64 exec, exec, s[6:7]
	v_mov_b32_e32 v33, s15
	v_add_co_u32_e32 v32, vcc, s14, v17
	v_addc_co_u32_e32 v33, vcc, v20, v33, vcc
	v_cmp_gt_u64_e32 vcc, s[12:13], v[32:33]
	s_and_saveexec_b64 s[16:17], vcc
	s_cbranch_execnz .LBB207_20
; %bb.16:                               ;   in Loop: Header=BB207_9 Depth=1
	s_or_b64 exec, exec, s[16:17]
	s_and_saveexec_b64 s[6:7], s[4:5]
	s_cbranch_execnz .LBB207_21
.LBB207_17:                             ;   in Loop: Header=BB207_9 Depth=1
	s_or_b64 exec, exec, s[6:7]
	s_and_saveexec_b64 s[4:5], s[2:3]
	s_cbranch_execnz .LBB207_22
.LBB207_18:                             ;   in Loop: Header=BB207_9 Depth=1
	s_or_b64 exec, exec, s[4:5]
	s_and_saveexec_b64 s[2:3], s[0:1]
	s_cbranch_execnz .LBB207_23
.LBB207_19:                             ;   in Loop: Header=BB207_9 Depth=1
	s_or_b64 exec, exec, s[2:3]
	s_and_saveexec_b64 s[0:1], vcc
	s_cbranch_execz .LBB207_8
	s_branch .LBB207_24
.LBB207_20:                             ;   in Loop: Header=BB207_9 Depth=1
	v_mov_b32_e32 v29, s9
	v_add_co_u32_e64 v32, s[6:7], s8, v6
	v_addc_co_u32_e64 v33, s[6:7], v5, v29, s[6:7]
	global_load_ushort v29, v[32:33], off
	s_or_b64 exec, exec, s[16:17]
	s_and_saveexec_b64 s[6:7], s[4:5]
	s_cbranch_execz .LBB207_17
.LBB207_21:                             ;   in Loop: Header=BB207_9 Depth=1
	s_waitcnt vmcnt(0)
	v_lshlrev_b32_e32 v48, 16, v19
	v_add_f32_e32 v19, 1.0, v48
	v_cvt_f64_f32_e32 v[32:33], v19
	v_frexp_exp_i32_f64_e32 v32, v[32:33]
	v_frexp_mant_f32_e32 v33, v19
	v_cmp_gt_f32_e64 s[4:5], s23, v33
	v_subbrev_co_u32_e64 v33, s[4:5], 0, v32, s[4:5]
	v_cvt_f32_i32_e32 v32, v33
	v_sub_u32_e32 v33, 0, v33
	v_add_f32_e32 v35, -1.0, v19
	v_ldexp_f32 v34, v19, v33
	v_sub_f32_e32 v19, v35, v19
	v_sub_f32_e32 v36, v48, v35
	v_add_f32_e32 v19, 1.0, v19
	v_add_f32_e32 v39, -1.0, v34
	v_add_f32_e32 v19, v36, v19
	v_add_f32_e32 v35, 1.0, v34
	v_ldexp_f32 v19, v19, v33
	v_add_f32_e32 v33, 1.0, v39
	v_add_f32_e32 v36, -1.0, v35
	v_sub_f32_e32 v33, v34, v33
	v_sub_f32_e32 v34, v34, v36
	v_add_f32_e32 v33, v19, v33
	v_add_f32_e32 v19, v19, v34
	;; [unrolled: 1-line block ×3, first 2 shown]
	v_rcp_f32_e32 v43, v42
	v_sub_f32_e32 v34, v42, v35
	v_add_f32_e32 v35, v39, v33
	v_sub_f32_e32 v19, v19, v34
	v_mul_f32_e32 v44, v35, v43
	v_mul_f32_e32 v36, v42, v44
	v_fma_f32 v38, v44, v42, -v36
	v_fmac_f32_e32 v38, v44, v19
	v_add_f32_e32 v34, v36, v38
	v_sub_f32_e32 v37, v35, v34
	v_sub_f32_e32 v39, v35, v39
	;; [unrolled: 1-line block ×3, first 2 shown]
	v_pk_add_f32 v[40:41], v[34:35], v[36:37] neg_lo:[0,1] neg_hi:[0,1]
	v_mov_b32_e32 v39, v34
	v_pk_add_f32 v[34:35], v[40:41], v[38:39] neg_lo:[0,1] neg_hi:[0,1]
	v_add_f32_e32 v33, v33, v35
	v_add_f32_e32 v33, v34, v33
	;; [unrolled: 1-line block ×3, first 2 shown]
	v_mul_f32_e32 v34, v43, v35
	v_add_f32_e32 v45, v44, v34
	v_sub_f32_e32 v36, v45, v44
	v_mul_f32_e32 v38, v42, v34
	v_sub_f32_e32 v44, v34, v36
	v_fma_f32 v36, v34, v42, -v38
	v_fmac_f32_e32 v36, v34, v19
	v_add_f32_e32 v34, v38, v36
	v_sub_f32_e32 v39, v35, v34
	v_sub_f32_e32 v19, v37, v35
	v_pk_add_f32 v[40:41], v[34:35], v[38:39] neg_lo:[0,1] neg_hi:[0,1]
	v_mov_b32_e32 v37, v34
	v_add_f32_e32 v19, v33, v19
	v_pk_add_f32 v[34:35], v[40:41], v[36:37] neg_lo:[0,1] neg_hi:[0,1]
	v_add_f32_e32 v19, v19, v35
	v_add_f32_e32 v19, v34, v19
	;; [unrolled: 1-line block ×3, first 2 shown]
	v_mul_f32_e32 v19, v43, v19
	v_add_f32_e32 v34, v44, v19
	v_add_f32_e32 v36, v45, v34
	v_mul_f32_e32 v19, v36, v36
	v_mov_b32_e32 v37, 0x3ecc95a3
	v_fmac_f32_e32 v37, 0x3e9b6dac, v19
	v_ldexp_f32 v35, v36, 1
	v_mul_f32_e32 v33, v36, v19
	v_fma_f32 v19, v19, v37, v25
	v_sub_f32_e32 v36, v36, v45
	v_sub_f32_e32 v34, v34, v36
	v_pk_mul_f32 v[36:37], v[32:33], v[18:19]
	v_ldexp_f32 v38, v34, 1
	v_fma_f32 v34, v32, s24, -v36
	v_fmac_f32_e32 v34, 0xb102e308, v32
	v_pk_add_f32 v[32:33], v[36:37], v[34:35]
	v_sub_f32_e32 v19, v33, v35
	v_sub_f32_e32 v19, v37, v19
	v_add_f32_e32 v39, v38, v19
	v_mov_b32_e32 v38, v36
	v_pk_add_f32 v[36:37], v[32:33], v[36:37] neg_lo:[0,1] neg_hi:[0,1]
	v_pk_add_f32 v[40:41], v[32:33], v[38:39]
	v_mov_b32_e32 v37, v41
	v_mov_b32_e32 v35, v32
	v_pk_add_f32 v[42:43], v[34:35], v[36:37] neg_lo:[0,1] neg_hi:[0,1]
	v_pk_add_f32 v[34:35], v[34:35], v[36:37]
	v_mov_b32_e32 v36, v35
	v_pk_add_f32 v[44:45], v[36:37], v[32:33] neg_lo:[0,1] neg_hi:[0,1]
	v_mov_b32_e32 v19, v44
	v_pk_add_f32 v[46:47], v[40:41], v[18:19] neg_lo:[0,1] neg_hi:[0,1]
	v_mov_b32_e32 v34, v41
	v_mov_b32_e32 v40, v33
	;; [unrolled: 1-line block ×4, first 2 shown]
	v_pk_add_f32 v[34:35], v[34:35], v[40:41] neg_lo:[0,1] neg_hi:[0,1]
	v_mov_b32_e32 v38, v39
	v_mov_b32_e32 v39, v32
	v_pk_add_f32 v[32:33], v[38:39], v[34:35] neg_lo:[0,1] neg_hi:[0,1]
	v_mov_b32_e32 v46, v42
	v_pk_add_f32 v[34:35], v[46:47], v[32:33]
	v_mov_b32_e32 v38, v35
	v_pk_add_f32 v[38:39], v[34:35], v[38:39]
	v_pk_add_f32 v[36:37], v[36:37], v[38:39]
	v_mov_b32_e32 v35, v36
	v_pk_add_f32 v[40:41], v[34:35], v[42:43] neg_lo:[0,1] neg_hi:[0,1]
	v_mov_b32_e32 v33, v38
	v_sub_f32_e32 v19, v34, v40
	v_pk_add_f32 v[32:33], v[32:33], v[40:41] neg_lo:[0,1] neg_hi:[0,1]
	v_sub_f32_e32 v19, v42, v19
	v_add_f32_e32 v19, v32, v19
	v_add_f32_e32 v19, v19, v33
	;; [unrolled: 1-line block ×3, first 2 shown]
	v_cmp_eq_f32_e64 s[4:5], s22, v48
	v_cndmask_b32_e64 v19, v19, v48, s[4:5]
	v_cmp_ngt_f32_e64 s[4:5], -1.0, v48
	v_cndmask_b32_e64 v19, v26, v19, s[4:5]
	v_cmp_neq_f32_e64 s[4:5], -1.0, v48
	v_cndmask_b32_e64 v19, v27, v19, s[4:5]
	v_cmp_lt_f32_e64 s[4:5], |v48|, s21
	v_cndmask_b32_e64 v19, v19, v48, s[4:5]
	v_bfe_u32 v32, v19, 16, 1
	v_add3_u32 v32, v19, v32, s25
	v_lshrrev_b32_e32 v32, 16, v32
	v_cmp_o_f32_e64 s[4:5], v19, v19
	v_cndmask_b32_e64 v19, v28, v32, s[4:5]
	v_mov_b32_e32 v33, s9
	v_add_co_u32_e64 v32, s[4:5], s8, v4
	v_addc_co_u32_e64 v33, s[4:5], v3, v33, s[4:5]
	global_store_short v[32:33], v19, off
	s_or_b64 exec, exec, s[6:7]
	s_and_saveexec_b64 s[4:5], s[2:3]
	s_cbranch_execz .LBB207_18
.LBB207_22:                             ;   in Loop: Header=BB207_9 Depth=1
	s_waitcnt vmcnt(0)
	v_lshlrev_b32_e32 v31, 16, v31
	v_add_f32_e32 v19, 1.0, v31
	v_add_f32_e32 v32, -1.0, v19
	v_sub_f32_e32 v33, v32, v19
	v_add_f32_e32 v33, 1.0, v33
	v_sub_f32_e32 v32, v31, v32
	v_add_f32_e32 v34, v32, v33
	v_frexp_mant_f32_e32 v35, v19
	v_cvt_f64_f32_e32 v[32:33], v19
	v_frexp_exp_i32_f64_e32 v32, v[32:33]
	v_cmp_gt_f32_e64 s[2:3], s23, v35
	v_subbrev_co_u32_e64 v40, s[2:3], 0, v32, s[2:3]
	v_sub_u32_e32 v32, 0, v40
	v_ldexp_f32 v19, v19, v32
	v_ldexp_f32 v32, v34, v32
	v_add_f32_e32 v34, -1.0, v19
	v_add_f32_e32 v33, 1.0, v34
	v_sub_f32_e32 v33, v19, v33
	v_add_f32_e32 v35, v32, v33
	v_add_f32_e32 v33, 1.0, v19
	v_add_f32_e32 v36, -1.0, v33
	v_sub_f32_e32 v19, v19, v36
	v_add_f32_e32 v19, v32, v19
	v_add_f32_e32 v41, v33, v19
	v_rcp_f32_e32 v42, v41
	v_sub_f32_e32 v32, v41, v33
	v_add_f32_e32 v33, v34, v35
	v_sub_f32_e32 v19, v19, v32
	v_mul_f32_e32 v44, v33, v42
	v_sub_f32_e32 v32, v33, v34
	v_mul_f32_e32 v34, v41, v44
	v_fma_f32 v36, v44, v41, -v34
	v_fmac_f32_e32 v36, v44, v19
	v_sub_f32_e32 v43, v35, v32
	v_add_f32_e32 v32, v34, v36
	v_sub_f32_e32 v35, v33, v32
	v_pk_add_f32 v[38:39], v[32:33], v[34:35] neg_lo:[0,1] neg_hi:[0,1]
	v_mov_b32_e32 v37, v32
	v_pk_add_f32 v[32:33], v[38:39], v[36:37] neg_lo:[0,1] neg_hi:[0,1]
	v_add_f32_e32 v33, v43, v33
	v_add_f32_e32 v32, v32, v33
	;; [unrolled: 1-line block ×3, first 2 shown]
	v_mul_f32_e32 v43, v42, v33
	v_mul_f32_e32 v34, v41, v43
	v_fma_f32 v36, v43, v41, -v34
	v_fmac_f32_e32 v36, v43, v19
	v_sub_f32_e32 v19, v35, v33
	v_add_f32_e32 v19, v32, v19
	v_add_f32_e32 v32, v34, v36
	v_sub_f32_e32 v35, v33, v32
	v_pk_add_f32 v[38:39], v[32:33], v[34:35] neg_lo:[0,1] neg_hi:[0,1]
	v_mov_b32_e32 v37, v32
	v_pk_add_f32 v[32:33], v[38:39], v[36:37] neg_lo:[0,1] neg_hi:[0,1]
	v_add_f32_e32 v19, v19, v33
	v_add_f32_e32 v19, v32, v19
	;; [unrolled: 1-line block ×4, first 2 shown]
	v_sub_f32_e32 v32, v33, v44
	v_mul_f32_e32 v19, v42, v19
	v_sub_f32_e32 v32, v43, v32
	v_add_f32_e32 v34, v32, v19
	v_add_f32_e32 v36, v33, v34
	v_cvt_f32_i32_e32 v32, v40
	v_mul_f32_e32 v37, v36, v36
	v_mov_b32_e32 v19, 0x3ecc95a3
	v_sub_f32_e32 v33, v36, v33
	v_fmac_f32_e32 v19, 0x3e9b6dac, v37
	v_sub_f32_e32 v33, v34, v33
	v_fma_f32 v19, v37, v19, v25
	v_ldexp_f32 v38, v33, 1
	v_mul_f32_e32 v33, v36, v37
	v_ldexp_f32 v35, v36, 1
	v_pk_mul_f32 v[36:37], v[32:33], v[18:19]
	v_fma_f32 v34, v32, s24, -v36
	v_fmac_f32_e32 v34, 0xb102e308, v32
	v_pk_add_f32 v[32:33], v[36:37], v[34:35]
	v_sub_f32_e32 v19, v33, v35
	v_sub_f32_e32 v19, v37, v19
	v_add_f32_e32 v39, v38, v19
	v_mov_b32_e32 v38, v36
	v_pk_add_f32 v[36:37], v[32:33], v[36:37] neg_lo:[0,1] neg_hi:[0,1]
	v_pk_add_f32 v[40:41], v[32:33], v[38:39]
	v_mov_b32_e32 v37, v41
	v_mov_b32_e32 v35, v32
	v_pk_add_f32 v[42:43], v[34:35], v[36:37] neg_lo:[0,1] neg_hi:[0,1]
	v_pk_add_f32 v[34:35], v[34:35], v[36:37]
	v_mov_b32_e32 v36, v35
	v_pk_add_f32 v[44:45], v[36:37], v[32:33] neg_lo:[0,1] neg_hi:[0,1]
	v_mov_b32_e32 v19, v44
	v_pk_add_f32 v[46:47], v[40:41], v[18:19] neg_lo:[0,1] neg_hi:[0,1]
	v_mov_b32_e32 v34, v41
	v_mov_b32_e32 v40, v33
	v_mov_b32_e32 v41, v44
	v_mov_b32_e32 v43, v35
	v_pk_add_f32 v[34:35], v[34:35], v[40:41] neg_lo:[0,1] neg_hi:[0,1]
	v_mov_b32_e32 v38, v39
	v_mov_b32_e32 v39, v32
	v_pk_add_f32 v[32:33], v[38:39], v[34:35] neg_lo:[0,1] neg_hi:[0,1]
	v_mov_b32_e32 v46, v42
	v_pk_add_f32 v[34:35], v[46:47], v[32:33]
	v_mov_b32_e32 v38, v35
	v_pk_add_f32 v[38:39], v[34:35], v[38:39]
	v_pk_add_f32 v[36:37], v[36:37], v[38:39]
	v_mov_b32_e32 v35, v36
	v_pk_add_f32 v[40:41], v[34:35], v[42:43] neg_lo:[0,1] neg_hi:[0,1]
	v_mov_b32_e32 v33, v38
	v_sub_f32_e32 v19, v34, v40
	v_pk_add_f32 v[32:33], v[32:33], v[40:41] neg_lo:[0,1] neg_hi:[0,1]
	v_sub_f32_e32 v19, v42, v19
	v_add_f32_e32 v19, v32, v19
	v_add_f32_e32 v19, v19, v33
	v_add_f32_e32 v19, v36, v19
	v_cmp_eq_f32_e64 s[2:3], s22, v31
	v_cndmask_b32_e64 v19, v19, v31, s[2:3]
	v_cmp_ngt_f32_e64 s[2:3], -1.0, v31
	v_cndmask_b32_e64 v19, v26, v19, s[2:3]
	v_cmp_neq_f32_e64 s[2:3], -1.0, v31
	v_cndmask_b32_e64 v19, v27, v19, s[2:3]
	v_cmp_lt_f32_e64 s[2:3], |v31|, s21
	v_cndmask_b32_e64 v19, v19, v31, s[2:3]
	v_bfe_u32 v31, v19, 16, 1
	v_add3_u32 v31, v19, v31, s25
	v_lshrrev_b32_e32 v31, 16, v31
	v_cmp_o_f32_e64 s[2:3], v19, v19
	v_cndmask_b32_e64 v19, v28, v31, s[2:3]
	v_mov_b32_e32 v31, s9
	v_add_co_u32_e64 v32, s[2:3], s8, v16
	v_addc_co_u32_e64 v33, s[2:3], v15, v31, s[2:3]
	global_store_short v[32:33], v19, off
	s_or_b64 exec, exec, s[4:5]
	s_and_saveexec_b64 s[2:3], s[0:1]
	s_cbranch_execz .LBB207_19
.LBB207_23:                             ;   in Loop: Header=BB207_9 Depth=1
	s_waitcnt vmcnt(0)
	v_lshlrev_b32_e32 v46, 16, v30
	v_add_f32_e32 v19, 1.0, v46
	v_add_f32_e32 v30, -1.0, v19
	v_sub_f32_e32 v31, v30, v19
	v_add_f32_e32 v31, 1.0, v31
	v_sub_f32_e32 v30, v46, v30
	v_add_f32_e32 v32, v30, v31
	v_frexp_mant_f32_e32 v33, v19
	v_cvt_f64_f32_e32 v[30:31], v19
	v_frexp_exp_i32_f64_e32 v30, v[30:31]
	v_cmp_gt_f32_e64 s[0:1], s23, v33
	v_subbrev_co_u32_e64 v38, s[0:1], 0, v30, s[0:1]
	v_sub_u32_e32 v30, 0, v38
	v_ldexp_f32 v19, v19, v30
	v_ldexp_f32 v30, v32, v30
	v_add_f32_e32 v32, -1.0, v19
	v_add_f32_e32 v31, 1.0, v32
	v_sub_f32_e32 v31, v19, v31
	v_add_f32_e32 v33, v30, v31
	v_add_f32_e32 v31, 1.0, v19
	v_add_f32_e32 v34, -1.0, v31
	v_sub_f32_e32 v19, v19, v34
	v_add_f32_e32 v19, v30, v19
	v_add_f32_e32 v39, v31, v19
	v_rcp_f32_e32 v40, v39
	v_sub_f32_e32 v30, v39, v31
	v_add_f32_e32 v31, v32, v33
	v_sub_f32_e32 v19, v19, v30
	v_mul_f32_e32 v42, v31, v40
	v_sub_f32_e32 v30, v31, v32
	v_mul_f32_e32 v32, v39, v42
	v_fma_f32 v34, v42, v39, -v32
	v_fmac_f32_e32 v34, v42, v19
	v_sub_f32_e32 v41, v33, v30
	v_add_f32_e32 v30, v32, v34
	v_sub_f32_e32 v33, v31, v30
	v_pk_add_f32 v[36:37], v[30:31], v[32:33] neg_lo:[0,1] neg_hi:[0,1]
	v_mov_b32_e32 v35, v30
	v_pk_add_f32 v[30:31], v[36:37], v[34:35] neg_lo:[0,1] neg_hi:[0,1]
	v_add_f32_e32 v31, v41, v31
	v_add_f32_e32 v30, v30, v31
	;; [unrolled: 1-line block ×3, first 2 shown]
	v_mul_f32_e32 v41, v40, v31
	v_mul_f32_e32 v32, v39, v41
	v_fma_f32 v34, v41, v39, -v32
	v_fmac_f32_e32 v34, v41, v19
	v_sub_f32_e32 v19, v33, v31
	v_add_f32_e32 v19, v30, v19
	v_add_f32_e32 v30, v32, v34
	v_sub_f32_e32 v33, v31, v30
	v_pk_add_f32 v[36:37], v[30:31], v[32:33] neg_lo:[0,1] neg_hi:[0,1]
	v_mov_b32_e32 v35, v30
	v_pk_add_f32 v[30:31], v[36:37], v[34:35] neg_lo:[0,1] neg_hi:[0,1]
	v_add_f32_e32 v19, v19, v31
	v_add_f32_e32 v19, v30, v19
	;; [unrolled: 1-line block ×4, first 2 shown]
	v_sub_f32_e32 v30, v31, v42
	v_mul_f32_e32 v19, v40, v19
	v_sub_f32_e32 v30, v41, v30
	v_add_f32_e32 v32, v30, v19
	v_add_f32_e32 v34, v31, v32
	v_cvt_f32_i32_e32 v30, v38
	v_mul_f32_e32 v35, v34, v34
	v_mov_b32_e32 v19, 0x3ecc95a3
	v_sub_f32_e32 v31, v34, v31
	v_fmac_f32_e32 v19, 0x3e9b6dac, v35
	v_sub_f32_e32 v31, v32, v31
	v_fma_f32 v19, v35, v19, v25
	v_ldexp_f32 v36, v31, 1
	v_mul_f32_e32 v31, v34, v35
	v_ldexp_f32 v33, v34, 1
	v_pk_mul_f32 v[34:35], v[30:31], v[18:19]
	v_fma_f32 v32, v30, s24, -v34
	v_fmac_f32_e32 v32, 0xb102e308, v30
	v_pk_add_f32 v[30:31], v[34:35], v[32:33]
	v_sub_f32_e32 v19, v31, v33
	v_sub_f32_e32 v19, v35, v19
	v_add_f32_e32 v37, v36, v19
	v_mov_b32_e32 v36, v34
	v_pk_add_f32 v[34:35], v[30:31], v[34:35] neg_lo:[0,1] neg_hi:[0,1]
	v_pk_add_f32 v[38:39], v[30:31], v[36:37]
	v_mov_b32_e32 v35, v39
	v_mov_b32_e32 v33, v30
	v_pk_add_f32 v[40:41], v[32:33], v[34:35] neg_lo:[0,1] neg_hi:[0,1]
	v_pk_add_f32 v[32:33], v[32:33], v[34:35]
	v_mov_b32_e32 v34, v33
	v_pk_add_f32 v[42:43], v[34:35], v[30:31] neg_lo:[0,1] neg_hi:[0,1]
	v_mov_b32_e32 v19, v42
	v_pk_add_f32 v[44:45], v[38:39], v[18:19] neg_lo:[0,1] neg_hi:[0,1]
	v_mov_b32_e32 v32, v39
	v_mov_b32_e32 v38, v31
	;; [unrolled: 1-line block ×4, first 2 shown]
	v_pk_add_f32 v[32:33], v[32:33], v[38:39] neg_lo:[0,1] neg_hi:[0,1]
	v_mov_b32_e32 v36, v37
	v_mov_b32_e32 v37, v30
	v_pk_add_f32 v[30:31], v[36:37], v[32:33] neg_lo:[0,1] neg_hi:[0,1]
	v_mov_b32_e32 v44, v40
	v_pk_add_f32 v[32:33], v[44:45], v[30:31]
	v_mov_b32_e32 v36, v33
	v_pk_add_f32 v[36:37], v[32:33], v[36:37]
	v_pk_add_f32 v[34:35], v[34:35], v[36:37]
	v_mov_b32_e32 v33, v34
	v_pk_add_f32 v[38:39], v[32:33], v[40:41] neg_lo:[0,1] neg_hi:[0,1]
	v_mov_b32_e32 v31, v36
	v_sub_f32_e32 v19, v32, v38
	v_pk_add_f32 v[30:31], v[30:31], v[38:39] neg_lo:[0,1] neg_hi:[0,1]
	v_sub_f32_e32 v19, v40, v19
	v_add_f32_e32 v19, v30, v19
	v_add_f32_e32 v19, v19, v31
	;; [unrolled: 1-line block ×3, first 2 shown]
	v_cmp_eq_f32_e64 s[0:1], s22, v46
	v_cndmask_b32_e64 v19, v19, v46, s[0:1]
	v_cmp_ngt_f32_e64 s[0:1], -1.0, v46
	v_cndmask_b32_e64 v19, v26, v19, s[0:1]
	v_cmp_neq_f32_e64 s[0:1], -1.0, v46
	v_cndmask_b32_e64 v19, v27, v19, s[0:1]
	v_cmp_lt_f32_e64 s[0:1], |v46|, s21
	v_cndmask_b32_e64 v19, v19, v46, s[0:1]
	v_bfe_u32 v30, v19, 16, 1
	v_add3_u32 v30, v19, v30, s25
	v_lshrrev_b32_e32 v30, 16, v30
	v_cmp_o_f32_e64 s[0:1], v19, v19
	v_cndmask_b32_e64 v19, v28, v30, s[0:1]
	v_mov_b32_e32 v31, s9
	v_add_co_u32_e64 v30, s[0:1], s8, v12
	v_addc_co_u32_e64 v31, s[0:1], v11, v31, s[0:1]
	global_store_short v[30:31], v19, off
	s_or_b64 exec, exec, s[2:3]
	s_and_saveexec_b64 s[0:1], vcc
	s_cbranch_execz .LBB207_8
.LBB207_24:                             ;   in Loop: Header=BB207_9 Depth=1
	s_waitcnt vmcnt(0)
	v_lshlrev_b32_e32 v29, 16, v29
	v_add_f32_e32 v19, 1.0, v29
	v_add_f32_e32 v30, -1.0, v19
	v_sub_f32_e32 v31, v30, v19
	v_add_f32_e32 v31, 1.0, v31
	v_sub_f32_e32 v30, v29, v30
	v_add_f32_e32 v32, v30, v31
	v_frexp_mant_f32_e32 v33, v19
	v_cvt_f64_f32_e32 v[30:31], v19
	v_frexp_exp_i32_f64_e32 v30, v[30:31]
	v_cmp_gt_f32_e32 vcc, s23, v33
	v_subbrev_co_u32_e32 v38, vcc, 0, v30, vcc
	v_sub_u32_e32 v30, 0, v38
	v_ldexp_f32 v19, v19, v30
	v_ldexp_f32 v30, v32, v30
	v_add_f32_e32 v32, -1.0, v19
	v_add_f32_e32 v31, 1.0, v32
	v_sub_f32_e32 v31, v19, v31
	v_add_f32_e32 v33, v30, v31
	v_add_f32_e32 v31, 1.0, v19
	v_add_f32_e32 v34, -1.0, v31
	v_sub_f32_e32 v19, v19, v34
	v_add_f32_e32 v19, v30, v19
	v_add_f32_e32 v39, v31, v19
	v_rcp_f32_e32 v40, v39
	v_sub_f32_e32 v30, v39, v31
	v_add_f32_e32 v31, v32, v33
	v_sub_f32_e32 v19, v19, v30
	v_mul_f32_e32 v42, v31, v40
	v_sub_f32_e32 v30, v31, v32
	v_mul_f32_e32 v32, v39, v42
	v_fma_f32 v34, v42, v39, -v32
	v_fmac_f32_e32 v34, v42, v19
	v_sub_f32_e32 v41, v33, v30
	v_add_f32_e32 v30, v32, v34
	v_sub_f32_e32 v33, v31, v30
	v_pk_add_f32 v[36:37], v[30:31], v[32:33] neg_lo:[0,1] neg_hi:[0,1]
	v_mov_b32_e32 v35, v30
	v_pk_add_f32 v[30:31], v[36:37], v[34:35] neg_lo:[0,1] neg_hi:[0,1]
	v_add_f32_e32 v31, v41, v31
	v_add_f32_e32 v30, v30, v31
	;; [unrolled: 1-line block ×3, first 2 shown]
	v_mul_f32_e32 v41, v40, v31
	v_mul_f32_e32 v32, v39, v41
	v_fma_f32 v34, v41, v39, -v32
	v_fmac_f32_e32 v34, v41, v19
	v_sub_f32_e32 v19, v33, v31
	v_add_f32_e32 v19, v30, v19
	v_add_f32_e32 v30, v32, v34
	v_sub_f32_e32 v33, v31, v30
	v_pk_add_f32 v[36:37], v[30:31], v[32:33] neg_lo:[0,1] neg_hi:[0,1]
	v_mov_b32_e32 v35, v30
	v_pk_add_f32 v[30:31], v[36:37], v[34:35] neg_lo:[0,1] neg_hi:[0,1]
	v_add_f32_e32 v19, v19, v31
	v_add_f32_e32 v19, v30, v19
	;; [unrolled: 1-line block ×4, first 2 shown]
	v_sub_f32_e32 v30, v31, v42
	v_mul_f32_e32 v19, v40, v19
	v_sub_f32_e32 v30, v41, v30
	v_add_f32_e32 v32, v30, v19
	v_add_f32_e32 v34, v31, v32
	v_cvt_f32_i32_e32 v30, v38
	v_mul_f32_e32 v35, v34, v34
	v_mov_b32_e32 v19, 0x3ecc95a3
	v_sub_f32_e32 v31, v34, v31
	v_fmac_f32_e32 v19, 0x3e9b6dac, v35
	v_sub_f32_e32 v31, v32, v31
	v_fma_f32 v19, v35, v19, v25
	v_ldexp_f32 v36, v31, 1
	v_mul_f32_e32 v31, v34, v35
	v_ldexp_f32 v33, v34, 1
	v_pk_mul_f32 v[34:35], v[30:31], v[18:19]
	v_fma_f32 v32, v30, s24, -v34
	v_fmac_f32_e32 v32, 0xb102e308, v30
	v_pk_add_f32 v[30:31], v[34:35], v[32:33]
	v_sub_f32_e32 v19, v31, v33
	v_sub_f32_e32 v19, v35, v19
	v_add_f32_e32 v37, v36, v19
	v_mov_b32_e32 v36, v34
	v_pk_add_f32 v[34:35], v[30:31], v[34:35] neg_lo:[0,1] neg_hi:[0,1]
	v_pk_add_f32 v[38:39], v[30:31], v[36:37]
	v_mov_b32_e32 v35, v39
	v_mov_b32_e32 v33, v30
	v_pk_add_f32 v[40:41], v[32:33], v[34:35] neg_lo:[0,1] neg_hi:[0,1]
	v_pk_add_f32 v[32:33], v[32:33], v[34:35]
	v_mov_b32_e32 v34, v33
	v_pk_add_f32 v[42:43], v[34:35], v[30:31] neg_lo:[0,1] neg_hi:[0,1]
	v_mov_b32_e32 v19, v42
	v_pk_add_f32 v[44:45], v[38:39], v[18:19] neg_lo:[0,1] neg_hi:[0,1]
	v_mov_b32_e32 v32, v39
	v_mov_b32_e32 v38, v31
	;; [unrolled: 1-line block ×4, first 2 shown]
	v_pk_add_f32 v[32:33], v[32:33], v[38:39] neg_lo:[0,1] neg_hi:[0,1]
	v_mov_b32_e32 v36, v37
	v_mov_b32_e32 v37, v30
	v_pk_add_f32 v[30:31], v[36:37], v[32:33] neg_lo:[0,1] neg_hi:[0,1]
	v_mov_b32_e32 v44, v40
	v_pk_add_f32 v[32:33], v[44:45], v[30:31]
	v_mov_b32_e32 v36, v33
	v_pk_add_f32 v[36:37], v[32:33], v[36:37]
	v_pk_add_f32 v[34:35], v[34:35], v[36:37]
	v_mov_b32_e32 v33, v34
	v_pk_add_f32 v[38:39], v[32:33], v[40:41] neg_lo:[0,1] neg_hi:[0,1]
	v_mov_b32_e32 v31, v36
	v_sub_f32_e32 v19, v32, v38
	v_pk_add_f32 v[30:31], v[30:31], v[38:39] neg_lo:[0,1] neg_hi:[0,1]
	v_sub_f32_e32 v19, v40, v19
	v_add_f32_e32 v19, v30, v19
	v_add_f32_e32 v19, v19, v31
	;; [unrolled: 1-line block ×3, first 2 shown]
	v_cmp_eq_f32_e32 vcc, s22, v29
	v_cndmask_b32_e32 v19, v19, v29, vcc
	v_cmp_ngt_f32_e32 vcc, -1.0, v29
	v_cndmask_b32_e32 v19, v26, v19, vcc
	v_cmp_neq_f32_e32 vcc, -1.0, v29
	v_cndmask_b32_e32 v19, v27, v19, vcc
	v_cmp_lt_f32_e64 vcc, |v29|, s21
	v_cndmask_b32_e32 v19, v19, v29, vcc
	v_bfe_u32 v29, v19, 16, 1
	v_add3_u32 v29, v19, v29, s25
	v_lshrrev_b32_e32 v29, 16, v29
	v_cmp_o_f32_e32 vcc, v19, v19
	v_cndmask_b32_e32 v19, v28, v29, vcc
	v_mov_b32_e32 v29, s9
	v_add_co_u32_e32 v30, vcc, s8, v8
	v_addc_co_u32_e32 v31, vcc, v7, v29, vcc
	global_store_short v[30:31], v19, off
	s_branch .LBB207_8
.LBB207_25:
	s_endpgm
	.section	.rodata,"a",@progbits
	.p2align	6, 0x0
	.amdhsa_kernel _ZN2at6native12_GLOBAL__N_125multi_tensor_apply_kernelINS1_18TensorListMetadataILi2EEENS1_14UnaryOpFunctorIN3c108BFloat16ELi2ELi1ELi1EEEJNS0_5Log1pIfEEEEEvT_T0_DpT1_
		.amdhsa_group_segment_fixed_size 0
		.amdhsa_private_segment_fixed_size 0
		.amdhsa_kernarg_size 3408
		.amdhsa_user_sgpr_count 6
		.amdhsa_user_sgpr_private_segment_buffer 1
		.amdhsa_user_sgpr_dispatch_ptr 0
		.amdhsa_user_sgpr_queue_ptr 0
		.amdhsa_user_sgpr_kernarg_segment_ptr 1
		.amdhsa_user_sgpr_dispatch_id 0
		.amdhsa_user_sgpr_flat_scratch_init 0
		.amdhsa_user_sgpr_kernarg_preload_length 0
		.amdhsa_user_sgpr_kernarg_preload_offset 0
		.amdhsa_user_sgpr_private_segment_size 0
		.amdhsa_uses_dynamic_stack 0
		.amdhsa_system_sgpr_private_segment_wavefront_offset 0
		.amdhsa_system_sgpr_workgroup_id_x 1
		.amdhsa_system_sgpr_workgroup_id_y 0
		.amdhsa_system_sgpr_workgroup_id_z 0
		.amdhsa_system_sgpr_workgroup_info 0
		.amdhsa_system_vgpr_workitem_id 0
		.amdhsa_next_free_vgpr 60
		.amdhsa_next_free_sgpr 32
		.amdhsa_accum_offset 60
		.amdhsa_reserve_vcc 1
		.amdhsa_reserve_flat_scratch 0
		.amdhsa_float_round_mode_32 0
		.amdhsa_float_round_mode_16_64 0
		.amdhsa_float_denorm_mode_32 3
		.amdhsa_float_denorm_mode_16_64 3
		.amdhsa_dx10_clamp 1
		.amdhsa_ieee_mode 1
		.amdhsa_fp16_overflow 0
		.amdhsa_tg_split 0
		.amdhsa_exception_fp_ieee_invalid_op 0
		.amdhsa_exception_fp_denorm_src 0
		.amdhsa_exception_fp_ieee_div_zero 0
		.amdhsa_exception_fp_ieee_overflow 0
		.amdhsa_exception_fp_ieee_underflow 0
		.amdhsa_exception_fp_ieee_inexact 0
		.amdhsa_exception_int_div_zero 0
	.end_amdhsa_kernel
	.section	.text._ZN2at6native12_GLOBAL__N_125multi_tensor_apply_kernelINS1_18TensorListMetadataILi2EEENS1_14UnaryOpFunctorIN3c108BFloat16ELi2ELi1ELi1EEEJNS0_5Log1pIfEEEEEvT_T0_DpT1_,"axG",@progbits,_ZN2at6native12_GLOBAL__N_125multi_tensor_apply_kernelINS1_18TensorListMetadataILi2EEENS1_14UnaryOpFunctorIN3c108BFloat16ELi2ELi1ELi1EEEJNS0_5Log1pIfEEEEEvT_T0_DpT1_,comdat
.Lfunc_end207:
	.size	_ZN2at6native12_GLOBAL__N_125multi_tensor_apply_kernelINS1_18TensorListMetadataILi2EEENS1_14UnaryOpFunctorIN3c108BFloat16ELi2ELi1ELi1EEEJNS0_5Log1pIfEEEEEvT_T0_DpT1_, .Lfunc_end207-_ZN2at6native12_GLOBAL__N_125multi_tensor_apply_kernelINS1_18TensorListMetadataILi2EEENS1_14UnaryOpFunctorIN3c108BFloat16ELi2ELi1ELi1EEEJNS0_5Log1pIfEEEEEvT_T0_DpT1_
                                        ; -- End function
	.section	.AMDGPU.csdata,"",@progbits
; Kernel info:
; codeLenInByte = 6168
; NumSgprs: 36
; NumVgprs: 60
; NumAgprs: 0
; TotalNumVgprs: 60
; ScratchSize: 0
; MemoryBound: 0
; FloatMode: 240
; IeeeMode: 1
; LDSByteSize: 0 bytes/workgroup (compile time only)
; SGPRBlocks: 4
; VGPRBlocks: 7
; NumSGPRsForWavesPerEU: 36
; NumVGPRsForWavesPerEU: 60
; AccumOffset: 60
; Occupancy: 8
; WaveLimiterHint : 0
; COMPUTE_PGM_RSRC2:SCRATCH_EN: 0
; COMPUTE_PGM_RSRC2:USER_SGPR: 6
; COMPUTE_PGM_RSRC2:TRAP_HANDLER: 0
; COMPUTE_PGM_RSRC2:TGID_X_EN: 1
; COMPUTE_PGM_RSRC2:TGID_Y_EN: 0
; COMPUTE_PGM_RSRC2:TGID_Z_EN: 0
; COMPUTE_PGM_RSRC2:TIDIG_COMP_CNT: 0
; COMPUTE_PGM_RSRC3_GFX90A:ACCUM_OFFSET: 14
; COMPUTE_PGM_RSRC3_GFX90A:TG_SPLIT: 0
	.section	.text._ZN2at6native12_GLOBAL__N_125multi_tensor_apply_kernelINS1_18TensorListMetadataILi1EEENS1_14UnaryOpFunctorIdLi1ELi1ELi0EEEJNS0_5Log1pIdEEEEEvT_T0_DpT1_,"axG",@progbits,_ZN2at6native12_GLOBAL__N_125multi_tensor_apply_kernelINS1_18TensorListMetadataILi1EEENS1_14UnaryOpFunctorIdLi1ELi1ELi0EEEJNS0_5Log1pIdEEEEEvT_T0_DpT1_,comdat
	.globl	_ZN2at6native12_GLOBAL__N_125multi_tensor_apply_kernelINS1_18TensorListMetadataILi1EEENS1_14UnaryOpFunctorIdLi1ELi1ELi0EEEJNS0_5Log1pIdEEEEEvT_T0_DpT1_ ; -- Begin function _ZN2at6native12_GLOBAL__N_125multi_tensor_apply_kernelINS1_18TensorListMetadataILi1EEENS1_14UnaryOpFunctorIdLi1ELi1ELi0EEEJNS0_5Log1pIdEEEEEvT_T0_DpT1_
	.p2align	8
	.type	_ZN2at6native12_GLOBAL__N_125multi_tensor_apply_kernelINS1_18TensorListMetadataILi1EEENS1_14UnaryOpFunctorIdLi1ELi1ELi0EEEJNS0_5Log1pIdEEEEEvT_T0_DpT1_,@function
_ZN2at6native12_GLOBAL__N_125multi_tensor_apply_kernelINS1_18TensorListMetadataILi1EEENS1_14UnaryOpFunctorIdLi1ELi1ELi0EEEJNS0_5Log1pIdEEEEEvT_T0_DpT1_: ; @_ZN2at6native12_GLOBAL__N_125multi_tensor_apply_kernelINS1_18TensorListMetadataILi1EEENS1_14UnaryOpFunctorIdLi1ELi1ELi0EEEJNS0_5Log1pIdEEEEEvT_T0_DpT1_
; %bb.0:
	v_mov_b32_e32 v1, s6
	global_load_ubyte v1, v1, s[4:5] offset:1760
	s_add_u32 s0, s4, s6
	s_mul_hi_u32 s1, s6, 3
	s_mul_i32 s6, s6, 3
	s_addc_u32 s2, s5, 0
	s_add_u32 s0, s0, s6
	s_addc_u32 s1, s2, s1
	s_load_dword s0, s[0:1], 0x820
	s_mov_b32 s7, 0
	s_waitcnt vmcnt(0)
	v_readfirstlane_b32 s2, v1
	s_lshl_b32 s1, s2, 3
	s_load_dwordx2 s[2:3], s[4:5], s1 offset:0x370
	s_load_dwordx2 s[12:13], s[4:5], s1 offset:0x0
	s_waitcnt lgkmcnt(0)
	s_ashr_i32 s1, s0, 31
	s_lshl_b64 s[14:15], s[0:1], 19
	s_lshl_b64 s[0:1], s[0:1], 16
	s_and_b32 s6, s12, 31
	s_sub_u32 s10, s2, s0
	s_subb_u32 s11, s3, s1
	s_and_b32 s0, s2, 3
	s_mov_b32 s1, s7
	s_or_b64 s[0:1], s[6:7], s[0:1]
	s_cmp_eq_u64 s[0:1], 0
	s_cbranch_scc1 .LBB208_21
; %bb.1:
	v_cmp_lt_i64_e64 s[0:1], s[10:11], 1
	s_and_b64 vcc, exec, s[0:1]
	s_cbranch_vccnz .LBB208_20
; %bb.2:
	s_load_dword s0, s[4:5], 0xd3c
	v_mov_b32_e32 v2, 0x10000
	v_mov_b32_e32 v3, 0
	v_cmp_lt_u64_e32 vcc, s[10:11], v[2:3]
	v_lshlrev_b32_e32 v1, 3, v0
	s_waitcnt lgkmcnt(0)
	s_and_b32 s2, s0, 0xffff
	s_and_b64 s[0:1], vcc, exec
	s_cselect_b32 s17, s11, 0
	s_cselect_b32 s16, s10, 0x10000
	s_lshl_b32 s3, s2, 1
	s_lshl_b32 s34, s2, 2
	s_add_u32 s6, s12, s14
	s_addc_u32 s7, s13, s15
	v_mov_b32_e32 v3, s7
	v_add_co_u32_e32 v2, vcc, s6, v1
	s_mul_i32 s0, s2, 3
	v_addc_co_u32_e32 v3, vcc, 0, v3, vcc
	v_add_co_u32_e32 v1, vcc, s0, v0
	v_addc_co_u32_e64 v26, s[0:1], 0, 0, vcc
	v_add_co_u32_e32 v27, vcc, s3, v0
	v_addc_co_u32_e64 v28, s[0:1], 0, 0, vcc
	v_add_co_u32_e32 v29, vcc, s2, v0
	v_lshlrev_b32_e32 v4, 3, v29
	s_mov_b32 s33, 0
	v_addc_co_u32_e64 v30, s[0:1], 0, 0, vcc
	v_mov_b32_e32 v5, s7
	v_add_co_u32_e32 v4, vcc, s6, v4
	s_mov_b32 s20, 0
	s_mov_b32 s22, 0x55555555
	;; [unrolled: 1-line block ×5, first 2 shown]
	s_lshl_b32 s35, s2, 5
	s_mul_i32 s36, s2, 24
	s_mov_b32 s37, s33
	s_lshl_b32 s38, s2, 4
	s_mov_b32 s39, s33
	v_addc_co_u32_e32 v5, vcc, 0, v5, vcc
	s_mov_b64 s[18:19], 0
	s_mov_b32 s21, 0x7ff00000
	s_mov_b32 s23, 0x3fe55555
	;; [unrolled: 1-line block ×5, first 2 shown]
	v_mov_b32_e32 v6, 0x6b47b09a
	v_mov_b32_e32 v7, 0x3fc38538
	;; [unrolled: 1-line block ×14, first 2 shown]
	s_branch .LBB208_4
.LBB208_3:                              ;   in Loop: Header=BB208_4 Depth=1
	s_or_b64 exec, exec, s[0:1]
	s_add_u32 s18, s18, s34
	s_addc_u32 s19, s19, 0
	s_waitcnt vmcnt(0)
	v_pk_mov_b32 v[18:19], s[10:11], s[10:11] op_sel:[0,1]
	v_cmp_lt_i64_e32 vcc, s[18:19], v[18:19]
	v_mov_b32_e32 v18, 0x10000
	v_mov_b32_e32 v19, 0
	v_cmp_lt_u64_e64 s[0:1], s[18:19], v[18:19]
	s_and_b64 s[0:1], vcc, s[0:1]
	v_mov_b32_e32 v18, s33
	v_add_co_u32_e32 v2, vcc, s35, v2
	v_addc_co_u32_e32 v3, vcc, v3, v18, vcc
	v_add_co_u32_e32 v4, vcc, s35, v4
	v_addc_co_u32_e32 v5, vcc, v5, v18, vcc
	s_and_b64 vcc, exec, s[0:1]
	s_cbranch_vccz .LBB208_20
.LBB208_4:                              ; =>This Inner Loop Header: Depth=1
	v_mov_b32_e32 v19, s19
	v_add_co_u32_e32 v18, vcc, s18, v0
	v_addc_co_u32_e32 v19, vcc, 0, v19, vcc
	v_pk_mov_b32 v[22:23], 0, 0
	v_cmp_gt_u64_e64 s[6:7], s[16:17], v[18:19]
	v_pk_mov_b32 v[24:25], v[22:23], v[22:23] op_sel:[0,1]
	s_and_saveexec_b64 s[0:1], s[6:7]
	s_cbranch_execz .LBB208_6
; %bb.5:                                ;   in Loop: Header=BB208_4 Depth=1
	global_load_dwordx2 v[24:25], v[2:3], off
.LBB208_6:                              ;   in Loop: Header=BB208_4 Depth=1
	s_or_b64 exec, exec, s[0:1]
	v_mov_b32_e32 v19, s19
	v_add_co_u32_e32 v18, vcc, s18, v29
	v_addc_co_u32_e32 v19, vcc, v30, v19, vcc
	v_cmp_gt_u64_e64 s[2:3], s[16:17], v[18:19]
	s_and_saveexec_b64 s[0:1], s[2:3]
	s_cbranch_execz .LBB208_8
; %bb.7:                                ;   in Loop: Header=BB208_4 Depth=1
	global_load_dwordx2 v[22:23], v[4:5], off
.LBB208_8:                              ;   in Loop: Header=BB208_4 Depth=1
	s_or_b64 exec, exec, s[0:1]
	v_mov_b32_e32 v19, s19
	v_add_co_u32_e32 v18, vcc, s18, v27
	v_addc_co_u32_e32 v19, vcc, v28, v19, vcc
	v_cmp_gt_u64_e64 s[0:1], s[16:17], v[18:19]
	v_pk_mov_b32 v[18:19], 0, 0
	v_pk_mov_b32 v[20:21], v[18:19], v[18:19] op_sel:[0,1]
	s_and_saveexec_b64 s[8:9], s[0:1]
	s_cbranch_execz .LBB208_10
; %bb.9:                                ;   in Loop: Header=BB208_4 Depth=1
	v_mov_b32_e32 v21, s39
	v_add_co_u32_e32 v20, vcc, s38, v2
	v_addc_co_u32_e32 v21, vcc, v3, v21, vcc
	global_load_dwordx2 v[20:21], v[20:21], off
.LBB208_10:                             ;   in Loop: Header=BB208_4 Depth=1
	s_or_b64 exec, exec, s[8:9]
	v_mov_b32_e32 v33, s19
	v_add_co_u32_e32 v34, vcc, s18, v1
	v_addc_co_u32_e32 v35, vcc, v26, v33, vcc
	v_cmp_gt_u64_e32 vcc, s[16:17], v[34:35]
	s_and_saveexec_b64 s[30:31], vcc
	s_cbranch_execnz .LBB208_15
; %bb.11:                               ;   in Loop: Header=BB208_4 Depth=1
	s_or_b64 exec, exec, s[30:31]
	s_and_saveexec_b64 s[8:9], s[6:7]
	s_cbranch_execnz .LBB208_16
.LBB208_12:                             ;   in Loop: Header=BB208_4 Depth=1
	s_or_b64 exec, exec, s[8:9]
	s_and_saveexec_b64 s[6:7], s[2:3]
	s_cbranch_execnz .LBB208_17
.LBB208_13:                             ;   in Loop: Header=BB208_4 Depth=1
	s_or_b64 exec, exec, s[6:7]
	s_and_saveexec_b64 s[2:3], s[0:1]
	s_cbranch_execnz .LBB208_18
.LBB208_14:                             ;   in Loop: Header=BB208_4 Depth=1
	s_or_b64 exec, exec, s[2:3]
	s_and_saveexec_b64 s[0:1], vcc
	s_cbranch_execz .LBB208_3
	s_branch .LBB208_19
.LBB208_15:                             ;   in Loop: Header=BB208_4 Depth=1
	v_mov_b32_e32 v19, s37
	v_add_co_u32_e64 v18, s[8:9], s36, v2
	v_addc_co_u32_e64 v19, s[8:9], v3, v19, s[8:9]
	global_load_dwordx2 v[18:19], v[18:19], off
	s_or_b64 exec, exec, s[30:31]
	s_and_saveexec_b64 s[8:9], s[6:7]
	s_cbranch_execz .LBB208_12
.LBB208_16:                             ;   in Loop: Header=BB208_4 Depth=1
	s_waitcnt vmcnt(0)
	v_add_f64 v[34:35], v[24:25], 1.0
	v_frexp_mant_f64_e32 v[36:37], v[34:35]
	v_frexp_exp_i32_f64_e32 v33, v[34:35]
	v_cmp_gt_f64_e64 s[6:7], s[22:23], v[36:37]
	v_subbrev_co_u32_e64 v33, s[6:7], 0, v33, s[6:7]
	v_cvt_f64_i32_e32 v[36:37], v33
	v_sub_u32_e32 v33, 0, v33
	v_add_f64 v[46:47], v[34:35], -1.0
	v_ldexp_f64 v[42:43], v[34:35], v33
	v_add_f64 v[34:35], v[46:47], -v[34:35]
	v_add_f64 v[48:49], v[24:25], -v[46:47]
	v_add_f64 v[34:35], v[34:35], 1.0
	v_add_f64 v[34:35], v[48:49], v[34:35]
	v_add_f64 v[48:49], v[42:43], 1.0
	v_add_f64 v[50:51], v[48:49], -1.0
	v_ldexp_f64 v[34:35], v[34:35], v33
	v_add_f64 v[50:51], v[42:43], -v[50:51]
	v_add_f64 v[50:51], v[34:35], v[50:51]
	v_add_f64 v[52:53], v[48:49], v[50:51]
	v_rcp_f64_e32 v[54:55], v[52:53]
	v_add_f64 v[44:45], v[42:43], -1.0
	v_add_f64 v[46:47], v[44:45], 1.0
	v_add_f64 v[42:43], v[42:43], -v[46:47]
	v_fma_f64 v[46:47], -v[52:53], v[54:55], 1.0
	v_fmac_f64_e32 v[54:55], v[46:47], v[54:55]
	v_add_f64 v[34:35], v[34:35], v[42:43]
	v_fma_f64 v[46:47], -v[52:53], v[54:55], 1.0
	v_add_f64 v[42:43], v[44:45], v[34:35]
	v_fmac_f64_e32 v[54:55], v[46:47], v[54:55]
	v_mul_f64 v[46:47], v[42:43], v[54:55]
	v_mul_f64 v[56:57], v[52:53], v[46:47]
	v_add_f64 v[48:49], v[52:53], -v[48:49]
	v_add_f64 v[48:49], v[50:51], -v[48:49]
	v_fma_f64 v[50:51], v[46:47], v[52:53], -v[56:57]
	v_fmac_f64_e32 v[50:51], v[46:47], v[48:49]
	v_add_f64 v[58:59], v[56:57], v[50:51]
	v_add_f64 v[60:61], v[42:43], -v[58:59]
	v_add_f64 v[44:45], v[42:43], -v[44:45]
	;; [unrolled: 1-line block ×7, first 2 shown]
	v_add_f64 v[34:35], v[34:35], v[42:43]
	v_add_f64 v[34:35], v[50:51], v[34:35]
	;; [unrolled: 1-line block ×3, first 2 shown]
	v_mul_f64 v[44:45], v[54:55], v[42:43]
	v_mul_f64 v[56:57], v[52:53], v[44:45]
	v_add_f64 v[50:51], v[46:47], v[44:45]
	v_fma_f64 v[52:53], v[44:45], v[52:53], -v[56:57]
	v_add_f64 v[46:47], v[50:51], -v[46:47]
	v_fmac_f64_e32 v[52:53], v[44:45], v[48:49]
	v_add_f64 v[46:47], v[44:45], -v[46:47]
	v_add_f64 v[44:45], v[56:57], v[52:53]
	v_add_f64 v[48:49], v[42:43], -v[44:45]
	v_add_f64 v[56:57], v[44:45], -v[56:57]
	;; [unrolled: 1-line block ×5, first 2 shown]
	v_add_f64 v[34:35], v[34:35], v[56:57]
	v_add_f64 v[42:43], v[42:43], -v[44:45]
	v_add_f64 v[34:35], v[34:35], v[42:43]
	v_add_f64 v[34:35], v[52:53], v[34:35]
	;; [unrolled: 1-line block ×3, first 2 shown]
	v_mul_f64 v[34:35], v[54:55], v[34:35]
	v_add_f64 v[34:35], v[46:47], v[34:35]
	v_add_f64 v[42:43], v[50:51], v[34:35]
	v_mul_f64 v[46:47], v[42:43], v[42:43]
	v_pk_mov_b32 v[52:53], v[6:7], v[6:7] op_sel:[0,1]
	v_fmac_f64_e32 v[52:53], s[28:29], v[46:47]
	v_pk_mov_b32 v[54:55], v[8:9], v[8:9] op_sel:[0,1]
	v_fmac_f64_e32 v[54:55], v[46:47], v[52:53]
	;; [unrolled: 2-line block ×5, first 2 shown]
	v_pk_mov_b32 v[54:55], v[16:17], v[16:17] op_sel:[0,1]
	v_mul_f64 v[48:49], v[42:43], v[46:47]
	v_fmac_f64_e32 v[54:55], v[46:47], v[52:53]
	v_ldexp_f64 v[44:45], v[42:43], 1
	v_mul_f64 v[46:47], v[48:49], v[54:55]
	v_add_f64 v[48:49], v[44:45], v[46:47]
	v_add_f64 v[42:43], v[42:43], -v[50:51]
	v_mul_f64 v[38:39], v[36:37], s[24:25]
	v_add_f64 v[34:35], v[34:35], -v[42:43]
	v_add_f64 v[42:43], v[48:49], -v[44:45]
	v_fma_f64 v[40:41], v[36:37], s[24:25], -v[38:39]
	v_ldexp_f64 v[34:35], v[34:35], 1
	v_add_f64 v[42:43], v[46:47], -v[42:43]
	v_fmac_f64_e32 v[40:41], s[26:27], v[36:37]
	v_add_f64 v[34:35], v[34:35], v[42:43]
	v_add_f64 v[36:37], v[38:39], v[40:41]
	;; [unrolled: 1-line block ×4, first 2 shown]
	v_add_f64 v[38:39], v[36:37], -v[38:39]
	v_add_f64 v[38:39], v[40:41], -v[38:39]
	;; [unrolled: 1-line block ×7, first 2 shown]
	v_add_f64 v[40:41], v[38:39], v[34:35]
	v_add_f64 v[36:37], v[36:37], -v[46:47]
	v_add_f64 v[36:37], v[42:43], v[36:37]
	v_add_f64 v[46:47], v[40:41], -v[38:39]
	;; [unrolled: 2-line block ×4, first 2 shown]
	v_add_f64 v[38:39], v[38:39], -v[40:41]
	v_add_f64 v[34:35], v[34:35], v[38:39]
	v_add_f64 v[38:39], v[42:43], -v[44:45]
	v_add_f64 v[36:37], v[36:37], -v[38:39]
	v_add_f64 v[34:35], v[34:35], v[36:37]
	v_add_f64 v[34:35], v[42:43], v[34:35]
	v_cmp_eq_f64_e64 s[6:7], s[20:21], v[24:25]
	v_cndmask_b32_e64 v33, v34, v24, s[6:7]
	v_cndmask_b32_e64 v34, v35, v25, s[6:7]
	v_cmp_ngt_f64_e64 s[6:7], -1.0, v[24:25]
	v_cndmask_b32_e64 v35, v31, v34, s[6:7]
	v_cmp_nge_f64_e64 s[6:7], -1.0, v[24:25]
	v_cndmask_b32_e64 v34, 0, v33, s[6:7]
	v_cmp_neq_f64_e64 s[6:7], -1.0, v[24:25]
	v_cndmask_b32_e64 v35, v32, v35, s[6:7]
	global_store_dwordx2 v[2:3], v[34:35], off
	s_or_b64 exec, exec, s[8:9]
	s_and_saveexec_b64 s[6:7], s[2:3]
	s_cbranch_execz .LBB208_13
.LBB208_17:                             ;   in Loop: Header=BB208_4 Depth=1
	s_waitcnt vmcnt(0)
	v_add_f64 v[24:25], v[22:23], 1.0
	v_add_f64 v[34:35], v[24:25], -1.0
	v_add_f64 v[36:37], v[34:35], -v[24:25]
	v_add_f64 v[36:37], v[36:37], 1.0
	v_add_f64 v[34:35], v[22:23], -v[34:35]
	v_add_f64 v[34:35], v[34:35], v[36:37]
	v_frexp_mant_f64_e32 v[36:37], v[24:25]
	v_frexp_exp_i32_f64_e32 v33, v[24:25]
	v_cmp_gt_f64_e64 s[2:3], s[22:23], v[36:37]
	v_subbrev_co_u32_e64 v33, s[2:3], 0, v33, s[2:3]
	v_sub_u32_e32 v36, 0, v33
	v_ldexp_f64 v[24:25], v[24:25], v36
	v_ldexp_f64 v[34:35], v[34:35], v36
	v_add_f64 v[36:37], v[24:25], -1.0
	v_add_f64 v[42:43], v[24:25], 1.0
	v_add_f64 v[38:39], v[36:37], 1.0
	v_add_f64 v[44:45], v[42:43], -1.0
	v_add_f64 v[38:39], v[24:25], -v[38:39]
	v_add_f64 v[24:25], v[24:25], -v[44:45]
	v_add_f64 v[24:25], v[34:35], v[24:25]
	v_add_f64 v[38:39], v[34:35], v[38:39]
	;; [unrolled: 1-line block ×3, first 2 shown]
	v_rcp_f64_e32 v[44:45], v[34:35]
	v_add_f64 v[40:41], v[36:37], v[38:39]
	v_add_f64 v[36:37], v[40:41], -v[36:37]
	v_add_f64 v[36:37], v[38:39], -v[36:37]
	;; [unrolled: 1-line block ×4, first 2 shown]
	v_fma_f64 v[38:39], -v[34:35], v[44:45], 1.0
	v_fmac_f64_e32 v[44:45], v[38:39], v[44:45]
	v_fma_f64 v[38:39], -v[34:35], v[44:45], 1.0
	v_fmac_f64_e32 v[44:45], v[38:39], v[44:45]
	v_mul_f64 v[38:39], v[40:41], v[44:45]
	v_mul_f64 v[42:43], v[34:35], v[38:39]
	v_fma_f64 v[46:47], v[38:39], v[34:35], -v[42:43]
	v_fmac_f64_e32 v[46:47], v[38:39], v[24:25]
	v_add_f64 v[48:49], v[42:43], v[46:47]
	v_add_f64 v[50:51], v[40:41], -v[48:49]
	v_add_f64 v[40:41], v[40:41], -v[50:51]
	;; [unrolled: 1-line block ×4, first 2 shown]
	v_add_f64 v[36:37], v[36:37], v[40:41]
	v_add_f64 v[40:41], v[42:43], -v[46:47]
	v_add_f64 v[36:37], v[40:41], v[36:37]
	v_add_f64 v[40:41], v[50:51], v[36:37]
	v_add_f64 v[42:43], v[50:51], -v[40:41]
	v_add_f64 v[36:37], v[36:37], v[42:43]
	v_mul_f64 v[42:43], v[44:45], v[40:41]
	v_mul_f64 v[46:47], v[34:35], v[42:43]
	v_fma_f64 v[34:35], v[42:43], v[34:35], -v[46:47]
	v_fmac_f64_e32 v[34:35], v[42:43], v[24:25]
	v_add_f64 v[24:25], v[46:47], v[34:35]
	v_add_f64 v[48:49], v[40:41], -v[24:25]
	v_add_f64 v[40:41], v[40:41], -v[48:49]
	;; [unrolled: 1-line block ×4, first 2 shown]
	v_add_f64 v[24:25], v[36:37], v[24:25]
	v_add_f64 v[34:35], v[46:47], -v[34:35]
	v_add_f64 v[24:25], v[34:35], v[24:25]
	v_add_f64 v[34:35], v[38:39], v[42:43]
	;; [unrolled: 1-line block ×3, first 2 shown]
	v_add_f64 v[36:37], v[34:35], -v[38:39]
	v_mul_f64 v[24:25], v[44:45], v[24:25]
	v_add_f64 v[36:37], v[42:43], -v[36:37]
	v_add_f64 v[24:25], v[36:37], v[24:25]
	v_add_f64 v[36:37], v[34:35], v[24:25]
	v_add_f64 v[34:35], v[36:37], -v[34:35]
	v_add_f64 v[24:25], v[24:25], -v[34:35]
	v_mul_f64 v[34:35], v[36:37], v[36:37]
	v_pk_mov_b32 v[38:39], v[6:7], v[6:7] op_sel:[0,1]
	v_fmac_f64_e32 v[38:39], s[28:29], v[34:35]
	v_pk_mov_b32 v[40:41], v[8:9], v[8:9] op_sel:[0,1]
	v_fmac_f64_e32 v[40:41], v[34:35], v[38:39]
	;; [unrolled: 2-line block ×6, first 2 shown]
	v_cvt_f64_i32_e32 v[38:39], v33
	v_mul_f64 v[42:43], v[38:39], s[24:25]
	v_fma_f64 v[44:45], v[38:39], s[24:25], -v[42:43]
	v_fmac_f64_e32 v[44:45], s[26:27], v[38:39]
	v_add_f64 v[38:39], v[42:43], v[44:45]
	v_add_f64 v[42:43], v[38:39], -v[42:43]
	v_mul_f64 v[34:35], v[36:37], v[34:35]
	v_add_f64 v[42:43], v[44:45], -v[42:43]
	v_ldexp_f64 v[44:45], v[36:37], 1
	v_mul_f64 v[34:35], v[34:35], v[40:41]
	v_add_f64 v[36:37], v[44:45], v[34:35]
	v_add_f64 v[40:41], v[36:37], -v[44:45]
	v_ldexp_f64 v[24:25], v[24:25], 1
	v_add_f64 v[34:35], v[34:35], -v[40:41]
	v_add_f64 v[24:25], v[24:25], v[34:35]
	v_add_f64 v[34:35], v[36:37], v[24:25]
	v_add_f64 v[36:37], v[34:35], -v[36:37]
	v_add_f64 v[24:25], v[24:25], -v[36:37]
	v_add_f64 v[36:37], v[38:39], v[34:35]
	v_add_f64 v[40:41], v[36:37], -v[38:39]
	v_add_f64 v[44:45], v[36:37], -v[40:41]
	;; [unrolled: 1-line block ×4, first 2 shown]
	v_add_f64 v[34:35], v[34:35], v[38:39]
	v_add_f64 v[38:39], v[42:43], v[24:25]
	v_add_f64 v[40:41], v[38:39], -v[42:43]
	v_add_f64 v[34:35], v[38:39], v[34:35]
	v_add_f64 v[44:45], v[38:39], -v[40:41]
	;; [unrolled: 2-line block ×3, first 2 shown]
	v_add_f64 v[24:25], v[24:25], -v[40:41]
	v_add_f64 v[36:37], v[38:39], -v[36:37]
	v_add_f64 v[24:25], v[24:25], v[42:43]
	v_add_f64 v[34:35], v[34:35], -v[36:37]
	v_add_f64 v[24:25], v[24:25], v[34:35]
	v_add_f64 v[24:25], v[38:39], v[24:25]
	v_cmp_eq_f64_e64 s[2:3], s[20:21], v[22:23]
	v_cndmask_b32_e64 v24, v24, v22, s[2:3]
	v_cndmask_b32_e64 v25, v25, v23, s[2:3]
	v_cmp_ngt_f64_e64 s[2:3], -1.0, v[22:23]
	v_cndmask_b32_e64 v25, v31, v25, s[2:3]
	v_cmp_nge_f64_e64 s[2:3], -1.0, v[22:23]
	v_cndmask_b32_e64 v24, 0, v24, s[2:3]
	v_cmp_neq_f64_e64 s[2:3], -1.0, v[22:23]
	v_cndmask_b32_e64 v25, v32, v25, s[2:3]
	global_store_dwordx2 v[4:5], v[24:25], off
	s_or_b64 exec, exec, s[6:7]
	s_and_saveexec_b64 s[2:3], s[0:1]
	s_cbranch_execz .LBB208_14
.LBB208_18:                             ;   in Loop: Header=BB208_4 Depth=1
	s_waitcnt vmcnt(0)
	v_add_f64 v[22:23], v[20:21], 1.0
	v_add_f64 v[24:25], v[22:23], -1.0
	v_add_f64 v[34:35], v[24:25], -v[22:23]
	v_add_f64 v[34:35], v[34:35], 1.0
	v_add_f64 v[24:25], v[20:21], -v[24:25]
	v_add_f64 v[24:25], v[24:25], v[34:35]
	v_frexp_mant_f64_e32 v[34:35], v[22:23]
	v_frexp_exp_i32_f64_e32 v33, v[22:23]
	v_cmp_gt_f64_e64 s[0:1], s[22:23], v[34:35]
	v_subbrev_co_u32_e64 v33, s[0:1], 0, v33, s[0:1]
	v_sub_u32_e32 v34, 0, v33
	v_ldexp_f64 v[22:23], v[22:23], v34
	v_ldexp_f64 v[24:25], v[24:25], v34
	v_add_f64 v[34:35], v[22:23], -1.0
	v_add_f64 v[40:41], v[22:23], 1.0
	v_add_f64 v[36:37], v[34:35], 1.0
	v_add_f64 v[42:43], v[40:41], -1.0
	v_add_f64 v[36:37], v[22:23], -v[36:37]
	v_add_f64 v[22:23], v[22:23], -v[42:43]
	v_add_f64 v[22:23], v[24:25], v[22:23]
	v_add_f64 v[36:37], v[24:25], v[36:37]
	;; [unrolled: 1-line block ×3, first 2 shown]
	v_rcp_f64_e32 v[42:43], v[24:25]
	v_add_f64 v[38:39], v[34:35], v[36:37]
	v_add_f64 v[34:35], v[38:39], -v[34:35]
	v_add_f64 v[34:35], v[36:37], -v[34:35]
	;; [unrolled: 1-line block ×4, first 2 shown]
	v_fma_f64 v[36:37], -v[24:25], v[42:43], 1.0
	v_fmac_f64_e32 v[42:43], v[36:37], v[42:43]
	v_fma_f64 v[36:37], -v[24:25], v[42:43], 1.0
	v_fmac_f64_e32 v[42:43], v[36:37], v[42:43]
	v_mul_f64 v[36:37], v[38:39], v[42:43]
	v_mul_f64 v[40:41], v[24:25], v[36:37]
	v_fma_f64 v[44:45], v[36:37], v[24:25], -v[40:41]
	v_fmac_f64_e32 v[44:45], v[36:37], v[22:23]
	v_add_f64 v[46:47], v[40:41], v[44:45]
	v_add_f64 v[48:49], v[38:39], -v[46:47]
	v_add_f64 v[38:39], v[38:39], -v[48:49]
	;; [unrolled: 1-line block ×4, first 2 shown]
	v_add_f64 v[34:35], v[34:35], v[38:39]
	v_add_f64 v[38:39], v[40:41], -v[44:45]
	v_add_f64 v[34:35], v[38:39], v[34:35]
	v_add_f64 v[38:39], v[48:49], v[34:35]
	v_add_f64 v[40:41], v[48:49], -v[38:39]
	v_add_f64 v[34:35], v[34:35], v[40:41]
	v_mul_f64 v[40:41], v[42:43], v[38:39]
	v_mul_f64 v[44:45], v[24:25], v[40:41]
	v_fma_f64 v[24:25], v[40:41], v[24:25], -v[44:45]
	v_fmac_f64_e32 v[24:25], v[40:41], v[22:23]
	v_add_f64 v[22:23], v[44:45], v[24:25]
	v_add_f64 v[46:47], v[38:39], -v[22:23]
	v_add_f64 v[38:39], v[38:39], -v[46:47]
	;; [unrolled: 1-line block ×4, first 2 shown]
	v_add_f64 v[22:23], v[34:35], v[22:23]
	v_add_f64 v[24:25], v[44:45], -v[24:25]
	v_add_f64 v[22:23], v[24:25], v[22:23]
	v_add_f64 v[24:25], v[36:37], v[40:41]
	;; [unrolled: 1-line block ×3, first 2 shown]
	v_add_f64 v[34:35], v[24:25], -v[36:37]
	v_mul_f64 v[22:23], v[42:43], v[22:23]
	v_add_f64 v[34:35], v[40:41], -v[34:35]
	v_add_f64 v[22:23], v[34:35], v[22:23]
	v_add_f64 v[34:35], v[24:25], v[22:23]
	v_add_f64 v[24:25], v[34:35], -v[24:25]
	v_add_f64 v[22:23], v[22:23], -v[24:25]
	v_mul_f64 v[24:25], v[34:35], v[34:35]
	v_pk_mov_b32 v[36:37], v[6:7], v[6:7] op_sel:[0,1]
	v_fmac_f64_e32 v[36:37], s[28:29], v[24:25]
	v_pk_mov_b32 v[38:39], v[8:9], v[8:9] op_sel:[0,1]
	v_fmac_f64_e32 v[38:39], v[24:25], v[36:37]
	;; [unrolled: 2-line block ×6, first 2 shown]
	v_cvt_f64_i32_e32 v[36:37], v33
	v_mul_f64 v[40:41], v[36:37], s[24:25]
	v_fma_f64 v[42:43], v[36:37], s[24:25], -v[40:41]
	v_fmac_f64_e32 v[42:43], s[26:27], v[36:37]
	v_add_f64 v[36:37], v[40:41], v[42:43]
	v_add_f64 v[40:41], v[36:37], -v[40:41]
	v_mul_f64 v[24:25], v[34:35], v[24:25]
	v_add_f64 v[40:41], v[42:43], -v[40:41]
	v_ldexp_f64 v[42:43], v[34:35], 1
	v_mul_f64 v[24:25], v[24:25], v[38:39]
	v_add_f64 v[34:35], v[42:43], v[24:25]
	v_add_f64 v[38:39], v[34:35], -v[42:43]
	v_ldexp_f64 v[22:23], v[22:23], 1
	v_add_f64 v[24:25], v[24:25], -v[38:39]
	v_add_f64 v[22:23], v[22:23], v[24:25]
	v_add_f64 v[24:25], v[34:35], v[22:23]
	v_add_f64 v[34:35], v[24:25], -v[34:35]
	v_add_f64 v[22:23], v[22:23], -v[34:35]
	v_add_f64 v[34:35], v[36:37], v[24:25]
	v_add_f64 v[38:39], v[34:35], -v[36:37]
	v_add_f64 v[42:43], v[34:35], -v[38:39]
	;; [unrolled: 1-line block ×4, first 2 shown]
	v_add_f64 v[24:25], v[24:25], v[36:37]
	v_add_f64 v[36:37], v[40:41], v[22:23]
	v_add_f64 v[38:39], v[36:37], -v[40:41]
	v_add_f64 v[24:25], v[36:37], v[24:25]
	v_add_f64 v[42:43], v[36:37], -v[38:39]
	;; [unrolled: 2-line block ×3, first 2 shown]
	v_add_f64 v[22:23], v[22:23], -v[38:39]
	v_add_f64 v[34:35], v[36:37], -v[34:35]
	v_add_f64 v[22:23], v[22:23], v[40:41]
	v_add_f64 v[24:25], v[24:25], -v[34:35]
	v_add_f64 v[22:23], v[22:23], v[24:25]
	v_add_f64 v[22:23], v[36:37], v[22:23]
	v_cmp_eq_f64_e64 s[0:1], s[20:21], v[20:21]
	v_cndmask_b32_e64 v22, v22, v20, s[0:1]
	v_cndmask_b32_e64 v23, v23, v21, s[0:1]
	v_cmp_ngt_f64_e64 s[0:1], -1.0, v[20:21]
	v_cndmask_b32_e64 v23, v31, v23, s[0:1]
	v_cmp_nge_f64_e64 s[0:1], -1.0, v[20:21]
	v_cndmask_b32_e64 v22, 0, v22, s[0:1]
	v_cmp_neq_f64_e64 s[0:1], -1.0, v[20:21]
	v_cndmask_b32_e64 v23, v32, v23, s[0:1]
	v_mov_b32_e32 v21, s39
	v_add_co_u32_e64 v20, s[0:1], s38, v2
	v_addc_co_u32_e64 v21, s[0:1], v3, v21, s[0:1]
	global_store_dwordx2 v[20:21], v[22:23], off
	s_or_b64 exec, exec, s[2:3]
	s_and_saveexec_b64 s[0:1], vcc
	s_cbranch_execz .LBB208_3
.LBB208_19:                             ;   in Loop: Header=BB208_4 Depth=1
	s_waitcnt vmcnt(0)
	v_add_f64 v[20:21], v[18:19], 1.0
	v_add_f64 v[22:23], v[20:21], -1.0
	v_add_f64 v[24:25], v[22:23], -v[20:21]
	v_add_f64 v[24:25], v[24:25], 1.0
	v_add_f64 v[22:23], v[18:19], -v[22:23]
	v_add_f64 v[22:23], v[22:23], v[24:25]
	v_frexp_mant_f64_e32 v[24:25], v[20:21]
	v_frexp_exp_i32_f64_e32 v33, v[20:21]
	v_cmp_gt_f64_e32 vcc, s[22:23], v[24:25]
	v_subbrev_co_u32_e32 v33, vcc, 0, v33, vcc
	v_sub_u32_e32 v24, 0, v33
	v_ldexp_f64 v[20:21], v[20:21], v24
	v_ldexp_f64 v[22:23], v[22:23], v24
	v_add_f64 v[24:25], v[20:21], -1.0
	v_add_f64 v[38:39], v[20:21], 1.0
	v_add_f64 v[34:35], v[24:25], 1.0
	v_add_f64 v[40:41], v[38:39], -1.0
	v_add_f64 v[34:35], v[20:21], -v[34:35]
	v_add_f64 v[20:21], v[20:21], -v[40:41]
	v_add_f64 v[20:21], v[22:23], v[20:21]
	v_add_f64 v[34:35], v[22:23], v[34:35]
	;; [unrolled: 1-line block ×3, first 2 shown]
	v_rcp_f64_e32 v[40:41], v[22:23]
	v_add_f64 v[36:37], v[24:25], v[34:35]
	v_add_f64 v[24:25], v[36:37], -v[24:25]
	v_add_f64 v[24:25], v[34:35], -v[24:25]
	;; [unrolled: 1-line block ×4, first 2 shown]
	v_fma_f64 v[34:35], -v[22:23], v[40:41], 1.0
	v_fmac_f64_e32 v[40:41], v[34:35], v[40:41]
	v_fma_f64 v[34:35], -v[22:23], v[40:41], 1.0
	v_fmac_f64_e32 v[40:41], v[34:35], v[40:41]
	v_mul_f64 v[34:35], v[36:37], v[40:41]
	v_mul_f64 v[38:39], v[22:23], v[34:35]
	v_fma_f64 v[42:43], v[34:35], v[22:23], -v[38:39]
	v_fmac_f64_e32 v[42:43], v[34:35], v[20:21]
	v_add_f64 v[44:45], v[38:39], v[42:43]
	v_add_f64 v[46:47], v[36:37], -v[44:45]
	v_add_f64 v[36:37], v[36:37], -v[46:47]
	;; [unrolled: 1-line block ×4, first 2 shown]
	v_add_f64 v[24:25], v[24:25], v[36:37]
	v_add_f64 v[36:37], v[38:39], -v[42:43]
	v_add_f64 v[24:25], v[36:37], v[24:25]
	v_add_f64 v[36:37], v[46:47], v[24:25]
	v_add_f64 v[38:39], v[46:47], -v[36:37]
	v_add_f64 v[24:25], v[24:25], v[38:39]
	v_mul_f64 v[38:39], v[40:41], v[36:37]
	v_mul_f64 v[42:43], v[22:23], v[38:39]
	v_fma_f64 v[22:23], v[38:39], v[22:23], -v[42:43]
	v_fmac_f64_e32 v[22:23], v[38:39], v[20:21]
	v_add_f64 v[20:21], v[42:43], v[22:23]
	v_add_f64 v[44:45], v[36:37], -v[20:21]
	v_add_f64 v[36:37], v[36:37], -v[44:45]
	v_add_f64 v[42:43], v[20:21], -v[42:43]
	v_add_f64 v[20:21], v[36:37], -v[20:21]
	v_add_f64 v[20:21], v[24:25], v[20:21]
	v_add_f64 v[22:23], v[42:43], -v[22:23]
	v_add_f64 v[20:21], v[22:23], v[20:21]
	v_add_f64 v[22:23], v[34:35], v[38:39]
	;; [unrolled: 1-line block ×3, first 2 shown]
	v_add_f64 v[24:25], v[22:23], -v[34:35]
	v_mul_f64 v[20:21], v[40:41], v[20:21]
	v_add_f64 v[24:25], v[38:39], -v[24:25]
	v_add_f64 v[20:21], v[24:25], v[20:21]
	v_add_f64 v[24:25], v[22:23], v[20:21]
	v_add_f64 v[22:23], v[24:25], -v[22:23]
	v_add_f64 v[20:21], v[20:21], -v[22:23]
	v_mul_f64 v[22:23], v[24:25], v[24:25]
	v_pk_mov_b32 v[34:35], v[6:7], v[6:7] op_sel:[0,1]
	v_fmac_f64_e32 v[34:35], s[28:29], v[22:23]
	v_pk_mov_b32 v[36:37], v[8:9], v[8:9] op_sel:[0,1]
	v_fmac_f64_e32 v[36:37], v[22:23], v[34:35]
	;; [unrolled: 2-line block ×6, first 2 shown]
	v_cvt_f64_i32_e32 v[34:35], v33
	v_mul_f64 v[38:39], v[34:35], s[24:25]
	v_fma_f64 v[40:41], v[34:35], s[24:25], -v[38:39]
	v_fmac_f64_e32 v[40:41], s[26:27], v[34:35]
	v_add_f64 v[34:35], v[38:39], v[40:41]
	v_add_f64 v[38:39], v[34:35], -v[38:39]
	v_mul_f64 v[22:23], v[24:25], v[22:23]
	v_add_f64 v[38:39], v[40:41], -v[38:39]
	v_ldexp_f64 v[40:41], v[24:25], 1
	v_mul_f64 v[22:23], v[22:23], v[36:37]
	v_add_f64 v[24:25], v[40:41], v[22:23]
	v_add_f64 v[36:37], v[24:25], -v[40:41]
	v_ldexp_f64 v[20:21], v[20:21], 1
	v_add_f64 v[22:23], v[22:23], -v[36:37]
	v_add_f64 v[20:21], v[20:21], v[22:23]
	v_add_f64 v[22:23], v[24:25], v[20:21]
	v_add_f64 v[24:25], v[22:23], -v[24:25]
	v_add_f64 v[20:21], v[20:21], -v[24:25]
	v_add_f64 v[24:25], v[34:35], v[22:23]
	v_add_f64 v[36:37], v[24:25], -v[34:35]
	v_add_f64 v[40:41], v[24:25], -v[36:37]
	;; [unrolled: 1-line block ×4, first 2 shown]
	v_add_f64 v[22:23], v[22:23], v[34:35]
	v_add_f64 v[34:35], v[38:39], v[20:21]
	v_add_f64 v[36:37], v[34:35], -v[38:39]
	v_add_f64 v[22:23], v[34:35], v[22:23]
	v_add_f64 v[40:41], v[34:35], -v[36:37]
	;; [unrolled: 2-line block ×3, first 2 shown]
	v_add_f64 v[20:21], v[20:21], -v[36:37]
	v_add_f64 v[24:25], v[34:35], -v[24:25]
	v_add_f64 v[20:21], v[20:21], v[38:39]
	v_add_f64 v[22:23], v[22:23], -v[24:25]
	v_add_f64 v[20:21], v[20:21], v[22:23]
	v_add_f64 v[20:21], v[34:35], v[20:21]
	v_cmp_eq_f64_e32 vcc, s[20:21], v[18:19]
	v_cndmask_b32_e32 v20, v20, v18, vcc
	v_cndmask_b32_e32 v21, v21, v19, vcc
	v_cmp_ngt_f64_e32 vcc, -1.0, v[18:19]
	v_cndmask_b32_e32 v21, v31, v21, vcc
	v_cmp_nge_f64_e32 vcc, -1.0, v[18:19]
	v_cndmask_b32_e32 v20, 0, v20, vcc
	v_cmp_neq_f64_e32 vcc, -1.0, v[18:19]
	v_cndmask_b32_e32 v21, v32, v21, vcc
	v_mov_b32_e32 v19, s37
	v_add_co_u32_e32 v18, vcc, s36, v2
	v_addc_co_u32_e32 v19, vcc, v3, v19, vcc
	global_store_dwordx2 v[18:19], v[20:21], off
	s_branch .LBB208_3
.LBB208_20:
	s_cbranch_execz .LBB208_22
	s_branch .LBB208_25
.LBB208_21:
.LBB208_22:
	v_mov_b32_e32 v13, 0
	v_lshlrev_b32_e32 v12, 2, v0
	s_mov_b32 s0, 0
	v_cmp_gt_i64_e32 vcc, s[10:11], v[12:13]
	s_and_saveexec_b64 s[2:3], vcc
	s_cbranch_execz .LBB208_25
; %bb.23:
	s_load_dword s1, s[4:5], 0xd3c
	v_lshlrev_b32_e32 v1, 5, v0
	s_mov_b32 s8, 0x6b47b09a
	s_mov_b32 s4, 0x55555555
	;; [unrolled: 1-line block ×3, first 2 shown]
	s_waitcnt lgkmcnt(0)
	s_and_b32 s1, s1, 0xffff
	s_lshl_b32 s28, s1, 2
	s_add_u32 s2, s12, s14
	s_addc_u32 s3, s13, s15
	v_add_lshl_u32 v12, v0, s1, 2
	v_mov_b32_e32 v0, s3
	v_add_co_u32_e32 v1, vcc, s2, v1
	v_addc_co_u32_e32 v0, vcc, 0, v0, vcc
	v_add_co_u32_e32 v14, vcc, 16, v1
	s_mov_b32 s5, 0x3fe55555
	s_mov_b32 s6, 0xbf559e2b
	v_pk_mov_b32 v[16:17], s[8:9], s[8:9] op_sel:[0,1]
	s_mov_b32 s8, 0xd7f4df2e
	s_mov_b32 s12, 0x16291751
	s_mov_b32 s14, 0x9b27acf1
	s_mov_b32 s16, 0x998ef7b6
	s_mov_b32 s20, 0xfefa39ef
	s_mov_b32 s22, 0x3b39803f
	s_mov_b32 s24, 0
	v_addc_co_u32_e32 v15, vcc, 0, v0, vcc
	s_lshl_b32 s29, s1, 5
	s_mov_b64 s[2:3], 0
	s_mov_b32 s7, 0x3fc3ab76
	s_mov_b32 s9, 0x3fc7474d
	;; [unrolled: 1-line block ×10, first 2 shown]
	v_mov_b32_e32 v18, 0x7ff80000
	v_mov_b32_e32 v19, 0xfff00000
	s_mov_b64 s[26:27], 0xffff
	v_mov_b32_e32 v20, s0
	v_mov_b32_e32 v21, s0
.LBB208_24:                             ; =>This Inner Loop Header: Depth=1
	global_load_dwordx4 v[4:7], v[14:15], off offset:-16
	global_load_dwordx4 v[0:3], v[14:15], off
	v_cmp_lt_u64_e64 s[0:1], s[26:27], v[12:13]
	s_waitcnt vmcnt(1)
	v_add_f64 v[8:9], v[4:5], 1.0
	v_frexp_mant_f64_e32 v[24:25], v[8:9]
	v_add_f64 v[10:11], v[6:7], 1.0
	v_frexp_exp_i32_f64_e32 v32, v[8:9]
	v_cmp_gt_f64_e32 vcc, s[4:5], v[24:25]
	v_add_f64 v[22:23], v[8:9], -1.0
	v_frexp_mant_f64_e32 v[28:29], v[10:11]
	v_subbrev_co_u32_e32 v32, vcc, 0, v32, vcc
	v_add_f64 v[26:27], v[10:11], -1.0
	v_frexp_exp_i32_f64_e32 v33, v[10:11]
	v_add_f64 v[30:31], v[22:23], -v[8:9]
	v_cmp_gt_f64_e32 vcc, s[4:5], v[28:29]
	v_add_f64 v[22:23], v[4:5], -v[22:23]
	v_add_f64 v[24:25], v[26:27], -v[10:11]
	v_subbrev_co_u32_e32 v54, vcc, 0, v33, vcc
	v_add_f64 v[28:29], v[30:31], 1.0
	v_sub_u32_e32 v33, 0, v32
	v_add_f64 v[26:27], v[6:7], -v[26:27]
	v_cvt_f64_i32_e32 v[30:31], v32
	v_add_f64 v[24:25], v[24:25], 1.0
	v_sub_u32_e32 v36, 0, v54
	v_add_f64 v[22:23], v[22:23], v[28:29]
	v_ldexp_f64 v[8:9], v[8:9], v33
	v_mul_f64 v[28:29], v[30:31], s[20:21]
	v_add_f64 v[24:25], v[26:27], v[24:25]
	v_ldexp_f64 v[10:11], v[10:11], v36
	v_ldexp_f64 v[22:23], v[22:23], v33
	v_add_f64 v[26:27], v[8:9], -1.0
	v_add_f64 v[32:33], v[8:9], 1.0
	v_fma_f64 v[34:35], v[30:31], s[20:21], -v[28:29]
	v_ldexp_f64 v[24:25], v[24:25], v36
	v_add_f64 v[36:37], v[10:11], -1.0
	v_add_f64 v[40:41], v[26:27], 1.0
	v_add_f64 v[42:43], v[32:33], -1.0
	v_fmac_f64_e32 v[34:35], s[22:23], v[30:31]
	v_add_f64 v[30:31], v[36:37], 1.0
	v_add_f64 v[40:41], v[8:9], -v[40:41]
	v_add_f64 v[8:9], v[8:9], -v[42:43]
	v_add_f64 v[42:43], v[28:29], v[34:35]
	v_add_f64 v[30:31], v[10:11], -v[30:31]
	v_add_f64 v[8:9], v[22:23], v[8:9]
	v_add_f64 v[40:41], v[22:23], v[40:41]
	v_add_f64 v[22:23], v[42:43], -v[28:29]
	v_add_f64 v[28:29], v[24:25], v[30:31]
	v_add_f64 v[30:31], v[32:33], v[8:9]
	v_rcp_f64_e32 v[46:47], v[30:31]
	v_add_f64 v[32:33], v[30:31], -v[32:33]
	v_add_f64 v[38:39], v[10:11], 1.0
	v_add_f64 v[8:9], v[8:9], -v[32:33]
	v_fma_f64 v[32:33], -v[30:31], v[46:47], 1.0
	v_add_f64 v[44:45], v[38:39], -1.0
	v_fmac_f64_e32 v[46:47], v[32:33], v[46:47]
	v_add_f64 v[10:11], v[10:11], -v[44:45]
	v_fma_f64 v[32:33], -v[30:31], v[46:47], 1.0
	v_add_f64 v[10:11], v[24:25], v[10:11]
	v_add_f64 v[24:25], v[26:27], v[40:41]
	v_add_f64 v[22:23], v[34:35], -v[22:23]
	v_add_f64 v[34:35], v[36:37], v[28:29]
	v_fmac_f64_e32 v[46:47], v[32:33], v[46:47]
	v_add_f64 v[36:37], v[34:35], -v[36:37]
	v_mul_f64 v[32:33], v[24:25], v[46:47]
	v_add_f64 v[26:27], v[24:25], -v[26:27]
	v_add_f64 v[28:29], v[28:29], -v[36:37]
	v_mul_f64 v[36:37], v[30:31], v[32:33]
	v_add_f64 v[26:27], v[40:41], -v[26:27]
	v_fma_f64 v[40:41], v[32:33], v[30:31], -v[36:37]
	v_fmac_f64_e32 v[40:41], v[32:33], v[8:9]
	v_add_f64 v[50:51], v[36:37], v[40:41]
	v_add_f64 v[52:53], v[24:25], -v[50:51]
	v_add_f64 v[24:25], v[24:25], -v[52:53]
	v_add_f64 v[36:37], v[50:51], -v[36:37]
	v_add_f64 v[24:25], v[24:25], -v[50:51]
	v_add_f64 v[36:37], v[36:37], -v[40:41]
	v_add_f64 v[24:25], v[26:27], v[24:25]
	v_add_f64 v[24:25], v[36:37], v[24:25]
	;; [unrolled: 1-line block ×3, first 2 shown]
	v_add_f64 v[36:37], v[52:53], -v[26:27]
	v_mul_f64 v[40:41], v[46:47], v[26:27]
	v_add_f64 v[24:25], v[24:25], v[36:37]
	v_mul_f64 v[36:37], v[30:31], v[40:41]
	v_add_f64 v[50:51], v[32:33], v[40:41]
	v_fma_f64 v[30:31], v[40:41], v[30:31], -v[36:37]
	v_add_f64 v[32:33], v[50:51], -v[32:33]
	v_fmac_f64_e32 v[30:31], v[40:41], v[8:9]
	v_add_f64 v[8:9], v[40:41], -v[32:33]
	v_add_f64 v[32:33], v[36:37], v[30:31]
	v_add_f64 v[40:41], v[26:27], -v[32:33]
	v_add_f64 v[26:27], v[26:27], -v[40:41]
	;; [unrolled: 1-line block ×5, first 2 shown]
	v_add_f64 v[24:25], v[24:25], v[26:27]
	v_add_f64 v[24:25], v[30:31], v[24:25]
	;; [unrolled: 1-line block ×3, first 2 shown]
	v_mul_f64 v[24:25], v[46:47], v[24:25]
	v_add_f64 v[8:9], v[8:9], v[24:25]
	v_add_f64 v[24:25], v[50:51], v[8:9]
	v_add_f64 v[26:27], v[24:25], -v[50:51]
	v_mul_f64 v[30:31], v[24:25], v[24:25]
	v_add_f64 v[8:9], v[8:9], -v[26:27]
	v_fma_f64 v[26:27], s[6:7], v[30:31], v[16:17]
	v_fma_f64 v[26:27], v[30:31], v[26:27], s[8:9]
	;; [unrolled: 1-line block ×5, first 2 shown]
	v_ldexp_f64 v[32:33], v[24:25], 1
	v_mul_f64 v[24:25], v[24:25], v[30:31]
	v_fma_f64 v[26:27], v[30:31], v[26:27], s[18:19]
	v_mul_f64 v[24:25], v[24:25], v[26:27]
	v_add_f64 v[26:27], v[32:33], v[24:25]
	v_add_f64 v[30:31], v[26:27], -v[32:33]
	v_ldexp_f64 v[8:9], v[8:9], 1
	v_add_f64 v[24:25], v[24:25], -v[30:31]
	v_add_f64 v[8:9], v[8:9], v[24:25]
	v_add_f64 v[24:25], v[26:27], v[8:9]
	v_add_f64 v[26:27], v[24:25], -v[26:27]
	v_add_f64 v[30:31], v[42:43], v[24:25]
	v_add_f64 v[8:9], v[8:9], -v[26:27]
	v_add_f64 v[26:27], v[30:31], -v[42:43]
	;; [unrolled: 1-line block ×4, first 2 shown]
	v_add_f64 v[26:27], v[22:23], v[8:9]
	v_add_f64 v[32:33], v[42:43], -v[32:33]
	v_add_f64 v[36:37], v[26:27], -v[22:23]
	v_add_f64 v[24:25], v[24:25], v[32:33]
	v_add_f64 v[32:33], v[26:27], -v[36:37]
	v_add_f64 v[8:9], v[8:9], -v[36:37]
	;; [unrolled: 1-line block ×3, first 2 shown]
	v_add_f64 v[24:25], v[26:27], v[24:25]
	v_add_f64 v[8:9], v[8:9], v[22:23]
	;; [unrolled: 1-line block ×3, first 2 shown]
	v_add_f64 v[26:27], v[22:23], -v[30:31]
	v_add_f64 v[24:25], v[24:25], -v[26:27]
	v_add_f64 v[44:45], v[38:39], v[10:11]
	v_add_f64 v[8:9], v[8:9], v[24:25]
	v_rcp_f64_e32 v[48:49], v[44:45]
	v_add_f64 v[8:9], v[22:23], v[8:9]
	v_cmp_eq_f64_e32 vcc, s[24:25], v[4:5]
	v_cndmask_b32_e32 v8, v8, v4, vcc
	v_cndmask_b32_e32 v9, v9, v5, vcc
	v_cmp_ngt_f64_e32 vcc, -1.0, v[4:5]
	v_cndmask_b32_e32 v9, v18, v9, vcc
	v_cmp_nge_f64_e32 vcc, -1.0, v[4:5]
	v_cndmask_b32_e32 v8, 0, v8, vcc
	v_cmp_neq_f64_e32 vcc, -1.0, v[4:5]
	v_add_f64 v[4:5], v[44:45], -v[38:39]
	v_add_f64 v[4:5], v[10:11], -v[4:5]
	v_fma_f64 v[10:11], -v[44:45], v[48:49], 1.0
	v_fmac_f64_e32 v[48:49], v[10:11], v[48:49]
	v_fma_f64 v[10:11], -v[44:45], v[48:49], 1.0
	v_fmac_f64_e32 v[48:49], v[10:11], v[48:49]
	v_mul_f64 v[10:11], v[34:35], v[48:49]
	v_mul_f64 v[22:23], v[44:45], v[10:11]
	v_fma_f64 v[24:25], v[10:11], v[44:45], -v[22:23]
	v_fmac_f64_e32 v[24:25], v[10:11], v[4:5]
	v_add_f64 v[26:27], v[22:23], v[24:25]
	v_add_f64 v[30:31], v[34:35], -v[26:27]
	v_add_f64 v[32:33], v[34:35], -v[30:31]
	;; [unrolled: 1-line block ×4, first 2 shown]
	v_add_f64 v[26:27], v[28:29], v[26:27]
	v_add_f64 v[22:23], v[22:23], -v[24:25]
	v_add_f64 v[22:23], v[22:23], v[26:27]
	v_add_f64 v[24:25], v[30:31], v[22:23]
	v_add_f64 v[26:27], v[30:31], -v[24:25]
	v_add_f64 v[22:23], v[22:23], v[26:27]
	v_mul_f64 v[26:27], v[48:49], v[24:25]
	v_mul_f64 v[28:29], v[44:45], v[26:27]
	v_fma_f64 v[30:31], v[26:27], v[44:45], -v[28:29]
	v_fmac_f64_e32 v[30:31], v[26:27], v[4:5]
	v_add_f64 v[4:5], v[28:29], v[30:31]
	v_add_f64 v[32:33], v[24:25], -v[4:5]
	v_add_f64 v[24:25], v[24:25], -v[32:33]
	;; [unrolled: 1-line block ×4, first 2 shown]
	v_add_f64 v[4:5], v[22:23], v[4:5]
	v_add_f64 v[22:23], v[28:29], -v[30:31]
	v_add_f64 v[4:5], v[22:23], v[4:5]
	v_add_f64 v[22:23], v[10:11], v[26:27]
	;; [unrolled: 1-line block ×3, first 2 shown]
	v_add_f64 v[10:11], v[22:23], -v[10:11]
	v_mul_f64 v[4:5], v[48:49], v[4:5]
	v_add_f64 v[10:11], v[26:27], -v[10:11]
	v_add_f64 v[4:5], v[10:11], v[4:5]
	v_add_f64 v[10:11], v[22:23], v[4:5]
	v_add_f64 v[22:23], v[10:11], -v[22:23]
	v_add_f64 v[4:5], v[4:5], -v[22:23]
	v_mul_f64 v[22:23], v[10:11], v[10:11]
	v_cvt_f64_i32_e32 v[26:27], v54
	v_fma_f64 v[24:25], s[6:7], v[22:23], v[16:17]
	v_mul_f64 v[28:29], v[26:27], s[20:21]
	v_fma_f64 v[24:25], v[22:23], v[24:25], s[8:9]
	v_fma_f64 v[30:31], v[26:27], s[20:21], -v[28:29]
	v_fma_f64 v[24:25], v[22:23], v[24:25], s[12:13]
	v_fmac_f64_e32 v[30:31], s[22:23], v[26:27]
	v_fma_f64 v[24:25], v[22:23], v[24:25], s[14:15]
	v_add_f64 v[26:27], v[28:29], v[30:31]
	v_fma_f64 v[24:25], v[22:23], v[24:25], s[16:17]
	v_add_f64 v[28:29], v[26:27], -v[28:29]
	v_fma_f64 v[24:25], v[22:23], v[24:25], s[18:19]
	v_add_f64 v[28:29], v[30:31], -v[28:29]
	v_ldexp_f64 v[30:31], v[10:11], 1
	v_mul_f64 v[10:11], v[10:11], v[22:23]
	v_mul_f64 v[10:11], v[10:11], v[24:25]
	v_add_f64 v[22:23], v[30:31], v[10:11]
	v_add_f64 v[24:25], v[22:23], -v[30:31]
	v_ldexp_f64 v[4:5], v[4:5], 1
	v_add_f64 v[10:11], v[10:11], -v[24:25]
	v_add_f64 v[4:5], v[4:5], v[10:11]
	v_add_f64 v[10:11], v[22:23], v[4:5]
	v_add_f64 v[22:23], v[10:11], -v[22:23]
	v_add_f64 v[4:5], v[4:5], -v[22:23]
	v_add_f64 v[22:23], v[26:27], v[10:11]
	v_add_f64 v[24:25], v[22:23], -v[26:27]
	v_add_f64 v[30:31], v[22:23], -v[24:25]
	;; [unrolled: 1-line block ×4, first 2 shown]
	v_add_f64 v[10:11], v[10:11], v[26:27]
	v_add_f64 v[24:25], v[28:29], v[4:5]
	v_add_f64 v[26:27], v[24:25], -v[28:29]
	v_add_f64 v[10:11], v[24:25], v[10:11]
	v_add_f64 v[30:31], v[24:25], -v[26:27]
	;; [unrolled: 2-line block ×3, first 2 shown]
	v_add_f64 v[4:5], v[4:5], -v[26:27]
	v_add_f64 v[22:23], v[24:25], -v[22:23]
	v_add_f64 v[4:5], v[4:5], v[28:29]
	v_add_f64 v[10:11], v[10:11], -v[22:23]
	v_add_f64 v[4:5], v[4:5], v[10:11]
	v_cndmask_b32_e32 v9, v19, v9, vcc
	v_add_f64 v[4:5], v[24:25], v[4:5]
	v_cmp_eq_f64_e32 vcc, s[24:25], v[6:7]
	v_cndmask_b32_e32 v4, v4, v6, vcc
	v_cndmask_b32_e32 v5, v5, v7, vcc
	v_cmp_ngt_f64_e32 vcc, -1.0, v[6:7]
	v_cndmask_b32_e32 v5, v18, v5, vcc
	v_cmp_nge_f64_e32 vcc, -1.0, v[6:7]
	v_cndmask_b32_e32 v10, 0, v4, vcc
	v_cmp_neq_f64_e32 vcc, -1.0, v[6:7]
	v_cndmask_b32_e32 v11, v19, v5, vcc
	s_waitcnt vmcnt(0)
	v_add_f64 v[4:5], v[0:1], 1.0
	v_add_f64 v[6:7], v[4:5], -1.0
	v_add_f64 v[22:23], v[6:7], -v[4:5]
	v_add_f64 v[22:23], v[22:23], 1.0
	v_add_f64 v[6:7], v[0:1], -v[6:7]
	v_add_f64 v[6:7], v[6:7], v[22:23]
	v_frexp_mant_f64_e32 v[22:23], v[4:5]
	v_frexp_exp_i32_f64_e32 v24, v[4:5]
	v_cmp_gt_f64_e32 vcc, s[4:5], v[22:23]
	v_subbrev_co_u32_e32 v38, vcc, 0, v24, vcc
	v_sub_u32_e32 v22, 0, v38
	v_ldexp_f64 v[4:5], v[4:5], v22
	v_ldexp_f64 v[6:7], v[6:7], v22
	v_add_f64 v[22:23], v[4:5], -1.0
	v_add_f64 v[28:29], v[4:5], 1.0
	v_add_f64 v[24:25], v[22:23], 1.0
	v_add_f64 v[30:31], v[28:29], -1.0
	v_add_f64 v[24:25], v[4:5], -v[24:25]
	v_add_f64 v[4:5], v[4:5], -v[30:31]
	v_add_f64 v[4:5], v[6:7], v[4:5]
	v_add_f64 v[24:25], v[6:7], v[24:25]
	;; [unrolled: 1-line block ×3, first 2 shown]
	v_rcp_f64_e32 v[30:31], v[6:7]
	v_add_f64 v[26:27], v[22:23], v[24:25]
	v_add_f64 v[22:23], v[26:27], -v[22:23]
	v_add_f64 v[22:23], v[24:25], -v[22:23]
	;; [unrolled: 1-line block ×4, first 2 shown]
	v_fma_f64 v[24:25], -v[6:7], v[30:31], 1.0
	v_fmac_f64_e32 v[30:31], v[24:25], v[30:31]
	v_fma_f64 v[24:25], -v[6:7], v[30:31], 1.0
	v_fmac_f64_e32 v[30:31], v[24:25], v[30:31]
	v_mul_f64 v[24:25], v[26:27], v[30:31]
	v_mul_f64 v[28:29], v[6:7], v[24:25]
	v_fma_f64 v[32:33], v[24:25], v[6:7], -v[28:29]
	v_fmac_f64_e32 v[32:33], v[24:25], v[4:5]
	v_add_f64 v[34:35], v[28:29], v[32:33]
	v_add_f64 v[36:37], v[26:27], -v[34:35]
	v_add_f64 v[26:27], v[26:27], -v[36:37]
	;; [unrolled: 1-line block ×4, first 2 shown]
	v_add_f64 v[22:23], v[22:23], v[26:27]
	v_add_f64 v[26:27], v[28:29], -v[32:33]
	v_add_f64 v[22:23], v[26:27], v[22:23]
	v_add_f64 v[26:27], v[36:37], v[22:23]
	v_add_f64 v[28:29], v[36:37], -v[26:27]
	v_add_f64 v[22:23], v[22:23], v[28:29]
	v_mul_f64 v[28:29], v[30:31], v[26:27]
	v_mul_f64 v[32:33], v[6:7], v[28:29]
	v_fma_f64 v[6:7], v[28:29], v[6:7], -v[32:33]
	v_fmac_f64_e32 v[6:7], v[28:29], v[4:5]
	v_add_f64 v[4:5], v[32:33], v[6:7]
	v_add_f64 v[34:35], v[26:27], -v[4:5]
	v_add_f64 v[26:27], v[26:27], -v[34:35]
	;; [unrolled: 1-line block ×4, first 2 shown]
	v_add_f64 v[4:5], v[22:23], v[4:5]
	v_add_f64 v[6:7], v[32:33], -v[6:7]
	v_add_f64 v[4:5], v[6:7], v[4:5]
	v_add_f64 v[6:7], v[24:25], v[28:29]
	;; [unrolled: 1-line block ×3, first 2 shown]
	v_add_f64 v[22:23], v[6:7], -v[24:25]
	v_mul_f64 v[4:5], v[30:31], v[4:5]
	v_add_f64 v[22:23], v[28:29], -v[22:23]
	v_add_f64 v[4:5], v[22:23], v[4:5]
	v_add_f64 v[22:23], v[6:7], v[4:5]
	v_add_f64 v[6:7], v[22:23], -v[6:7]
	v_add_f64 v[4:5], v[4:5], -v[6:7]
	v_mul_f64 v[6:7], v[22:23], v[22:23]
	v_fma_f64 v[24:25], s[6:7], v[6:7], v[16:17]
	v_cvt_f64_i32_e32 v[26:27], v38
	v_fma_f64 v[24:25], v[6:7], v[24:25], s[8:9]
	v_mul_f64 v[28:29], v[26:27], s[20:21]
	v_fma_f64 v[24:25], v[6:7], v[24:25], s[12:13]
	v_fma_f64 v[30:31], v[26:27], s[20:21], -v[28:29]
	v_fma_f64 v[24:25], v[6:7], v[24:25], s[14:15]
	v_fmac_f64_e32 v[30:31], s[22:23], v[26:27]
	v_fma_f64 v[24:25], v[6:7], v[24:25], s[16:17]
	v_add_f64 v[26:27], v[28:29], v[30:31]
	v_fma_f64 v[24:25], v[6:7], v[24:25], s[18:19]
	v_add_f64 v[28:29], v[26:27], -v[28:29]
	v_mul_f64 v[6:7], v[22:23], v[6:7]
	v_add_f64 v[28:29], v[30:31], -v[28:29]
	v_ldexp_f64 v[30:31], v[22:23], 1
	v_mul_f64 v[6:7], v[6:7], v[24:25]
	v_add_f64 v[22:23], v[30:31], v[6:7]
	v_add_f64 v[24:25], v[22:23], -v[30:31]
	v_ldexp_f64 v[4:5], v[4:5], 1
	v_add_f64 v[6:7], v[6:7], -v[24:25]
	v_add_f64 v[4:5], v[4:5], v[6:7]
	v_add_f64 v[6:7], v[22:23], v[4:5]
	v_add_f64 v[22:23], v[6:7], -v[22:23]
	v_add_f64 v[4:5], v[4:5], -v[22:23]
	v_add_f64 v[22:23], v[26:27], v[6:7]
	v_add_f64 v[24:25], v[22:23], -v[26:27]
	v_add_f64 v[30:31], v[22:23], -v[24:25]
	;; [unrolled: 1-line block ×4, first 2 shown]
	v_add_f64 v[6:7], v[6:7], v[26:27]
	v_add_f64 v[24:25], v[28:29], v[4:5]
	v_add_f64 v[26:27], v[24:25], -v[28:29]
	v_add_f64 v[6:7], v[24:25], v[6:7]
	v_add_f64 v[30:31], v[24:25], -v[26:27]
	;; [unrolled: 2-line block ×3, first 2 shown]
	v_add_f64 v[4:5], v[4:5], -v[26:27]
	v_add_f64 v[22:23], v[24:25], -v[22:23]
	v_add_f64 v[4:5], v[4:5], v[28:29]
	v_add_f64 v[6:7], v[6:7], -v[22:23]
	v_add_f64 v[4:5], v[4:5], v[6:7]
	v_add_f64 v[4:5], v[24:25], v[4:5]
	v_cmp_eq_f64_e32 vcc, s[24:25], v[0:1]
	v_cndmask_b32_e32 v4, v4, v0, vcc
	v_cndmask_b32_e32 v5, v5, v1, vcc
	v_cmp_ngt_f64_e32 vcc, -1.0, v[0:1]
	v_cndmask_b32_e32 v5, v18, v5, vcc
	v_cmp_nge_f64_e32 vcc, -1.0, v[0:1]
	v_cndmask_b32_e32 v4, 0, v4, vcc
	v_cmp_neq_f64_e32 vcc, -1.0, v[0:1]
	v_add_f64 v[0:1], v[2:3], 1.0
	v_add_f64 v[6:7], v[0:1], -1.0
	v_add_f64 v[22:23], v[6:7], -v[0:1]
	v_add_f64 v[22:23], v[22:23], 1.0
	v_add_f64 v[6:7], v[2:3], -v[6:7]
	v_add_f64 v[6:7], v[6:7], v[22:23]
	v_frexp_mant_f64_e32 v[22:23], v[0:1]
	v_cndmask_b32_e32 v5, v19, v5, vcc
	v_frexp_exp_i32_f64_e32 v24, v[0:1]
	v_cmp_gt_f64_e32 vcc, s[4:5], v[22:23]
	v_subbrev_co_u32_e32 v38, vcc, 0, v24, vcc
	v_sub_u32_e32 v22, 0, v38
	v_ldexp_f64 v[0:1], v[0:1], v22
	v_ldexp_f64 v[6:7], v[6:7], v22
	v_add_f64 v[22:23], v[0:1], -1.0
	v_add_f64 v[28:29], v[0:1], 1.0
	v_add_f64 v[24:25], v[22:23], 1.0
	v_add_f64 v[30:31], v[28:29], -1.0
	v_add_f64 v[24:25], v[0:1], -v[24:25]
	v_add_f64 v[0:1], v[0:1], -v[30:31]
	v_add_f64 v[0:1], v[6:7], v[0:1]
	v_add_f64 v[24:25], v[6:7], v[24:25]
	;; [unrolled: 1-line block ×3, first 2 shown]
	v_rcp_f64_e32 v[30:31], v[6:7]
	v_add_f64 v[26:27], v[22:23], v[24:25]
	v_add_f64 v[22:23], v[26:27], -v[22:23]
	v_add_f64 v[22:23], v[24:25], -v[22:23]
	;; [unrolled: 1-line block ×4, first 2 shown]
	v_fma_f64 v[24:25], -v[6:7], v[30:31], 1.0
	v_fmac_f64_e32 v[30:31], v[24:25], v[30:31]
	v_fma_f64 v[24:25], -v[6:7], v[30:31], 1.0
	v_fmac_f64_e32 v[30:31], v[24:25], v[30:31]
	v_mul_f64 v[24:25], v[26:27], v[30:31]
	v_mul_f64 v[28:29], v[6:7], v[24:25]
	v_fma_f64 v[32:33], v[24:25], v[6:7], -v[28:29]
	v_fmac_f64_e32 v[32:33], v[24:25], v[0:1]
	v_add_f64 v[34:35], v[28:29], v[32:33]
	v_add_f64 v[36:37], v[26:27], -v[34:35]
	v_add_f64 v[26:27], v[26:27], -v[36:37]
	;; [unrolled: 1-line block ×4, first 2 shown]
	v_add_f64 v[22:23], v[22:23], v[26:27]
	v_add_f64 v[26:27], v[28:29], -v[32:33]
	v_add_f64 v[22:23], v[26:27], v[22:23]
	v_add_f64 v[26:27], v[36:37], v[22:23]
	v_add_f64 v[28:29], v[36:37], -v[26:27]
	v_add_f64 v[22:23], v[22:23], v[28:29]
	v_mul_f64 v[28:29], v[30:31], v[26:27]
	v_mul_f64 v[32:33], v[6:7], v[28:29]
	v_fma_f64 v[6:7], v[28:29], v[6:7], -v[32:33]
	v_fmac_f64_e32 v[6:7], v[28:29], v[0:1]
	v_add_f64 v[0:1], v[32:33], v[6:7]
	v_add_f64 v[34:35], v[26:27], -v[0:1]
	v_add_f64 v[26:27], v[26:27], -v[34:35]
	;; [unrolled: 1-line block ×4, first 2 shown]
	v_add_f64 v[0:1], v[22:23], v[0:1]
	v_add_f64 v[6:7], v[32:33], -v[6:7]
	v_add_f64 v[0:1], v[6:7], v[0:1]
	v_add_f64 v[6:7], v[24:25], v[28:29]
	;; [unrolled: 1-line block ×3, first 2 shown]
	v_add_f64 v[22:23], v[6:7], -v[24:25]
	v_mul_f64 v[0:1], v[30:31], v[0:1]
	v_add_f64 v[22:23], v[28:29], -v[22:23]
	v_add_f64 v[0:1], v[22:23], v[0:1]
	v_add_f64 v[22:23], v[6:7], v[0:1]
	v_add_f64 v[6:7], v[22:23], -v[6:7]
	v_add_f64 v[0:1], v[0:1], -v[6:7]
	v_mul_f64 v[6:7], v[22:23], v[22:23]
	v_fma_f64 v[24:25], s[6:7], v[6:7], v[16:17]
	v_cvt_f64_i32_e32 v[26:27], v38
	v_fma_f64 v[24:25], v[6:7], v[24:25], s[8:9]
	v_mul_f64 v[28:29], v[26:27], s[20:21]
	v_fma_f64 v[24:25], v[6:7], v[24:25], s[12:13]
	v_fma_f64 v[30:31], v[26:27], s[20:21], -v[28:29]
	v_fma_f64 v[24:25], v[6:7], v[24:25], s[14:15]
	v_fmac_f64_e32 v[30:31], s[22:23], v[26:27]
	v_fma_f64 v[24:25], v[6:7], v[24:25], s[16:17]
	v_add_f64 v[26:27], v[28:29], v[30:31]
	v_fma_f64 v[24:25], v[6:7], v[24:25], s[18:19]
	v_add_f64 v[28:29], v[26:27], -v[28:29]
	v_mul_f64 v[6:7], v[22:23], v[6:7]
	v_add_f64 v[28:29], v[30:31], -v[28:29]
	v_ldexp_f64 v[30:31], v[22:23], 1
	v_mul_f64 v[6:7], v[6:7], v[24:25]
	v_add_f64 v[22:23], v[30:31], v[6:7]
	v_add_f64 v[24:25], v[22:23], -v[30:31]
	v_ldexp_f64 v[0:1], v[0:1], 1
	v_add_f64 v[6:7], v[6:7], -v[24:25]
	v_add_f64 v[0:1], v[0:1], v[6:7]
	v_add_f64 v[6:7], v[22:23], v[0:1]
	v_add_f64 v[22:23], v[6:7], -v[22:23]
	v_add_f64 v[0:1], v[0:1], -v[22:23]
	v_add_f64 v[22:23], v[26:27], v[6:7]
	v_add_f64 v[24:25], v[22:23], -v[26:27]
	v_add_f64 v[30:31], v[22:23], -v[24:25]
	;; [unrolled: 1-line block ×4, first 2 shown]
	v_add_f64 v[6:7], v[6:7], v[26:27]
	v_add_f64 v[24:25], v[28:29], v[0:1]
	v_add_f64 v[26:27], v[24:25], -v[28:29]
	v_add_f64 v[6:7], v[24:25], v[6:7]
	v_add_f64 v[30:31], v[24:25], -v[26:27]
	;; [unrolled: 2-line block ×3, first 2 shown]
	v_add_f64 v[0:1], v[0:1], -v[26:27]
	v_add_f64 v[22:23], v[24:25], -v[22:23]
	v_add_f64 v[0:1], v[0:1], v[28:29]
	v_add_f64 v[6:7], v[6:7], -v[22:23]
	v_add_f64 v[0:1], v[0:1], v[6:7]
	v_add_f64 v[0:1], v[24:25], v[0:1]
	v_cmp_eq_f64_e32 vcc, s[24:25], v[2:3]
	v_cndmask_b32_e32 v0, v0, v2, vcc
	v_cndmask_b32_e32 v1, v1, v3, vcc
	v_cmp_ngt_f64_e32 vcc, -1.0, v[2:3]
	v_cndmask_b32_e32 v1, v18, v1, vcc
	v_cmp_nge_f64_e32 vcc, -1.0, v[2:3]
	v_cndmask_b32_e32 v6, 0, v0, vcc
	v_cmp_neq_f64_e32 vcc, -1.0, v[2:3]
	v_cndmask_b32_e32 v7, v19, v1, vcc
	v_cmp_le_i64_e32 vcc, s[10:11], v[12:13]
	s_or_b64 s[0:1], vcc, s[0:1]
	v_add_co_u32_e32 v12, vcc, s28, v12
	v_addc_co_u32_e32 v13, vcc, v13, v20, vcc
	global_store_dwordx4 v[14:15], v[8:11], off offset:-16
	global_store_dwordx4 v[14:15], v[4:7], off
	s_and_b64 s[0:1], exec, s[0:1]
	v_add_co_u32_e32 v14, vcc, s29, v14
	s_or_b64 s[2:3], s[0:1], s[2:3]
	v_addc_co_u32_e32 v15, vcc, v15, v21, vcc
	s_andn2_b64 exec, exec, s[2:3]
	s_cbranch_execnz .LBB208_24
.LBB208_25:
	s_endpgm
	.section	.rodata,"a",@progbits
	.p2align	6, 0x0
	.amdhsa_kernel _ZN2at6native12_GLOBAL__N_125multi_tensor_apply_kernelINS1_18TensorListMetadataILi1EEENS1_14UnaryOpFunctorIdLi1ELi1ELi0EEEJNS0_5Log1pIdEEEEEvT_T0_DpT1_
		.amdhsa_group_segment_fixed_size 0
		.amdhsa_private_segment_fixed_size 0
		.amdhsa_kernarg_size 3632
		.amdhsa_user_sgpr_count 6
		.amdhsa_user_sgpr_private_segment_buffer 1
		.amdhsa_user_sgpr_dispatch_ptr 0
		.amdhsa_user_sgpr_queue_ptr 0
		.amdhsa_user_sgpr_kernarg_segment_ptr 1
		.amdhsa_user_sgpr_dispatch_id 0
		.amdhsa_user_sgpr_flat_scratch_init 0
		.amdhsa_user_sgpr_kernarg_preload_length 0
		.amdhsa_user_sgpr_kernarg_preload_offset 0
		.amdhsa_user_sgpr_private_segment_size 0
		.amdhsa_uses_dynamic_stack 0
		.amdhsa_system_sgpr_private_segment_wavefront_offset 0
		.amdhsa_system_sgpr_workgroup_id_x 1
		.amdhsa_system_sgpr_workgroup_id_y 0
		.amdhsa_system_sgpr_workgroup_id_z 0
		.amdhsa_system_sgpr_workgroup_info 0
		.amdhsa_system_vgpr_workitem_id 0
		.amdhsa_next_free_vgpr 62
		.amdhsa_next_free_sgpr 40
		.amdhsa_accum_offset 64
		.amdhsa_reserve_vcc 1
		.amdhsa_reserve_flat_scratch 0
		.amdhsa_float_round_mode_32 0
		.amdhsa_float_round_mode_16_64 0
		.amdhsa_float_denorm_mode_32 3
		.amdhsa_float_denorm_mode_16_64 3
		.amdhsa_dx10_clamp 1
		.amdhsa_ieee_mode 1
		.amdhsa_fp16_overflow 0
		.amdhsa_tg_split 0
		.amdhsa_exception_fp_ieee_invalid_op 0
		.amdhsa_exception_fp_denorm_src 0
		.amdhsa_exception_fp_ieee_div_zero 0
		.amdhsa_exception_fp_ieee_overflow 0
		.amdhsa_exception_fp_ieee_underflow 0
		.amdhsa_exception_fp_ieee_inexact 0
		.amdhsa_exception_int_div_zero 0
	.end_amdhsa_kernel
	.section	.text._ZN2at6native12_GLOBAL__N_125multi_tensor_apply_kernelINS1_18TensorListMetadataILi1EEENS1_14UnaryOpFunctorIdLi1ELi1ELi0EEEJNS0_5Log1pIdEEEEEvT_T0_DpT1_,"axG",@progbits,_ZN2at6native12_GLOBAL__N_125multi_tensor_apply_kernelINS1_18TensorListMetadataILi1EEENS1_14UnaryOpFunctorIdLi1ELi1ELi0EEEJNS0_5Log1pIdEEEEEvT_T0_DpT1_,comdat
.Lfunc_end208:
	.size	_ZN2at6native12_GLOBAL__N_125multi_tensor_apply_kernelINS1_18TensorListMetadataILi1EEENS1_14UnaryOpFunctorIdLi1ELi1ELi0EEEJNS0_5Log1pIdEEEEEvT_T0_DpT1_, .Lfunc_end208-_ZN2at6native12_GLOBAL__N_125multi_tensor_apply_kernelINS1_18TensorListMetadataILi1EEENS1_14UnaryOpFunctorIdLi1ELi1ELi0EEEJNS0_5Log1pIdEEEEEvT_T0_DpT1_
                                        ; -- End function
	.section	.AMDGPU.csdata,"",@progbits
; Kernel info:
; codeLenInByte = 8620
; NumSgprs: 44
; NumVgprs: 62
; NumAgprs: 0
; TotalNumVgprs: 62
; ScratchSize: 0
; MemoryBound: 0
; FloatMode: 240
; IeeeMode: 1
; LDSByteSize: 0 bytes/workgroup (compile time only)
; SGPRBlocks: 5
; VGPRBlocks: 7
; NumSGPRsForWavesPerEU: 44
; NumVGPRsForWavesPerEU: 62
; AccumOffset: 64
; Occupancy: 8
; WaveLimiterHint : 0
; COMPUTE_PGM_RSRC2:SCRATCH_EN: 0
; COMPUTE_PGM_RSRC2:USER_SGPR: 6
; COMPUTE_PGM_RSRC2:TRAP_HANDLER: 0
; COMPUTE_PGM_RSRC2:TGID_X_EN: 1
; COMPUTE_PGM_RSRC2:TGID_Y_EN: 0
; COMPUTE_PGM_RSRC2:TGID_Z_EN: 0
; COMPUTE_PGM_RSRC2:TIDIG_COMP_CNT: 0
; COMPUTE_PGM_RSRC3_GFX90A:ACCUM_OFFSET: 15
; COMPUTE_PGM_RSRC3_GFX90A:TG_SPLIT: 0
	.section	.text._ZN2at6native12_GLOBAL__N_125multi_tensor_apply_kernelINS1_18TensorListMetadataILi1EEENS1_14UnaryOpFunctorIfLi1ELi1ELi0EEEJNS0_5Log1pIfEEEEEvT_T0_DpT1_,"axG",@progbits,_ZN2at6native12_GLOBAL__N_125multi_tensor_apply_kernelINS1_18TensorListMetadataILi1EEENS1_14UnaryOpFunctorIfLi1ELi1ELi0EEEJNS0_5Log1pIfEEEEEvT_T0_DpT1_,comdat
	.globl	_ZN2at6native12_GLOBAL__N_125multi_tensor_apply_kernelINS1_18TensorListMetadataILi1EEENS1_14UnaryOpFunctorIfLi1ELi1ELi0EEEJNS0_5Log1pIfEEEEEvT_T0_DpT1_ ; -- Begin function _ZN2at6native12_GLOBAL__N_125multi_tensor_apply_kernelINS1_18TensorListMetadataILi1EEENS1_14UnaryOpFunctorIfLi1ELi1ELi0EEEJNS0_5Log1pIfEEEEEvT_T0_DpT1_
	.p2align	8
	.type	_ZN2at6native12_GLOBAL__N_125multi_tensor_apply_kernelINS1_18TensorListMetadataILi1EEENS1_14UnaryOpFunctorIfLi1ELi1ELi0EEEJNS0_5Log1pIfEEEEEvT_T0_DpT1_,@function
_ZN2at6native12_GLOBAL__N_125multi_tensor_apply_kernelINS1_18TensorListMetadataILi1EEENS1_14UnaryOpFunctorIfLi1ELi1ELi0EEEJNS0_5Log1pIfEEEEEvT_T0_DpT1_: ; @_ZN2at6native12_GLOBAL__N_125multi_tensor_apply_kernelINS1_18TensorListMetadataILi1EEENS1_14UnaryOpFunctorIfLi1ELi1ELi0EEEJNS0_5Log1pIfEEEEEvT_T0_DpT1_
; %bb.0:
	v_mov_b32_e32 v1, s6
	global_load_ubyte v1, v1, s[4:5] offset:1760
	s_add_u32 s0, s4, s6
	s_mul_hi_u32 s1, s6, 3
	s_mul_i32 s6, s6, 3
	s_addc_u32 s2, s5, 0
	s_add_u32 s0, s0, s6
	s_addc_u32 s1, s2, s1
	s_load_dword s0, s[0:1], 0x820
	s_mov_b32 s7, 0
	s_waitcnt vmcnt(0)
	v_readfirstlane_b32 s2, v1
	s_lshl_b32 s1, s2, 3
	s_load_dwordx2 s[2:3], s[4:5], s1 offset:0x370
	s_load_dwordx2 s[12:13], s[4:5], s1 offset:0x0
	s_waitcnt lgkmcnt(0)
	s_ashr_i32 s1, s0, 31
	s_lshl_b64 s[14:15], s[0:1], 18
	s_lshl_b64 s[0:1], s[0:1], 16
	s_and_b32 s6, s12, 15
	s_sub_u32 s10, s2, s0
	s_subb_u32 s11, s3, s1
	s_and_b32 s0, s2, 3
	s_mov_b32 s1, s7
	s_or_b64 s[0:1], s[6:7], s[0:1]
	s_cmp_eq_u64 s[0:1], 0
	s_cbranch_scc1 .LBB209_21
; %bb.1:
	v_cmp_lt_i64_e64 s[0:1], s[10:11], 1
	s_and_b64 vcc, exec, s[0:1]
	s_cbranch_vccnz .LBB209_20
; %bb.2:
	s_load_dword s0, s[4:5], 0xd3c
	v_mov_b32_e32 v2, 0x10000
	v_mov_b32_e32 v3, 0
	v_cmp_lt_u64_e32 vcc, s[10:11], v[2:3]
	v_lshlrev_b32_e32 v1, 2, v0
	s_waitcnt lgkmcnt(0)
	s_and_b32 s2, s0, 0xffff
	s_and_b64 s[0:1], vcc, exec
	s_cselect_b32 s17, s11, 0
	s_cselect_b32 s16, s10, 0x10000
	s_lshl_b32 s3, s2, 1
	s_lshl_b32 s23, s2, 2
	s_add_u32 s6, s12, s14
	s_addc_u32 s7, s13, s15
	v_mov_b32_e32 v3, s7
	v_add_co_u32_e32 v2, vcc, s6, v1
	s_mul_i32 s0, s2, 3
	v_addc_co_u32_e32 v3, vcc, 0, v3, vcc
	v_add_co_u32_e32 v1, vcc, s0, v0
	v_addc_co_u32_e64 v8, s[0:1], 0, 0, vcc
	v_add_co_u32_e32 v9, vcc, s3, v0
	v_addc_co_u32_e64 v10, s[0:1], 0, 0, vcc
	v_add_co_u32_e32 v11, vcc, s2, v0
	v_lshlrev_b32_e32 v4, 2, v11
	s_mov_b32 s22, 0
	v_addc_co_u32_e64 v12, s[0:1], 0, 0, vcc
	v_mov_b32_e32 v5, s7
	v_add_co_u32_e32 v4, vcc, s6, v4
	s_lshl_b32 s24, s2, 4
	s_mul_i32 s25, s2, 12
	s_mov_b32 s26, s22
	s_lshl_b32 s27, s2, 3
	s_mov_b32 s28, s22
	v_addc_co_u32_e32 v5, vcc, 0, v5, vcc
	s_mov_b64 s[18:19], 0
	s_mov_b32 s29, 0x33800000
	s_mov_b32 s30, 0x7f800000
	;; [unrolled: 1-line block ×3, first 2 shown]
	v_mov_b32_e32 v13, 0x3f2aaada
	s_mov_b32 s33, 0x3f317218
	v_mov_b32_e32 v6, 0x3f317218
	v_mov_b32_e32 v14, 0x7fc00000
	;; [unrolled: 1-line block ×3, first 2 shown]
	s_branch .LBB209_4
.LBB209_3:                              ;   in Loop: Header=BB209_4 Depth=1
	s_or_b64 exec, exec, s[0:1]
	s_add_u32 s18, s18, s23
	s_addc_u32 s19, s19, 0
	s_waitcnt vmcnt(0)
	v_pk_mov_b32 v[16:17], s[10:11], s[10:11] op_sel:[0,1]
	v_cmp_lt_i64_e32 vcc, s[18:19], v[16:17]
	v_mov_b32_e32 v16, 0x10000
	v_mov_b32_e32 v17, 0
	v_cmp_lt_u64_e64 s[0:1], s[18:19], v[16:17]
	s_and_b64 s[0:1], vcc, s[0:1]
	v_mov_b32_e32 v7, s22
	v_add_co_u32_e32 v2, vcc, s24, v2
	v_addc_co_u32_e32 v3, vcc, v3, v7, vcc
	v_add_co_u32_e32 v4, vcc, s24, v4
	v_addc_co_u32_e32 v5, vcc, v5, v7, vcc
	s_and_b64 vcc, exec, s[0:1]
	s_cbranch_vccz .LBB209_20
.LBB209_4:                              ; =>This Inner Loop Header: Depth=1
	v_mov_b32_e32 v7, s19
	v_add_co_u32_e32 v16, vcc, s18, v0
	v_addc_co_u32_e32 v17, vcc, 0, v7, vcc
	v_cmp_gt_u64_e64 s[6:7], s[16:17], v[16:17]
	v_mov_b32_e32 v19, 0
	s_and_saveexec_b64 s[0:1], s[6:7]
	s_cbranch_execz .LBB209_6
; %bb.5:                                ;   in Loop: Header=BB209_4 Depth=1
	global_load_dword v19, v[2:3], off
.LBB209_6:                              ;   in Loop: Header=BB209_4 Depth=1
	s_or_b64 exec, exec, s[0:1]
	v_mov_b32_e32 v7, s19
	v_add_co_u32_e32 v16, vcc, s18, v11
	v_addc_co_u32_e32 v17, vcc, v12, v7, vcc
	v_cmp_gt_u64_e64 s[2:3], s[16:17], v[16:17]
	v_mov_b32_e32 v18, 0
	s_and_saveexec_b64 s[0:1], s[2:3]
	s_cbranch_execz .LBB209_8
; %bb.7:                                ;   in Loop: Header=BB209_4 Depth=1
	global_load_dword v18, v[4:5], off
.LBB209_8:                              ;   in Loop: Header=BB209_4 Depth=1
	s_or_b64 exec, exec, s[0:1]
	v_mov_b32_e32 v7, s19
	v_add_co_u32_e32 v16, vcc, s18, v9
	v_addc_co_u32_e32 v17, vcc, v10, v7, vcc
	v_cmp_gt_u64_e64 s[0:1], s[16:17], v[16:17]
	v_mov_b32_e32 v16, 0
	v_mov_b32_e32 v17, 0
	s_and_saveexec_b64 s[8:9], s[0:1]
	s_cbranch_execz .LBB209_10
; %bb.9:                                ;   in Loop: Header=BB209_4 Depth=1
	v_mov_b32_e32 v7, s28
	v_add_co_u32_e32 v20, vcc, s27, v2
	v_addc_co_u32_e32 v21, vcc, v3, v7, vcc
	global_load_dword v17, v[20:21], off
.LBB209_10:                             ;   in Loop: Header=BB209_4 Depth=1
	s_or_b64 exec, exec, s[8:9]
	v_mov_b32_e32 v7, s19
	v_add_co_u32_e32 v20, vcc, s18, v1
	v_addc_co_u32_e32 v21, vcc, v8, v7, vcc
	v_cmp_gt_u64_e32 vcc, s[16:17], v[20:21]
	s_and_saveexec_b64 s[20:21], vcc
	s_cbranch_execnz .LBB209_15
; %bb.11:                               ;   in Loop: Header=BB209_4 Depth=1
	s_or_b64 exec, exec, s[20:21]
	s_and_saveexec_b64 s[8:9], s[6:7]
	s_cbranch_execnz .LBB209_16
.LBB209_12:                             ;   in Loop: Header=BB209_4 Depth=1
	s_or_b64 exec, exec, s[8:9]
	s_and_saveexec_b64 s[6:7], s[2:3]
	s_cbranch_execnz .LBB209_17
.LBB209_13:                             ;   in Loop: Header=BB209_4 Depth=1
	s_or_b64 exec, exec, s[6:7]
	s_and_saveexec_b64 s[2:3], s[0:1]
	s_cbranch_execnz .LBB209_18
.LBB209_14:                             ;   in Loop: Header=BB209_4 Depth=1
	s_or_b64 exec, exec, s[2:3]
	s_and_saveexec_b64 s[0:1], vcc
	s_cbranch_execz .LBB209_3
	s_branch .LBB209_19
.LBB209_15:                             ;   in Loop: Header=BB209_4 Depth=1
	v_mov_b32_e32 v7, s26
	v_add_co_u32_e64 v20, s[8:9], s25, v2
	v_addc_co_u32_e64 v21, s[8:9], v3, v7, s[8:9]
	global_load_dword v16, v[20:21], off
	s_or_b64 exec, exec, s[20:21]
	s_and_saveexec_b64 s[8:9], s[6:7]
	s_cbranch_execz .LBB209_12
.LBB209_16:                             ;   in Loop: Header=BB209_4 Depth=1
	s_waitcnt vmcnt(0)
	v_add_f32_e32 v7, 1.0, v19
	v_cvt_f64_f32_e32 v[20:21], v7
	v_frexp_exp_i32_f64_e32 v20, v[20:21]
	v_frexp_mant_f32_e32 v21, v7
	v_cmp_gt_f32_e64 s[6:7], s31, v21
	v_subbrev_co_u32_e64 v21, s[6:7], 0, v20, s[6:7]
	v_cvt_f32_i32_e32 v20, v21
	v_sub_u32_e32 v21, 0, v21
	v_add_f32_e32 v23, -1.0, v7
	v_ldexp_f32 v22, v7, v21
	v_sub_f32_e32 v7, v23, v7
	v_sub_f32_e32 v24, v19, v23
	v_add_f32_e32 v7, 1.0, v7
	v_add_f32_e32 v27, -1.0, v22
	v_add_f32_e32 v7, v24, v7
	v_add_f32_e32 v23, 1.0, v22
	v_ldexp_f32 v7, v7, v21
	v_add_f32_e32 v21, 1.0, v27
	v_add_f32_e32 v24, -1.0, v23
	v_sub_f32_e32 v21, v22, v21
	v_sub_f32_e32 v22, v22, v24
	v_add_f32_e32 v21, v7, v21
	v_add_f32_e32 v7, v7, v22
	v_add_f32_e32 v30, v23, v7
	v_rcp_f32_e32 v31, v30
	v_sub_f32_e32 v22, v30, v23
	v_add_f32_e32 v23, v27, v21
	v_sub_f32_e32 v7, v7, v22
	v_mul_f32_e32 v32, v23, v31
	v_mul_f32_e32 v24, v30, v32
	v_fma_f32 v26, v32, v30, -v24
	v_fmac_f32_e32 v26, v32, v7
	v_add_f32_e32 v22, v24, v26
	v_sub_f32_e32 v25, v23, v22
	v_sub_f32_e32 v27, v23, v27
	;; [unrolled: 1-line block ×3, first 2 shown]
	v_pk_add_f32 v[28:29], v[22:23], v[24:25] neg_lo:[0,1] neg_hi:[0,1]
	v_mov_b32_e32 v27, v22
	v_pk_add_f32 v[22:23], v[28:29], v[26:27] neg_lo:[0,1] neg_hi:[0,1]
	v_add_f32_e32 v21, v21, v23
	v_add_f32_e32 v21, v22, v21
	;; [unrolled: 1-line block ×3, first 2 shown]
	v_mul_f32_e32 v22, v31, v23
	v_add_f32_e32 v33, v32, v22
	v_sub_f32_e32 v24, v33, v32
	v_mul_f32_e32 v26, v30, v22
	v_sub_f32_e32 v32, v22, v24
	v_fma_f32 v24, v22, v30, -v26
	v_fmac_f32_e32 v24, v22, v7
	v_add_f32_e32 v22, v26, v24
	v_sub_f32_e32 v27, v23, v22
	v_sub_f32_e32 v7, v25, v23
	v_pk_add_f32 v[28:29], v[22:23], v[26:27] neg_lo:[0,1] neg_hi:[0,1]
	v_mov_b32_e32 v25, v22
	v_add_f32_e32 v7, v21, v7
	v_pk_add_f32 v[22:23], v[28:29], v[24:25] neg_lo:[0,1] neg_hi:[0,1]
	v_add_f32_e32 v7, v7, v23
	v_add_f32_e32 v7, v22, v7
	;; [unrolled: 1-line block ×3, first 2 shown]
	v_mul_f32_e32 v7, v31, v7
	v_add_f32_e32 v22, v32, v7
	v_add_f32_e32 v24, v33, v22
	v_mul_f32_e32 v7, v24, v24
	v_mov_b32_e32 v25, 0x3ecc95a3
	v_fmac_f32_e32 v25, 0x3e9b6dac, v7
	v_ldexp_f32 v23, v24, 1
	v_mul_f32_e32 v21, v24, v7
	v_fma_f32 v7, v7, v25, v13
	v_sub_f32_e32 v24, v24, v33
	v_sub_f32_e32 v22, v22, v24
	v_pk_mul_f32 v[24:25], v[20:21], v[6:7]
	v_ldexp_f32 v26, v22, 1
	v_fma_f32 v22, v20, s33, -v24
	v_fmac_f32_e32 v22, 0xb102e308, v20
	v_pk_add_f32 v[20:21], v[24:25], v[22:23]
	v_sub_f32_e32 v7, v21, v23
	v_sub_f32_e32 v7, v25, v7
	v_add_f32_e32 v27, v26, v7
	v_mov_b32_e32 v26, v24
	v_pk_add_f32 v[24:25], v[20:21], v[24:25] neg_lo:[0,1] neg_hi:[0,1]
	v_pk_add_f32 v[28:29], v[20:21], v[26:27]
	v_mov_b32_e32 v25, v29
	v_mov_b32_e32 v23, v20
	v_pk_add_f32 v[30:31], v[22:23], v[24:25] neg_lo:[0,1] neg_hi:[0,1]
	v_pk_add_f32 v[22:23], v[22:23], v[24:25]
	v_mov_b32_e32 v24, v23
	v_pk_add_f32 v[32:33], v[24:25], v[20:21] neg_lo:[0,1] neg_hi:[0,1]
	v_mov_b32_e32 v7, v32
	v_pk_add_f32 v[34:35], v[28:29], v[6:7] neg_lo:[0,1] neg_hi:[0,1]
	v_mov_b32_e32 v22, v29
	v_mov_b32_e32 v28, v21
	;; [unrolled: 1-line block ×4, first 2 shown]
	v_pk_add_f32 v[22:23], v[22:23], v[28:29] neg_lo:[0,1] neg_hi:[0,1]
	v_mov_b32_e32 v26, v27
	v_mov_b32_e32 v27, v20
	v_pk_add_f32 v[20:21], v[26:27], v[22:23] neg_lo:[0,1] neg_hi:[0,1]
	v_mov_b32_e32 v34, v30
	v_pk_add_f32 v[22:23], v[34:35], v[20:21]
	v_mov_b32_e32 v26, v23
	v_pk_add_f32 v[26:27], v[22:23], v[26:27]
	v_pk_add_f32 v[24:25], v[24:25], v[26:27]
	v_mov_b32_e32 v23, v24
	v_pk_add_f32 v[28:29], v[22:23], v[30:31] neg_lo:[0,1] neg_hi:[0,1]
	v_mov_b32_e32 v21, v26
	v_sub_f32_e32 v7, v22, v28
	v_pk_add_f32 v[20:21], v[20:21], v[28:29] neg_lo:[0,1] neg_hi:[0,1]
	v_sub_f32_e32 v7, v30, v7
	v_add_f32_e32 v7, v20, v7
	v_add_f32_e32 v7, v7, v21
	;; [unrolled: 1-line block ×3, first 2 shown]
	v_cmp_eq_f32_e64 s[6:7], s30, v19
	v_cndmask_b32_e64 v7, v7, v19, s[6:7]
	v_cmp_ngt_f32_e64 s[6:7], -1.0, v19
	v_cndmask_b32_e64 v7, v14, v7, s[6:7]
	v_cmp_neq_f32_e64 s[6:7], -1.0, v19
	v_cndmask_b32_e64 v7, v15, v7, s[6:7]
	v_cmp_lt_f32_e64 s[6:7], |v19|, s29
	v_cndmask_b32_e64 v7, v7, v19, s[6:7]
	global_store_dword v[2:3], v7, off
	s_or_b64 exec, exec, s[8:9]
	s_and_saveexec_b64 s[6:7], s[2:3]
	s_cbranch_execz .LBB209_13
.LBB209_17:                             ;   in Loop: Header=BB209_4 Depth=1
	s_waitcnt vmcnt(0)
	v_add_f32_e32 v7, 1.0, v18
	v_add_f32_e32 v19, -1.0, v7
	v_sub_f32_e32 v20, v19, v7
	v_add_f32_e32 v20, 1.0, v20
	v_sub_f32_e32 v19, v18, v19
	v_add_f32_e32 v19, v19, v20
	v_frexp_mant_f32_e32 v22, v7
	v_cvt_f64_f32_e32 v[20:21], v7
	v_frexp_exp_i32_f64_e32 v20, v[20:21]
	v_cmp_gt_f32_e64 s[2:3], s31, v22
	v_subbrev_co_u32_e64 v20, s[2:3], 0, v20, s[2:3]
	v_sub_u32_e32 v21, 0, v20
	v_ldexp_f32 v7, v7, v21
	v_ldexp_f32 v19, v19, v21
	v_add_f32_e32 v21, -1.0, v7
	v_add_f32_e32 v24, 1.0, v7
	v_add_f32_e32 v22, 1.0, v21
	v_add_f32_e32 v25, -1.0, v24
	v_sub_f32_e32 v22, v7, v22
	v_sub_f32_e32 v7, v7, v25
	v_add_f32_e32 v7, v19, v7
	v_add_f32_e32 v22, v19, v22
	;; [unrolled: 1-line block ×3, first 2 shown]
	v_rcp_f32_e32 v25, v19
	v_add_f32_e32 v23, v21, v22
	v_sub_f32_e32 v21, v23, v21
	v_sub_f32_e32 v21, v22, v21
	;; [unrolled: 1-line block ×4, first 2 shown]
	v_mul_f32_e32 v22, v23, v25
	v_mul_f32_e32 v24, v19, v22
	v_fma_f32 v26, v22, v19, -v24
	v_fmac_f32_e32 v26, v22, v7
	v_add_f32_e32 v27, v24, v26
	v_sub_f32_e32 v28, v23, v27
	v_sub_f32_e32 v23, v23, v28
	;; [unrolled: 1-line block ×4, first 2 shown]
	v_add_f32_e32 v21, v21, v23
	v_sub_f32_e32 v23, v24, v26
	v_add_f32_e32 v21, v23, v21
	v_add_f32_e32 v23, v28, v21
	v_mul_f32_e32 v24, v25, v23
	v_mul_f32_e32 v26, v19, v24
	v_fma_f32 v19, v24, v19, -v26
	v_fmac_f32_e32 v19, v24, v7
	v_sub_f32_e32 v7, v28, v23
	v_add_f32_e32 v7, v21, v7
	v_add_f32_e32 v21, v26, v19
	v_sub_f32_e32 v27, v23, v21
	v_sub_f32_e32 v23, v23, v27
	;; [unrolled: 1-line block ×4, first 2 shown]
	v_add_f32_e32 v7, v7, v21
	v_sub_f32_e32 v19, v26, v19
	v_cvt_f32_i32_e32 v20, v20
	v_add_f32_e32 v7, v19, v7
	v_add_f32_e32 v19, v22, v24
	;; [unrolled: 1-line block ×3, first 2 shown]
	v_sub_f32_e32 v21, v19, v22
	v_mul_f32_e32 v7, v25, v7
	v_sub_f32_e32 v21, v24, v21
	v_add_f32_e32 v7, v21, v7
	v_mul_f32_e32 v24, 0x3f317218, v20
	v_add_f32_e32 v21, v19, v7
	v_fma_f32 v25, v20, s33, -v24
	v_mul_f32_e32 v22, v21, v21
	v_mov_b32_e32 v23, 0x3ecc95a3
	v_fmac_f32_e32 v25, 0xb102e308, v20
	v_sub_f32_e32 v19, v21, v19
	v_fmac_f32_e32 v23, 0x3e9b6dac, v22
	v_sub_f32_e32 v7, v7, v19
	v_add_f32_e32 v19, v24, v25
	v_fma_f32 v23, v22, v23, v13
	v_sub_f32_e32 v20, v19, v24
	v_ldexp_f32 v24, v21, 1
	v_mul_f32_e32 v21, v21, v22
	v_mul_f32_e32 v21, v21, v23
	v_add_f32_e32 v22, v24, v21
	v_sub_f32_e32 v23, v22, v24
	v_ldexp_f32 v7, v7, 1
	v_sub_f32_e32 v21, v21, v23
	v_add_f32_e32 v7, v7, v21
	v_add_f32_e32 v21, v22, v7
	v_sub_f32_e32 v22, v21, v22
	v_sub_f32_e32 v7, v7, v22
	v_add_f32_e32 v22, v19, v21
	v_sub_f32_e32 v23, v22, v19
	v_sub_f32_e32 v24, v22, v23
	;; [unrolled: 1-line block ×5, first 2 shown]
	v_add_f32_e32 v19, v21, v19
	v_add_f32_e32 v21, v20, v7
	v_sub_f32_e32 v23, v21, v20
	v_sub_f32_e32 v24, v21, v23
	;; [unrolled: 1-line block ×4, first 2 shown]
	v_add_f32_e32 v19, v21, v19
	v_add_f32_e32 v7, v7, v20
	;; [unrolled: 1-line block ×3, first 2 shown]
	v_sub_f32_e32 v21, v20, v22
	v_sub_f32_e32 v19, v19, v21
	v_add_f32_e32 v7, v7, v19
	v_add_f32_e32 v7, v20, v7
	v_cmp_eq_f32_e64 s[2:3], s30, v18
	v_cndmask_b32_e64 v7, v7, v18, s[2:3]
	v_cmp_ngt_f32_e64 s[2:3], -1.0, v18
	v_cndmask_b32_e64 v7, v14, v7, s[2:3]
	v_cmp_neq_f32_e64 s[2:3], -1.0, v18
	v_cndmask_b32_e64 v7, v15, v7, s[2:3]
	v_cmp_lt_f32_e64 s[2:3], |v18|, s29
	v_cndmask_b32_e64 v7, v7, v18, s[2:3]
	global_store_dword v[4:5], v7, off
	s_or_b64 exec, exec, s[6:7]
	s_and_saveexec_b64 s[2:3], s[0:1]
	s_cbranch_execz .LBB209_14
.LBB209_18:                             ;   in Loop: Header=BB209_4 Depth=1
	s_waitcnt vmcnt(0)
	v_add_f32_e32 v7, 1.0, v17
	v_add_f32_e32 v18, -1.0, v7
	v_sub_f32_e32 v19, v18, v7
	v_add_f32_e32 v19, 1.0, v19
	v_sub_f32_e32 v18, v17, v18
	v_add_f32_e32 v20, v18, v19
	v_frexp_mant_f32_e32 v21, v7
	v_cvt_f64_f32_e32 v[18:19], v7
	v_frexp_exp_i32_f64_e32 v18, v[18:19]
	v_cmp_gt_f32_e64 s[0:1], s31, v21
	v_subbrev_co_u32_e64 v18, s[0:1], 0, v18, s[0:1]
	v_sub_u32_e32 v19, 0, v18
	v_ldexp_f32 v7, v7, v19
	v_ldexp_f32 v19, v20, v19
	v_add_f32_e32 v20, -1.0, v7
	v_add_f32_e32 v23, 1.0, v7
	v_add_f32_e32 v21, 1.0, v20
	v_add_f32_e32 v24, -1.0, v23
	v_sub_f32_e32 v21, v7, v21
	v_sub_f32_e32 v7, v7, v24
	v_add_f32_e32 v7, v19, v7
	v_add_f32_e32 v21, v19, v21
	v_add_f32_e32 v19, v23, v7
	v_rcp_f32_e32 v24, v19
	v_add_f32_e32 v22, v20, v21
	v_sub_f32_e32 v20, v22, v20
	v_sub_f32_e32 v20, v21, v20
	;; [unrolled: 1-line block ×4, first 2 shown]
	v_mul_f32_e32 v21, v22, v24
	v_mul_f32_e32 v23, v19, v21
	v_fma_f32 v25, v21, v19, -v23
	v_fmac_f32_e32 v25, v21, v7
	v_add_f32_e32 v26, v23, v25
	v_sub_f32_e32 v27, v22, v26
	v_sub_f32_e32 v22, v22, v27
	;; [unrolled: 1-line block ×4, first 2 shown]
	v_add_f32_e32 v20, v20, v22
	v_sub_f32_e32 v22, v23, v25
	v_add_f32_e32 v20, v22, v20
	v_add_f32_e32 v22, v27, v20
	v_mul_f32_e32 v23, v24, v22
	v_mul_f32_e32 v25, v19, v23
	v_fma_f32 v19, v23, v19, -v25
	v_fmac_f32_e32 v19, v23, v7
	v_sub_f32_e32 v7, v27, v22
	v_add_f32_e32 v7, v20, v7
	v_add_f32_e32 v20, v25, v19
	v_sub_f32_e32 v26, v22, v20
	v_sub_f32_e32 v22, v22, v26
	;; [unrolled: 1-line block ×4, first 2 shown]
	v_add_f32_e32 v7, v7, v20
	v_sub_f32_e32 v19, v25, v19
	v_cvt_f32_i32_e32 v18, v18
	v_add_f32_e32 v7, v19, v7
	v_add_f32_e32 v19, v21, v23
	;; [unrolled: 1-line block ×3, first 2 shown]
	v_sub_f32_e32 v20, v19, v21
	v_mul_f32_e32 v7, v24, v7
	v_sub_f32_e32 v20, v23, v20
	v_add_f32_e32 v7, v20, v7
	v_mul_f32_e32 v23, 0x3f317218, v18
	v_add_f32_e32 v20, v19, v7
	v_fma_f32 v24, v18, s33, -v23
	v_mul_f32_e32 v21, v20, v20
	v_mov_b32_e32 v22, 0x3ecc95a3
	v_fmac_f32_e32 v24, 0xb102e308, v18
	v_sub_f32_e32 v18, v20, v19
	v_fmac_f32_e32 v22, 0x3e9b6dac, v21
	v_sub_f32_e32 v7, v7, v18
	v_add_f32_e32 v18, v23, v24
	v_fma_f32 v22, v21, v22, v13
	v_sub_f32_e32 v19, v18, v23
	v_ldexp_f32 v23, v20, 1
	v_mul_f32_e32 v20, v20, v21
	v_mul_f32_e32 v20, v20, v22
	v_add_f32_e32 v21, v23, v20
	v_sub_f32_e32 v22, v21, v23
	v_ldexp_f32 v7, v7, 1
	v_sub_f32_e32 v20, v20, v22
	v_add_f32_e32 v7, v7, v20
	v_add_f32_e32 v20, v21, v7
	v_sub_f32_e32 v21, v20, v21
	v_sub_f32_e32 v7, v7, v21
	v_add_f32_e32 v21, v18, v20
	v_sub_f32_e32 v22, v21, v18
	v_sub_f32_e32 v23, v21, v22
	;; [unrolled: 1-line block ×5, first 2 shown]
	v_add_f32_e32 v18, v20, v18
	v_add_f32_e32 v20, v19, v7
	v_sub_f32_e32 v22, v20, v19
	v_sub_f32_e32 v23, v20, v22
	v_sub_f32_e32 v19, v19, v23
	v_sub_f32_e32 v7, v7, v22
	v_add_f32_e32 v18, v20, v18
	v_add_f32_e32 v7, v7, v19
	;; [unrolled: 1-line block ×3, first 2 shown]
	v_sub_f32_e32 v20, v19, v21
	v_sub_f32_e32 v18, v18, v20
	v_add_f32_e32 v7, v7, v18
	v_add_f32_e32 v7, v19, v7
	v_cmp_eq_f32_e64 s[0:1], s30, v17
	v_cndmask_b32_e64 v7, v7, v17, s[0:1]
	v_cmp_ngt_f32_e64 s[0:1], -1.0, v17
	v_cndmask_b32_e64 v7, v14, v7, s[0:1]
	v_cmp_neq_f32_e64 s[0:1], -1.0, v17
	v_cndmask_b32_e64 v7, v15, v7, s[0:1]
	v_cmp_lt_f32_e64 s[0:1], |v17|, s29
	v_cndmask_b32_e64 v7, v7, v17, s[0:1]
	v_mov_b32_e32 v17, s28
	v_add_co_u32_e64 v18, s[0:1], s27, v2
	v_addc_co_u32_e64 v19, s[0:1], v3, v17, s[0:1]
	global_store_dword v[18:19], v7, off
	s_or_b64 exec, exec, s[2:3]
	s_and_saveexec_b64 s[0:1], vcc
	s_cbranch_execz .LBB209_3
.LBB209_19:                             ;   in Loop: Header=BB209_4 Depth=1
	s_waitcnt vmcnt(0)
	v_add_f32_e32 v7, 1.0, v16
	v_add_f32_e32 v17, -1.0, v7
	v_sub_f32_e32 v18, v17, v7
	v_add_f32_e32 v18, 1.0, v18
	v_sub_f32_e32 v17, v16, v17
	v_add_f32_e32 v17, v17, v18
	v_frexp_mant_f32_e32 v20, v7
	v_cvt_f64_f32_e32 v[18:19], v7
	v_frexp_exp_i32_f64_e32 v18, v[18:19]
	v_cmp_gt_f32_e32 vcc, s31, v20
	v_subbrev_co_u32_e32 v18, vcc, 0, v18, vcc
	v_sub_u32_e32 v19, 0, v18
	v_ldexp_f32 v7, v7, v19
	v_ldexp_f32 v17, v17, v19
	v_add_f32_e32 v19, -1.0, v7
	v_add_f32_e32 v22, 1.0, v7
	v_add_f32_e32 v20, 1.0, v19
	v_add_f32_e32 v23, -1.0, v22
	v_sub_f32_e32 v20, v7, v20
	v_sub_f32_e32 v7, v7, v23
	v_add_f32_e32 v7, v17, v7
	v_add_f32_e32 v20, v17, v20
	;; [unrolled: 1-line block ×3, first 2 shown]
	v_rcp_f32_e32 v23, v17
	v_add_f32_e32 v21, v19, v20
	v_sub_f32_e32 v19, v21, v19
	v_sub_f32_e32 v19, v20, v19
	;; [unrolled: 1-line block ×4, first 2 shown]
	v_mul_f32_e32 v20, v21, v23
	v_mul_f32_e32 v22, v17, v20
	v_fma_f32 v24, v20, v17, -v22
	v_fmac_f32_e32 v24, v20, v7
	v_add_f32_e32 v25, v22, v24
	v_sub_f32_e32 v26, v21, v25
	v_sub_f32_e32 v21, v21, v26
	;; [unrolled: 1-line block ×4, first 2 shown]
	v_add_f32_e32 v19, v19, v21
	v_sub_f32_e32 v21, v22, v24
	v_add_f32_e32 v19, v21, v19
	v_add_f32_e32 v21, v26, v19
	v_mul_f32_e32 v22, v23, v21
	v_mul_f32_e32 v24, v17, v22
	v_fma_f32 v17, v22, v17, -v24
	v_fmac_f32_e32 v17, v22, v7
	v_sub_f32_e32 v7, v26, v21
	v_add_f32_e32 v7, v19, v7
	v_add_f32_e32 v19, v24, v17
	v_sub_f32_e32 v25, v21, v19
	v_sub_f32_e32 v21, v21, v25
	;; [unrolled: 1-line block ×4, first 2 shown]
	v_add_f32_e32 v7, v7, v19
	v_sub_f32_e32 v17, v24, v17
	v_cvt_f32_i32_e32 v18, v18
	v_add_f32_e32 v7, v17, v7
	v_add_f32_e32 v17, v20, v22
	;; [unrolled: 1-line block ×3, first 2 shown]
	v_sub_f32_e32 v19, v17, v20
	v_mul_f32_e32 v7, v23, v7
	v_sub_f32_e32 v19, v22, v19
	v_add_f32_e32 v7, v19, v7
	v_mul_f32_e32 v22, 0x3f317218, v18
	v_add_f32_e32 v19, v17, v7
	v_fma_f32 v23, v18, s33, -v22
	v_mul_f32_e32 v20, v19, v19
	v_mov_b32_e32 v21, 0x3ecc95a3
	v_fmac_f32_e32 v23, 0xb102e308, v18
	v_sub_f32_e32 v17, v19, v17
	v_fmac_f32_e32 v21, 0x3e9b6dac, v20
	v_sub_f32_e32 v7, v7, v17
	v_add_f32_e32 v17, v22, v23
	v_fma_f32 v21, v20, v21, v13
	v_sub_f32_e32 v18, v17, v22
	v_ldexp_f32 v22, v19, 1
	v_mul_f32_e32 v19, v19, v20
	v_mul_f32_e32 v19, v19, v21
	v_add_f32_e32 v20, v22, v19
	v_sub_f32_e32 v21, v20, v22
	v_ldexp_f32 v7, v7, 1
	v_sub_f32_e32 v19, v19, v21
	v_add_f32_e32 v7, v7, v19
	v_add_f32_e32 v19, v20, v7
	v_sub_f32_e32 v20, v19, v20
	v_sub_f32_e32 v7, v7, v20
	v_add_f32_e32 v20, v17, v19
	v_sub_f32_e32 v21, v20, v17
	v_sub_f32_e32 v22, v20, v21
	;; [unrolled: 1-line block ×5, first 2 shown]
	v_add_f32_e32 v17, v19, v17
	v_add_f32_e32 v19, v18, v7
	v_sub_f32_e32 v21, v19, v18
	v_sub_f32_e32 v22, v19, v21
	;; [unrolled: 1-line block ×4, first 2 shown]
	v_add_f32_e32 v17, v19, v17
	v_add_f32_e32 v7, v7, v18
	;; [unrolled: 1-line block ×3, first 2 shown]
	v_sub_f32_e32 v19, v18, v20
	v_sub_f32_e32 v17, v17, v19
	v_add_f32_e32 v7, v7, v17
	v_add_f32_e32 v7, v18, v7
	v_cmp_eq_f32_e32 vcc, s30, v16
	v_cndmask_b32_e32 v7, v7, v16, vcc
	v_cmp_ngt_f32_e32 vcc, -1.0, v16
	v_cndmask_b32_e32 v7, v14, v7, vcc
	v_cmp_neq_f32_e32 vcc, -1.0, v16
	v_cndmask_b32_e32 v7, v15, v7, vcc
	v_cmp_lt_f32_e64 vcc, |v16|, s29
	v_cndmask_b32_e32 v7, v7, v16, vcc
	v_mov_b32_e32 v17, s26
	v_add_co_u32_e32 v16, vcc, s25, v2
	v_addc_co_u32_e32 v17, vcc, v3, v17, vcc
	global_store_dword v[16:17], v7, off
	s_branch .LBB209_3
.LBB209_20:
	s_cbranch_execz .LBB209_22
	s_branch .LBB209_25
.LBB209_21:
.LBB209_22:
	v_mov_b32_e32 v5, 0
	v_lshlrev_b32_e32 v4, 2, v0
	s_mov_b32 s0, 0
	v_cmp_gt_i64_e32 vcc, s[10:11], v[4:5]
	s_and_saveexec_b64 s[2:3], vcc
	s_cbranch_execz .LBB209_25
; %bb.23:
	s_load_dword s1, s[4:5], 0xd3c
	v_lshlrev_b32_e32 v1, 4, v0
	s_mov_b32 s6, 0x3ecc95a3
	s_mov_b32 s9, 0x3f2aaaab
	s_mov_b32 s4, 0x3e9b6dac
	s_waitcnt lgkmcnt(0)
	s_and_b32 s1, s1, 0xffff
	s_add_u32 s2, s12, s14
	s_addc_u32 s3, s13, s15
	v_mov_b32_e32 v2, s3
	v_add_co_u32_e32 v1, vcc, s2, v1
	v_addc_co_u32_e32 v2, vcc, 0, v2, vcc
	v_add_co_u32_e32 v6, vcc, 8, v1
	s_lshl_b32 s7, s1, 2
	v_addc_co_u32_e32 v7, vcc, 0, v2, vcc
	s_lshl_b32 s5, s1, 4
	v_add_lshl_u32 v4, v0, s1, 2
	s_mov_b64 s[2:3], 0
	v_pk_mov_b32 v[8:9], s[6:7], s[6:7] op_sel:[0,1]
	s_mov_b32 s6, 0x3f2aaada
	s_mov_b32 s8, 0x3f317218
	;; [unrolled: 1-line block ×4, first 2 shown]
	v_mov_b32_e32 v10, 0x7fc00000
	v_mov_b32_e32 v11, 0xff800000
	s_mov_b32 s16, 0x33800000
	s_mov_b64 s[14:15], 0xffff
	v_mov_b32_e32 v12, s0
	v_mov_b32_e32 v13, s0
.LBB209_24:                             ; =>This Inner Loop Header: Depth=1
	global_load_dwordx4 v[0:3], v[6:7], off offset:-8
	v_cmp_lt_u64_e64 s[0:1], s[14:15], v[4:5]
	s_waitcnt vmcnt(0)
	v_add_f32_e32 v18, 1.0, v0
	v_add_f32_e32 v19, 1.0, v1
	v_cvt_f64_f32_e32 v[14:15], v18
	v_frexp_mant_f32_e32 v22, v19
	v_cvt_f64_f32_e32 v[16:17], v19
	v_frexp_exp_i32_f64_e32 v14, v[14:15]
	v_frexp_exp_i32_f64_e32 v15, v[16:17]
	v_cmp_gt_f32_e32 vcc, s9, v22
	v_add_f32_e32 v20, -1.0, v18
	v_frexp_mant_f32_e32 v21, v18
	v_subbrev_co_u32_e32 v15, vcc, 0, v15, vcc
	v_add_f32_e32 v23, -1.0, v19
	v_sub_f32_e32 v24, v20, v18
	v_cmp_gt_f32_e32 vcc, s9, v21
	v_sub_f32_e32 v20, v0, v20
	v_sub_f32_e32 v16, v23, v19
	;; [unrolled: 1-line block ×3, first 2 shown]
	v_add_f32_e32 v23, 1.0, v24
	v_subbrev_co_u32_e32 v14, vcc, 0, v14, vcc
	v_add_f32_e32 v16, 1.0, v16
	v_add_f32_e32 v20, v20, v23
	v_sub_u32_e32 v21, 0, v14
	v_sub_u32_e32 v23, 0, v15
	v_add_f32_e32 v22, v17, v16
	v_cvt_f32_i32_e32 v15, v15
	v_cvt_f32_i32_e32 v14, v14
	v_ldexp_f32 v16, v18, v21
	v_ldexp_f32 v17, v19, v23
	;; [unrolled: 1-line block ×3, first 2 shown]
	v_pk_add_f32 v[20:21], v[16:17], 1.0 op_sel_hi:[1,0]
	v_ldexp_f32 v19, v22, v23
	v_pk_add_f32 v[22:23], -1.0, v[16:17] op_sel_hi:[0,1]
	v_pk_add_f32 v[24:25], -1.0, v[20:21] op_sel_hi:[0,1]
	v_pk_add_f32 v[26:27], v[22:23], 1.0 op_sel_hi:[1,0]
	v_pk_add_f32 v[24:25], v[16:17], v[24:25] neg_lo:[0,1] neg_hi:[0,1]
	v_pk_add_f32 v[16:17], v[16:17], v[26:27] neg_lo:[0,1] neg_hi:[0,1]
	v_pk_mul_f32 v[26:27], v[14:15], s[8:9] op_sel_hi:[1,0]
	v_pk_add_f32 v[24:25], v[18:19], v[24:25]
	v_pk_add_f32 v[16:17], v[18:19], v[16:17]
	v_pk_fma_f32 v[18:19], v[14:15], s[8:9], v[26:27] op_sel_hi:[1,0,1] neg_lo:[0,0,1] neg_hi:[0,0,1]
	v_pk_add_f32 v[30:31], v[20:21], v[24:25]
	v_pk_fma_f32 v[14:15], v[14:15], s[12:13], v[18:19] op_sel_hi:[1,0,1]
	v_rcp_f32_e32 v18, v30
	v_rcp_f32_e32 v19, v31
	v_pk_add_f32 v[32:33], v[22:23], v[16:17]
	v_pk_add_f32 v[20:21], v[30:31], v[20:21] neg_lo:[0,1] neg_hi:[0,1]
	v_pk_add_f32 v[20:21], v[24:25], v[20:21] neg_lo:[0,1] neg_hi:[0,1]
	v_pk_mul_f32 v[40:41], v[32:33], v[18:19]
	v_pk_mul_f32 v[42:43], v[30:31], v[40:41]
	v_pk_fma_f32 v[44:45], v[40:41], v[30:31], v[42:43] neg_lo:[0,0,1] neg_hi:[0,0,1]
	v_pk_fma_f32 v[44:45], v[40:41], v[20:21], v[44:45]
	v_pk_add_f32 v[46:47], v[42:43], v[44:45]
	v_pk_add_f32 v[48:49], v[32:33], v[46:47] neg_lo:[0,1] neg_hi:[0,1]
	v_pk_add_f32 v[22:23], v[32:33], v[22:23] neg_lo:[0,1] neg_hi:[0,1]
	;; [unrolled: 1-line block ×7, first 2 shown]
	v_pk_add_f32 v[16:17], v[16:17], v[32:33]
	v_pk_add_f32 v[16:17], v[42:43], v[16:17]
	;; [unrolled: 1-line block ×3, first 2 shown]
	v_pk_mul_f32 v[42:43], v[18:19], v[32:33]
	v_pk_add_f32 v[44:45], v[48:49], v[32:33] neg_lo:[0,1] neg_hi:[0,1]
	v_pk_mul_f32 v[46:47], v[30:31], v[42:43]
	v_pk_add_f32 v[16:17], v[16:17], v[44:45]
	v_pk_add_f32 v[44:45], v[40:41], v[42:43]
	v_pk_fma_f32 v[30:31], v[42:43], v[30:31], v[46:47] neg_lo:[0,0,1] neg_hi:[0,0,1]
	v_pk_add_f32 v[40:41], v[44:45], v[40:41] neg_lo:[0,1] neg_hi:[0,1]
	v_pk_fma_f32 v[20:21], v[42:43], v[20:21], v[30:31]
	v_pk_add_f32 v[30:31], v[42:43], v[40:41] neg_lo:[0,1] neg_hi:[0,1]
	v_pk_add_f32 v[40:41], v[46:47], v[20:21]
	v_pk_add_f32 v[42:43], v[40:41], v[46:47] neg_lo:[0,1] neg_hi:[0,1]
	v_pk_add_f32 v[46:47], v[32:33], v[40:41] neg_lo:[0,1] neg_hi:[0,1]
	;; [unrolled: 1-line block ×5, first 2 shown]
	v_pk_add_f32 v[16:17], v[16:17], v[32:33]
	v_pk_add_f32 v[16:17], v[20:21], v[16:17]
	;; [unrolled: 1-line block ×3, first 2 shown]
	v_pk_mul_f32 v[16:17], v[18:19], v[16:17]
	v_pk_add_f32 v[16:17], v[30:31], v[16:17]
	v_pk_add_f32 v[18:19], v[44:45], v[16:17]
	v_pk_add_f32 v[20:21], v[18:19], v[44:45] neg_lo:[0,1] neg_hi:[0,1]
	v_pk_mul_f32 v[32:33], v[18:19], v[18:19]
	v_pk_add_f32 v[16:17], v[16:17], v[20:21] neg_lo:[0,1] neg_hi:[0,1]
	v_pk_fma_f32 v[20:21], v[32:33], s[4:5], v[8:9] op_sel_hi:[1,0,0]
	v_ldexp_f32 v30, v18, 1
	v_ldexp_f32 v31, v19, 1
	v_pk_mul_f32 v[18:19], v[18:19], v[32:33]
	v_pk_fma_f32 v[20:21], v[32:33], v[20:21], s[6:7] op_sel_hi:[1,1,0]
	v_pk_mul_f32 v[18:19], v[18:19], v[20:21]
	v_pk_add_f32 v[20:21], v[30:31], v[18:19]
	v_pk_add_f32 v[30:31], v[20:21], v[30:31] neg_lo:[0,1] neg_hi:[0,1]
	v_ldexp_f32 v16, v16, 1
	v_ldexp_f32 v17, v17, 1
	v_pk_add_f32 v[18:19], v[18:19], v[30:31] neg_lo:[0,1] neg_hi:[0,1]
	v_pk_add_f32 v[16:17], v[16:17], v[18:19]
	v_pk_add_f32 v[34:35], v[26:27], v[14:15]
	;; [unrolled: 1-line block ×4, first 2 shown]
	v_mov_b32_e32 v29, v27
	v_mov_b32_e32 v23, v35
	;; [unrolled: 1-line block ×6, first 2 shown]
	v_pk_add_f32 v[22:23], v[22:23], v[28:29] neg_lo:[0,1] neg_hi:[0,1]
	v_mov_b32_e32 v25, v17
	v_mov_b32_e32 v33, v19
	;; [unrolled: 1-line block ×4, first 2 shown]
	v_pk_add_f32 v[28:29], v[36:37], v[22:23] neg_lo:[0,1] neg_hi:[0,1]
	v_mov_b32_e32 v23, v21
	v_mov_b32_e32 v21, v35
	v_pk_add_f32 v[18:19], v[18:19], v[20:21] neg_lo:[0,1] neg_hi:[0,1]
	v_mov_b32_e32 v38, v34
	v_mov_b32_e32 v32, v30
	;; [unrolled: 1-line block ×6, first 2 shown]
	v_pk_add_f32 v[22:23], v[32:33], v[22:23] neg_lo:[0,1] neg_hi:[0,1]
	v_pk_add_f32 v[16:17], v[16:17], v[18:19] neg_lo:[0,1] neg_hi:[0,1]
	;; [unrolled: 1-line block ×5, first 2 shown]
	v_pk_add_f32 v[22:23], v[28:29], v[20:21]
	v_pk_add_f32 v[24:25], v[16:17], v[14:15]
	v_mov_b32_e32 v19, v23
	v_mov_b32_e32 v15, v29
	v_mov_b32_e32 v18, v24
	v_mov_b32_e32 v17, v21
	v_pk_add_f32 v[20:21], v[22:23], v[24:25]
	v_pk_add_f32 v[22:23], v[18:19], v[14:15] neg_lo:[0,1] neg_hi:[0,1]
	v_pk_add_f32 v[18:19], v[18:19], v[22:23] neg_lo:[0,1] neg_hi:[0,1]
	;; [unrolled: 1-line block ×4, first 2 shown]
	v_pk_add_f32 v[14:15], v[16:17], v[14:15]
	v_pk_add_f32 v[16:17], v[30:31], v[20:21]
	v_pk_add_f32 v[18:19], v[16:17], v[30:31] neg_lo:[0,1] neg_hi:[0,1]
	v_pk_add_f32 v[18:19], v[20:21], v[18:19] neg_lo:[0,1] neg_hi:[0,1]
	v_pk_add_f32 v[14:15], v[14:15], v[18:19]
	v_pk_add_f32 v[14:15], v[16:17], v[14:15]
	v_cmp_eq_f32_e32 vcc, s13, v0
	v_cndmask_b32_e32 v14, v14, v0, vcc
	v_cmp_eq_f32_e32 vcc, s13, v1
	v_cndmask_b32_e32 v15, v15, v1, vcc
	v_cmp_ngt_f32_e32 vcc, -1.0, v1
	v_cndmask_b32_e32 v15, v10, v15, vcc
	v_cmp_ngt_f32_e32 vcc, -1.0, v0
	v_cndmask_b32_e32 v14, v10, v14, vcc
	v_cmp_neq_f32_e32 vcc, -1.0, v0
	v_cndmask_b32_e32 v14, v11, v14, vcc
	v_cmp_neq_f32_e32 vcc, -1.0, v1
	v_cndmask_b32_e32 v15, v11, v15, vcc
	v_cmp_lt_f32_e64 vcc, |v1|, s16
	v_cndmask_b32_e32 v1, v15, v1, vcc
	v_cmp_lt_f32_e64 vcc, |v0|, s16
	v_add_f32_e32 v16, 1.0, v2
	v_cndmask_b32_e32 v0, v14, v0, vcc
	v_add_f32_e32 v14, -1.0, v16
	v_sub_f32_e32 v15, v14, v16
	v_add_f32_e32 v15, 1.0, v15
	v_sub_f32_e32 v14, v2, v14
	v_add_f32_e32 v17, v14, v15
	v_cvt_f64_f32_e32 v[14:15], v16
	v_add_f32_e32 v20, 1.0, v3
	v_frexp_exp_i32_f64_e32 v19, v[14:15]
	v_frexp_mant_f32_e32 v21, v20
	v_cvt_f64_f32_e32 v[14:15], v20
	v_frexp_exp_i32_f64_e32 v14, v[14:15]
	v_cmp_gt_f32_e32 vcc, s9, v21
	v_frexp_mant_f32_e32 v18, v16
	v_subbrev_co_u32_e32 v34, vcc, 0, v14, vcc
	v_cmp_gt_f32_e32 vcc, s9, v18
	v_subbrev_co_u32_e32 v35, vcc, 0, v19, vcc
	v_sub_u32_e32 v15, 0, v35
	v_ldexp_f32 v14, v16, v15
	v_ldexp_f32 v16, v17, v15
	v_add_f32_e32 v15, -1.0, v20
	v_sub_f32_e32 v17, v15, v20
	v_add_f32_e32 v17, 1.0, v17
	v_sub_f32_e32 v15, v3, v15
	v_sub_u32_e32 v18, 0, v34
	v_add_f32_e32 v17, v15, v17
	v_ldexp_f32 v15, v20, v18
	v_ldexp_f32 v17, v17, v18
	v_pk_add_f32 v[18:19], v[14:15], 1.0 op_sel_hi:[1,0]
	v_pk_add_f32 v[20:21], -1.0, v[18:19] op_sel_hi:[0,1]
	v_pk_add_f32 v[20:21], v[14:15], v[20:21] neg_lo:[0,1] neg_hi:[0,1]
	v_pk_add_f32 v[20:21], v[16:17], v[20:21]
	v_pk_add_f32 v[22:23], v[18:19], v[20:21]
	v_pk_add_f32 v[26:27], -1.0, v[14:15] op_sel_hi:[0,1]
	v_rcp_f32_e32 v24, v22
	v_pk_add_f32 v[28:29], v[26:27], 1.0 op_sel_hi:[1,0]
	v_rcp_f32_e32 v25, v23
	v_pk_add_f32 v[14:15], v[14:15], v[28:29] neg_lo:[0,1] neg_hi:[0,1]
	v_pk_add_f32 v[14:15], v[16:17], v[14:15]
	v_pk_add_f32 v[16:17], v[26:27], v[14:15]
	v_pk_add_f32 v[18:19], v[22:23], v[18:19] neg_lo:[0,1] neg_hi:[0,1]
	v_pk_add_f32 v[26:27], v[16:17], v[26:27] neg_lo:[0,1] neg_hi:[0,1]
	v_pk_add_f32 v[18:19], v[20:21], v[18:19] neg_lo:[0,1] neg_hi:[0,1]
	v_pk_mul_f32 v[20:21], v[16:17], v[24:25]
	v_pk_add_f32 v[14:15], v[14:15], v[26:27] neg_lo:[0,1] neg_hi:[0,1]
	v_pk_mul_f32 v[26:27], v[22:23], v[20:21]
	v_pk_fma_f32 v[28:29], v[20:21], v[22:23], v[26:27] neg_lo:[0,0,1] neg_hi:[0,0,1]
	v_pk_fma_f32 v[28:29], v[20:21], v[18:19], v[28:29]
	v_pk_add_f32 v[30:31], v[26:27], v[28:29]
	v_pk_add_f32 v[32:33], v[16:17], v[30:31] neg_lo:[0,1] neg_hi:[0,1]
	v_pk_add_f32 v[16:17], v[16:17], v[32:33] neg_lo:[0,1] neg_hi:[0,1]
	;; [unrolled: 1-line block ×4, first 2 shown]
	v_pk_add_f32 v[14:15], v[14:15], v[16:17]
	v_pk_add_f32 v[16:17], v[26:27], v[28:29] neg_lo:[0,1] neg_hi:[0,1]
	v_pk_add_f32 v[14:15], v[16:17], v[14:15]
	v_pk_add_f32 v[16:17], v[32:33], v[14:15]
	v_pk_mul_f32 v[26:27], v[24:25], v[16:17]
	v_pk_mul_f32 v[28:29], v[22:23], v[26:27]
	v_pk_fma_f32 v[22:23], v[26:27], v[22:23], v[28:29] neg_lo:[0,0,1] neg_hi:[0,0,1]
	v_pk_fma_f32 v[18:19], v[26:27], v[18:19], v[22:23]
	v_pk_add_f32 v[22:23], v[32:33], v[16:17] neg_lo:[0,1] neg_hi:[0,1]
	v_pk_add_f32 v[14:15], v[14:15], v[22:23]
	v_pk_add_f32 v[22:23], v[28:29], v[18:19]
	v_pk_add_f32 v[30:31], v[16:17], v[22:23] neg_lo:[0,1] neg_hi:[0,1]
	v_pk_add_f32 v[16:17], v[16:17], v[30:31] neg_lo:[0,1] neg_hi:[0,1]
	;; [unrolled: 1-line block ×4, first 2 shown]
	v_pk_add_f32 v[14:15], v[14:15], v[16:17]
	v_pk_add_f32 v[16:17], v[28:29], v[18:19] neg_lo:[0,1] neg_hi:[0,1]
	v_pk_add_f32 v[14:15], v[16:17], v[14:15]
	v_pk_add_f32 v[16:17], v[20:21], v[26:27]
	;; [unrolled: 1-line block ×3, first 2 shown]
	v_pk_add_f32 v[18:19], v[16:17], v[20:21] neg_lo:[0,1] neg_hi:[0,1]
	v_pk_mul_f32 v[14:15], v[24:25], v[14:15]
	v_pk_add_f32 v[18:19], v[26:27], v[18:19] neg_lo:[0,1] neg_hi:[0,1]
	v_pk_add_f32 v[14:15], v[18:19], v[14:15]
	v_pk_add_f32 v[18:19], v[16:17], v[14:15]
	v_pk_mul_f32 v[22:23], v[18:19], v[18:19]
	v_pk_add_f32 v[16:17], v[18:19], v[16:17] neg_lo:[0,1] neg_hi:[0,1]
	v_cvt_f32_i32_e32 v21, v34
	v_cvt_f32_i32_e32 v20, v35
	v_pk_fma_f32 v[24:25], v[22:23], s[4:5], v[8:9] op_sel_hi:[1,0,0]
	v_pk_add_f32 v[14:15], v[14:15], v[16:17] neg_lo:[0,1] neg_hi:[0,1]
	v_ldexp_f32 v16, v18, 1
	v_pk_fma_f32 v[24:25], v[22:23], v[24:25], s[6:7] op_sel_hi:[1,1,0]
	v_ldexp_f32 v17, v19, 1
	v_pk_mul_f32 v[18:19], v[18:19], v[22:23]
	v_pk_mul_f32 v[18:19], v[18:19], v[24:25]
	v_pk_add_f32 v[22:23], v[16:17], v[18:19]
	v_pk_mul_f32 v[26:27], v[20:21], s[8:9] op_sel_hi:[1,0]
	v_pk_add_f32 v[16:17], v[22:23], v[16:17] neg_lo:[0,1] neg_hi:[0,1]
	v_ldexp_f32 v14, v14, 1
	v_pk_fma_f32 v[28:29], v[20:21], s[8:9], v[26:27] op_sel_hi:[1,0,1] neg_lo:[0,0,1] neg_hi:[0,0,1]
	v_ldexp_f32 v15, v15, 1
	v_pk_add_f32 v[16:17], v[18:19], v[16:17] neg_lo:[0,1] neg_hi:[0,1]
	v_pk_fma_f32 v[20:21], v[20:21], s[12:13], v[28:29] op_sel_hi:[1,0,1]
	v_pk_add_f32 v[14:15], v[14:15], v[16:17]
	v_pk_add_f32 v[28:29], v[26:27], v[20:21]
	;; [unrolled: 1-line block ×4, first 2 shown]
	v_mov_b32_e32 v24, v18
	v_mov_b32_e32 v25, v29
	;; [unrolled: 1-line block ×4, first 2 shown]
	v_pk_add_f32 v[24:25], v[24:25], v[30:31] neg_lo:[0,1] neg_hi:[0,1]
	v_mov_b32_e32 v30, v16
	v_mov_b32_e32 v31, v21
	v_pk_add_f32 v[30:31], v[30:31], v[24:25] neg_lo:[0,1] neg_hi:[0,1]
	v_mov_b32_e32 v32, v18
	v_mov_b32_e32 v33, v17
	;; [unrolled: 1-line block ×3, first 2 shown]
	v_pk_add_f32 v[24:25], v[32:33], v[24:25] neg_lo:[0,1] neg_hi:[0,1]
	v_mov_b32_e32 v32, v28
	v_mov_b32_e32 v33, v15
	v_pk_add_f32 v[24:25], v[32:33], v[24:25] neg_lo:[0,1] neg_hi:[0,1]
	v_mov_b32_e32 v32, v16
	v_mov_b32_e32 v33, v19
	;; [unrolled: 1-line block ×3, first 2 shown]
	v_pk_add_f32 v[22:23], v[32:33], v[22:23] neg_lo:[0,1] neg_hi:[0,1]
	v_mov_b32_e32 v32, v28
	v_mov_b32_e32 v27, v23
	v_pk_add_f32 v[26:27], v[32:33], v[26:27] neg_lo:[0,1] neg_hi:[0,1]
	v_mov_b32_e32 v21, v29
	v_mov_b32_e32 v15, v17
	v_pk_add_f32 v[20:21], v[20:21], v[26:27] neg_lo:[0,1] neg_hi:[0,1]
	v_pk_add_f32 v[14:15], v[14:15], v[22:23] neg_lo:[0,1] neg_hi:[0,1]
	v_pk_add_f32 v[16:17], v[14:15], v[20:21]
	v_pk_add_f32 v[22:23], v[30:31], v[24:25]
	v_mov_b32_e32 v26, v16
	v_mov_b32_e32 v27, v23
	;; [unrolled: 1-line block ×3, first 2 shown]
	v_pk_add_f32 v[28:29], v[26:27], v[20:21] neg_lo:[0,1] neg_hi:[0,1]
	v_pk_add_f32 v[26:27], v[26:27], v[28:29] neg_lo:[0,1] neg_hi:[0,1]
	v_mov_b32_e32 v15, v25
	v_pk_add_f32 v[20:21], v[20:21], v[26:27] neg_lo:[0,1] neg_hi:[0,1]
	v_pk_add_f32 v[14:15], v[14:15], v[28:29] neg_lo:[0,1] neg_hi:[0,1]
	v_pk_add_f32 v[16:17], v[22:23], v[16:17]
	v_pk_add_f32 v[14:15], v[14:15], v[20:21]
	;; [unrolled: 1-line block ×3, first 2 shown]
	v_pk_add_f32 v[18:19], v[20:21], v[18:19] neg_lo:[0,1] neg_hi:[0,1]
	v_pk_add_f32 v[16:17], v[16:17], v[18:19] neg_lo:[0,1] neg_hi:[0,1]
	v_pk_add_f32 v[14:15], v[14:15], v[16:17]
	v_pk_add_f32 v[14:15], v[20:21], v[14:15]
	v_cmp_eq_f32_e32 vcc, s13, v2
	v_cndmask_b32_e32 v14, v14, v2, vcc
	v_cmp_eq_f32_e32 vcc, s13, v3
	v_cndmask_b32_e32 v15, v15, v3, vcc
	v_cmp_ngt_f32_e32 vcc, -1.0, v3
	v_cndmask_b32_e32 v15, v10, v15, vcc
	v_cmp_ngt_f32_e32 vcc, -1.0, v2
	v_cndmask_b32_e32 v14, v10, v14, vcc
	v_cmp_neq_f32_e32 vcc, -1.0, v2
	v_cndmask_b32_e32 v14, v11, v14, vcc
	v_cmp_neq_f32_e32 vcc, -1.0, v3
	v_cndmask_b32_e32 v15, v11, v15, vcc
	v_cmp_lt_f32_e64 vcc, |v3|, s16
	v_cndmask_b32_e32 v3, v15, v3, vcc
	v_cmp_lt_f32_e64 vcc, |v2|, s16
	v_cndmask_b32_e32 v2, v14, v2, vcc
	v_cmp_le_i64_e32 vcc, s[10:11], v[4:5]
	global_store_dwordx4 v[6:7], v[0:3], off offset:-8
	s_or_b64 s[0:1], vcc, s[0:1]
	v_add_co_u32_e32 v6, vcc, s5, v6
	v_addc_co_u32_e32 v7, vcc, v7, v12, vcc
	s_and_b64 s[0:1], exec, s[0:1]
	v_add_co_u32_e32 v4, vcc, s7, v4
	s_or_b64 s[2:3], s[0:1], s[2:3]
	v_addc_co_u32_e32 v5, vcc, v5, v13, vcc
	s_andn2_b64 exec, exec, s[2:3]
	s_cbranch_execnz .LBB209_24
.LBB209_25:
	s_endpgm
	.section	.rodata,"a",@progbits
	.p2align	6, 0x0
	.amdhsa_kernel _ZN2at6native12_GLOBAL__N_125multi_tensor_apply_kernelINS1_18TensorListMetadataILi1EEENS1_14UnaryOpFunctorIfLi1ELi1ELi0EEEJNS0_5Log1pIfEEEEEvT_T0_DpT1_
		.amdhsa_group_segment_fixed_size 0
		.amdhsa_private_segment_fixed_size 0
		.amdhsa_kernarg_size 3632
		.amdhsa_user_sgpr_count 6
		.amdhsa_user_sgpr_private_segment_buffer 1
		.amdhsa_user_sgpr_dispatch_ptr 0
		.amdhsa_user_sgpr_queue_ptr 0
		.amdhsa_user_sgpr_kernarg_segment_ptr 1
		.amdhsa_user_sgpr_dispatch_id 0
		.amdhsa_user_sgpr_flat_scratch_init 0
		.amdhsa_user_sgpr_kernarg_preload_length 0
		.amdhsa_user_sgpr_kernarg_preload_offset 0
		.amdhsa_user_sgpr_private_segment_size 0
		.amdhsa_uses_dynamic_stack 0
		.amdhsa_system_sgpr_private_segment_wavefront_offset 0
		.amdhsa_system_sgpr_workgroup_id_x 1
		.amdhsa_system_sgpr_workgroup_id_y 0
		.amdhsa_system_sgpr_workgroup_id_z 0
		.amdhsa_system_sgpr_workgroup_info 0
		.amdhsa_system_vgpr_workitem_id 0
		.amdhsa_next_free_vgpr 50
		.amdhsa_next_free_sgpr 34
		.amdhsa_accum_offset 52
		.amdhsa_reserve_vcc 1
		.amdhsa_reserve_flat_scratch 0
		.amdhsa_float_round_mode_32 0
		.amdhsa_float_round_mode_16_64 0
		.amdhsa_float_denorm_mode_32 3
		.amdhsa_float_denorm_mode_16_64 3
		.amdhsa_dx10_clamp 1
		.amdhsa_ieee_mode 1
		.amdhsa_fp16_overflow 0
		.amdhsa_tg_split 0
		.amdhsa_exception_fp_ieee_invalid_op 0
		.amdhsa_exception_fp_denorm_src 0
		.amdhsa_exception_fp_ieee_div_zero 0
		.amdhsa_exception_fp_ieee_overflow 0
		.amdhsa_exception_fp_ieee_underflow 0
		.amdhsa_exception_fp_ieee_inexact 0
		.amdhsa_exception_int_div_zero 0
	.end_amdhsa_kernel
	.section	.text._ZN2at6native12_GLOBAL__N_125multi_tensor_apply_kernelINS1_18TensorListMetadataILi1EEENS1_14UnaryOpFunctorIfLi1ELi1ELi0EEEJNS0_5Log1pIfEEEEEvT_T0_DpT1_,"axG",@progbits,_ZN2at6native12_GLOBAL__N_125multi_tensor_apply_kernelINS1_18TensorListMetadataILi1EEENS1_14UnaryOpFunctorIfLi1ELi1ELi0EEEJNS0_5Log1pIfEEEEEvT_T0_DpT1_,comdat
.Lfunc_end209:
	.size	_ZN2at6native12_GLOBAL__N_125multi_tensor_apply_kernelINS1_18TensorListMetadataILi1EEENS1_14UnaryOpFunctorIfLi1ELi1ELi0EEEJNS0_5Log1pIfEEEEEvT_T0_DpT1_, .Lfunc_end209-_ZN2at6native12_GLOBAL__N_125multi_tensor_apply_kernelINS1_18TensorListMetadataILi1EEENS1_14UnaryOpFunctorIfLi1ELi1ELi0EEEJNS0_5Log1pIfEEEEEvT_T0_DpT1_
                                        ; -- End function
	.section	.AMDGPU.csdata,"",@progbits
; Kernel info:
; codeLenInByte = 5388
; NumSgprs: 38
; NumVgprs: 50
; NumAgprs: 0
; TotalNumVgprs: 50
; ScratchSize: 0
; MemoryBound: 0
; FloatMode: 240
; IeeeMode: 1
; LDSByteSize: 0 bytes/workgroup (compile time only)
; SGPRBlocks: 4
; VGPRBlocks: 6
; NumSGPRsForWavesPerEU: 38
; NumVGPRsForWavesPerEU: 50
; AccumOffset: 52
; Occupancy: 8
; WaveLimiterHint : 0
; COMPUTE_PGM_RSRC2:SCRATCH_EN: 0
; COMPUTE_PGM_RSRC2:USER_SGPR: 6
; COMPUTE_PGM_RSRC2:TRAP_HANDLER: 0
; COMPUTE_PGM_RSRC2:TGID_X_EN: 1
; COMPUTE_PGM_RSRC2:TGID_Y_EN: 0
; COMPUTE_PGM_RSRC2:TGID_Z_EN: 0
; COMPUTE_PGM_RSRC2:TIDIG_COMP_CNT: 0
; COMPUTE_PGM_RSRC3_GFX90A:ACCUM_OFFSET: 12
; COMPUTE_PGM_RSRC3_GFX90A:TG_SPLIT: 0
	.section	.text._ZN2at6native12_GLOBAL__N_125multi_tensor_apply_kernelINS1_18TensorListMetadataILi1EEENS1_14UnaryOpFunctorIN3c107complexIdEELi1ELi1ELi0EEEJNS0_5Log1pIS8_EEEEEvT_T0_DpT1_,"axG",@progbits,_ZN2at6native12_GLOBAL__N_125multi_tensor_apply_kernelINS1_18TensorListMetadataILi1EEENS1_14UnaryOpFunctorIN3c107complexIdEELi1ELi1ELi0EEEJNS0_5Log1pIS8_EEEEEvT_T0_DpT1_,comdat
	.globl	_ZN2at6native12_GLOBAL__N_125multi_tensor_apply_kernelINS1_18TensorListMetadataILi1EEENS1_14UnaryOpFunctorIN3c107complexIdEELi1ELi1ELi0EEEJNS0_5Log1pIS8_EEEEEvT_T0_DpT1_ ; -- Begin function _ZN2at6native12_GLOBAL__N_125multi_tensor_apply_kernelINS1_18TensorListMetadataILi1EEENS1_14UnaryOpFunctorIN3c107complexIdEELi1ELi1ELi0EEEJNS0_5Log1pIS8_EEEEEvT_T0_DpT1_
	.p2align	8
	.type	_ZN2at6native12_GLOBAL__N_125multi_tensor_apply_kernelINS1_18TensorListMetadataILi1EEENS1_14UnaryOpFunctorIN3c107complexIdEELi1ELi1ELi0EEEJNS0_5Log1pIS8_EEEEEvT_T0_DpT1_,@function
_ZN2at6native12_GLOBAL__N_125multi_tensor_apply_kernelINS1_18TensorListMetadataILi1EEENS1_14UnaryOpFunctorIN3c107complexIdEELi1ELi1ELi0EEEJNS0_5Log1pIS8_EEEEEvT_T0_DpT1_: ; @_ZN2at6native12_GLOBAL__N_125multi_tensor_apply_kernelINS1_18TensorListMetadataILi1EEENS1_14UnaryOpFunctorIN3c107complexIdEELi1ELi1ELi0EEEJNS0_5Log1pIS8_EEEEEvT_T0_DpT1_
; %bb.0:
	v_mov_b32_e32 v1, s6
	global_load_ubyte v1, v1, s[4:5] offset:1760
	s_add_u32 s0, s4, s6
	s_mul_hi_u32 s1, s6, 3
	s_mul_i32 s6, s6, 3
	s_addc_u32 s2, s5, 0
	s_add_u32 s0, s0, s6
	s_addc_u32 s1, s2, s1
	s_load_dword s0, s[0:1], 0x820
	s_mov_b32 s7, 0
	s_waitcnt vmcnt(0)
	v_readfirstlane_b32 s1, v1
	s_lshl_b32 s1, s1, 3
	s_load_dwordx2 s[22:23], s[4:5], s1 offset:0x0
	s_load_dwordx2 s[2:3], s[4:5], s1 offset:0x370
	s_waitcnt lgkmcnt(0)
	s_ashr_i32 s1, s0, 31
	s_lshl_b64 s[24:25], s[0:1], 20
	s_add_u32 s33, s22, s24
	s_addc_u32 s66, s23, s25
	s_lshl_b64 s[0:1], s[0:1], 16
	s_and_b32 s6, s33, 63
	s_sub_u32 s20, s2, s0
	s_subb_u32 s21, s3, s1
	s_and_b32 s0, s2, 3
	s_mov_b32 s1, s7
	s_or_b64 s[0:1], s[6:7], s[0:1]
	s_cmp_eq_u64 s[0:1], 0
	s_cbranch_scc1 .LBB210_45
; %bb.1:
	v_cmp_lt_i64_e64 s[0:1], s[20:21], 1
	s_and_b64 vcc, exec, s[0:1]
	s_cbranch_vccnz .LBB210_44
; %bb.2:
	s_load_dword s0, s[4:5], 0xd3c
	v_mov_b32_e32 v2, 0x10000
	v_mov_b32_e32 v3, 0
	;; [unrolled: 1-line block ×3, first 2 shown]
	v_cmp_lt_u64_e32 vcc, s[20:21], v[2:3]
	s_waitcnt lgkmcnt(0)
	s_and_b32 s2, s0, 0xffff
	s_and_b64 s[0:1], vcc, exec
	s_mul_i32 s6, s2, 3
	v_lshlrev_b32_e32 v20, 4, v0
	v_mov_b32_e32 v21, v18
	v_add_co_u32_e32 v75, vcc, s2, v0
	s_cselect_b32 s27, s21, 0
	s_cselect_b32 s26, s20, 0x10000
	s_lshl_b32 s3, s2, 1
	s_lshl_b32 s67, s2, 2
	;; [unrolled: 1-line block ×3, first 2 shown]
	v_addc_co_u32_e64 v77, s[0:1], 0, 0, vcc
	v_mad_u64_u32 v[22:23], s[0:1], s2, 48, v[20:21]
	s_lshl_b32 s2, s2, 5
	v_add_co_u32_e32 v21, vcc, s6, v0
	v_addc_co_u32_e64 v104, s[0:1], 0, 0, vcc
	v_add_co_u32_e32 v2, vcc, s2, v20
	s_mov_b32 s30, 0x55555555
	s_mov_b32 s34, 0xbf559e2b
	;; [unrolled: 1-line block ×7, first 2 shown]
	v_addc_co_u32_e64 v1, s[0:1], 0, 0, vcc
	v_add_co_u32_e32 v105, vcc, s3, v0
	v_or_b32_e32 v22, 8, v22
	s_mov_b64 s[28:29], 0
	s_movk_i32 s69, 0x204
	s_mov_b32 s31, 0x3fe55555
	s_mov_b32 s35, 0x3fc3ab76
	;; [unrolled: 1-line block ×4, first 2 shown]
	s_brev_b32 s70, -2
	s_mov_b32 s41, 0x7ff00000
	s_mov_b32 s43, 0x3ff921fb
	;; [unrolled: 1-line block ×4, first 2 shown]
	v_mov_b32_e32 v24, 0x6b47b09a
	v_mov_b32_e32 v25, 0x3fc38538
	;; [unrolled: 1-line block ×50, first 2 shown]
	v_or_b32_e32 v74, 8, v2
	v_addc_co_u32_e64 v106, s[0:1], 0, 0, vcc
	v_mov_b32_e32 v107, 0x7ff80000
	v_mov_b32_e32 v108, 0x7ff00000
	;; [unrolled: 1-line block ×8, first 2 shown]
	v_lshlrev_b32_e32 v76, 4, v75
	s_branch .LBB210_4
.LBB210_3:                              ;   in Loop: Header=BB210_4 Depth=1
	s_or_b64 exec, exec, s[2:3]
	s_add_u32 s28, s28, s67
	s_addc_u32 s29, s29, 0
	v_pk_mov_b32 v[2:3], s[20:21], s[20:21] op_sel:[0,1]
	v_cmp_ge_i64_e32 vcc, s[28:29], v[2:3]
	v_mov_b32_e32 v2, 0xffff
	v_mov_b32_e32 v3, 0
	v_cmp_gt_u64_e64 s[0:1], s[28:29], v[2:3]
	s_or_b64 s[0:1], vcc, s[0:1]
	s_add_u32 s33, s33, s68
	s_addc_u32 s66, s66, 0
	s_and_b64 vcc, exec, s[0:1]
	s_cbranch_vccnz .LBB210_44
.LBB210_4:                              ; =>This Inner Loop Header: Depth=1
	v_mov_b32_e32 v3, s29
	v_add_co_u32_e32 v2, vcc, s28, v0
	v_addc_co_u32_e32 v3, vcc, 0, v3, vcc
	v_pk_mov_b32 v[12:13], 0, 0
	v_cmp_gt_u64_e32 vcc, s[26:27], v[2:3]
	v_pk_mov_b32 v[16:17], v[12:13], v[12:13] op_sel:[0,1]
	v_pk_mov_b32 v[14:15], v[12:13], v[12:13] op_sel:[0,1]
	s_and_saveexec_b64 s[2:3], vcc
	s_cbranch_execz .LBB210_6
; %bb.5:                                ;   in Loop: Header=BB210_4 Depth=1
	v_mov_b32_e32 v3, s66
	v_add_co_u32_e64 v2, s[0:1], s33, v20
	v_addc_co_u32_e64 v3, s[0:1], 0, v3, s[0:1]
	global_load_dwordx4 v[14:17], v[2:3], off
.LBB210_6:                              ;   in Loop: Header=BB210_4 Depth=1
	s_or_b64 exec, exec, s[2:3]
	v_mov_b32_e32 v3, s29
	v_add_co_u32_e64 v2, s[0:1], s28, v75
	v_addc_co_u32_e64 v3, s[0:1], v77, v3, s[0:1]
	v_cmp_gt_u64_e64 s[6:7], s[26:27], v[2:3]
	v_pk_mov_b32 v[10:11], v[12:13], v[12:13] op_sel:[0,1]
	s_and_saveexec_b64 s[2:3], s[6:7]
	s_cbranch_execz .LBB210_8
; %bb.7:                                ;   in Loop: Header=BB210_4 Depth=1
	v_mov_b32_e32 v3, s66
	v_add_co_u32_e64 v2, s[0:1], s33, v76
	v_addc_co_u32_e64 v3, s[0:1], 0, v3, s[0:1]
	global_load_dwordx4 v[10:13], v[2:3], off
.LBB210_8:                              ;   in Loop: Header=BB210_4 Depth=1
	s_or_b64 exec, exec, s[2:3]
	v_mov_b32_e32 v3, s29
	v_add_co_u32_e64 v2, s[0:1], s28, v105
	v_addc_co_u32_e64 v3, s[0:1], v106, v3, s[0:1]
	v_pk_mov_b32 v[4:5], 0, 0
	v_cmp_gt_u64_e64 s[2:3], s[26:27], v[2:3]
	v_pk_mov_b32 v[8:9], v[4:5], v[4:5] op_sel:[0,1]
	v_pk_mov_b32 v[6:7], v[4:5], v[4:5] op_sel:[0,1]
	s_and_saveexec_b64 s[8:9], s[2:3]
	s_cbranch_execz .LBB210_10
; %bb.9:                                ;   in Loop: Header=BB210_4 Depth=1
	v_mov_b32_e32 v3, s66
	v_add_co_u32_e64 v2, s[0:1], s33, v74
	v_addc_co_u32_e64 v3, s[0:1], v3, v1, s[0:1]
	global_load_dwordx4 v[6:9], v[2:3], off offset:-8
.LBB210_10:                             ;   in Loop: Header=BB210_4 Depth=1
	s_or_b64 exec, exec, s[8:9]
	v_mov_b32_e32 v3, s29
	v_add_co_u32_e64 v2, s[0:1], s28, v21
	v_addc_co_u32_e64 v3, s[0:1], v104, v3, s[0:1]
	v_cmp_gt_u64_e64 s[0:1], s[26:27], v[2:3]
	v_pk_mov_b32 v[2:3], v[4:5], v[4:5] op_sel:[0,1]
	s_and_saveexec_b64 s[10:11], s[0:1]
	s_cbranch_execz .LBB210_12
; %bb.11:                               ;   in Loop: Header=BB210_4 Depth=1
	v_mov_b32_e32 v3, s66
	v_add_co_u32_e64 v2, s[8:9], s33, v22
	v_addc_co_u32_e64 v3, s[8:9], v3, v23, s[8:9]
	global_load_dwordx4 v[2:5], v[2:3], off offset:-8
.LBB210_12:                             ;   in Loop: Header=BB210_4 Depth=1
	s_or_b64 exec, exec, s[10:11]
	s_waitcnt vmcnt(0)
	v_max_f64 v[78:79], |v[14:15]|, |v[14:15]|
	v_max_f64 v[80:81], |v[16:17]|, |v[16:17]|
	v_max_f64 v[78:79], v[78:79], v[80:81]
	v_frexp_exp_i32_f64_e32 v19, v[78:79]
	v_sub_u32_e32 v82, 0, v19
	v_ldexp_f64 v[78:79], |v[14:15]|, v82
	v_ldexp_f64 v[82:83], |v[16:17]|, v82
	v_mul_f64 v[82:83], v[82:83], v[82:83]
	v_fmac_f64_e32 v[82:83], v[78:79], v[78:79]
	v_rsq_f64_e32 v[78:79], v[82:83]
	v_cmp_eq_f64_e64 s[8:9], 0, v[82:83]
	v_cmp_class_f64_e64 s[48:49], v[16:17], s69
	v_cmp_u_f64_e64 s[10:11], v[14:15], v[16:17]
	v_mul_f64 v[84:85], v[82:83], v[78:79]
	v_mul_f64 v[78:79], v[78:79], 0.5
	v_fma_f64 v[86:87], -v[78:79], v[84:85], 0.5
	v_fmac_f64_e32 v[84:85], v[84:85], v[86:87]
	v_fmac_f64_e32 v[78:79], v[78:79], v[86:87]
	v_fma_f64 v[86:87], -v[84:85], v[84:85], v[82:83]
	v_fmac_f64_e32 v[84:85], v[86:87], v[78:79]
	v_cndmask_b32_e64 v79, v85, v83, s[8:9]
	v_cndmask_b32_e64 v78, v84, v82, s[8:9]
	v_cmp_class_f64_e64 s[8:9], v[14:15], s69
	v_ldexp_f64 v[78:79], v[78:79], v19
	s_or_b64 s[14:15], s[48:49], s[8:9]
	v_cmp_ngt_f64_e64 s[12:13], 0.5, v[78:79]
	v_add_f64 v[78:79], v[14:15], 1.0
	s_or_b64 s[10:11], s[14:15], s[10:11]
	v_max_f64 v[82:83], |v[78:79]|, v[80:81]
	v_cmp_o_f64_e64 s[8:9], v[78:79], v[16:17]
	v_cmp_class_f64_e64 s[50:51], v[78:79], s69
	s_or_b64 s[10:11], s[10:11], s[12:13]
	s_and_saveexec_b64 s[12:13], s[10:11]
	s_xor_b64 s[14:15], exec, s[12:13]
	s_cbranch_execz .LBB210_14
; %bb.13:                               ;   in Loop: Header=BB210_4 Depth=1
	v_frexp_exp_i32_f64_e32 v19, v[82:83]
	v_sub_u32_e32 v84, 0, v19
	v_ldexp_f64 v[14:15], |v[78:79]|, v84
	v_ldexp_f64 v[84:85], |v[16:17]|, v84
	v_mul_f64 v[84:85], v[84:85], v[84:85]
	v_fmac_f64_e32 v[84:85], v[14:15], v[14:15]
	v_rsq_f64_e32 v[14:15], v[84:85]
	v_cmp_eq_f64_e64 s[10:11], 0, v[84:85]
	v_mul_f64 v[86:87], v[84:85], v[14:15]
	v_mul_f64 v[14:15], v[14:15], 0.5
	v_fma_f64 v[88:89], -v[14:15], v[86:87], 0.5
	v_fmac_f64_e32 v[86:87], v[86:87], v[88:89]
	v_fmac_f64_e32 v[14:15], v[14:15], v[88:89]
	v_fma_f64 v[88:89], -v[86:87], v[86:87], v[84:85]
	v_fmac_f64_e32 v[86:87], v[88:89], v[14:15]
	v_cndmask_b32_e64 v15, v87, v85, s[10:11]
	v_cndmask_b32_e64 v14, v86, v84, s[10:11]
	v_ldexp_f64 v[14:15], v[14:15], v19
	v_cndmask_b32_e64 v100, 0, v14, s[8:9]
	v_cndmask_b32_e64 v101, v107, v15, s[8:9]
	s_or_b64 s[10:11], s[48:49], s[50:51]
	v_cndmask_b32_e64 v85, v101, v108, s[10:11]
	v_cndmask_b32_e64 v84, v100, 0, s[10:11]
	v_frexp_mant_f64_e32 v[86:87], v[84:85]
	v_cmp_gt_f64_e64 s[12:13], s[30:31], v[86:87]
	v_cndmask_b32_e64 v19, v109, 2.0, s[12:13]
	v_frexp_exp_i32_f64_e32 v88, v[84:85]
	v_mul_f64 v[86:87], v[86:87], v[18:19]
	v_subbrev_co_u32_e64 v19, s[12:13], 0, v88, s[12:13]
	v_add_f64 v[88:89], v[86:87], 1.0
	v_rcp_f64_e32 v[90:91], v[88:89]
	v_add_f64 v[94:95], v[88:89], -1.0
	v_add_f64 v[92:93], v[86:87], -1.0
	v_add_f64 v[86:87], v[86:87], -v[94:95]
	v_fma_f64 v[94:95], -v[88:89], v[90:91], 1.0
	v_fmac_f64_e32 v[90:91], v[94:95], v[90:91]
	v_fma_f64 v[94:95], -v[88:89], v[90:91], 1.0
	v_fmac_f64_e32 v[90:91], v[94:95], v[90:91]
	v_mul_f64 v[94:95], v[92:93], v[90:91]
	v_mul_f64 v[96:97], v[88:89], v[94:95]
	v_fma_f64 v[88:89], v[94:95], v[88:89], -v[96:97]
	v_fmac_f64_e32 v[88:89], v[94:95], v[86:87]
	v_add_f64 v[86:87], v[96:97], v[88:89]
	v_add_f64 v[98:99], v[92:93], -v[86:87]
	v_add_f64 v[96:97], v[86:87], -v[96:97]
	;; [unrolled: 1-line block ×5, first 2 shown]
	v_add_f64 v[86:87], v[88:89], v[86:87]
	v_add_f64 v[86:87], v[98:99], v[86:87]
	v_mul_f64 v[86:87], v[90:91], v[86:87]
	v_add_f64 v[88:89], v[94:95], v[86:87]
	v_add_f64 v[90:91], v[88:89], -v[94:95]
	v_add_f64 v[86:87], v[86:87], -v[90:91]
	v_mul_f64 v[90:91], v[88:89], v[88:89]
	v_pk_mov_b32 v[92:93], v[24:25], v[24:25] op_sel:[0,1]
	v_fmac_f64_e32 v[92:93], s[34:35], v[90:91]
	v_pk_mov_b32 v[94:95], v[26:27], v[26:27] op_sel:[0,1]
	v_fmac_f64_e32 v[94:95], v[90:91], v[92:93]
	;; [unrolled: 2-line block ×6, first 2 shown]
	v_ldexp_f64 v[92:93], v[88:89], 1
	v_mul_f64 v[88:89], v[88:89], v[90:91]
	v_mul_f64 v[88:89], v[88:89], v[94:95]
	v_add_f64 v[90:91], v[92:93], v[88:89]
	v_add_f64 v[92:93], v[90:91], -v[92:93]
	v_ldexp_f64 v[86:87], v[86:87], 1
	v_add_f64 v[88:89], v[88:89], -v[92:93]
	v_add_f64 v[86:87], v[86:87], v[88:89]
	v_add_f64 v[88:89], v[90:91], v[86:87]
	v_add_f64 v[90:91], v[88:89], -v[90:91]
	v_add_f64 v[86:87], v[86:87], -v[90:91]
	v_cvt_f64_i32_e32 v[90:91], v19
	v_mul_f64 v[92:93], v[90:91], s[36:37]
	v_fma_f64 v[94:95], v[90:91], s[36:37], -v[92:93]
	v_fmac_f64_e32 v[94:95], s[38:39], v[90:91]
	v_add_f64 v[90:91], v[92:93], v[94:95]
	v_add_f64 v[92:93], v[90:91], -v[92:93]
	v_add_f64 v[92:93], v[94:95], -v[92:93]
	v_add_f64 v[94:95], v[90:91], v[88:89]
	v_add_f64 v[96:97], v[94:95], -v[90:91]
	v_add_f64 v[98:99], v[94:95], -v[96:97]
	;; [unrolled: 1-line block ×4, first 2 shown]
	v_add_f64 v[88:89], v[88:89], v[90:91]
	v_add_f64 v[90:91], v[92:93], v[86:87]
	v_add_f64 v[96:97], v[90:91], -v[92:93]
	v_add_f64 v[98:99], v[90:91], -v[96:97]
	v_add_f64 v[88:89], v[90:91], v[88:89]
	v_add_f64 v[92:93], v[92:93], -v[98:99]
	v_add_f64 v[86:87], v[86:87], -v[96:97]
	v_add_f64 v[90:91], v[94:95], v[88:89]
	v_add_f64 v[86:87], v[86:87], v[92:93]
	v_add_f64 v[92:93], v[90:91], -v[94:95]
	v_add_f64 v[88:89], v[88:89], -v[92:93]
	v_and_b32_e32 v15, 0x7fffffff, v15
	v_add_f64 v[86:87], v[86:87], v[88:89]
	v_cmp_eq_f64_e64 s[12:13], s[40:41], v[14:15]
	v_add_f64 v[86:87], v[90:91], v[86:87]
	s_and_b64 s[12:13], s[8:9], s[12:13]
	v_cndmask_b32_e64 v14, v87, v101, s[12:13]
	v_cndmask_b32_e64 v15, v86, v100, s[12:13]
	;; [unrolled: 1-line block ×4, first 2 shown]
	v_cmp_ngt_f64_e64 s[10:11], 0, v[84:85]
	v_cndmask_b32_e64 v19, v107, v14, s[10:11]
	v_cmp_nge_f64_e64 s[10:11], 0, v[84:85]
	v_cndmask_b32_e64 v14, 0, v15, s[10:11]
	v_cmp_neq_f64_e64 s[10:11], 0, v[84:85]
	v_cndmask_b32_e64 v15, v110, v19, s[10:11]
.LBB210_14:                             ;   in Loop: Header=BB210_4 Depth=1
	s_andn2_saveexec_b64 s[12:13], s[14:15]
	s_cbranch_execz .LBB210_18
; %bb.15:                               ;   in Loop: Header=BB210_4 Depth=1
	v_add_f64 v[84:85], v[14:15], 2.0
	v_mul_f64 v[84:85], v[14:15], v[84:85]
	v_fmac_f64_e32 v[84:85], v[16:17], v[16:17]
	v_cmp_neq_f64_e64 s[10:11], 0, v[84:85]
	s_and_saveexec_b64 s[14:15], s[10:11]
	s_cbranch_execz .LBB210_17
; %bb.16:                               ;   in Loop: Header=BB210_4 Depth=1
	v_add_f64 v[14:15], v[84:85], 1.0
	v_add_f64 v[86:87], v[14:15], -1.0
	v_add_f64 v[88:89], v[86:87], -v[14:15]
	v_add_f64 v[88:89], v[88:89], 1.0
	v_add_f64 v[86:87], v[84:85], -v[86:87]
	v_add_f64 v[86:87], v[86:87], v[88:89]
	v_frexp_mant_f64_e32 v[88:89], v[14:15]
	v_frexp_exp_i32_f64_e32 v19, v[14:15]
	v_cmp_gt_f64_e64 s[10:11], s[30:31], v[88:89]
	v_subbrev_co_u32_e64 v19, s[10:11], 0, v19, s[10:11]
	v_sub_u32_e32 v88, 0, v19
	v_ldexp_f64 v[14:15], v[14:15], v88
	v_ldexp_f64 v[86:87], v[86:87], v88
	v_add_f64 v[88:89], v[14:15], -1.0
	v_add_f64 v[94:95], v[14:15], 1.0
	v_add_f64 v[90:91], v[88:89], 1.0
	v_add_f64 v[96:97], v[94:95], -1.0
	v_add_f64 v[90:91], v[14:15], -v[90:91]
	v_add_f64 v[14:15], v[14:15], -v[96:97]
	v_add_f64 v[14:15], v[86:87], v[14:15]
	v_add_f64 v[90:91], v[86:87], v[90:91]
	;; [unrolled: 1-line block ×3, first 2 shown]
	v_rcp_f64_e32 v[96:97], v[86:87]
	v_add_f64 v[92:93], v[88:89], v[90:91]
	v_add_f64 v[88:89], v[92:93], -v[88:89]
	v_add_f64 v[88:89], v[90:91], -v[88:89]
	;; [unrolled: 1-line block ×4, first 2 shown]
	v_fma_f64 v[90:91], -v[86:87], v[96:97], 1.0
	v_fmac_f64_e32 v[96:97], v[90:91], v[96:97]
	v_fma_f64 v[90:91], -v[86:87], v[96:97], 1.0
	v_fmac_f64_e32 v[96:97], v[90:91], v[96:97]
	v_mul_f64 v[90:91], v[92:93], v[96:97]
	v_mul_f64 v[94:95], v[86:87], v[90:91]
	v_fma_f64 v[98:99], v[90:91], v[86:87], -v[94:95]
	v_fmac_f64_e32 v[98:99], v[90:91], v[14:15]
	v_add_f64 v[100:101], v[94:95], v[98:99]
	v_add_f64 v[102:103], v[92:93], -v[100:101]
	v_add_f64 v[92:93], v[92:93], -v[102:103]
	;; [unrolled: 1-line block ×4, first 2 shown]
	v_add_f64 v[88:89], v[88:89], v[92:93]
	v_add_f64 v[92:93], v[94:95], -v[98:99]
	v_add_f64 v[88:89], v[92:93], v[88:89]
	v_add_f64 v[92:93], v[102:103], v[88:89]
	v_add_f64 v[94:95], v[102:103], -v[92:93]
	v_add_f64 v[88:89], v[88:89], v[94:95]
	v_mul_f64 v[94:95], v[96:97], v[92:93]
	v_mul_f64 v[98:99], v[86:87], v[94:95]
	v_fma_f64 v[86:87], v[94:95], v[86:87], -v[98:99]
	v_fmac_f64_e32 v[86:87], v[94:95], v[14:15]
	v_add_f64 v[14:15], v[98:99], v[86:87]
	v_add_f64 v[100:101], v[92:93], -v[14:15]
	v_add_f64 v[92:93], v[92:93], -v[100:101]
	;; [unrolled: 1-line block ×4, first 2 shown]
	v_add_f64 v[14:15], v[88:89], v[14:15]
	v_add_f64 v[86:87], v[98:99], -v[86:87]
	v_add_f64 v[14:15], v[86:87], v[14:15]
	v_add_f64 v[86:87], v[90:91], v[94:95]
	;; [unrolled: 1-line block ×3, first 2 shown]
	v_add_f64 v[88:89], v[86:87], -v[90:91]
	v_mul_f64 v[14:15], v[96:97], v[14:15]
	v_add_f64 v[88:89], v[94:95], -v[88:89]
	v_add_f64 v[14:15], v[88:89], v[14:15]
	v_add_f64 v[88:89], v[86:87], v[14:15]
	v_add_f64 v[86:87], v[88:89], -v[86:87]
	v_add_f64 v[14:15], v[14:15], -v[86:87]
	v_mul_f64 v[86:87], v[88:89], v[88:89]
	v_pk_mov_b32 v[90:91], v[24:25], v[24:25] op_sel:[0,1]
	v_fmac_f64_e32 v[90:91], s[34:35], v[86:87]
	v_pk_mov_b32 v[92:93], v[26:27], v[26:27] op_sel:[0,1]
	v_fmac_f64_e32 v[92:93], v[86:87], v[90:91]
	v_pk_mov_b32 v[90:91], v[28:29], v[28:29] op_sel:[0,1]
	v_fmac_f64_e32 v[90:91], v[86:87], v[92:93]
	v_pk_mov_b32 v[92:93], v[30:31], v[30:31] op_sel:[0,1]
	v_fmac_f64_e32 v[92:93], v[86:87], v[90:91]
	v_pk_mov_b32 v[90:91], v[32:33], v[32:33] op_sel:[0,1]
	v_fmac_f64_e32 v[90:91], v[86:87], v[92:93]
	v_pk_mov_b32 v[92:93], v[34:35], v[34:35] op_sel:[0,1]
	v_fmac_f64_e32 v[92:93], v[86:87], v[90:91]
	v_cvt_f64_i32_e32 v[90:91], v19
	v_mul_f64 v[94:95], v[90:91], s[36:37]
	v_fma_f64 v[96:97], v[90:91], s[36:37], -v[94:95]
	v_fmac_f64_e32 v[96:97], s[38:39], v[90:91]
	v_add_f64 v[90:91], v[94:95], v[96:97]
	v_add_f64 v[94:95], v[90:91], -v[94:95]
	v_mul_f64 v[86:87], v[88:89], v[86:87]
	v_add_f64 v[94:95], v[96:97], -v[94:95]
	v_ldexp_f64 v[96:97], v[88:89], 1
	v_mul_f64 v[86:87], v[86:87], v[92:93]
	v_add_f64 v[88:89], v[96:97], v[86:87]
	v_add_f64 v[92:93], v[88:89], -v[96:97]
	v_ldexp_f64 v[14:15], v[14:15], 1
	v_add_f64 v[86:87], v[86:87], -v[92:93]
	v_add_f64 v[14:15], v[14:15], v[86:87]
	v_add_f64 v[86:87], v[88:89], v[14:15]
	v_add_f64 v[88:89], v[86:87], -v[88:89]
	v_add_f64 v[14:15], v[14:15], -v[88:89]
	v_add_f64 v[88:89], v[90:91], v[86:87]
	v_add_f64 v[92:93], v[88:89], -v[90:91]
	v_add_f64 v[96:97], v[88:89], -v[92:93]
	;; [unrolled: 1-line block ×4, first 2 shown]
	v_add_f64 v[86:87], v[86:87], v[90:91]
	v_add_f64 v[90:91], v[94:95], v[14:15]
	v_add_f64 v[92:93], v[90:91], -v[94:95]
	v_add_f64 v[86:87], v[90:91], v[86:87]
	v_add_f64 v[96:97], v[90:91], -v[92:93]
	;; [unrolled: 2-line block ×3, first 2 shown]
	v_add_f64 v[14:15], v[14:15], -v[92:93]
	v_add_f64 v[88:89], v[90:91], -v[88:89]
	v_add_f64 v[14:15], v[14:15], v[94:95]
	v_add_f64 v[86:87], v[86:87], -v[88:89]
	v_add_f64 v[14:15], v[14:15], v[86:87]
	v_add_f64 v[14:15], v[90:91], v[14:15]
	v_cmp_eq_f64_e64 s[10:11], s[40:41], v[84:85]
	v_cndmask_b32_e64 v15, v15, v85, s[10:11]
	v_cndmask_b32_e64 v14, v14, v84, s[10:11]
	v_mul_f64 v[14:15], v[14:15], 0.5
	v_cmp_ngt_f64_e64 s[10:11], -1.0, v[84:85]
	v_cndmask_b32_e64 v15, v107, v15, s[10:11]
	v_cmp_nge_f64_e64 s[10:11], -1.0, v[84:85]
	v_cndmask_b32_e64 v14, 0, v14, s[10:11]
	v_cmp_neq_f64_e64 s[10:11], -1.0, v[84:85]
	v_cndmask_b32_e64 v15, v110, v15, s[10:11]
.LBB210_17:                             ;   in Loop: Header=BB210_4 Depth=1
	s_or_b64 exec, exec, s[14:15]
.LBB210_18:                             ;   in Loop: Header=BB210_4 Depth=1
	s_or_b64 exec, exec, s[12:13]
	v_max_f64 v[84:85], |v[10:11]|, |v[10:11]|
	v_max_f64 v[86:87], |v[12:13]|, |v[12:13]|
	v_max_f64 v[84:85], v[84:85], v[86:87]
	v_frexp_exp_i32_f64_e32 v19, v[84:85]
	v_sub_u32_e32 v88, 0, v19
	v_ldexp_f64 v[84:85], |v[10:11]|, v88
	v_ldexp_f64 v[88:89], |v[12:13]|, v88
	v_mul_f64 v[88:89], v[88:89], v[88:89]
	v_fmac_f64_e32 v[88:89], v[84:85], v[84:85]
	v_rsq_f64_e32 v[84:85], v[88:89]
	v_cmp_eq_f64_e64 s[10:11], 0, v[88:89]
	v_cmp_class_f64_e64 s[52:53], v[12:13], s69
	v_cmp_u_f64_e64 s[12:13], v[10:11], v[12:13]
	v_mul_f64 v[90:91], v[88:89], v[84:85]
	v_mul_f64 v[84:85], v[84:85], 0.5
	v_fma_f64 v[92:93], -v[84:85], v[90:91], 0.5
	v_fmac_f64_e32 v[90:91], v[90:91], v[92:93]
	v_fmac_f64_e32 v[84:85], v[84:85], v[92:93]
	v_fma_f64 v[92:93], -v[90:91], v[90:91], v[88:89]
	v_fmac_f64_e32 v[90:91], v[92:93], v[84:85]
	v_cndmask_b32_e64 v85, v91, v89, s[10:11]
	v_cndmask_b32_e64 v84, v90, v88, s[10:11]
	v_cmp_class_f64_e64 s[10:11], v[10:11], s69
	v_ldexp_f64 v[84:85], v[84:85], v19
	s_or_b64 s[16:17], s[52:53], s[10:11]
	v_cmp_ngt_f64_e64 s[14:15], 0.5, v[84:85]
	v_add_f64 v[84:85], v[10:11], 1.0
	s_or_b64 s[12:13], s[16:17], s[12:13]
	v_max_f64 v[88:89], |v[84:85]|, v[86:87]
	v_cmp_o_f64_e64 s[10:11], v[84:85], v[12:13]
	v_cmp_class_f64_e64 s[54:55], v[84:85], s69
	s_or_b64 s[12:13], s[12:13], s[14:15]
	s_and_saveexec_b64 s[14:15], s[12:13]
	s_xor_b64 s[16:17], exec, s[14:15]
	s_cbranch_execz .LBB210_20
; %bb.19:                               ;   in Loop: Header=BB210_4 Depth=1
	v_frexp_exp_i32_f64_e32 v19, v[88:89]
	v_sub_u32_e32 v90, 0, v19
	v_ldexp_f64 v[10:11], |v[84:85]|, v90
	v_ldexp_f64 v[90:91], |v[12:13]|, v90
	v_mul_f64 v[90:91], v[90:91], v[90:91]
	v_fmac_f64_e32 v[90:91], v[10:11], v[10:11]
	v_rsq_f64_e32 v[10:11], v[90:91]
	v_cmp_eq_f64_e64 s[12:13], 0, v[90:91]
	v_mul_f64 v[92:93], v[90:91], v[10:11]
	v_mul_f64 v[10:11], v[10:11], 0.5
	v_fma_f64 v[94:95], -v[10:11], v[92:93], 0.5
	v_fmac_f64_e32 v[92:93], v[92:93], v[94:95]
	v_fmac_f64_e32 v[10:11], v[10:11], v[94:95]
	v_fma_f64 v[94:95], -v[92:93], v[92:93], v[90:91]
	v_fmac_f64_e32 v[92:93], v[94:95], v[10:11]
	v_cndmask_b32_e64 v11, v93, v91, s[12:13]
	v_cndmask_b32_e64 v10, v92, v90, s[12:13]
	v_ldexp_f64 v[10:11], v[10:11], v19
	v_cndmask_b32_e64 v115, 0, v10, s[10:11]
	v_cndmask_b32_e64 v118, v107, v11, s[10:11]
	s_or_b64 s[12:13], s[52:53], s[54:55]
	v_cndmask_b32_e64 v91, v118, v108, s[12:13]
	v_cndmask_b32_e64 v90, v115, 0, s[12:13]
	v_frexp_mant_f64_e32 v[92:93], v[90:91]
	v_cmp_gt_f64_e64 s[14:15], s[30:31], v[92:93]
	v_cndmask_b32_e64 v19, v109, 2.0, s[14:15]
	v_frexp_exp_i32_f64_e32 v94, v[90:91]
	v_mul_f64 v[92:93], v[92:93], v[18:19]
	v_subbrev_co_u32_e64 v19, s[14:15], 0, v94, s[14:15]
	v_add_f64 v[94:95], v[92:93], 1.0
	v_rcp_f64_e32 v[96:97], v[94:95]
	v_add_f64 v[100:101], v[94:95], -1.0
	v_add_f64 v[98:99], v[92:93], -1.0
	v_add_f64 v[92:93], v[92:93], -v[100:101]
	v_fma_f64 v[100:101], -v[94:95], v[96:97], 1.0
	v_fmac_f64_e32 v[96:97], v[100:101], v[96:97]
	v_fma_f64 v[100:101], -v[94:95], v[96:97], 1.0
	v_fmac_f64_e32 v[96:97], v[100:101], v[96:97]
	v_mul_f64 v[100:101], v[98:99], v[96:97]
	v_mul_f64 v[102:103], v[94:95], v[100:101]
	v_fma_f64 v[94:95], v[100:101], v[94:95], -v[102:103]
	v_fmac_f64_e32 v[94:95], v[100:101], v[92:93]
	v_add_f64 v[92:93], v[102:103], v[94:95]
	v_add_f64 v[116:117], v[98:99], -v[92:93]
	v_add_f64 v[102:103], v[92:93], -v[102:103]
	;; [unrolled: 1-line block ×5, first 2 shown]
	v_add_f64 v[92:93], v[94:95], v[92:93]
	v_add_f64 v[92:93], v[116:117], v[92:93]
	v_mul_f64 v[92:93], v[96:97], v[92:93]
	v_add_f64 v[94:95], v[100:101], v[92:93]
	v_add_f64 v[96:97], v[94:95], -v[100:101]
	v_add_f64 v[92:93], v[92:93], -v[96:97]
	v_mul_f64 v[96:97], v[94:95], v[94:95]
	v_pk_mov_b32 v[98:99], v[24:25], v[24:25] op_sel:[0,1]
	v_fmac_f64_e32 v[98:99], s[34:35], v[96:97]
	v_pk_mov_b32 v[100:101], v[26:27], v[26:27] op_sel:[0,1]
	v_fmac_f64_e32 v[100:101], v[96:97], v[98:99]
	;; [unrolled: 2-line block ×6, first 2 shown]
	v_ldexp_f64 v[98:99], v[94:95], 1
	v_mul_f64 v[94:95], v[94:95], v[96:97]
	v_mul_f64 v[94:95], v[94:95], v[100:101]
	v_add_f64 v[96:97], v[98:99], v[94:95]
	v_add_f64 v[98:99], v[96:97], -v[98:99]
	v_ldexp_f64 v[92:93], v[92:93], 1
	v_add_f64 v[94:95], v[94:95], -v[98:99]
	v_add_f64 v[92:93], v[92:93], v[94:95]
	v_add_f64 v[94:95], v[96:97], v[92:93]
	v_add_f64 v[96:97], v[94:95], -v[96:97]
	v_add_f64 v[92:93], v[92:93], -v[96:97]
	v_cvt_f64_i32_e32 v[96:97], v19
	v_mul_f64 v[98:99], v[96:97], s[36:37]
	v_fma_f64 v[100:101], v[96:97], s[36:37], -v[98:99]
	v_fmac_f64_e32 v[100:101], s[38:39], v[96:97]
	v_add_f64 v[96:97], v[98:99], v[100:101]
	v_add_f64 v[98:99], v[96:97], -v[98:99]
	v_add_f64 v[98:99], v[100:101], -v[98:99]
	v_add_f64 v[100:101], v[96:97], v[94:95]
	v_add_f64 v[102:103], v[100:101], -v[96:97]
	v_add_f64 v[116:117], v[100:101], -v[102:103]
	v_add_f64 v[96:97], v[96:97], -v[116:117]
	v_add_f64 v[94:95], v[94:95], -v[102:103]
	v_add_f64 v[94:95], v[94:95], v[96:97]
	v_add_f64 v[96:97], v[98:99], v[92:93]
	v_add_f64 v[102:103], v[96:97], -v[98:99]
	v_add_f64 v[116:117], v[96:97], -v[102:103]
	v_add_f64 v[94:95], v[96:97], v[94:95]
	v_add_f64 v[98:99], v[98:99], -v[116:117]
	v_add_f64 v[92:93], v[92:93], -v[102:103]
	v_add_f64 v[96:97], v[100:101], v[94:95]
	v_add_f64 v[92:93], v[92:93], v[98:99]
	v_add_f64 v[98:99], v[96:97], -v[100:101]
	v_add_f64 v[94:95], v[94:95], -v[98:99]
	v_and_b32_e32 v11, 0x7fffffff, v11
	v_add_f64 v[92:93], v[92:93], v[94:95]
	v_cmp_eq_f64_e64 s[14:15], s[40:41], v[10:11]
	v_add_f64 v[92:93], v[96:97], v[92:93]
	s_and_b64 s[14:15], s[10:11], s[14:15]
	v_cndmask_b32_e64 v10, v93, v118, s[14:15]
	v_cndmask_b32_e64 v11, v92, v115, s[14:15]
	;; [unrolled: 1-line block ×4, first 2 shown]
	v_cmp_ngt_f64_e64 s[12:13], 0, v[90:91]
	v_cndmask_b32_e64 v19, v107, v10, s[12:13]
	v_cmp_nge_f64_e64 s[12:13], 0, v[90:91]
	v_cndmask_b32_e64 v10, 0, v11, s[12:13]
	v_cmp_neq_f64_e64 s[12:13], 0, v[90:91]
	v_cndmask_b32_e64 v11, v110, v19, s[12:13]
.LBB210_20:                             ;   in Loop: Header=BB210_4 Depth=1
	s_andn2_saveexec_b64 s[14:15], s[16:17]
	s_cbranch_execz .LBB210_24
; %bb.21:                               ;   in Loop: Header=BB210_4 Depth=1
	v_add_f64 v[90:91], v[10:11], 2.0
	v_mul_f64 v[90:91], v[10:11], v[90:91]
	v_fmac_f64_e32 v[90:91], v[12:13], v[12:13]
	v_cmp_neq_f64_e64 s[12:13], 0, v[90:91]
	s_and_saveexec_b64 s[16:17], s[12:13]
	s_cbranch_execz .LBB210_23
; %bb.22:                               ;   in Loop: Header=BB210_4 Depth=1
	v_add_f64 v[10:11], v[90:91], 1.0
	v_add_f64 v[92:93], v[10:11], -1.0
	v_add_f64 v[94:95], v[92:93], -v[10:11]
	v_add_f64 v[94:95], v[94:95], 1.0
	v_add_f64 v[92:93], v[90:91], -v[92:93]
	v_add_f64 v[92:93], v[92:93], v[94:95]
	v_frexp_mant_f64_e32 v[94:95], v[10:11]
	v_frexp_exp_i32_f64_e32 v19, v[10:11]
	v_cmp_gt_f64_e64 s[12:13], s[30:31], v[94:95]
	v_subbrev_co_u32_e64 v19, s[12:13], 0, v19, s[12:13]
	v_sub_u32_e32 v94, 0, v19
	v_ldexp_f64 v[10:11], v[10:11], v94
	v_ldexp_f64 v[92:93], v[92:93], v94
	v_add_f64 v[94:95], v[10:11], -1.0
	v_add_f64 v[100:101], v[10:11], 1.0
	v_add_f64 v[96:97], v[94:95], 1.0
	v_add_f64 v[102:103], v[100:101], -1.0
	v_add_f64 v[96:97], v[10:11], -v[96:97]
	v_add_f64 v[10:11], v[10:11], -v[102:103]
	v_add_f64 v[10:11], v[92:93], v[10:11]
	v_add_f64 v[96:97], v[92:93], v[96:97]
	;; [unrolled: 1-line block ×3, first 2 shown]
	v_rcp_f64_e32 v[102:103], v[92:93]
	v_add_f64 v[98:99], v[94:95], v[96:97]
	v_add_f64 v[94:95], v[98:99], -v[94:95]
	v_add_f64 v[94:95], v[96:97], -v[94:95]
	;; [unrolled: 1-line block ×4, first 2 shown]
	v_fma_f64 v[96:97], -v[92:93], v[102:103], 1.0
	v_fmac_f64_e32 v[102:103], v[96:97], v[102:103]
	v_fma_f64 v[96:97], -v[92:93], v[102:103], 1.0
	v_fmac_f64_e32 v[102:103], v[96:97], v[102:103]
	v_mul_f64 v[96:97], v[98:99], v[102:103]
	v_mul_f64 v[100:101], v[92:93], v[96:97]
	v_fma_f64 v[116:117], v[96:97], v[92:93], -v[100:101]
	v_fmac_f64_e32 v[116:117], v[96:97], v[10:11]
	v_add_f64 v[118:119], v[100:101], v[116:117]
	v_add_f64 v[120:121], v[98:99], -v[118:119]
	v_add_f64 v[98:99], v[98:99], -v[120:121]
	;; [unrolled: 1-line block ×4, first 2 shown]
	v_add_f64 v[94:95], v[94:95], v[98:99]
	v_add_f64 v[98:99], v[100:101], -v[116:117]
	v_add_f64 v[94:95], v[98:99], v[94:95]
	v_add_f64 v[98:99], v[120:121], v[94:95]
	v_add_f64 v[100:101], v[120:121], -v[98:99]
	v_add_f64 v[94:95], v[94:95], v[100:101]
	v_mul_f64 v[100:101], v[102:103], v[98:99]
	v_mul_f64 v[116:117], v[92:93], v[100:101]
	v_fma_f64 v[92:93], v[100:101], v[92:93], -v[116:117]
	v_fmac_f64_e32 v[92:93], v[100:101], v[10:11]
	v_add_f64 v[10:11], v[116:117], v[92:93]
	v_add_f64 v[118:119], v[98:99], -v[10:11]
	v_add_f64 v[98:99], v[98:99], -v[118:119]
	v_add_f64 v[116:117], v[10:11], -v[116:117]
	v_add_f64 v[10:11], v[98:99], -v[10:11]
	v_add_f64 v[10:11], v[94:95], v[10:11]
	v_add_f64 v[92:93], v[116:117], -v[92:93]
	v_add_f64 v[10:11], v[92:93], v[10:11]
	v_add_f64 v[92:93], v[96:97], v[100:101]
	;; [unrolled: 1-line block ×3, first 2 shown]
	v_add_f64 v[94:95], v[92:93], -v[96:97]
	v_mul_f64 v[10:11], v[102:103], v[10:11]
	v_add_f64 v[94:95], v[100:101], -v[94:95]
	v_add_f64 v[10:11], v[94:95], v[10:11]
	v_add_f64 v[94:95], v[92:93], v[10:11]
	v_add_f64 v[92:93], v[94:95], -v[92:93]
	v_add_f64 v[10:11], v[10:11], -v[92:93]
	v_mul_f64 v[92:93], v[94:95], v[94:95]
	v_pk_mov_b32 v[96:97], v[24:25], v[24:25] op_sel:[0,1]
	v_fmac_f64_e32 v[96:97], s[34:35], v[92:93]
	v_pk_mov_b32 v[98:99], v[26:27], v[26:27] op_sel:[0,1]
	v_fmac_f64_e32 v[98:99], v[92:93], v[96:97]
	;; [unrolled: 2-line block ×6, first 2 shown]
	v_cvt_f64_i32_e32 v[96:97], v19
	v_mul_f64 v[100:101], v[96:97], s[36:37]
	v_fma_f64 v[102:103], v[96:97], s[36:37], -v[100:101]
	v_fmac_f64_e32 v[102:103], s[38:39], v[96:97]
	v_add_f64 v[96:97], v[100:101], v[102:103]
	v_add_f64 v[100:101], v[96:97], -v[100:101]
	v_mul_f64 v[92:93], v[94:95], v[92:93]
	v_add_f64 v[100:101], v[102:103], -v[100:101]
	v_ldexp_f64 v[102:103], v[94:95], 1
	v_mul_f64 v[92:93], v[92:93], v[98:99]
	v_add_f64 v[94:95], v[102:103], v[92:93]
	v_add_f64 v[98:99], v[94:95], -v[102:103]
	v_ldexp_f64 v[10:11], v[10:11], 1
	v_add_f64 v[92:93], v[92:93], -v[98:99]
	v_add_f64 v[10:11], v[10:11], v[92:93]
	v_add_f64 v[92:93], v[94:95], v[10:11]
	v_add_f64 v[94:95], v[92:93], -v[94:95]
	v_add_f64 v[10:11], v[10:11], -v[94:95]
	v_add_f64 v[94:95], v[96:97], v[92:93]
	v_add_f64 v[98:99], v[94:95], -v[96:97]
	v_add_f64 v[102:103], v[94:95], -v[98:99]
	;; [unrolled: 1-line block ×4, first 2 shown]
	v_add_f64 v[92:93], v[92:93], v[96:97]
	v_add_f64 v[96:97], v[100:101], v[10:11]
	v_add_f64 v[98:99], v[96:97], -v[100:101]
	v_add_f64 v[92:93], v[96:97], v[92:93]
	v_add_f64 v[102:103], v[96:97], -v[98:99]
	;; [unrolled: 2-line block ×3, first 2 shown]
	v_add_f64 v[10:11], v[10:11], -v[98:99]
	v_add_f64 v[94:95], v[96:97], -v[94:95]
	v_add_f64 v[10:11], v[10:11], v[100:101]
	v_add_f64 v[92:93], v[92:93], -v[94:95]
	v_add_f64 v[10:11], v[10:11], v[92:93]
	v_add_f64 v[10:11], v[96:97], v[10:11]
	v_cmp_eq_f64_e64 s[12:13], s[40:41], v[90:91]
	v_cndmask_b32_e64 v11, v11, v91, s[12:13]
	v_cndmask_b32_e64 v10, v10, v90, s[12:13]
	v_mul_f64 v[10:11], v[10:11], 0.5
	v_cmp_ngt_f64_e64 s[12:13], -1.0, v[90:91]
	v_cndmask_b32_e64 v11, v107, v11, s[12:13]
	v_cmp_nge_f64_e64 s[12:13], -1.0, v[90:91]
	v_cndmask_b32_e64 v10, 0, v10, s[12:13]
	v_cmp_neq_f64_e64 s[12:13], -1.0, v[90:91]
	v_cndmask_b32_e64 v11, v110, v11, s[12:13]
.LBB210_23:                             ;   in Loop: Header=BB210_4 Depth=1
	s_or_b64 exec, exec, s[16:17]
.LBB210_24:                             ;   in Loop: Header=BB210_4 Depth=1
	s_or_b64 exec, exec, s[14:15]
	v_max_f64 v[90:91], |v[6:7]|, |v[6:7]|
	v_max_f64 v[92:93], |v[8:9]|, |v[8:9]|
	v_max_f64 v[90:91], v[90:91], v[92:93]
	v_frexp_exp_i32_f64_e32 v19, v[90:91]
	v_sub_u32_e32 v94, 0, v19
	v_ldexp_f64 v[90:91], |v[6:7]|, v94
	v_ldexp_f64 v[94:95], |v[8:9]|, v94
	v_mul_f64 v[94:95], v[94:95], v[94:95]
	v_fmac_f64_e32 v[94:95], v[90:91], v[90:91]
	v_rsq_f64_e32 v[90:91], v[94:95]
	v_cmp_eq_f64_e64 s[12:13], 0, v[94:95]
	v_cmp_class_f64_e64 s[56:57], v[8:9], s69
	v_cmp_u_f64_e64 s[14:15], v[6:7], v[8:9]
	v_mul_f64 v[96:97], v[94:95], v[90:91]
	v_mul_f64 v[90:91], v[90:91], 0.5
	v_fma_f64 v[98:99], -v[90:91], v[96:97], 0.5
	v_fmac_f64_e32 v[96:97], v[96:97], v[98:99]
	v_fmac_f64_e32 v[90:91], v[90:91], v[98:99]
	v_fma_f64 v[98:99], -v[96:97], v[96:97], v[94:95]
	v_fmac_f64_e32 v[96:97], v[98:99], v[90:91]
	v_cndmask_b32_e64 v91, v97, v95, s[12:13]
	v_cndmask_b32_e64 v90, v96, v94, s[12:13]
	v_cmp_class_f64_e64 s[12:13], v[6:7], s69
	v_ldexp_f64 v[90:91], v[90:91], v19
	s_or_b64 s[18:19], s[56:57], s[12:13]
	v_cmp_ngt_f64_e64 s[16:17], 0.5, v[90:91]
	v_add_f64 v[90:91], v[6:7], 1.0
	s_or_b64 s[14:15], s[18:19], s[14:15]
	v_max_f64 v[94:95], |v[90:91]|, v[92:93]
	v_cmp_o_f64_e64 s[12:13], v[90:91], v[8:9]
	v_cmp_class_f64_e64 s[58:59], v[90:91], s69
	s_or_b64 s[14:15], s[14:15], s[16:17]
	s_and_saveexec_b64 s[16:17], s[14:15]
	s_xor_b64 s[18:19], exec, s[16:17]
	s_cbranch_execz .LBB210_26
; %bb.25:                               ;   in Loop: Header=BB210_4 Depth=1
	v_frexp_exp_i32_f64_e32 v19, v[94:95]
	v_sub_u32_e32 v96, 0, v19
	v_ldexp_f64 v[6:7], |v[90:91]|, v96
	v_ldexp_f64 v[96:97], |v[8:9]|, v96
	v_mul_f64 v[96:97], v[96:97], v[96:97]
	v_fmac_f64_e32 v[96:97], v[6:7], v[6:7]
	v_rsq_f64_e32 v[6:7], v[96:97]
	v_cmp_eq_f64_e64 s[14:15], 0, v[96:97]
	v_mul_f64 v[98:99], v[96:97], v[6:7]
	v_mul_f64 v[6:7], v[6:7], 0.5
	v_fma_f64 v[100:101], -v[6:7], v[98:99], 0.5
	v_fmac_f64_e32 v[98:99], v[98:99], v[100:101]
	v_fmac_f64_e32 v[6:7], v[6:7], v[100:101]
	v_fma_f64 v[100:101], -v[98:99], v[98:99], v[96:97]
	v_fmac_f64_e32 v[98:99], v[100:101], v[6:7]
	v_cndmask_b32_e64 v7, v99, v97, s[14:15]
	v_cndmask_b32_e64 v6, v98, v96, s[14:15]
	v_ldexp_f64 v[6:7], v[6:7], v19
	v_cndmask_b32_e64 v115, 0, v6, s[12:13]
	v_cndmask_b32_e64 v124, v107, v7, s[12:13]
	s_or_b64 s[14:15], s[56:57], s[58:59]
	v_cndmask_b32_e64 v97, v124, v108, s[14:15]
	v_cndmask_b32_e64 v96, v115, 0, s[14:15]
	v_frexp_mant_f64_e32 v[98:99], v[96:97]
	v_cmp_gt_f64_e64 s[16:17], s[30:31], v[98:99]
	v_cndmask_b32_e64 v19, v109, 2.0, s[16:17]
	v_frexp_exp_i32_f64_e32 v100, v[96:97]
	v_mul_f64 v[98:99], v[98:99], v[18:19]
	v_subbrev_co_u32_e64 v19, s[16:17], 0, v100, s[16:17]
	v_add_f64 v[100:101], v[98:99], 1.0
	v_rcp_f64_e32 v[102:103], v[100:101]
	v_add_f64 v[118:119], v[100:101], -1.0
	v_add_f64 v[116:117], v[98:99], -1.0
	v_add_f64 v[98:99], v[98:99], -v[118:119]
	v_fma_f64 v[118:119], -v[100:101], v[102:103], 1.0
	v_fmac_f64_e32 v[102:103], v[118:119], v[102:103]
	v_fma_f64 v[118:119], -v[100:101], v[102:103], 1.0
	v_fmac_f64_e32 v[102:103], v[118:119], v[102:103]
	v_mul_f64 v[118:119], v[116:117], v[102:103]
	v_mul_f64 v[120:121], v[100:101], v[118:119]
	v_fma_f64 v[100:101], v[118:119], v[100:101], -v[120:121]
	v_fmac_f64_e32 v[100:101], v[118:119], v[98:99]
	v_add_f64 v[98:99], v[120:121], v[100:101]
	v_add_f64 v[122:123], v[116:117], -v[98:99]
	v_add_f64 v[120:121], v[98:99], -v[120:121]
	;; [unrolled: 1-line block ×5, first 2 shown]
	v_add_f64 v[98:99], v[100:101], v[98:99]
	v_add_f64 v[98:99], v[122:123], v[98:99]
	v_mul_f64 v[98:99], v[102:103], v[98:99]
	v_add_f64 v[100:101], v[118:119], v[98:99]
	v_add_f64 v[102:103], v[100:101], -v[118:119]
	v_add_f64 v[98:99], v[98:99], -v[102:103]
	v_mul_f64 v[102:103], v[100:101], v[100:101]
	v_pk_mov_b32 v[116:117], v[24:25], v[24:25] op_sel:[0,1]
	v_fmac_f64_e32 v[116:117], s[34:35], v[102:103]
	v_pk_mov_b32 v[118:119], v[26:27], v[26:27] op_sel:[0,1]
	v_fmac_f64_e32 v[118:119], v[102:103], v[116:117]
	;; [unrolled: 2-line block ×6, first 2 shown]
	v_ldexp_f64 v[116:117], v[100:101], 1
	v_mul_f64 v[100:101], v[100:101], v[102:103]
	v_mul_f64 v[100:101], v[100:101], v[118:119]
	v_add_f64 v[102:103], v[116:117], v[100:101]
	v_add_f64 v[116:117], v[102:103], -v[116:117]
	v_ldexp_f64 v[98:99], v[98:99], 1
	v_add_f64 v[100:101], v[100:101], -v[116:117]
	v_add_f64 v[98:99], v[98:99], v[100:101]
	v_add_f64 v[100:101], v[102:103], v[98:99]
	v_add_f64 v[102:103], v[100:101], -v[102:103]
	v_add_f64 v[98:99], v[98:99], -v[102:103]
	v_cvt_f64_i32_e32 v[102:103], v19
	v_mul_f64 v[116:117], v[102:103], s[36:37]
	v_fma_f64 v[118:119], v[102:103], s[36:37], -v[116:117]
	v_fmac_f64_e32 v[118:119], s[38:39], v[102:103]
	v_add_f64 v[102:103], v[116:117], v[118:119]
	v_add_f64 v[116:117], v[102:103], -v[116:117]
	v_add_f64 v[116:117], v[118:119], -v[116:117]
	v_add_f64 v[118:119], v[102:103], v[100:101]
	v_add_f64 v[120:121], v[118:119], -v[102:103]
	v_add_f64 v[122:123], v[118:119], -v[120:121]
	v_add_f64 v[102:103], v[102:103], -v[122:123]
	v_add_f64 v[100:101], v[100:101], -v[120:121]
	v_add_f64 v[100:101], v[100:101], v[102:103]
	v_add_f64 v[102:103], v[116:117], v[98:99]
	v_add_f64 v[120:121], v[102:103], -v[116:117]
	v_add_f64 v[122:123], v[102:103], -v[120:121]
	v_add_f64 v[100:101], v[102:103], v[100:101]
	v_add_f64 v[116:117], v[116:117], -v[122:123]
	v_add_f64 v[98:99], v[98:99], -v[120:121]
	v_add_f64 v[102:103], v[118:119], v[100:101]
	v_add_f64 v[98:99], v[98:99], v[116:117]
	v_add_f64 v[116:117], v[102:103], -v[118:119]
	v_add_f64 v[100:101], v[100:101], -v[116:117]
	v_and_b32_e32 v7, 0x7fffffff, v7
	v_add_f64 v[98:99], v[98:99], v[100:101]
	v_cmp_eq_f64_e64 s[16:17], s[40:41], v[6:7]
	v_add_f64 v[98:99], v[102:103], v[98:99]
	s_and_b64 s[16:17], s[12:13], s[16:17]
	v_cndmask_b32_e64 v6, v99, v124, s[16:17]
	v_cndmask_b32_e64 v7, v98, v115, s[16:17]
	;; [unrolled: 1-line block ×4, first 2 shown]
	v_cmp_ngt_f64_e64 s[14:15], 0, v[96:97]
	v_cndmask_b32_e64 v19, v107, v6, s[14:15]
	v_cmp_nge_f64_e64 s[14:15], 0, v[96:97]
	v_cndmask_b32_e64 v6, 0, v7, s[14:15]
	v_cmp_neq_f64_e64 s[14:15], 0, v[96:97]
	v_cndmask_b32_e64 v7, v110, v19, s[14:15]
.LBB210_26:                             ;   in Loop: Header=BB210_4 Depth=1
	s_andn2_saveexec_b64 s[16:17], s[18:19]
	s_cbranch_execz .LBB210_30
; %bb.27:                               ;   in Loop: Header=BB210_4 Depth=1
	v_add_f64 v[96:97], v[6:7], 2.0
	v_mul_f64 v[96:97], v[6:7], v[96:97]
	v_fmac_f64_e32 v[96:97], v[8:9], v[8:9]
	v_cmp_neq_f64_e64 s[14:15], 0, v[96:97]
	s_and_saveexec_b64 s[18:19], s[14:15]
	s_cbranch_execz .LBB210_29
; %bb.28:                               ;   in Loop: Header=BB210_4 Depth=1
	v_add_f64 v[6:7], v[96:97], 1.0
	v_add_f64 v[98:99], v[6:7], -1.0
	v_add_f64 v[100:101], v[98:99], -v[6:7]
	v_add_f64 v[100:101], v[100:101], 1.0
	v_add_f64 v[98:99], v[96:97], -v[98:99]
	v_add_f64 v[98:99], v[98:99], v[100:101]
	v_frexp_mant_f64_e32 v[100:101], v[6:7]
	v_frexp_exp_i32_f64_e32 v19, v[6:7]
	v_cmp_gt_f64_e64 s[14:15], s[30:31], v[100:101]
	v_subbrev_co_u32_e64 v19, s[14:15], 0, v19, s[14:15]
	v_sub_u32_e32 v100, 0, v19
	v_ldexp_f64 v[6:7], v[6:7], v100
	v_ldexp_f64 v[98:99], v[98:99], v100
	v_add_f64 v[100:101], v[6:7], -1.0
	v_add_f64 v[118:119], v[6:7], 1.0
	v_add_f64 v[102:103], v[100:101], 1.0
	v_add_f64 v[120:121], v[118:119], -1.0
	v_add_f64 v[102:103], v[6:7], -v[102:103]
	v_add_f64 v[6:7], v[6:7], -v[120:121]
	v_add_f64 v[6:7], v[98:99], v[6:7]
	v_add_f64 v[102:103], v[98:99], v[102:103]
	;; [unrolled: 1-line block ×3, first 2 shown]
	v_rcp_f64_e32 v[120:121], v[98:99]
	v_add_f64 v[116:117], v[100:101], v[102:103]
	v_add_f64 v[100:101], v[116:117], -v[100:101]
	v_add_f64 v[100:101], v[102:103], -v[100:101]
	;; [unrolled: 1-line block ×4, first 2 shown]
	v_fma_f64 v[102:103], -v[98:99], v[120:121], 1.0
	v_fmac_f64_e32 v[120:121], v[102:103], v[120:121]
	v_fma_f64 v[102:103], -v[98:99], v[120:121], 1.0
	v_fmac_f64_e32 v[120:121], v[102:103], v[120:121]
	v_mul_f64 v[102:103], v[116:117], v[120:121]
	v_mul_f64 v[118:119], v[98:99], v[102:103]
	v_fma_f64 v[122:123], v[102:103], v[98:99], -v[118:119]
	v_fmac_f64_e32 v[122:123], v[102:103], v[6:7]
	v_add_f64 v[124:125], v[118:119], v[122:123]
	v_add_f64 v[126:127], v[116:117], -v[124:125]
	v_add_f64 v[116:117], v[116:117], -v[126:127]
	;; [unrolled: 1-line block ×4, first 2 shown]
	v_add_f64 v[100:101], v[100:101], v[116:117]
	v_add_f64 v[116:117], v[118:119], -v[122:123]
	v_add_f64 v[100:101], v[116:117], v[100:101]
	v_add_f64 v[116:117], v[126:127], v[100:101]
	v_add_f64 v[118:119], v[126:127], -v[116:117]
	v_add_f64 v[100:101], v[100:101], v[118:119]
	v_mul_f64 v[118:119], v[120:121], v[116:117]
	v_mul_f64 v[122:123], v[98:99], v[118:119]
	v_fma_f64 v[98:99], v[118:119], v[98:99], -v[122:123]
	v_fmac_f64_e32 v[98:99], v[118:119], v[6:7]
	v_add_f64 v[6:7], v[122:123], v[98:99]
	v_add_f64 v[124:125], v[116:117], -v[6:7]
	v_add_f64 v[116:117], v[116:117], -v[124:125]
	;; [unrolled: 1-line block ×4, first 2 shown]
	v_add_f64 v[6:7], v[100:101], v[6:7]
	v_add_f64 v[98:99], v[122:123], -v[98:99]
	v_add_f64 v[6:7], v[98:99], v[6:7]
	v_add_f64 v[98:99], v[102:103], v[118:119]
	;; [unrolled: 1-line block ×3, first 2 shown]
	v_add_f64 v[100:101], v[98:99], -v[102:103]
	v_mul_f64 v[6:7], v[120:121], v[6:7]
	v_add_f64 v[100:101], v[118:119], -v[100:101]
	v_add_f64 v[6:7], v[100:101], v[6:7]
	v_add_f64 v[100:101], v[98:99], v[6:7]
	v_add_f64 v[98:99], v[100:101], -v[98:99]
	v_add_f64 v[6:7], v[6:7], -v[98:99]
	v_mul_f64 v[98:99], v[100:101], v[100:101]
	v_pk_mov_b32 v[102:103], v[24:25], v[24:25] op_sel:[0,1]
	v_fmac_f64_e32 v[102:103], s[34:35], v[98:99]
	v_pk_mov_b32 v[116:117], v[26:27], v[26:27] op_sel:[0,1]
	v_fmac_f64_e32 v[116:117], v[98:99], v[102:103]
	;; [unrolled: 2-line block ×6, first 2 shown]
	v_cvt_f64_i32_e32 v[102:103], v19
	v_mul_f64 v[118:119], v[102:103], s[36:37]
	v_fma_f64 v[120:121], v[102:103], s[36:37], -v[118:119]
	v_fmac_f64_e32 v[120:121], s[38:39], v[102:103]
	v_add_f64 v[102:103], v[118:119], v[120:121]
	v_add_f64 v[118:119], v[102:103], -v[118:119]
	v_mul_f64 v[98:99], v[100:101], v[98:99]
	v_add_f64 v[118:119], v[120:121], -v[118:119]
	v_ldexp_f64 v[120:121], v[100:101], 1
	v_mul_f64 v[98:99], v[98:99], v[116:117]
	v_add_f64 v[100:101], v[120:121], v[98:99]
	v_add_f64 v[116:117], v[100:101], -v[120:121]
	v_ldexp_f64 v[6:7], v[6:7], 1
	v_add_f64 v[98:99], v[98:99], -v[116:117]
	v_add_f64 v[6:7], v[6:7], v[98:99]
	v_add_f64 v[98:99], v[100:101], v[6:7]
	v_add_f64 v[100:101], v[98:99], -v[100:101]
	v_add_f64 v[6:7], v[6:7], -v[100:101]
	v_add_f64 v[100:101], v[102:103], v[98:99]
	v_add_f64 v[116:117], v[100:101], -v[102:103]
	v_add_f64 v[120:121], v[100:101], -v[116:117]
	;; [unrolled: 1-line block ×4, first 2 shown]
	v_add_f64 v[98:99], v[98:99], v[102:103]
	v_add_f64 v[102:103], v[118:119], v[6:7]
	v_add_f64 v[116:117], v[102:103], -v[118:119]
	v_add_f64 v[98:99], v[102:103], v[98:99]
	v_add_f64 v[120:121], v[102:103], -v[116:117]
	;; [unrolled: 2-line block ×3, first 2 shown]
	v_add_f64 v[6:7], v[6:7], -v[116:117]
	v_add_f64 v[100:101], v[102:103], -v[100:101]
	v_add_f64 v[6:7], v[6:7], v[118:119]
	v_add_f64 v[98:99], v[98:99], -v[100:101]
	v_add_f64 v[6:7], v[6:7], v[98:99]
	v_add_f64 v[6:7], v[102:103], v[6:7]
	v_cmp_eq_f64_e64 s[14:15], s[40:41], v[96:97]
	v_cndmask_b32_e64 v7, v7, v97, s[14:15]
	v_cndmask_b32_e64 v6, v6, v96, s[14:15]
	v_mul_f64 v[6:7], v[6:7], 0.5
	v_cmp_ngt_f64_e64 s[14:15], -1.0, v[96:97]
	v_cndmask_b32_e64 v7, v107, v7, s[14:15]
	v_cmp_nge_f64_e64 s[14:15], -1.0, v[96:97]
	v_cndmask_b32_e64 v6, 0, v6, s[14:15]
	v_cmp_neq_f64_e64 s[14:15], -1.0, v[96:97]
	v_cndmask_b32_e64 v7, v110, v7, s[14:15]
.LBB210_29:                             ;   in Loop: Header=BB210_4 Depth=1
	s_or_b64 exec, exec, s[18:19]
.LBB210_30:                             ;   in Loop: Header=BB210_4 Depth=1
	s_or_b64 exec, exec, s[16:17]
	v_max_f64 v[96:97], |v[2:3]|, |v[2:3]|
	v_max_f64 v[98:99], |v[4:5]|, |v[4:5]|
	v_max_f64 v[96:97], v[96:97], v[98:99]
	v_frexp_exp_i32_f64_e32 v19, v[96:97]
	v_sub_u32_e32 v100, 0, v19
	v_ldexp_f64 v[96:97], |v[2:3]|, v100
	v_ldexp_f64 v[100:101], |v[4:5]|, v100
	v_mul_f64 v[100:101], v[100:101], v[100:101]
	v_fmac_f64_e32 v[100:101], v[96:97], v[96:97]
	v_rsq_f64_e32 v[96:97], v[100:101]
	v_cmp_eq_f64_e64 s[14:15], 0, v[100:101]
	v_cmp_class_f64_e64 s[60:61], v[4:5], s69
	v_cmp_u_f64_e64 s[16:17], v[2:3], v[4:5]
	v_mul_f64 v[102:103], v[100:101], v[96:97]
	v_mul_f64 v[96:97], v[96:97], 0.5
	v_fma_f64 v[116:117], -v[96:97], v[102:103], 0.5
	v_fmac_f64_e32 v[102:103], v[102:103], v[116:117]
	v_fmac_f64_e32 v[96:97], v[96:97], v[116:117]
	v_fma_f64 v[116:117], -v[102:103], v[102:103], v[100:101]
	v_fmac_f64_e32 v[102:103], v[116:117], v[96:97]
	v_cndmask_b32_e64 v97, v103, v101, s[14:15]
	v_cndmask_b32_e64 v96, v102, v100, s[14:15]
	v_cmp_class_f64_e64 s[14:15], v[2:3], s69
	v_ldexp_f64 v[96:97], v[96:97], v19
	s_or_b64 s[64:65], s[60:61], s[14:15]
	v_cmp_ngt_f64_e64 s[18:19], 0.5, v[96:97]
	v_add_f64 v[96:97], v[2:3], 1.0
	s_or_b64 s[16:17], s[64:65], s[16:17]
	v_max_f64 v[100:101], |v[96:97]|, v[98:99]
	v_cmp_o_f64_e64 s[14:15], v[96:97], v[4:5]
	v_cmp_class_f64_e64 s[62:63], v[96:97], s69
	s_or_b64 s[16:17], s[16:17], s[18:19]
	s_and_saveexec_b64 s[18:19], s[16:17]
	s_xor_b64 s[64:65], exec, s[18:19]
	s_cbranch_execnz .LBB210_36
; %bb.31:                               ;   in Loop: Header=BB210_4 Depth=1
	s_andn2_saveexec_b64 s[18:19], s[64:65]
	s_cbranch_execnz .LBB210_37
.LBB210_32:                             ;   in Loop: Header=BB210_4 Depth=1
	s_or_b64 exec, exec, s[18:19]
	s_and_saveexec_b64 s[16:17], vcc
	s_xor_b64 s[18:19], exec, s[16:17]
	s_cbranch_execnz .LBB210_40
.LBB210_33:                             ;   in Loop: Header=BB210_4 Depth=1
	s_or_b64 exec, exec, s[18:19]
	s_and_saveexec_b64 s[8:9], s[6:7]
	s_cbranch_execnz .LBB210_41
.LBB210_34:                             ;   in Loop: Header=BB210_4 Depth=1
	s_or_b64 exec, exec, s[8:9]
	s_and_saveexec_b64 s[6:7], s[2:3]
	s_cbranch_execnz .LBB210_42
.LBB210_35:                             ;   in Loop: Header=BB210_4 Depth=1
	s_or_b64 exec, exec, s[6:7]
	s_and_saveexec_b64 s[2:3], s[0:1]
	s_cbranch_execz .LBB210_3
	s_branch .LBB210_43
.LBB210_36:                             ;   in Loop: Header=BB210_4 Depth=1
	v_frexp_exp_i32_f64_e32 v19, v[100:101]
	v_sub_u32_e32 v102, 0, v19
	v_ldexp_f64 v[2:3], |v[96:97]|, v102
	v_ldexp_f64 v[102:103], |v[4:5]|, v102
	v_mul_f64 v[102:103], v[102:103], v[102:103]
	v_fmac_f64_e32 v[102:103], v[2:3], v[2:3]
	v_rsq_f64_e32 v[2:3], v[102:103]
	v_cmp_eq_f64_e64 s[16:17], 0, v[102:103]
	v_mul_f64 v[116:117], v[102:103], v[2:3]
	v_mul_f64 v[2:3], v[2:3], 0.5
	v_fma_f64 v[118:119], -v[2:3], v[116:117], 0.5
	v_fmac_f64_e32 v[116:117], v[116:117], v[118:119]
	v_fmac_f64_e32 v[2:3], v[2:3], v[118:119]
	v_fma_f64 v[118:119], -v[116:117], v[116:117], v[102:103]
	v_fmac_f64_e32 v[116:117], v[118:119], v[2:3]
	v_cndmask_b32_e64 v3, v117, v103, s[16:17]
	v_cndmask_b32_e64 v2, v116, v102, s[16:17]
	v_ldexp_f64 v[2:3], v[2:3], v19
	v_cndmask_b32_e64 v115, 0, v2, s[14:15]
	v_cndmask_b32_e64 v130, v107, v3, s[14:15]
	s_or_b64 s[16:17], s[60:61], s[62:63]
	v_cndmask_b32_e64 v103, v130, v108, s[16:17]
	v_cndmask_b32_e64 v102, v115, 0, s[16:17]
	v_frexp_mant_f64_e32 v[116:117], v[102:103]
	v_cmp_gt_f64_e64 s[18:19], s[30:31], v[116:117]
	v_cndmask_b32_e64 v19, v109, 2.0, s[18:19]
	v_frexp_exp_i32_f64_e32 v118, v[102:103]
	v_mul_f64 v[116:117], v[116:117], v[18:19]
	v_subbrev_co_u32_e64 v19, s[18:19], 0, v118, s[18:19]
	v_add_f64 v[118:119], v[116:117], 1.0
	v_rcp_f64_e32 v[120:121], v[118:119]
	v_add_f64 v[124:125], v[118:119], -1.0
	v_add_f64 v[122:123], v[116:117], -1.0
	v_add_f64 v[116:117], v[116:117], -v[124:125]
	v_fma_f64 v[124:125], -v[118:119], v[120:121], 1.0
	v_fmac_f64_e32 v[120:121], v[124:125], v[120:121]
	v_fma_f64 v[124:125], -v[118:119], v[120:121], 1.0
	v_fmac_f64_e32 v[120:121], v[124:125], v[120:121]
	v_mul_f64 v[124:125], v[122:123], v[120:121]
	v_mul_f64 v[126:127], v[118:119], v[124:125]
	v_fma_f64 v[118:119], v[124:125], v[118:119], -v[126:127]
	v_fmac_f64_e32 v[118:119], v[124:125], v[116:117]
	v_add_f64 v[116:117], v[126:127], v[118:119]
	v_add_f64 v[128:129], v[122:123], -v[116:117]
	v_add_f64 v[126:127], v[116:117], -v[126:127]
	;; [unrolled: 1-line block ×5, first 2 shown]
	v_add_f64 v[116:117], v[118:119], v[116:117]
	v_add_f64 v[116:117], v[128:129], v[116:117]
	v_mul_f64 v[116:117], v[120:121], v[116:117]
	v_add_f64 v[118:119], v[124:125], v[116:117]
	v_add_f64 v[120:121], v[118:119], -v[124:125]
	v_add_f64 v[116:117], v[116:117], -v[120:121]
	v_mul_f64 v[120:121], v[118:119], v[118:119]
	v_pk_mov_b32 v[122:123], v[24:25], v[24:25] op_sel:[0,1]
	v_fmac_f64_e32 v[122:123], s[34:35], v[120:121]
	v_pk_mov_b32 v[124:125], v[26:27], v[26:27] op_sel:[0,1]
	v_fmac_f64_e32 v[124:125], v[120:121], v[122:123]
	;; [unrolled: 2-line block ×6, first 2 shown]
	v_ldexp_f64 v[122:123], v[118:119], 1
	v_mul_f64 v[118:119], v[118:119], v[120:121]
	v_mul_f64 v[118:119], v[118:119], v[124:125]
	v_add_f64 v[120:121], v[122:123], v[118:119]
	v_add_f64 v[122:123], v[120:121], -v[122:123]
	v_ldexp_f64 v[116:117], v[116:117], 1
	v_add_f64 v[118:119], v[118:119], -v[122:123]
	v_add_f64 v[116:117], v[116:117], v[118:119]
	v_add_f64 v[118:119], v[120:121], v[116:117]
	v_add_f64 v[120:121], v[118:119], -v[120:121]
	v_add_f64 v[116:117], v[116:117], -v[120:121]
	v_cvt_f64_i32_e32 v[120:121], v19
	v_mul_f64 v[122:123], v[120:121], s[36:37]
	v_fma_f64 v[124:125], v[120:121], s[36:37], -v[122:123]
	v_fmac_f64_e32 v[124:125], s[38:39], v[120:121]
	v_add_f64 v[120:121], v[122:123], v[124:125]
	v_add_f64 v[122:123], v[120:121], -v[122:123]
	v_add_f64 v[122:123], v[124:125], -v[122:123]
	v_add_f64 v[124:125], v[120:121], v[118:119]
	v_add_f64 v[126:127], v[124:125], -v[120:121]
	v_add_f64 v[128:129], v[124:125], -v[126:127]
	;; [unrolled: 1-line block ×4, first 2 shown]
	v_add_f64 v[118:119], v[118:119], v[120:121]
	v_add_f64 v[120:121], v[122:123], v[116:117]
	v_add_f64 v[126:127], v[120:121], -v[122:123]
	v_add_f64 v[128:129], v[120:121], -v[126:127]
	v_add_f64 v[118:119], v[120:121], v[118:119]
	v_add_f64 v[122:123], v[122:123], -v[128:129]
	v_add_f64 v[116:117], v[116:117], -v[126:127]
	v_add_f64 v[120:121], v[124:125], v[118:119]
	v_add_f64 v[116:117], v[116:117], v[122:123]
	v_add_f64 v[122:123], v[120:121], -v[124:125]
	v_add_f64 v[118:119], v[118:119], -v[122:123]
	v_and_b32_e32 v3, 0x7fffffff, v3
	v_add_f64 v[116:117], v[116:117], v[118:119]
	v_cmp_eq_f64_e64 s[18:19], s[40:41], v[2:3]
	v_add_f64 v[116:117], v[120:121], v[116:117]
	s_and_b64 s[18:19], s[14:15], s[18:19]
	v_cndmask_b32_e64 v2, v117, v130, s[18:19]
	v_cndmask_b32_e64 v3, v116, v115, s[18:19]
	;; [unrolled: 1-line block ×4, first 2 shown]
	v_cmp_ngt_f64_e64 s[16:17], 0, v[102:103]
	v_cndmask_b32_e64 v19, v107, v2, s[16:17]
	v_cmp_nge_f64_e64 s[16:17], 0, v[102:103]
	v_cndmask_b32_e64 v2, 0, v3, s[16:17]
	v_cmp_neq_f64_e64 s[16:17], 0, v[102:103]
	v_cndmask_b32_e64 v3, v110, v19, s[16:17]
	s_andn2_saveexec_b64 s[18:19], s[64:65]
	s_cbranch_execz .LBB210_32
.LBB210_37:                             ;   in Loop: Header=BB210_4 Depth=1
	v_add_f64 v[102:103], v[2:3], 2.0
	v_mul_f64 v[102:103], v[2:3], v[102:103]
	v_fmac_f64_e32 v[102:103], v[4:5], v[4:5]
	v_cmp_neq_f64_e64 s[16:17], 0, v[102:103]
	s_and_saveexec_b64 s[64:65], s[16:17]
	s_cbranch_execz .LBB210_39
; %bb.38:                               ;   in Loop: Header=BB210_4 Depth=1
	v_add_f64 v[2:3], v[102:103], 1.0
	v_add_f64 v[116:117], v[2:3], -1.0
	v_add_f64 v[118:119], v[116:117], -v[2:3]
	v_add_f64 v[118:119], v[118:119], 1.0
	v_add_f64 v[116:117], v[102:103], -v[116:117]
	v_add_f64 v[116:117], v[116:117], v[118:119]
	v_frexp_mant_f64_e32 v[118:119], v[2:3]
	v_frexp_exp_i32_f64_e32 v19, v[2:3]
	v_cmp_gt_f64_e64 s[16:17], s[30:31], v[118:119]
	v_subbrev_co_u32_e64 v19, s[16:17], 0, v19, s[16:17]
	v_sub_u32_e32 v115, 0, v19
	v_ldexp_f64 v[2:3], v[2:3], v115
	v_add_f64 v[118:119], v[2:3], -1.0
	v_add_f64 v[124:125], v[2:3], 1.0
	v_add_f64 v[120:121], v[118:119], 1.0
	v_add_f64 v[126:127], v[124:125], -1.0
	v_ldexp_f64 v[116:117], v[116:117], v115
	v_add_f64 v[120:121], v[2:3], -v[120:121]
	v_add_f64 v[2:3], v[2:3], -v[126:127]
	v_add_f64 v[2:3], v[116:117], v[2:3]
	v_add_f64 v[120:121], v[116:117], v[120:121]
	;; [unrolled: 1-line block ×3, first 2 shown]
	v_rcp_f64_e32 v[126:127], v[116:117]
	v_add_f64 v[122:123], v[118:119], v[120:121]
	v_add_f64 v[118:119], v[122:123], -v[118:119]
	v_add_f64 v[118:119], v[120:121], -v[118:119]
	;; [unrolled: 1-line block ×4, first 2 shown]
	v_fma_f64 v[120:121], -v[116:117], v[126:127], 1.0
	v_fmac_f64_e32 v[126:127], v[120:121], v[126:127]
	v_fma_f64 v[120:121], -v[116:117], v[126:127], 1.0
	v_fmac_f64_e32 v[126:127], v[120:121], v[126:127]
	v_mul_f64 v[120:121], v[122:123], v[126:127]
	v_mul_f64 v[124:125], v[116:117], v[120:121]
	v_fma_f64 v[128:129], v[120:121], v[116:117], -v[124:125]
	v_fmac_f64_e32 v[128:129], v[120:121], v[2:3]
	v_add_f64 v[130:131], v[124:125], v[128:129]
	v_add_f64 v[132:133], v[122:123], -v[130:131]
	v_add_f64 v[122:123], v[122:123], -v[132:133]
	;; [unrolled: 1-line block ×4, first 2 shown]
	v_add_f64 v[118:119], v[118:119], v[122:123]
	v_add_f64 v[122:123], v[124:125], -v[128:129]
	v_add_f64 v[118:119], v[122:123], v[118:119]
	v_add_f64 v[122:123], v[132:133], v[118:119]
	v_add_f64 v[124:125], v[132:133], -v[122:123]
	v_add_f64 v[118:119], v[118:119], v[124:125]
	v_mul_f64 v[124:125], v[126:127], v[122:123]
	v_mul_f64 v[128:129], v[116:117], v[124:125]
	v_fma_f64 v[116:117], v[124:125], v[116:117], -v[128:129]
	v_fmac_f64_e32 v[116:117], v[124:125], v[2:3]
	v_add_f64 v[2:3], v[128:129], v[116:117]
	v_add_f64 v[130:131], v[122:123], -v[2:3]
	v_add_f64 v[122:123], v[122:123], -v[130:131]
	v_add_f64 v[128:129], v[2:3], -v[128:129]
	v_add_f64 v[2:3], v[122:123], -v[2:3]
	v_add_f64 v[2:3], v[118:119], v[2:3]
	v_add_f64 v[116:117], v[128:129], -v[116:117]
	v_add_f64 v[2:3], v[116:117], v[2:3]
	v_add_f64 v[116:117], v[120:121], v[124:125]
	;; [unrolled: 1-line block ×3, first 2 shown]
	v_add_f64 v[118:119], v[116:117], -v[120:121]
	v_mul_f64 v[2:3], v[126:127], v[2:3]
	v_add_f64 v[118:119], v[124:125], -v[118:119]
	v_add_f64 v[2:3], v[118:119], v[2:3]
	v_add_f64 v[118:119], v[116:117], v[2:3]
	v_add_f64 v[116:117], v[118:119], -v[116:117]
	v_add_f64 v[2:3], v[2:3], -v[116:117]
	v_mul_f64 v[116:117], v[118:119], v[118:119]
	v_pk_mov_b32 v[120:121], v[24:25], v[24:25] op_sel:[0,1]
	v_fmac_f64_e32 v[120:121], s[34:35], v[116:117]
	v_pk_mov_b32 v[122:123], v[26:27], v[26:27] op_sel:[0,1]
	v_fmac_f64_e32 v[122:123], v[116:117], v[120:121]
	;; [unrolled: 2-line block ×6, first 2 shown]
	v_cvt_f64_i32_e32 v[120:121], v19
	v_mul_f64 v[124:125], v[120:121], s[36:37]
	v_fma_f64 v[126:127], v[120:121], s[36:37], -v[124:125]
	v_fmac_f64_e32 v[126:127], s[38:39], v[120:121]
	v_add_f64 v[120:121], v[124:125], v[126:127]
	v_add_f64 v[124:125], v[120:121], -v[124:125]
	v_mul_f64 v[116:117], v[118:119], v[116:117]
	v_add_f64 v[124:125], v[126:127], -v[124:125]
	v_ldexp_f64 v[126:127], v[118:119], 1
	v_mul_f64 v[116:117], v[116:117], v[122:123]
	v_add_f64 v[118:119], v[126:127], v[116:117]
	v_add_f64 v[122:123], v[118:119], -v[126:127]
	v_ldexp_f64 v[2:3], v[2:3], 1
	v_add_f64 v[116:117], v[116:117], -v[122:123]
	v_add_f64 v[2:3], v[2:3], v[116:117]
	v_add_f64 v[116:117], v[118:119], v[2:3]
	v_add_f64 v[118:119], v[116:117], -v[118:119]
	v_add_f64 v[2:3], v[2:3], -v[118:119]
	v_add_f64 v[118:119], v[120:121], v[116:117]
	v_add_f64 v[122:123], v[118:119], -v[120:121]
	v_add_f64 v[126:127], v[118:119], -v[122:123]
	;; [unrolled: 1-line block ×4, first 2 shown]
	v_add_f64 v[116:117], v[116:117], v[120:121]
	v_add_f64 v[120:121], v[124:125], v[2:3]
	v_add_f64 v[122:123], v[120:121], -v[124:125]
	v_add_f64 v[116:117], v[120:121], v[116:117]
	v_add_f64 v[126:127], v[120:121], -v[122:123]
	;; [unrolled: 2-line block ×3, first 2 shown]
	v_add_f64 v[2:3], v[2:3], -v[122:123]
	v_add_f64 v[118:119], v[120:121], -v[118:119]
	v_add_f64 v[2:3], v[2:3], v[124:125]
	v_add_f64 v[116:117], v[116:117], -v[118:119]
	v_add_f64 v[2:3], v[2:3], v[116:117]
	v_add_f64 v[2:3], v[120:121], v[2:3]
	v_cmp_eq_f64_e64 s[16:17], s[40:41], v[102:103]
	v_cndmask_b32_e64 v3, v3, v103, s[16:17]
	v_cndmask_b32_e64 v2, v2, v102, s[16:17]
	v_mul_f64 v[2:3], v[2:3], 0.5
	v_cmp_ngt_f64_e64 s[16:17], -1.0, v[102:103]
	v_cndmask_b32_e64 v3, v107, v3, s[16:17]
	v_cmp_nge_f64_e64 s[16:17], -1.0, v[102:103]
	v_cndmask_b32_e64 v2, 0, v2, s[16:17]
	v_cmp_neq_f64_e64 s[16:17], -1.0, v[102:103]
	v_cndmask_b32_e64 v3, v110, v3, s[16:17]
.LBB210_39:                             ;   in Loop: Header=BB210_4 Depth=1
	s_or_b64 exec, exec, s[64:65]
	s_or_b64 exec, exec, s[18:19]
	s_and_saveexec_b64 s[16:17], vcc
	s_xor_b64 s[18:19], exec, s[16:17]
	s_cbranch_execz .LBB210_33
.LBB210_40:                             ;   in Loop: Header=BB210_4 Depth=1
	v_cmp_gt_i32_e64 s[16:17], 0, v79
	v_cndmask_b32_e64 v102, v113, v114, s[16:17]
	v_bfi_b32 v115, s70, v102, v17
	v_max_f64 v[102:103], |v[78:79]|, |v[78:79]|
	v_min_f64 v[80:81], v[102:103], v[80:81]
	v_div_scale_f64 v[102:103], s[64:65], v[82:83], v[82:83], v[80:81]
	v_rcp_f64_e32 v[116:117], v[102:103]
	v_ashrrev_i32_e32 v118, 31, v79
	v_and_b32_e32 v122, 0x400921fb, v118
	v_and_b32_e32 v123, 0x54442d18, v118
	v_fma_f64 v[118:119], -v[102:103], v[116:117], 1.0
	v_fmac_f64_e32 v[116:117], v[116:117], v[118:119]
	v_fma_f64 v[118:119], -v[102:103], v[116:117], 1.0
	v_fmac_f64_e32 v[116:117], v[116:117], v[118:119]
	v_div_scale_f64 v[118:119], vcc, v[80:81], v[82:83], v[80:81]
	v_mul_f64 v[120:121], v[118:119], v[116:117]
	v_fma_f64 v[102:103], -v[102:103], v[120:121], v[118:119]
	s_mov_b32 s44, s42
	s_nop 0
	v_div_fmas_f64 v[102:103], v[102:103], v[116:117], v[120:121]
	v_div_fixup_f64 v[80:81], v[102:103], v[82:83], v[80:81]
	v_mul_f64 v[82:83], v[80:81], v[80:81]
	v_pk_mov_b32 v[102:103], v[36:37], v[36:37] op_sel:[0,1]
	v_fmac_f64_e32 v[102:103], s[46:47], v[82:83]
	v_pk_mov_b32 v[116:117], v[38:39], v[38:39] op_sel:[0,1]
	v_fmac_f64_e32 v[116:117], v[82:83], v[102:103]
	;; [unrolled: 2-line block ×19, first 2 shown]
	v_mul_f64 v[82:83], v[82:83], v[102:103]
	v_fmac_f64_e32 v[80:81], v[80:81], v[82:83]
	v_add_f64 v[82:83], -v[80:81], s[42:43]
	v_cmp_lt_f64_e64 vcc, |v[78:79]|, |v[16:17]|
	v_cndmask_b32_e32 v79, v81, v83, vcc
	v_cndmask_b32_e32 v78, v80, v82, vcc
	v_add_f64 v[80:81], -v[78:79], s[44:45]
	v_cndmask_b32_e64 v79, v79, v81, s[16:17]
	v_cndmask_b32_e64 v78, v78, v80, s[16:17]
	v_cmp_eq_f64_e32 vcc, 0, v[16:17]
	v_cndmask_b32_e32 v16, v78, v123, vcc
	v_cndmask_b32_e32 v78, v79, v122, vcc
	s_and_b64 vcc, s[48:49], s[50:51]
	v_cndmask_b32_e64 v19, v111, v112, s[16:17]
	v_cndmask_b32_e32 v78, v78, v115, vcc
	v_cndmask_b32_e32 v16, v16, v19, vcc
	v_cndmask_b32_e64 v19, v107, v78, s[8:9]
	v_bfi_b32 v17, s70, v19, v17
	v_mov_b32_e32 v19, s66
	v_add_co_u32_e32 v78, vcc, s33, v20
	v_cndmask_b32_e64 v16, 0, v16, s[8:9]
	v_addc_co_u32_e32 v79, vcc, 0, v19, vcc
	global_store_dwordx4 v[78:79], v[14:17], off
	s_or_b64 exec, exec, s[18:19]
	s_and_saveexec_b64 s[8:9], s[6:7]
	s_cbranch_execz .LBB210_34
.LBB210_41:                             ;   in Loop: Header=BB210_4 Depth=1
	v_cmp_gt_i32_e64 s[6:7], 0, v85
	v_cndmask_b32_e64 v14, v113, v114, s[6:7]
	v_bfi_b32 v102, s70, v14, v13
	v_max_f64 v[14:15], |v[84:85]|, |v[84:85]|
	v_min_f64 v[14:15], v[14:15], v[86:87]
	v_div_scale_f64 v[16:17], s[16:17], v[88:89], v[88:89], v[14:15]
	v_rcp_f64_e32 v[78:79], v[16:17]
	v_ashrrev_i32_e32 v80, 31, v85
	v_and_b32_e32 v86, 0x400921fb, v80
	v_and_b32_e32 v87, 0x54442d18, v80
	v_fma_f64 v[80:81], -v[16:17], v[78:79], 1.0
	v_fmac_f64_e32 v[78:79], v[78:79], v[80:81]
	v_fma_f64 v[80:81], -v[16:17], v[78:79], 1.0
	v_fmac_f64_e32 v[78:79], v[78:79], v[80:81]
	v_div_scale_f64 v[80:81], vcc, v[14:15], v[88:89], v[14:15]
	v_mul_f64 v[82:83], v[80:81], v[78:79]
	v_fma_f64 v[16:17], -v[16:17], v[82:83], v[80:81]
	v_pk_mov_b32 v[80:81], v[38:39], v[38:39] op_sel:[0,1]
	s_nop 0
	v_div_fmas_f64 v[16:17], v[16:17], v[78:79], v[82:83]
	v_div_fixup_f64 v[14:15], v[16:17], v[88:89], v[14:15]
	v_mul_f64 v[16:17], v[14:15], v[14:15]
	v_pk_mov_b32 v[78:79], v[36:37], v[36:37] op_sel:[0,1]
	v_fmac_f64_e32 v[78:79], s[46:47], v[16:17]
	v_fmac_f64_e32 v[80:81], v[16:17], v[78:79]
	v_pk_mov_b32 v[78:79], v[40:41], v[40:41] op_sel:[0,1]
	v_fmac_f64_e32 v[78:79], v[16:17], v[80:81]
	v_pk_mov_b32 v[80:81], v[42:43], v[42:43] op_sel:[0,1]
	;; [unrolled: 2-line block ×17, first 2 shown]
	v_fmac_f64_e32 v[78:79], v[16:17], v[80:81]
	v_mul_f64 v[16:17], v[16:17], v[78:79]
	v_fmac_f64_e32 v[14:15], v[14:15], v[16:17]
	v_add_f64 v[16:17], -v[14:15], s[42:43]
	v_cmp_lt_f64_e64 vcc, |v[84:85]|, |v[12:13]|
	v_cndmask_b32_e32 v15, v15, v17, vcc
	v_cndmask_b32_e32 v14, v14, v16, vcc
	s_mov_b32 s44, s42
	v_add_f64 v[16:17], -v[14:15], s[44:45]
	v_cndmask_b32_e64 v15, v15, v17, s[6:7]
	v_cndmask_b32_e64 v14, v14, v16, s[6:7]
	v_cmp_eq_f64_e32 vcc, 0, v[12:13]
	v_cndmask_b32_e32 v12, v14, v87, vcc
	v_cndmask_b32_e32 v14, v15, v86, vcc
	s_and_b64 vcc, s[52:53], s[54:55]
	v_cndmask_b32_e32 v14, v14, v102, vcc
	v_cndmask_b32_e64 v19, v111, v112, s[6:7]
	v_cndmask_b32_e64 v14, v107, v14, s[10:11]
	v_cndmask_b32_e32 v12, v12, v19, vcc
	v_bfi_b32 v13, s70, v14, v13
	v_mov_b32_e32 v15, s66
	v_add_co_u32_e32 v14, vcc, s33, v76
	v_cndmask_b32_e64 v12, 0, v12, s[10:11]
	v_addc_co_u32_e32 v15, vcc, 0, v15, vcc
	global_store_dwordx4 v[14:15], v[10:13], off
	s_or_b64 exec, exec, s[8:9]
	s_and_saveexec_b64 s[6:7], s[2:3]
	s_cbranch_execz .LBB210_35
.LBB210_42:                             ;   in Loop: Header=BB210_4 Depth=1
	v_cmp_gt_i32_e64 s[2:3], 0, v91
	v_cndmask_b32_e64 v10, v113, v114, s[2:3]
	v_bfi_b32 v80, s70, v10, v9
	v_max_f64 v[10:11], |v[90:91]|, |v[90:91]|
	v_min_f64 v[10:11], v[10:11], v[92:93]
	v_div_scale_f64 v[12:13], s[8:9], v[94:95], v[94:95], v[10:11]
	v_rcp_f64_e32 v[14:15], v[12:13]
	v_ashrrev_i32_e32 v16, 31, v91
	v_and_b32_e32 v81, 0x400921fb, v16
	v_and_b32_e32 v82, 0x54442d18, v16
	v_fma_f64 v[16:17], -v[12:13], v[14:15], 1.0
	v_fmac_f64_e32 v[14:15], v[14:15], v[16:17]
	v_fma_f64 v[16:17], -v[12:13], v[14:15], 1.0
	v_fmac_f64_e32 v[14:15], v[14:15], v[16:17]
	v_div_scale_f64 v[16:17], vcc, v[10:11], v[94:95], v[10:11]
	v_mul_f64 v[78:79], v[16:17], v[14:15]
	v_fma_f64 v[12:13], -v[12:13], v[78:79], v[16:17]
	v_pk_mov_b32 v[16:17], v[38:39], v[38:39] op_sel:[0,1]
	s_nop 0
	v_div_fmas_f64 v[12:13], v[12:13], v[14:15], v[78:79]
	v_div_fixup_f64 v[10:11], v[12:13], v[94:95], v[10:11]
	v_mul_f64 v[12:13], v[10:11], v[10:11]
	v_pk_mov_b32 v[14:15], v[36:37], v[36:37] op_sel:[0,1]
	v_fmac_f64_e32 v[14:15], s[46:47], v[12:13]
	v_fmac_f64_e32 v[16:17], v[12:13], v[14:15]
	v_pk_mov_b32 v[14:15], v[40:41], v[40:41] op_sel:[0,1]
	v_fmac_f64_e32 v[14:15], v[12:13], v[16:17]
	v_pk_mov_b32 v[16:17], v[42:43], v[42:43] op_sel:[0,1]
	;; [unrolled: 2-line block ×17, first 2 shown]
	v_fmac_f64_e32 v[14:15], v[12:13], v[16:17]
	v_mul_f64 v[12:13], v[12:13], v[14:15]
	v_fmac_f64_e32 v[10:11], v[10:11], v[12:13]
	v_add_f64 v[12:13], -v[10:11], s[42:43]
	v_cmp_lt_f64_e64 vcc, |v[90:91]|, |v[8:9]|
	v_cndmask_b32_e32 v11, v11, v13, vcc
	v_cndmask_b32_e32 v10, v10, v12, vcc
	s_mov_b32 s44, s42
	v_add_f64 v[12:13], -v[10:11], s[44:45]
	v_cndmask_b32_e64 v11, v11, v13, s[2:3]
	v_cndmask_b32_e64 v10, v10, v12, s[2:3]
	v_cmp_eq_f64_e32 vcc, 0, v[8:9]
	v_cndmask_b32_e32 v8, v10, v82, vcc
	v_cndmask_b32_e32 v10, v11, v81, vcc
	s_and_b64 vcc, s[56:57], s[58:59]
	v_cndmask_b32_e32 v10, v10, v80, vcc
	v_cndmask_b32_e64 v19, v111, v112, s[2:3]
	v_cndmask_b32_e64 v10, v107, v10, s[12:13]
	v_cndmask_b32_e32 v8, v8, v19, vcc
	v_bfi_b32 v9, s70, v10, v9
	v_mov_b32_e32 v11, s66
	v_add_co_u32_e32 v10, vcc, s33, v74
	v_cndmask_b32_e64 v8, 0, v8, s[12:13]
	v_addc_co_u32_e32 v11, vcc, v11, v1, vcc
	global_store_dwordx4 v[10:11], v[6:9], off offset:-8
	s_or_b64 exec, exec, s[6:7]
	s_and_saveexec_b64 s[2:3], s[0:1]
	s_cbranch_execz .LBB210_3
.LBB210_43:                             ;   in Loop: Header=BB210_4 Depth=1
	v_cmp_gt_i32_e64 s[0:1], 0, v97
	v_cndmask_b32_e64 v6, v113, v114, s[0:1]
	v_bfi_b32 v17, s70, v6, v5
	v_max_f64 v[6:7], |v[96:97]|, |v[96:97]|
	v_min_f64 v[6:7], v[6:7], v[98:99]
	v_div_scale_f64 v[8:9], s[6:7], v[100:101], v[100:101], v[6:7]
	v_rcp_f64_e32 v[10:11], v[8:9]
	v_ashrrev_i32_e32 v12, 31, v97
	v_and_b32_e32 v19, 0x400921fb, v12
	v_and_b32_e32 v78, 0x54442d18, v12
	v_fma_f64 v[12:13], -v[8:9], v[10:11], 1.0
	v_fmac_f64_e32 v[10:11], v[10:11], v[12:13]
	v_fma_f64 v[12:13], -v[8:9], v[10:11], 1.0
	v_fmac_f64_e32 v[10:11], v[10:11], v[12:13]
	v_div_scale_f64 v[12:13], vcc, v[6:7], v[100:101], v[6:7]
	v_mul_f64 v[14:15], v[12:13], v[10:11]
	v_fma_f64 v[8:9], -v[8:9], v[14:15], v[12:13]
	v_pk_mov_b32 v[12:13], v[38:39], v[38:39] op_sel:[0,1]
	s_nop 0
	v_div_fmas_f64 v[8:9], v[8:9], v[10:11], v[14:15]
	v_div_fixup_f64 v[6:7], v[8:9], v[100:101], v[6:7]
	v_mul_f64 v[8:9], v[6:7], v[6:7]
	v_pk_mov_b32 v[10:11], v[36:37], v[36:37] op_sel:[0,1]
	v_fmac_f64_e32 v[10:11], s[46:47], v[8:9]
	v_fmac_f64_e32 v[12:13], v[8:9], v[10:11]
	v_pk_mov_b32 v[10:11], v[40:41], v[40:41] op_sel:[0,1]
	v_fmac_f64_e32 v[10:11], v[8:9], v[12:13]
	v_pk_mov_b32 v[12:13], v[42:43], v[42:43] op_sel:[0,1]
	v_fmac_f64_e32 v[12:13], v[8:9], v[10:11]
	v_pk_mov_b32 v[10:11], v[44:45], v[44:45] op_sel:[0,1]
	v_fmac_f64_e32 v[10:11], v[8:9], v[12:13]
	v_pk_mov_b32 v[12:13], v[46:47], v[46:47] op_sel:[0,1]
	v_fmac_f64_e32 v[12:13], v[8:9], v[10:11]
	v_pk_mov_b32 v[10:11], v[48:49], v[48:49] op_sel:[0,1]
	v_fmac_f64_e32 v[10:11], v[8:9], v[12:13]
	v_pk_mov_b32 v[12:13], v[50:51], v[50:51] op_sel:[0,1]
	v_fmac_f64_e32 v[12:13], v[8:9], v[10:11]
	v_pk_mov_b32 v[10:11], v[52:53], v[52:53] op_sel:[0,1]
	v_fmac_f64_e32 v[10:11], v[8:9], v[12:13]
	v_pk_mov_b32 v[12:13], v[54:55], v[54:55] op_sel:[0,1]
	v_fmac_f64_e32 v[12:13], v[8:9], v[10:11]
	v_pk_mov_b32 v[10:11], v[56:57], v[56:57] op_sel:[0,1]
	v_fmac_f64_e32 v[10:11], v[8:9], v[12:13]
	v_pk_mov_b32 v[12:13], v[58:59], v[58:59] op_sel:[0,1]
	v_fmac_f64_e32 v[12:13], v[8:9], v[10:11]
	v_pk_mov_b32 v[10:11], v[60:61], v[60:61] op_sel:[0,1]
	v_fmac_f64_e32 v[10:11], v[8:9], v[12:13]
	v_pk_mov_b32 v[12:13], v[62:63], v[62:63] op_sel:[0,1]
	v_fmac_f64_e32 v[12:13], v[8:9], v[10:11]
	v_pk_mov_b32 v[10:11], v[64:65], v[64:65] op_sel:[0,1]
	v_fmac_f64_e32 v[10:11], v[8:9], v[12:13]
	v_pk_mov_b32 v[12:13], v[66:67], v[66:67] op_sel:[0,1]
	v_fmac_f64_e32 v[12:13], v[8:9], v[10:11]
	v_pk_mov_b32 v[10:11], v[68:69], v[68:69] op_sel:[0,1]
	v_fmac_f64_e32 v[10:11], v[8:9], v[12:13]
	v_pk_mov_b32 v[12:13], v[70:71], v[70:71] op_sel:[0,1]
	v_fmac_f64_e32 v[12:13], v[8:9], v[10:11]
	v_pk_mov_b32 v[10:11], v[72:73], v[72:73] op_sel:[0,1]
	v_fmac_f64_e32 v[10:11], v[8:9], v[12:13]
	v_mul_f64 v[8:9], v[8:9], v[10:11]
	v_fmac_f64_e32 v[6:7], v[6:7], v[8:9]
	v_add_f64 v[8:9], -v[6:7], s[42:43]
	v_cmp_lt_f64_e64 vcc, |v[96:97]|, |v[4:5]|
	v_cndmask_b32_e32 v7, v7, v9, vcc
	v_cndmask_b32_e32 v6, v6, v8, vcc
	s_mov_b32 s44, s42
	v_add_f64 v[8:9], -v[6:7], s[44:45]
	v_cndmask_b32_e64 v7, v7, v9, s[0:1]
	v_cndmask_b32_e64 v6, v6, v8, s[0:1]
	v_cmp_eq_f64_e32 vcc, 0, v[4:5]
	v_cndmask_b32_e32 v4, v6, v78, vcc
	v_cndmask_b32_e32 v6, v7, v19, vcc
	s_and_b64 vcc, s[60:61], s[62:63]
	v_cndmask_b32_e32 v6, v6, v17, vcc
	v_cndmask_b32_e64 v16, v111, v112, s[0:1]
	v_cndmask_b32_e64 v6, v107, v6, s[14:15]
	v_cndmask_b32_e32 v4, v4, v16, vcc
	v_bfi_b32 v5, s70, v6, v5
	v_mov_b32_e32 v7, s66
	v_add_co_u32_e32 v6, vcc, s33, v22
	v_cndmask_b32_e64 v4, 0, v4, s[14:15]
	v_addc_co_u32_e32 v7, vcc, v7, v23, vcc
	global_store_dwordx4 v[6:7], v[2:5], off offset:-8
	s_branch .LBB210_3
.LBB210_44:
	s_cbranch_execz .LBB210_46
	s_branch .LBB210_73
.LBB210_45:
.LBB210_46:
	v_mov_b32_e32 v16, 0
	v_lshlrev_b32_e32 v2, 2, v0
	v_mov_b32_e32 v3, v16
	s_mov_b32 s33, 0
	v_cmp_gt_i64_e32 vcc, s[20:21], v[2:3]
	s_and_saveexec_b64 s[0:1], vcc
	s_cbranch_execz .LBB210_73
; %bb.47:
	s_load_dword s0, s[4:5], 0xd3c
	v_lshlrev_b32_e32 v1, 6, v0
	s_mov_b32 s12, 0x55555555
	s_mov_b32 s14, 0xbf559e2b
	;; [unrolled: 1-line block ×3, first 2 shown]
	s_waitcnt lgkmcnt(0)
	s_and_b32 s0, s0, 0xffff
	s_add_u32 s1, s22, s24
	s_addc_u32 s2, s23, s25
	v_mov_b32_e32 v2, s2
	v_add_co_u32_e32 v18, vcc, s1, v1
	s_mov_b32 s18, 0x3b39803f
	s_mov_b32 s22, 0
	;; [unrolled: 1-line block ×23, first 2 shown]
	v_addc_co_u32_e32 v19, vcc, 0, v2, vcc
	s_lshl_b32 s90, s0, 6
	v_add_lshl_u32 v20, v0, s0, 2
	v_mov_b32_e32 v21, v16
	s_lshl_b32 s91, s0, 2
	s_mov_b32 s92, s33
	s_mov_b64 s[10:11], 0
	s_movk_i32 s93, 0x204
	s_mov_b32 s13, 0x3fe55555
	s_mov_b32 s15, 0x3fc3ab76
	;; [unrolled: 1-line block ×4, first 2 shown]
	s_brev_b32 s94, -2
	s_mov_b32 s23, 0x7ff00000
	s_mov_b32 s25, 0x3ff921fb
	;; [unrolled: 1-line block ×24, first 2 shown]
	s_mov_b64 s[70:71], 0xffff
	v_mov_b32_e32 v60, 0x7ff80000
	v_mov_b32_e32 v61, 0x7ff00000
	;; [unrolled: 1-line block ×20, first 2 shown]
	s_branch .LBB210_50
.LBB210_48:                             ;   in Loop: Header=BB210_50 Depth=1
	s_or_b64 exec, exec, s[88:89]
.LBB210_49:                             ;   in Loop: Header=BB210_50 Depth=1
	s_or_b64 exec, exec, s[8:9]
	v_cmp_gt_i32_e64 s[8:9], 0, v47
	v_cndmask_b32_e64 v58, v66, v67, s[8:9]
	v_bfi_b32 v74, s94, v58, v7
	v_max_f64 v[58:59], |v[46:47]|, |v[46:47]|
	v_min_f64 v[48:49], v[58:59], v[48:49]
	v_div_scale_f64 v[58:59], s[88:89], v[50:51], v[50:51], v[48:49]
	v_rcp_f64_e32 v[68:69], v[58:59]
	v_ashrrev_i32_e32 v70, 31, v47
	v_and_b32_e32 v75, 0x400921fb, v70
	v_and_b32_e32 v76, 0x54442d18, v70
	v_fma_f64 v[70:71], -v[58:59], v[68:69], 1.0
	v_fmac_f64_e32 v[68:69], v[68:69], v[70:71]
	v_fma_f64 v[70:71], -v[58:59], v[68:69], 1.0
	v_fmac_f64_e32 v[68:69], v[68:69], v[70:71]
	v_div_scale_f64 v[70:71], vcc, v[48:49], v[50:51], v[48:49]
	v_mul_f64 v[72:73], v[70:71], v[68:69]
	v_fma_f64 v[58:59], -v[58:59], v[72:73], v[70:71]
	v_cndmask_b32_e64 v17, v64, v65, s[8:9]
	s_nop 0
	v_div_fmas_f64 v[58:59], v[58:59], v[68:69], v[72:73]
	v_div_fixup_f64 v[48:49], v[58:59], v[50:51], v[48:49]
	v_mul_f64 v[50:51], v[48:49], v[48:49]
	v_pk_mov_b32 v[58:59], s[28:29], s[28:29] op_sel:[0,1]
	v_fma_f64 v[68:69], s[30:31], v[50:51], v[58:59]
	v_fma_f64 v[68:69], v[50:51], v[68:69], s[34:35]
	v_fma_f64 v[68:69], v[50:51], v[68:69], s[36:37]
	v_fma_f64 v[68:69], v[50:51], v[68:69], s[38:39]
	v_fma_f64 v[68:69], v[50:51], v[68:69], s[40:41]
	v_fma_f64 v[68:69], v[50:51], v[68:69], s[42:43]
	v_fma_f64 v[68:69], v[50:51], v[68:69], s[44:45]
	v_fma_f64 v[68:69], v[50:51], v[68:69], s[46:47]
	v_fma_f64 v[68:69], v[50:51], v[68:69], s[48:49]
	v_fma_f64 v[68:69], v[50:51], v[68:69], s[50:51]
	v_fma_f64 v[68:69], v[50:51], v[68:69], s[52:53]
	v_fma_f64 v[68:69], v[50:51], v[68:69], s[54:55]
	v_fma_f64 v[68:69], v[50:51], v[68:69], s[56:57]
	v_fma_f64 v[68:69], v[50:51], v[68:69], s[58:59]
	v_fma_f64 v[68:69], v[50:51], v[68:69], s[60:61]
	v_fma_f64 v[68:69], v[50:51], v[68:69], s[62:63]
	v_fma_f64 v[68:69], v[50:51], v[68:69], s[64:65]
	v_fma_f64 v[68:69], v[50:51], v[68:69], s[66:67]
	v_fma_f64 v[68:69], v[50:51], v[68:69], s[68:69]
	v_mul_f64 v[50:51], v[50:51], v[68:69]
	v_fmac_f64_e32 v[48:49], v[48:49], v[50:51]
	v_add_f64 v[50:51], -v[48:49], s[24:25]
	v_cmp_lt_f64_e64 vcc, |v[46:47]|, |v[6:7]|
	v_cndmask_b32_e32 v47, v49, v51, vcc
	v_cndmask_b32_e32 v46, v48, v50, vcc
	v_add_f64 v[48:49], -v[46:47], s[26:27]
	v_cndmask_b32_e64 v47, v47, v49, s[8:9]
	v_cndmask_b32_e64 v46, v46, v48, s[8:9]
	v_cmp_eq_f64_e32 vcc, 0, v[6:7]
	v_cndmask_b32_e32 v6, v46, v76, vcc
	v_cndmask_b32_e32 v46, v47, v75, vcc
	s_and_b64 vcc, s[80:81], s[82:83]
	v_cndmask_b32_e32 v46, v46, v74, vcc
	v_cndmask_b32_e32 v6, v6, v17, vcc
	v_cndmask_b32_e64 v6, 0, v6, s[4:5]
	v_cndmask_b32_e64 v17, v60, v46, s[4:5]
	v_cmp_gt_i32_e64 s[4:5], 0, v41
	v_cndmask_b32_e64 v46, v66, v67, s[4:5]
	v_bfi_b32 v70, s94, v46, v11
	v_max_f64 v[46:47], |v[40:41]|, |v[40:41]|
	v_min_f64 v[42:43], v[46:47], v[42:43]
	v_div_scale_f64 v[46:47], s[8:9], v[44:45], v[44:45], v[42:43]
	v_rcp_f64_e32 v[48:49], v[46:47]
	v_ashrrev_i32_e32 v50, 31, v41
	v_and_b32_e32 v71, 0x400921fb, v50
	v_and_b32_e32 v72, 0x54442d18, v50
	v_fma_f64 v[50:51], -v[46:47], v[48:49], 1.0
	v_fmac_f64_e32 v[48:49], v[48:49], v[50:51]
	v_fma_f64 v[50:51], -v[46:47], v[48:49], 1.0
	v_fmac_f64_e32 v[48:49], v[48:49], v[50:51]
	v_div_scale_f64 v[50:51], vcc, v[42:43], v[44:45], v[42:43]
	v_mul_f64 v[68:69], v[50:51], v[48:49]
	v_fma_f64 v[46:47], -v[46:47], v[68:69], v[50:51]
	v_bfi_b32 v7, s94, v17, v7
	s_nop 0
	v_div_fmas_f64 v[46:47], v[46:47], v[48:49], v[68:69]
	v_div_fixup_f64 v[42:43], v[46:47], v[44:45], v[42:43]
	v_mul_f64 v[44:45], v[42:43], v[42:43]
	v_fma_f64 v[46:47], s[30:31], v[44:45], v[58:59]
	v_fma_f64 v[46:47], v[44:45], v[46:47], s[34:35]
	;; [unrolled: 1-line block ×19, first 2 shown]
	v_mul_f64 v[44:45], v[44:45], v[46:47]
	v_fmac_f64_e32 v[42:43], v[42:43], v[44:45]
	v_add_f64 v[44:45], -v[42:43], s[24:25]
	v_cmp_lt_f64_e64 vcc, |v[40:41]|, |v[10:11]|
	v_cndmask_b32_e32 v41, v43, v45, vcc
	v_cndmask_b32_e32 v40, v42, v44, vcc
	v_add_f64 v[42:43], -v[40:41], s[26:27]
	v_cndmask_b32_e64 v41, v41, v43, s[4:5]
	v_cndmask_b32_e64 v40, v40, v42, s[4:5]
	v_cmp_eq_f64_e32 vcc, 0, v[10:11]
	v_cndmask_b32_e64 v17, v64, v65, s[4:5]
	v_cndmask_b32_e32 v10, v40, v72, vcc
	v_cndmask_b32_e32 v40, v41, v71, vcc
	s_and_b64 vcc, s[76:77], s[78:79]
	v_cndmask_b32_e32 v40, v40, v70, vcc
	v_cndmask_b32_e32 v10, v10, v17, vcc
	v_cndmask_b32_e64 v10, 0, v10, s[2:3]
	v_cndmask_b32_e64 v17, v60, v40, s[2:3]
	v_cmp_gt_i32_e64 s[2:3], 0, v35
	v_cndmask_b32_e64 v40, v66, v67, s[2:3]
	v_bfi_b32 v48, s94, v40, v15
	v_max_f64 v[40:41], |v[34:35]|, |v[34:35]|
	v_min_f64 v[36:37], v[40:41], v[36:37]
	v_div_scale_f64 v[40:41], s[4:5], v[38:39], v[38:39], v[36:37]
	v_rcp_f64_e32 v[42:43], v[40:41]
	v_ashrrev_i32_e32 v44, 31, v35
	v_and_b32_e32 v49, 0x400921fb, v44
	v_and_b32_e32 v50, 0x54442d18, v44
	v_fma_f64 v[44:45], -v[40:41], v[42:43], 1.0
	v_fmac_f64_e32 v[42:43], v[42:43], v[44:45]
	v_fma_f64 v[44:45], -v[40:41], v[42:43], 1.0
	v_fmac_f64_e32 v[42:43], v[42:43], v[44:45]
	v_div_scale_f64 v[44:45], vcc, v[36:37], v[38:39], v[36:37]
	v_mul_f64 v[46:47], v[44:45], v[42:43]
	v_fma_f64 v[40:41], -v[40:41], v[46:47], v[44:45]
	v_bfi_b32 v11, s94, v17, v11
	s_nop 0
	v_div_fmas_f64 v[40:41], v[40:41], v[42:43], v[46:47]
	v_div_fixup_f64 v[36:37], v[40:41], v[38:39], v[36:37]
	v_mul_f64 v[38:39], v[36:37], v[36:37]
	v_fma_f64 v[40:41], s[30:31], v[38:39], v[58:59]
	v_fma_f64 v[40:41], v[38:39], v[40:41], s[34:35]
	;; [unrolled: 1-line block ×19, first 2 shown]
	v_mul_f64 v[38:39], v[38:39], v[40:41]
	v_fmac_f64_e32 v[36:37], v[36:37], v[38:39]
	v_add_f64 v[38:39], -v[36:37], s[24:25]
	v_cmp_lt_f64_e64 vcc, |v[34:35]|, |v[14:15]|
	v_cndmask_b32_e32 v35, v37, v39, vcc
	v_cndmask_b32_e32 v34, v36, v38, vcc
	v_add_f64 v[36:37], -v[34:35], s[26:27]
	v_cndmask_b32_e64 v35, v35, v37, s[2:3]
	v_cndmask_b32_e64 v34, v34, v36, s[2:3]
	v_cmp_eq_f64_e32 vcc, 0, v[14:15]
	v_cndmask_b32_e64 v17, v64, v65, s[2:3]
	v_cndmask_b32_e32 v14, v34, v50, vcc
	v_cndmask_b32_e32 v34, v35, v49, vcc
	s_and_b64 vcc, s[72:73], s[74:75]
	v_cndmask_b32_e32 v34, v34, v48, vcc
	v_cndmask_b32_e32 v14, v14, v17, vcc
	v_cndmask_b32_e64 v14, 0, v14, s[0:1]
	v_cndmask_b32_e64 v17, v60, v34, s[0:1]
	v_cmp_gt_i32_e64 s[0:1], 0, v53
	v_cndmask_b32_e64 v34, v66, v67, s[0:1]
	v_bfi_b32 v44, s94, v34, v3
	v_max_f64 v[34:35], |v[52:53]|, |v[52:53]|
	v_min_f64 v[34:35], v[34:35], v[54:55]
	v_div_scale_f64 v[36:37], s[2:3], v[56:57], v[56:57], v[34:35]
	v_rcp_f64_e32 v[38:39], v[36:37]
	v_ashrrev_i32_e32 v40, 31, v53
	v_and_b32_e32 v45, 0x400921fb, v40
	v_and_b32_e32 v46, 0x54442d18, v40
	v_fma_f64 v[40:41], -v[36:37], v[38:39], 1.0
	v_fmac_f64_e32 v[38:39], v[38:39], v[40:41]
	v_fma_f64 v[40:41], -v[36:37], v[38:39], 1.0
	v_fmac_f64_e32 v[38:39], v[38:39], v[40:41]
	v_div_scale_f64 v[40:41], vcc, v[34:35], v[56:57], v[34:35]
	v_mul_f64 v[42:43], v[40:41], v[38:39]
	v_fma_f64 v[36:37], -v[36:37], v[42:43], v[40:41]
	v_bfi_b32 v15, s94, v17, v15
	s_nop 0
	v_div_fmas_f64 v[36:37], v[36:37], v[38:39], v[42:43]
	v_div_fixup_f64 v[34:35], v[36:37], v[56:57], v[34:35]
	v_mul_f64 v[36:37], v[34:35], v[34:35]
	v_fma_f64 v[38:39], s[30:31], v[36:37], v[58:59]
	v_fma_f64 v[38:39], v[36:37], v[38:39], s[34:35]
	;; [unrolled: 1-line block ×19, first 2 shown]
	v_mul_f64 v[36:37], v[36:37], v[38:39]
	v_fmac_f64_e32 v[34:35], v[34:35], v[36:37]
	v_add_f64 v[36:37], -v[34:35], s[24:25]
	v_cmp_lt_f64_e64 vcc, |v[52:53]|, |v[2:3]|
	v_cndmask_b32_e32 v35, v35, v37, vcc
	v_cndmask_b32_e32 v34, v34, v36, vcc
	v_add_f64 v[36:37], -v[34:35], s[26:27]
	v_cndmask_b32_e64 v35, v35, v37, s[0:1]
	v_cndmask_b32_e64 v34, v34, v36, s[0:1]
	v_cmp_eq_f64_e32 vcc, 0, v[2:3]
	v_cndmask_b32_e32 v2, v34, v46, vcc
	v_cndmask_b32_e32 v34, v35, v45, vcc
	s_and_b64 vcc, s[84:85], s[86:87]
	v_cndmask_b32_e64 v17, v64, v65, s[0:1]
	v_cndmask_b32_e32 v34, v34, v44, vcc
	v_cndmask_b32_e32 v2, v2, v17, vcc
	v_cndmask_b32_e64 v17, v60, v34, s[6:7]
	v_cmp_le_i64_e32 vcc, s[20:21], v[20:21]
	v_cmp_lt_u64_e64 s[0:1], s[70:71], v[20:21]
	v_cndmask_b32_e64 v2, 0, v2, s[6:7]
	v_bfi_b32 v3, s94, v17, v3
	global_store_dwordx4 v[18:19], v[12:15], off
	global_store_dwordx4 v[18:19], v[8:11], off offset:16
	global_store_dwordx4 v[18:19], v[4:7], off offset:32
	;; [unrolled: 1-line block ×3, first 2 shown]
	s_or_b64 s[0:1], vcc, s[0:1]
	v_mov_b32_e32 v0, s33
	v_add_co_u32_e32 v18, vcc, s90, v18
	v_addc_co_u32_e32 v19, vcc, v19, v0, vcc
	v_mov_b32_e32 v0, s92
	s_and_b64 s[0:1], exec, s[0:1]
	v_add_co_u32_e32 v20, vcc, s91, v20
	s_or_b64 s[10:11], s[0:1], s[10:11]
	v_addc_co_u32_e32 v21, vcc, v21, v0, vcc
	s_andn2_b64 exec, exec, s[10:11]
	s_cbranch_execz .LBB210_73
.LBB210_50:                             ; =>This Inner Loop Header: Depth=1
	global_load_dwordx4 v[12:15], v[18:19], off
	global_load_dwordx4 v[8:11], v[18:19], off offset:16
	global_load_dwordx4 v[0:3], v[18:19], off offset:48
	;; [unrolled: 1-line block ×3, first 2 shown]
	s_waitcnt vmcnt(3)
	v_max_f64 v[38:39], |v[12:13]|, |v[12:13]|
	v_max_f64 v[36:37], |v[14:15]|, |v[14:15]|
	v_max_f64 v[38:39], v[38:39], v[36:37]
	v_frexp_exp_i32_f64_e32 v17, v[38:39]
	v_sub_u32_e32 v40, 0, v17
	v_ldexp_f64 v[38:39], |v[12:13]|, v40
	v_ldexp_f64 v[40:41], |v[14:15]|, v40
	v_mul_f64 v[40:41], v[40:41], v[40:41]
	v_fmac_f64_e32 v[40:41], v[38:39], v[38:39]
	v_rsq_f64_e32 v[42:43], v[40:41]
	v_cmp_eq_f64_e64 s[2:3], 0, v[40:41]
	v_cmp_class_f64_e64 s[0:1], v[12:13], s93
	v_cmp_class_f64_e64 s[72:73], v[14:15], s93
	v_mul_f64 v[44:45], v[40:41], v[42:43]
	v_mul_f64 v[42:43], v[42:43], 0.5
	v_fma_f64 v[46:47], -v[42:43], v[44:45], 0.5
	v_fmac_f64_e32 v[44:45], v[44:45], v[46:47]
	v_fmac_f64_e32 v[42:43], v[42:43], v[46:47]
	v_fma_f64 v[46:47], -v[44:45], v[44:45], v[40:41]
	v_fmac_f64_e32 v[44:45], v[46:47], v[42:43]
	v_cndmask_b32_e64 v41, v45, v41, s[2:3]
	v_cndmask_b32_e64 v40, v44, v40, s[2:3]
	v_cmp_u_f64_e32 vcc, v[12:13], v[14:15]
	s_or_b64 s[4:5], s[0:1], s[72:73]
	v_ldexp_f64 v[40:41], v[40:41], v17
	v_add_f64 v[34:35], v[12:13], 1.0
	v_cmp_ngt_f64_e64 s[2:3], 0.5, v[40:41]
	s_or_b64 s[4:5], s[4:5], vcc
	v_max_f64 v[38:39], |v[34:35]|, v[36:37]
	v_cmp_o_f64_e64 s[0:1], v[34:35], v[14:15]
	v_cmp_class_f64_e64 s[74:75], v[34:35], s93
	s_or_b64 s[2:3], s[4:5], s[2:3]
	s_and_saveexec_b64 s[4:5], s[2:3]
	s_xor_b64 s[4:5], exec, s[4:5]
	s_cbranch_execz .LBB210_52
; %bb.51:                               ;   in Loop: Header=BB210_50 Depth=1
	v_frexp_exp_i32_f64_e32 v17, v[38:39]
	v_sub_u32_e32 v40, 0, v17
	v_ldexp_f64 v[12:13], |v[34:35]|, v40
	v_ldexp_f64 v[40:41], |v[14:15]|, v40
	v_mul_f64 v[40:41], v[40:41], v[40:41]
	v_fmac_f64_e32 v[40:41], v[12:13], v[12:13]
	v_rsq_f64_e32 v[12:13], v[40:41]
	v_cmp_eq_f64_e32 vcc, 0, v[40:41]
	v_mul_f64 v[42:43], v[40:41], v[12:13]
	v_mul_f64 v[12:13], v[12:13], 0.5
	v_fma_f64 v[44:45], -v[12:13], v[42:43], 0.5
	v_fmac_f64_e32 v[42:43], v[42:43], v[44:45]
	v_fmac_f64_e32 v[12:13], v[12:13], v[44:45]
	v_fma_f64 v[44:45], -v[42:43], v[42:43], v[40:41]
	v_fmac_f64_e32 v[42:43], v[44:45], v[12:13]
	v_cndmask_b32_e32 v13, v43, v41, vcc
	v_cndmask_b32_e32 v12, v42, v40, vcc
	v_ldexp_f64 v[12:13], v[12:13], v17
	v_cndmask_b32_e64 v56, 0, v12, s[0:1]
	v_cndmask_b32_e64 v57, v60, v13, s[0:1]
	s_or_b64 vcc, s[74:75], s[72:73]
	v_cndmask_b32_e32 v41, v57, v61, vcc
	v_cndmask_b32_e64 v40, v56, 0, vcc
	v_frexp_mant_f64_e32 v[42:43], v[40:41]
	v_cmp_gt_f64_e64 s[2:3], s[12:13], v[42:43]
	v_cndmask_b32_e64 v17, v62, 2.0, s[2:3]
	v_frexp_exp_i32_f64_e32 v44, v[40:41]
	v_mul_f64 v[42:43], v[42:43], v[16:17]
	v_subbrev_co_u32_e64 v17, s[2:3], 0, v44, s[2:3]
	v_add_f64 v[44:45], v[42:43], 1.0
	v_rcp_f64_e32 v[46:47], v[44:45]
	v_add_f64 v[50:51], v[44:45], -1.0
	v_add_f64 v[48:49], v[42:43], -1.0
	v_add_f64 v[42:43], v[42:43], -v[50:51]
	v_fma_f64 v[50:51], -v[44:45], v[46:47], 1.0
	v_fmac_f64_e32 v[46:47], v[50:51], v[46:47]
	v_fma_f64 v[50:51], -v[44:45], v[46:47], 1.0
	v_fmac_f64_e32 v[46:47], v[50:51], v[46:47]
	v_mul_f64 v[50:51], v[48:49], v[46:47]
	v_mul_f64 v[52:53], v[44:45], v[50:51]
	v_fma_f64 v[44:45], v[50:51], v[44:45], -v[52:53]
	v_fmac_f64_e32 v[44:45], v[50:51], v[42:43]
	v_add_f64 v[42:43], v[52:53], v[44:45]
	v_add_f64 v[54:55], v[48:49], -v[42:43]
	v_add_f64 v[52:53], v[42:43], -v[52:53]
	;; [unrolled: 1-line block ×5, first 2 shown]
	v_add_f64 v[42:43], v[44:45], v[42:43]
	v_add_f64 v[42:43], v[54:55], v[42:43]
	v_mul_f64 v[42:43], v[46:47], v[42:43]
	v_add_f64 v[44:45], v[50:51], v[42:43]
	v_add_f64 v[46:47], v[44:45], -v[50:51]
	v_add_f64 v[42:43], v[42:43], -v[46:47]
	v_mul_f64 v[46:47], v[44:45], v[44:45]
	v_pk_mov_b32 v[48:49], v[22:23], v[22:23] op_sel:[0,1]
	v_fmac_f64_e32 v[48:49], s[14:15], v[46:47]
	v_pk_mov_b32 v[50:51], v[24:25], v[24:25] op_sel:[0,1]
	v_fmac_f64_e32 v[50:51], v[46:47], v[48:49]
	v_pk_mov_b32 v[48:49], v[26:27], v[26:27] op_sel:[0,1]
	v_fmac_f64_e32 v[48:49], v[46:47], v[50:51]
	v_pk_mov_b32 v[50:51], v[28:29], v[28:29] op_sel:[0,1]
	v_fmac_f64_e32 v[50:51], v[46:47], v[48:49]
	v_pk_mov_b32 v[48:49], v[30:31], v[30:31] op_sel:[0,1]
	v_fmac_f64_e32 v[48:49], v[46:47], v[50:51]
	v_pk_mov_b32 v[50:51], v[32:33], v[32:33] op_sel:[0,1]
	v_fmac_f64_e32 v[50:51], v[46:47], v[48:49]
	v_ldexp_f64 v[48:49], v[44:45], 1
	v_mul_f64 v[44:45], v[44:45], v[46:47]
	v_mul_f64 v[44:45], v[44:45], v[50:51]
	v_add_f64 v[46:47], v[48:49], v[44:45]
	v_add_f64 v[48:49], v[46:47], -v[48:49]
	v_ldexp_f64 v[42:43], v[42:43], 1
	v_add_f64 v[44:45], v[44:45], -v[48:49]
	v_add_f64 v[42:43], v[42:43], v[44:45]
	v_add_f64 v[44:45], v[46:47], v[42:43]
	v_add_f64 v[46:47], v[44:45], -v[46:47]
	v_add_f64 v[42:43], v[42:43], -v[46:47]
	v_cvt_f64_i32_e32 v[46:47], v17
	v_mul_f64 v[48:49], v[46:47], s[16:17]
	v_fma_f64 v[50:51], v[46:47], s[16:17], -v[48:49]
	v_fmac_f64_e32 v[50:51], s[18:19], v[46:47]
	v_add_f64 v[46:47], v[48:49], v[50:51]
	v_add_f64 v[48:49], v[46:47], -v[48:49]
	v_add_f64 v[48:49], v[50:51], -v[48:49]
	v_add_f64 v[50:51], v[46:47], v[44:45]
	v_add_f64 v[52:53], v[50:51], -v[46:47]
	v_add_f64 v[54:55], v[50:51], -v[52:53]
	;; [unrolled: 1-line block ×4, first 2 shown]
	v_add_f64 v[44:45], v[44:45], v[46:47]
	v_add_f64 v[46:47], v[48:49], v[42:43]
	v_add_f64 v[52:53], v[46:47], -v[48:49]
	v_add_f64 v[54:55], v[46:47], -v[52:53]
	v_add_f64 v[44:45], v[46:47], v[44:45]
	v_add_f64 v[48:49], v[48:49], -v[54:55]
	v_add_f64 v[42:43], v[42:43], -v[52:53]
	v_add_f64 v[46:47], v[50:51], v[44:45]
	v_add_f64 v[42:43], v[42:43], v[48:49]
	v_add_f64 v[48:49], v[46:47], -v[50:51]
	v_add_f64 v[44:45], v[44:45], -v[48:49]
	v_and_b32_e32 v13, 0x7fffffff, v13
	v_add_f64 v[42:43], v[42:43], v[44:45]
	v_cmp_eq_f64_e64 s[2:3], s[22:23], v[12:13]
	v_add_f64 v[42:43], v[46:47], v[42:43]
	s_and_b64 s[2:3], s[0:1], s[2:3]
	v_cndmask_b32_e64 v12, v43, v57, s[2:3]
	v_cndmask_b32_e64 v13, v42, v56, s[2:3]
	v_cndmask_b32_e64 v13, v13, 0, vcc
	v_cndmask_b32_e32 v12, v12, v61, vcc
	v_cmp_ngt_f64_e32 vcc, 0, v[40:41]
	v_cndmask_b32_e32 v17, v60, v12, vcc
	v_cmp_nge_f64_e32 vcc, 0, v[40:41]
	v_cndmask_b32_e32 v12, 0, v13, vcc
	v_cmp_neq_f64_e32 vcc, 0, v[40:41]
	v_cndmask_b32_e32 v13, v63, v17, vcc
.LBB210_52:                             ;   in Loop: Header=BB210_50 Depth=1
	s_andn2_saveexec_b64 s[2:3], s[4:5]
	s_cbranch_execz .LBB210_56
; %bb.53:                               ;   in Loop: Header=BB210_50 Depth=1
	v_add_f64 v[42:43], v[12:13], 2.0
	v_mul_f64 v[40:41], v[14:15], v[14:15]
	v_fmac_f64_e32 v[40:41], v[12:13], v[42:43]
	v_cmp_neq_f64_e32 vcc, 0, v[40:41]
	s_and_saveexec_b64 s[4:5], vcc
	s_cbranch_execz .LBB210_55
; %bb.54:                               ;   in Loop: Header=BB210_50 Depth=1
	v_add_f64 v[12:13], v[40:41], 1.0
	v_add_f64 v[42:43], v[12:13], -1.0
	v_add_f64 v[44:45], v[42:43], -v[12:13]
	v_add_f64 v[44:45], v[44:45], 1.0
	v_add_f64 v[42:43], v[40:41], -v[42:43]
	v_add_f64 v[42:43], v[42:43], v[44:45]
	v_frexp_mant_f64_e32 v[44:45], v[12:13]
	v_frexp_exp_i32_f64_e32 v17, v[12:13]
	v_cmp_gt_f64_e32 vcc, s[12:13], v[44:45]
	v_subbrev_co_u32_e32 v17, vcc, 0, v17, vcc
	v_sub_u32_e32 v44, 0, v17
	v_ldexp_f64 v[12:13], v[12:13], v44
	v_ldexp_f64 v[42:43], v[42:43], v44
	v_add_f64 v[44:45], v[12:13], -1.0
	v_add_f64 v[50:51], v[12:13], 1.0
	v_add_f64 v[46:47], v[44:45], 1.0
	v_add_f64 v[52:53], v[50:51], -1.0
	v_add_f64 v[46:47], v[12:13], -v[46:47]
	v_add_f64 v[12:13], v[12:13], -v[52:53]
	v_add_f64 v[12:13], v[42:43], v[12:13]
	v_add_f64 v[46:47], v[42:43], v[46:47]
	;; [unrolled: 1-line block ×3, first 2 shown]
	v_rcp_f64_e32 v[52:53], v[42:43]
	v_add_f64 v[48:49], v[44:45], v[46:47]
	v_add_f64 v[44:45], v[48:49], -v[44:45]
	v_add_f64 v[44:45], v[46:47], -v[44:45]
	;; [unrolled: 1-line block ×4, first 2 shown]
	v_fma_f64 v[46:47], -v[42:43], v[52:53], 1.0
	v_fmac_f64_e32 v[52:53], v[46:47], v[52:53]
	v_fma_f64 v[46:47], -v[42:43], v[52:53], 1.0
	v_fmac_f64_e32 v[52:53], v[46:47], v[52:53]
	v_mul_f64 v[46:47], v[48:49], v[52:53]
	v_mul_f64 v[50:51], v[42:43], v[46:47]
	v_fma_f64 v[54:55], v[46:47], v[42:43], -v[50:51]
	v_fmac_f64_e32 v[54:55], v[46:47], v[12:13]
	v_add_f64 v[56:57], v[50:51], v[54:55]
	v_add_f64 v[58:59], v[48:49], -v[56:57]
	v_add_f64 v[48:49], v[48:49], -v[58:59]
	;; [unrolled: 1-line block ×4, first 2 shown]
	v_add_f64 v[44:45], v[44:45], v[48:49]
	v_add_f64 v[48:49], v[50:51], -v[54:55]
	v_add_f64 v[44:45], v[48:49], v[44:45]
	v_add_f64 v[48:49], v[58:59], v[44:45]
	v_add_f64 v[50:51], v[58:59], -v[48:49]
	v_add_f64 v[44:45], v[44:45], v[50:51]
	v_mul_f64 v[50:51], v[52:53], v[48:49]
	v_mul_f64 v[54:55], v[42:43], v[50:51]
	v_fma_f64 v[42:43], v[50:51], v[42:43], -v[54:55]
	v_fmac_f64_e32 v[42:43], v[50:51], v[12:13]
	v_add_f64 v[12:13], v[54:55], v[42:43]
	v_add_f64 v[56:57], v[48:49], -v[12:13]
	v_add_f64 v[48:49], v[48:49], -v[56:57]
	;; [unrolled: 1-line block ×4, first 2 shown]
	v_add_f64 v[12:13], v[44:45], v[12:13]
	v_add_f64 v[42:43], v[54:55], -v[42:43]
	v_add_f64 v[12:13], v[42:43], v[12:13]
	v_add_f64 v[42:43], v[46:47], v[50:51]
	;; [unrolled: 1-line block ×3, first 2 shown]
	v_add_f64 v[44:45], v[42:43], -v[46:47]
	v_mul_f64 v[12:13], v[52:53], v[12:13]
	v_add_f64 v[44:45], v[50:51], -v[44:45]
	v_add_f64 v[12:13], v[44:45], v[12:13]
	v_add_f64 v[44:45], v[42:43], v[12:13]
	v_add_f64 v[42:43], v[44:45], -v[42:43]
	v_add_f64 v[12:13], v[12:13], -v[42:43]
	v_mul_f64 v[42:43], v[44:45], v[44:45]
	v_pk_mov_b32 v[46:47], v[22:23], v[22:23] op_sel:[0,1]
	v_fmac_f64_e32 v[46:47], s[14:15], v[42:43]
	v_pk_mov_b32 v[48:49], v[24:25], v[24:25] op_sel:[0,1]
	v_fmac_f64_e32 v[48:49], v[42:43], v[46:47]
	;; [unrolled: 2-line block ×6, first 2 shown]
	v_cvt_f64_i32_e32 v[46:47], v17
	v_mul_f64 v[50:51], v[46:47], s[16:17]
	v_fma_f64 v[52:53], v[46:47], s[16:17], -v[50:51]
	v_fmac_f64_e32 v[52:53], s[18:19], v[46:47]
	v_add_f64 v[46:47], v[50:51], v[52:53]
	v_add_f64 v[50:51], v[46:47], -v[50:51]
	v_mul_f64 v[42:43], v[44:45], v[42:43]
	v_add_f64 v[50:51], v[52:53], -v[50:51]
	v_ldexp_f64 v[52:53], v[44:45], 1
	v_mul_f64 v[42:43], v[42:43], v[48:49]
	v_add_f64 v[44:45], v[52:53], v[42:43]
	v_add_f64 v[48:49], v[44:45], -v[52:53]
	v_ldexp_f64 v[12:13], v[12:13], 1
	v_add_f64 v[42:43], v[42:43], -v[48:49]
	v_add_f64 v[12:13], v[12:13], v[42:43]
	v_add_f64 v[42:43], v[44:45], v[12:13]
	v_add_f64 v[44:45], v[42:43], -v[44:45]
	v_add_f64 v[12:13], v[12:13], -v[44:45]
	v_add_f64 v[44:45], v[46:47], v[42:43]
	v_add_f64 v[48:49], v[44:45], -v[46:47]
	v_add_f64 v[52:53], v[44:45], -v[48:49]
	;; [unrolled: 1-line block ×4, first 2 shown]
	v_add_f64 v[42:43], v[42:43], v[46:47]
	v_add_f64 v[46:47], v[50:51], v[12:13]
	v_add_f64 v[48:49], v[46:47], -v[50:51]
	v_add_f64 v[42:43], v[46:47], v[42:43]
	v_add_f64 v[52:53], v[46:47], -v[48:49]
	;; [unrolled: 2-line block ×3, first 2 shown]
	v_add_f64 v[12:13], v[12:13], -v[48:49]
	v_add_f64 v[44:45], v[46:47], -v[44:45]
	v_add_f64 v[12:13], v[12:13], v[50:51]
	v_add_f64 v[42:43], v[42:43], -v[44:45]
	v_add_f64 v[12:13], v[12:13], v[42:43]
	v_add_f64 v[12:13], v[46:47], v[12:13]
	v_cmp_eq_f64_e32 vcc, s[22:23], v[40:41]
	v_cndmask_b32_e32 v13, v13, v41, vcc
	v_cndmask_b32_e32 v12, v12, v40, vcc
	v_mul_f64 v[12:13], v[12:13], 0.5
	v_cmp_ngt_f64_e32 vcc, -1.0, v[40:41]
	v_cndmask_b32_e32 v13, v60, v13, vcc
	v_cmp_nge_f64_e32 vcc, -1.0, v[40:41]
	v_cndmask_b32_e32 v12, 0, v12, vcc
	v_cmp_neq_f64_e32 vcc, -1.0, v[40:41]
	v_cndmask_b32_e32 v13, v63, v13, vcc
.LBB210_55:                             ;   in Loop: Header=BB210_50 Depth=1
	s_or_b64 exec, exec, s[4:5]
.LBB210_56:                             ;   in Loop: Header=BB210_50 Depth=1
	s_or_b64 exec, exec, s[2:3]
	s_waitcnt vmcnt(2)
	v_max_f64 v[40:41], |v[8:9]|, |v[8:9]|
	v_max_f64 v[42:43], |v[10:11]|, |v[10:11]|
	v_max_f64 v[40:41], v[40:41], v[42:43]
	v_frexp_exp_i32_f64_e32 v17, v[40:41]
	v_sub_u32_e32 v44, 0, v17
	v_ldexp_f64 v[40:41], |v[8:9]|, v44
	v_ldexp_f64 v[44:45], |v[10:11]|, v44
	v_mul_f64 v[44:45], v[44:45], v[44:45]
	v_fmac_f64_e32 v[44:45], v[40:41], v[40:41]
	v_rsq_f64_e32 v[40:41], v[44:45]
	v_cmp_eq_f64_e32 vcc, 0, v[44:45]
	v_cmp_class_f64_e64 s[2:3], v[8:9], s93
	v_cmp_class_f64_e64 s[76:77], v[10:11], s93
	v_mul_f64 v[46:47], v[44:45], v[40:41]
	v_mul_f64 v[40:41], v[40:41], 0.5
	v_fma_f64 v[48:49], -v[40:41], v[46:47], 0.5
	v_fmac_f64_e32 v[46:47], v[46:47], v[48:49]
	v_fmac_f64_e32 v[40:41], v[40:41], v[48:49]
	v_fma_f64 v[48:49], -v[46:47], v[46:47], v[44:45]
	v_fmac_f64_e32 v[46:47], v[48:49], v[40:41]
	v_cndmask_b32_e32 v41, v47, v45, vcc
	v_cndmask_b32_e32 v40, v46, v44, vcc
	v_ldexp_f64 v[40:41], v[40:41], v17
	v_cmp_u_f64_e32 vcc, v[8:9], v[10:11]
	s_or_b64 s[6:7], s[2:3], s[76:77]
	v_cmp_ngt_f64_e64 s[4:5], 0.5, v[40:41]
	v_add_f64 v[40:41], v[8:9], 1.0
	s_or_b64 s[6:7], s[6:7], vcc
	v_max_f64 v[44:45], |v[40:41]|, v[42:43]
	v_cmp_o_f64_e64 s[2:3], v[40:41], v[10:11]
	v_cmp_class_f64_e64 s[78:79], v[40:41], s93
	s_or_b64 s[4:5], s[6:7], s[4:5]
	s_and_saveexec_b64 s[6:7], s[4:5]
	s_xor_b64 s[6:7], exec, s[6:7]
	s_cbranch_execz .LBB210_58
; %bb.57:                               ;   in Loop: Header=BB210_50 Depth=1
	v_frexp_exp_i32_f64_e32 v17, v[44:45]
	v_sub_u32_e32 v46, 0, v17
	v_ldexp_f64 v[8:9], |v[40:41]|, v46
	v_ldexp_f64 v[46:47], |v[10:11]|, v46
	v_mul_f64 v[46:47], v[46:47], v[46:47]
	v_fmac_f64_e32 v[46:47], v[8:9], v[8:9]
	v_rsq_f64_e32 v[8:9], v[46:47]
	v_cmp_eq_f64_e32 vcc, 0, v[46:47]
	v_mul_f64 v[48:49], v[46:47], v[8:9]
	v_mul_f64 v[8:9], v[8:9], 0.5
	v_fma_f64 v[50:51], -v[8:9], v[48:49], 0.5
	v_fmac_f64_e32 v[48:49], v[48:49], v[50:51]
	v_fmac_f64_e32 v[8:9], v[8:9], v[50:51]
	v_fma_f64 v[50:51], -v[48:49], v[48:49], v[46:47]
	v_fmac_f64_e32 v[48:49], v[50:51], v[8:9]
	v_cndmask_b32_e32 v9, v49, v47, vcc
	v_cndmask_b32_e32 v8, v48, v46, vcc
	v_ldexp_f64 v[8:9], v[8:9], v17
	v_cndmask_b32_e64 v70, 0, v8, s[2:3]
	v_cndmask_b32_e64 v71, v60, v9, s[2:3]
	s_or_b64 vcc, s[78:79], s[76:77]
	v_cndmask_b32_e32 v47, v71, v61, vcc
	v_cndmask_b32_e64 v46, v70, 0, vcc
	v_frexp_mant_f64_e32 v[48:49], v[46:47]
	v_cmp_gt_f64_e64 s[4:5], s[12:13], v[48:49]
	v_cndmask_b32_e64 v17, v62, 2.0, s[4:5]
	v_frexp_exp_i32_f64_e32 v50, v[46:47]
	v_mul_f64 v[48:49], v[48:49], v[16:17]
	v_subbrev_co_u32_e64 v17, s[4:5], 0, v50, s[4:5]
	v_add_f64 v[50:51], v[48:49], 1.0
	v_rcp_f64_e32 v[52:53], v[50:51]
	v_add_f64 v[56:57], v[50:51], -1.0
	v_add_f64 v[54:55], v[48:49], -1.0
	v_add_f64 v[48:49], v[48:49], -v[56:57]
	v_fma_f64 v[56:57], -v[50:51], v[52:53], 1.0
	v_fmac_f64_e32 v[52:53], v[56:57], v[52:53]
	v_fma_f64 v[56:57], -v[50:51], v[52:53], 1.0
	v_fmac_f64_e32 v[52:53], v[56:57], v[52:53]
	v_mul_f64 v[56:57], v[54:55], v[52:53]
	v_mul_f64 v[58:59], v[50:51], v[56:57]
	v_fma_f64 v[50:51], v[56:57], v[50:51], -v[58:59]
	v_fmac_f64_e32 v[50:51], v[56:57], v[48:49]
	v_add_f64 v[48:49], v[58:59], v[50:51]
	v_add_f64 v[68:69], v[54:55], -v[48:49]
	v_add_f64 v[58:59], v[48:49], -v[58:59]
	;; [unrolled: 1-line block ×5, first 2 shown]
	v_add_f64 v[48:49], v[50:51], v[48:49]
	v_add_f64 v[48:49], v[68:69], v[48:49]
	v_mul_f64 v[48:49], v[52:53], v[48:49]
	v_add_f64 v[50:51], v[56:57], v[48:49]
	v_add_f64 v[52:53], v[50:51], -v[56:57]
	v_add_f64 v[48:49], v[48:49], -v[52:53]
	v_mul_f64 v[52:53], v[50:51], v[50:51]
	v_pk_mov_b32 v[54:55], v[22:23], v[22:23] op_sel:[0,1]
	v_fmac_f64_e32 v[54:55], s[14:15], v[52:53]
	v_pk_mov_b32 v[56:57], v[24:25], v[24:25] op_sel:[0,1]
	v_fmac_f64_e32 v[56:57], v[52:53], v[54:55]
	;; [unrolled: 2-line block ×6, first 2 shown]
	v_ldexp_f64 v[54:55], v[50:51], 1
	v_mul_f64 v[50:51], v[50:51], v[52:53]
	v_mul_f64 v[50:51], v[50:51], v[56:57]
	v_add_f64 v[52:53], v[54:55], v[50:51]
	v_add_f64 v[54:55], v[52:53], -v[54:55]
	v_ldexp_f64 v[48:49], v[48:49], 1
	v_add_f64 v[50:51], v[50:51], -v[54:55]
	v_add_f64 v[48:49], v[48:49], v[50:51]
	v_add_f64 v[50:51], v[52:53], v[48:49]
	v_add_f64 v[52:53], v[50:51], -v[52:53]
	v_add_f64 v[48:49], v[48:49], -v[52:53]
	v_cvt_f64_i32_e32 v[52:53], v17
	v_mul_f64 v[54:55], v[52:53], s[16:17]
	v_fma_f64 v[56:57], v[52:53], s[16:17], -v[54:55]
	v_fmac_f64_e32 v[56:57], s[18:19], v[52:53]
	v_add_f64 v[52:53], v[54:55], v[56:57]
	v_add_f64 v[54:55], v[52:53], -v[54:55]
	v_add_f64 v[54:55], v[56:57], -v[54:55]
	v_add_f64 v[56:57], v[52:53], v[50:51]
	v_add_f64 v[58:59], v[56:57], -v[52:53]
	v_add_f64 v[68:69], v[56:57], -v[58:59]
	;; [unrolled: 1-line block ×4, first 2 shown]
	v_add_f64 v[50:51], v[50:51], v[52:53]
	v_add_f64 v[52:53], v[54:55], v[48:49]
	v_add_f64 v[58:59], v[52:53], -v[54:55]
	v_add_f64 v[68:69], v[52:53], -v[58:59]
	v_add_f64 v[50:51], v[52:53], v[50:51]
	v_add_f64 v[54:55], v[54:55], -v[68:69]
	v_add_f64 v[48:49], v[48:49], -v[58:59]
	v_add_f64 v[52:53], v[56:57], v[50:51]
	v_add_f64 v[48:49], v[48:49], v[54:55]
	v_add_f64 v[54:55], v[52:53], -v[56:57]
	v_add_f64 v[50:51], v[50:51], -v[54:55]
	v_and_b32_e32 v9, 0x7fffffff, v9
	v_add_f64 v[48:49], v[48:49], v[50:51]
	v_cmp_eq_f64_e64 s[4:5], s[22:23], v[8:9]
	v_add_f64 v[48:49], v[52:53], v[48:49]
	s_and_b64 s[4:5], s[2:3], s[4:5]
	v_cndmask_b32_e64 v8, v49, v71, s[4:5]
	v_cndmask_b32_e64 v9, v48, v70, s[4:5]
	v_cndmask_b32_e64 v9, v9, 0, vcc
	v_cndmask_b32_e32 v8, v8, v61, vcc
	v_cmp_ngt_f64_e32 vcc, 0, v[46:47]
	v_cndmask_b32_e32 v17, v60, v8, vcc
	v_cmp_nge_f64_e32 vcc, 0, v[46:47]
	v_cndmask_b32_e32 v8, 0, v9, vcc
	v_cmp_neq_f64_e32 vcc, 0, v[46:47]
	v_cndmask_b32_e32 v9, v63, v17, vcc
.LBB210_58:                             ;   in Loop: Header=BB210_50 Depth=1
	s_andn2_saveexec_b64 s[4:5], s[6:7]
	s_cbranch_execz .LBB210_62
; %bb.59:                               ;   in Loop: Header=BB210_50 Depth=1
	v_add_f64 v[48:49], v[8:9], 2.0
	v_mul_f64 v[46:47], v[10:11], v[10:11]
	v_fmac_f64_e32 v[46:47], v[8:9], v[48:49]
	v_cmp_neq_f64_e32 vcc, 0, v[46:47]
	s_and_saveexec_b64 s[6:7], vcc
	s_cbranch_execz .LBB210_61
; %bb.60:                               ;   in Loop: Header=BB210_50 Depth=1
	v_add_f64 v[8:9], v[46:47], 1.0
	v_add_f64 v[48:49], v[8:9], -1.0
	v_add_f64 v[50:51], v[48:49], -v[8:9]
	v_add_f64 v[50:51], v[50:51], 1.0
	v_add_f64 v[48:49], v[46:47], -v[48:49]
	v_add_f64 v[48:49], v[48:49], v[50:51]
	v_frexp_mant_f64_e32 v[50:51], v[8:9]
	v_frexp_exp_i32_f64_e32 v17, v[8:9]
	v_cmp_gt_f64_e32 vcc, s[12:13], v[50:51]
	v_subbrev_co_u32_e32 v17, vcc, 0, v17, vcc
	v_sub_u32_e32 v50, 0, v17
	v_ldexp_f64 v[8:9], v[8:9], v50
	v_ldexp_f64 v[48:49], v[48:49], v50
	v_add_f64 v[50:51], v[8:9], -1.0
	v_add_f64 v[56:57], v[8:9], 1.0
	v_add_f64 v[52:53], v[50:51], 1.0
	v_add_f64 v[58:59], v[56:57], -1.0
	v_add_f64 v[52:53], v[8:9], -v[52:53]
	v_add_f64 v[8:9], v[8:9], -v[58:59]
	v_add_f64 v[8:9], v[48:49], v[8:9]
	v_add_f64 v[52:53], v[48:49], v[52:53]
	;; [unrolled: 1-line block ×3, first 2 shown]
	v_rcp_f64_e32 v[58:59], v[48:49]
	v_add_f64 v[54:55], v[50:51], v[52:53]
	v_add_f64 v[50:51], v[54:55], -v[50:51]
	v_add_f64 v[50:51], v[52:53], -v[50:51]
	;; [unrolled: 1-line block ×4, first 2 shown]
	v_fma_f64 v[52:53], -v[48:49], v[58:59], 1.0
	v_fmac_f64_e32 v[58:59], v[52:53], v[58:59]
	v_fma_f64 v[52:53], -v[48:49], v[58:59], 1.0
	v_fmac_f64_e32 v[58:59], v[52:53], v[58:59]
	v_mul_f64 v[52:53], v[54:55], v[58:59]
	v_mul_f64 v[56:57], v[48:49], v[52:53]
	v_fma_f64 v[68:69], v[52:53], v[48:49], -v[56:57]
	v_fmac_f64_e32 v[68:69], v[52:53], v[8:9]
	v_add_f64 v[70:71], v[56:57], v[68:69]
	v_add_f64 v[72:73], v[54:55], -v[70:71]
	v_add_f64 v[54:55], v[54:55], -v[72:73]
	;; [unrolled: 1-line block ×4, first 2 shown]
	v_add_f64 v[50:51], v[50:51], v[54:55]
	v_add_f64 v[54:55], v[56:57], -v[68:69]
	v_add_f64 v[50:51], v[54:55], v[50:51]
	v_add_f64 v[54:55], v[72:73], v[50:51]
	v_add_f64 v[56:57], v[72:73], -v[54:55]
	v_add_f64 v[50:51], v[50:51], v[56:57]
	v_mul_f64 v[56:57], v[58:59], v[54:55]
	v_mul_f64 v[68:69], v[48:49], v[56:57]
	v_fma_f64 v[48:49], v[56:57], v[48:49], -v[68:69]
	v_fmac_f64_e32 v[48:49], v[56:57], v[8:9]
	v_add_f64 v[8:9], v[68:69], v[48:49]
	v_add_f64 v[70:71], v[54:55], -v[8:9]
	v_add_f64 v[54:55], v[54:55], -v[70:71]
	;; [unrolled: 1-line block ×4, first 2 shown]
	v_add_f64 v[8:9], v[50:51], v[8:9]
	v_add_f64 v[48:49], v[68:69], -v[48:49]
	v_add_f64 v[8:9], v[48:49], v[8:9]
	v_add_f64 v[48:49], v[52:53], v[56:57]
	;; [unrolled: 1-line block ×3, first 2 shown]
	v_add_f64 v[50:51], v[48:49], -v[52:53]
	v_mul_f64 v[8:9], v[58:59], v[8:9]
	v_add_f64 v[50:51], v[56:57], -v[50:51]
	v_add_f64 v[8:9], v[50:51], v[8:9]
	v_add_f64 v[50:51], v[48:49], v[8:9]
	v_add_f64 v[48:49], v[50:51], -v[48:49]
	v_add_f64 v[8:9], v[8:9], -v[48:49]
	v_mul_f64 v[48:49], v[50:51], v[50:51]
	v_pk_mov_b32 v[52:53], v[22:23], v[22:23] op_sel:[0,1]
	v_fmac_f64_e32 v[52:53], s[14:15], v[48:49]
	v_pk_mov_b32 v[54:55], v[24:25], v[24:25] op_sel:[0,1]
	v_fmac_f64_e32 v[54:55], v[48:49], v[52:53]
	;; [unrolled: 2-line block ×6, first 2 shown]
	v_cvt_f64_i32_e32 v[52:53], v17
	v_mul_f64 v[56:57], v[52:53], s[16:17]
	v_fma_f64 v[58:59], v[52:53], s[16:17], -v[56:57]
	v_fmac_f64_e32 v[58:59], s[18:19], v[52:53]
	v_add_f64 v[52:53], v[56:57], v[58:59]
	v_add_f64 v[56:57], v[52:53], -v[56:57]
	v_mul_f64 v[48:49], v[50:51], v[48:49]
	v_add_f64 v[56:57], v[58:59], -v[56:57]
	v_ldexp_f64 v[58:59], v[50:51], 1
	v_mul_f64 v[48:49], v[48:49], v[54:55]
	v_add_f64 v[50:51], v[58:59], v[48:49]
	v_add_f64 v[54:55], v[50:51], -v[58:59]
	v_ldexp_f64 v[8:9], v[8:9], 1
	v_add_f64 v[48:49], v[48:49], -v[54:55]
	v_add_f64 v[8:9], v[8:9], v[48:49]
	v_add_f64 v[48:49], v[50:51], v[8:9]
	v_add_f64 v[50:51], v[48:49], -v[50:51]
	v_add_f64 v[8:9], v[8:9], -v[50:51]
	v_add_f64 v[50:51], v[52:53], v[48:49]
	v_add_f64 v[54:55], v[50:51], -v[52:53]
	v_add_f64 v[58:59], v[50:51], -v[54:55]
	;; [unrolled: 1-line block ×4, first 2 shown]
	v_add_f64 v[48:49], v[48:49], v[52:53]
	v_add_f64 v[52:53], v[56:57], v[8:9]
	v_add_f64 v[54:55], v[52:53], -v[56:57]
	v_add_f64 v[48:49], v[52:53], v[48:49]
	v_add_f64 v[58:59], v[52:53], -v[54:55]
	;; [unrolled: 2-line block ×3, first 2 shown]
	v_add_f64 v[8:9], v[8:9], -v[54:55]
	v_add_f64 v[50:51], v[52:53], -v[50:51]
	v_add_f64 v[8:9], v[8:9], v[56:57]
	v_add_f64 v[48:49], v[48:49], -v[50:51]
	v_add_f64 v[8:9], v[8:9], v[48:49]
	v_add_f64 v[8:9], v[52:53], v[8:9]
	v_cmp_eq_f64_e32 vcc, s[22:23], v[46:47]
	v_cndmask_b32_e32 v9, v9, v47, vcc
	v_cndmask_b32_e32 v8, v8, v46, vcc
	v_mul_f64 v[8:9], v[8:9], 0.5
	v_cmp_ngt_f64_e32 vcc, -1.0, v[46:47]
	v_cndmask_b32_e32 v9, v60, v9, vcc
	v_cmp_nge_f64_e32 vcc, -1.0, v[46:47]
	v_cndmask_b32_e32 v8, 0, v8, vcc
	v_cmp_neq_f64_e32 vcc, -1.0, v[46:47]
	v_cndmask_b32_e32 v9, v63, v9, vcc
.LBB210_61:                             ;   in Loop: Header=BB210_50 Depth=1
	s_or_b64 exec, exec, s[6:7]
.LBB210_62:                             ;   in Loop: Header=BB210_50 Depth=1
	s_or_b64 exec, exec, s[4:5]
	s_waitcnt vmcnt(0)
	v_max_f64 v[46:47], |v[4:5]|, |v[4:5]|
	v_max_f64 v[48:49], |v[6:7]|, |v[6:7]|
	v_max_f64 v[46:47], v[46:47], v[48:49]
	v_frexp_exp_i32_f64_e32 v17, v[46:47]
	v_sub_u32_e32 v50, 0, v17
	v_ldexp_f64 v[46:47], |v[4:5]|, v50
	v_ldexp_f64 v[50:51], |v[6:7]|, v50
	v_mul_f64 v[50:51], v[50:51], v[50:51]
	v_fmac_f64_e32 v[50:51], v[46:47], v[46:47]
	v_rsq_f64_e32 v[46:47], v[50:51]
	v_cmp_eq_f64_e32 vcc, 0, v[50:51]
	v_cmp_class_f64_e64 s[4:5], v[4:5], s93
	v_cmp_class_f64_e64 s[80:81], v[6:7], s93
	v_mul_f64 v[52:53], v[50:51], v[46:47]
	v_mul_f64 v[46:47], v[46:47], 0.5
	v_fma_f64 v[54:55], -v[46:47], v[52:53], 0.5
	v_fmac_f64_e32 v[52:53], v[52:53], v[54:55]
	v_fmac_f64_e32 v[46:47], v[46:47], v[54:55]
	v_fma_f64 v[54:55], -v[52:53], v[52:53], v[50:51]
	v_fmac_f64_e32 v[52:53], v[54:55], v[46:47]
	v_cndmask_b32_e32 v47, v53, v51, vcc
	v_cndmask_b32_e32 v46, v52, v50, vcc
	v_ldexp_f64 v[46:47], v[46:47], v17
	v_cmp_u_f64_e32 vcc, v[4:5], v[6:7]
	s_or_b64 s[8:9], s[4:5], s[80:81]
	v_cmp_ngt_f64_e64 s[6:7], 0.5, v[46:47]
	v_add_f64 v[46:47], v[4:5], 1.0
	s_or_b64 s[8:9], s[8:9], vcc
	v_max_f64 v[50:51], |v[46:47]|, v[48:49]
	v_cmp_o_f64_e64 s[4:5], v[46:47], v[6:7]
	v_cmp_class_f64_e64 s[82:83], v[46:47], s93
	s_or_b64 s[6:7], s[8:9], s[6:7]
	s_and_saveexec_b64 s[8:9], s[6:7]
	s_xor_b64 s[8:9], exec, s[8:9]
	s_cbranch_execz .LBB210_64
; %bb.63:                               ;   in Loop: Header=BB210_50 Depth=1
	v_frexp_exp_i32_f64_e32 v17, v[50:51]
	v_sub_u32_e32 v52, 0, v17
	v_ldexp_f64 v[4:5], |v[46:47]|, v52
	v_ldexp_f64 v[52:53], |v[6:7]|, v52
	v_mul_f64 v[52:53], v[52:53], v[52:53]
	v_fmac_f64_e32 v[52:53], v[4:5], v[4:5]
	v_rsq_f64_e32 v[4:5], v[52:53]
	v_cmp_eq_f64_e32 vcc, 0, v[52:53]
	v_mul_f64 v[54:55], v[52:53], v[4:5]
	v_mul_f64 v[4:5], v[4:5], 0.5
	v_fma_f64 v[56:57], -v[4:5], v[54:55], 0.5
	v_fmac_f64_e32 v[54:55], v[54:55], v[56:57]
	v_fmac_f64_e32 v[4:5], v[4:5], v[56:57]
	v_fma_f64 v[56:57], -v[54:55], v[54:55], v[52:53]
	v_fmac_f64_e32 v[54:55], v[56:57], v[4:5]
	v_cndmask_b32_e32 v5, v55, v53, vcc
	v_cndmask_b32_e32 v4, v54, v52, vcc
	v_ldexp_f64 v[4:5], v[4:5], v17
	v_cndmask_b32_e64 v76, 0, v4, s[4:5]
	v_cndmask_b32_e64 v77, v60, v5, s[4:5]
	s_or_b64 vcc, s[82:83], s[80:81]
	v_cndmask_b32_e32 v53, v77, v61, vcc
	v_cndmask_b32_e64 v52, v76, 0, vcc
	v_frexp_mant_f64_e32 v[54:55], v[52:53]
	v_cmp_gt_f64_e64 s[6:7], s[12:13], v[54:55]
	v_cndmask_b32_e64 v17, v62, 2.0, s[6:7]
	v_frexp_exp_i32_f64_e32 v56, v[52:53]
	v_mul_f64 v[54:55], v[54:55], v[16:17]
	v_subbrev_co_u32_e64 v17, s[6:7], 0, v56, s[6:7]
	v_add_f64 v[56:57], v[54:55], 1.0
	v_rcp_f64_e32 v[58:59], v[56:57]
	v_add_f64 v[70:71], v[56:57], -1.0
	v_add_f64 v[68:69], v[54:55], -1.0
	v_add_f64 v[54:55], v[54:55], -v[70:71]
	v_fma_f64 v[70:71], -v[56:57], v[58:59], 1.0
	v_fmac_f64_e32 v[58:59], v[70:71], v[58:59]
	v_fma_f64 v[70:71], -v[56:57], v[58:59], 1.0
	v_fmac_f64_e32 v[58:59], v[70:71], v[58:59]
	v_mul_f64 v[70:71], v[68:69], v[58:59]
	v_mul_f64 v[72:73], v[56:57], v[70:71]
	v_fma_f64 v[56:57], v[70:71], v[56:57], -v[72:73]
	v_fmac_f64_e32 v[56:57], v[70:71], v[54:55]
	v_add_f64 v[54:55], v[72:73], v[56:57]
	v_add_f64 v[74:75], v[68:69], -v[54:55]
	v_add_f64 v[72:73], v[54:55], -v[72:73]
	;; [unrolled: 1-line block ×5, first 2 shown]
	v_add_f64 v[54:55], v[56:57], v[54:55]
	v_add_f64 v[54:55], v[74:75], v[54:55]
	v_mul_f64 v[54:55], v[58:59], v[54:55]
	v_add_f64 v[56:57], v[70:71], v[54:55]
	v_add_f64 v[58:59], v[56:57], -v[70:71]
	v_add_f64 v[54:55], v[54:55], -v[58:59]
	v_mul_f64 v[58:59], v[56:57], v[56:57]
	v_pk_mov_b32 v[68:69], v[22:23], v[22:23] op_sel:[0,1]
	v_fmac_f64_e32 v[68:69], s[14:15], v[58:59]
	v_pk_mov_b32 v[70:71], v[24:25], v[24:25] op_sel:[0,1]
	v_fmac_f64_e32 v[70:71], v[58:59], v[68:69]
	;; [unrolled: 2-line block ×6, first 2 shown]
	v_ldexp_f64 v[68:69], v[56:57], 1
	v_mul_f64 v[56:57], v[56:57], v[58:59]
	v_mul_f64 v[56:57], v[56:57], v[70:71]
	v_add_f64 v[58:59], v[68:69], v[56:57]
	v_add_f64 v[68:69], v[58:59], -v[68:69]
	v_ldexp_f64 v[54:55], v[54:55], 1
	v_add_f64 v[56:57], v[56:57], -v[68:69]
	v_add_f64 v[54:55], v[54:55], v[56:57]
	v_add_f64 v[56:57], v[58:59], v[54:55]
	v_add_f64 v[58:59], v[56:57], -v[58:59]
	v_add_f64 v[54:55], v[54:55], -v[58:59]
	v_cvt_f64_i32_e32 v[58:59], v17
	v_mul_f64 v[68:69], v[58:59], s[16:17]
	v_fma_f64 v[70:71], v[58:59], s[16:17], -v[68:69]
	v_fmac_f64_e32 v[70:71], s[18:19], v[58:59]
	v_add_f64 v[58:59], v[68:69], v[70:71]
	v_add_f64 v[68:69], v[58:59], -v[68:69]
	v_add_f64 v[68:69], v[70:71], -v[68:69]
	v_add_f64 v[70:71], v[58:59], v[56:57]
	v_add_f64 v[72:73], v[70:71], -v[58:59]
	v_add_f64 v[74:75], v[70:71], -v[72:73]
	;; [unrolled: 1-line block ×4, first 2 shown]
	v_add_f64 v[56:57], v[56:57], v[58:59]
	v_add_f64 v[58:59], v[68:69], v[54:55]
	v_add_f64 v[72:73], v[58:59], -v[68:69]
	v_add_f64 v[74:75], v[58:59], -v[72:73]
	v_add_f64 v[56:57], v[58:59], v[56:57]
	v_add_f64 v[68:69], v[68:69], -v[74:75]
	v_add_f64 v[54:55], v[54:55], -v[72:73]
	v_add_f64 v[58:59], v[70:71], v[56:57]
	v_add_f64 v[54:55], v[54:55], v[68:69]
	v_add_f64 v[68:69], v[58:59], -v[70:71]
	v_add_f64 v[56:57], v[56:57], -v[68:69]
	v_and_b32_e32 v5, 0x7fffffff, v5
	v_add_f64 v[54:55], v[54:55], v[56:57]
	v_cmp_eq_f64_e64 s[6:7], s[22:23], v[4:5]
	v_add_f64 v[54:55], v[58:59], v[54:55]
	s_and_b64 s[6:7], s[4:5], s[6:7]
	v_cndmask_b32_e64 v4, v55, v77, s[6:7]
	v_cndmask_b32_e64 v5, v54, v76, s[6:7]
	v_cndmask_b32_e64 v5, v5, 0, vcc
	v_cndmask_b32_e32 v4, v4, v61, vcc
	v_cmp_ngt_f64_e32 vcc, 0, v[52:53]
	v_cndmask_b32_e32 v17, v60, v4, vcc
	v_cmp_nge_f64_e32 vcc, 0, v[52:53]
	v_cndmask_b32_e32 v4, 0, v5, vcc
	v_cmp_neq_f64_e32 vcc, 0, v[52:53]
	v_cndmask_b32_e32 v5, v63, v17, vcc
.LBB210_64:                             ;   in Loop: Header=BB210_50 Depth=1
	s_andn2_saveexec_b64 s[6:7], s[8:9]
	s_cbranch_execz .LBB210_68
; %bb.65:                               ;   in Loop: Header=BB210_50 Depth=1
	v_add_f64 v[54:55], v[4:5], 2.0
	v_mul_f64 v[52:53], v[6:7], v[6:7]
	v_fmac_f64_e32 v[52:53], v[4:5], v[54:55]
	v_cmp_neq_f64_e32 vcc, 0, v[52:53]
	s_and_saveexec_b64 s[8:9], vcc
	s_cbranch_execz .LBB210_67
; %bb.66:                               ;   in Loop: Header=BB210_50 Depth=1
	v_add_f64 v[4:5], v[52:53], 1.0
	v_add_f64 v[54:55], v[4:5], -1.0
	v_add_f64 v[56:57], v[54:55], -v[4:5]
	v_add_f64 v[56:57], v[56:57], 1.0
	v_add_f64 v[54:55], v[52:53], -v[54:55]
	v_add_f64 v[54:55], v[54:55], v[56:57]
	v_frexp_mant_f64_e32 v[56:57], v[4:5]
	v_frexp_exp_i32_f64_e32 v17, v[4:5]
	v_cmp_gt_f64_e32 vcc, s[12:13], v[56:57]
	v_subbrev_co_u32_e32 v17, vcc, 0, v17, vcc
	v_sub_u32_e32 v56, 0, v17
	v_ldexp_f64 v[4:5], v[4:5], v56
	v_ldexp_f64 v[54:55], v[54:55], v56
	v_add_f64 v[56:57], v[4:5], -1.0
	v_add_f64 v[70:71], v[4:5], 1.0
	v_add_f64 v[58:59], v[56:57], 1.0
	v_add_f64 v[72:73], v[70:71], -1.0
	v_add_f64 v[58:59], v[4:5], -v[58:59]
	v_add_f64 v[4:5], v[4:5], -v[72:73]
	v_add_f64 v[4:5], v[54:55], v[4:5]
	v_add_f64 v[58:59], v[54:55], v[58:59]
	;; [unrolled: 1-line block ×3, first 2 shown]
	v_rcp_f64_e32 v[72:73], v[54:55]
	v_add_f64 v[68:69], v[56:57], v[58:59]
	v_add_f64 v[56:57], v[68:69], -v[56:57]
	v_add_f64 v[56:57], v[58:59], -v[56:57]
	;; [unrolled: 1-line block ×4, first 2 shown]
	v_fma_f64 v[58:59], -v[54:55], v[72:73], 1.0
	v_fmac_f64_e32 v[72:73], v[58:59], v[72:73]
	v_fma_f64 v[58:59], -v[54:55], v[72:73], 1.0
	v_fmac_f64_e32 v[72:73], v[58:59], v[72:73]
	v_mul_f64 v[58:59], v[68:69], v[72:73]
	v_mul_f64 v[70:71], v[54:55], v[58:59]
	v_fma_f64 v[74:75], v[58:59], v[54:55], -v[70:71]
	v_fmac_f64_e32 v[74:75], v[58:59], v[4:5]
	v_add_f64 v[76:77], v[70:71], v[74:75]
	v_add_f64 v[78:79], v[68:69], -v[76:77]
	v_add_f64 v[68:69], v[68:69], -v[78:79]
	;; [unrolled: 1-line block ×4, first 2 shown]
	v_add_f64 v[56:57], v[56:57], v[68:69]
	v_add_f64 v[68:69], v[70:71], -v[74:75]
	v_add_f64 v[56:57], v[68:69], v[56:57]
	v_add_f64 v[68:69], v[78:79], v[56:57]
	v_add_f64 v[70:71], v[78:79], -v[68:69]
	v_add_f64 v[56:57], v[56:57], v[70:71]
	v_mul_f64 v[70:71], v[72:73], v[68:69]
	v_mul_f64 v[74:75], v[54:55], v[70:71]
	v_fma_f64 v[54:55], v[70:71], v[54:55], -v[74:75]
	v_fmac_f64_e32 v[54:55], v[70:71], v[4:5]
	v_add_f64 v[4:5], v[74:75], v[54:55]
	v_add_f64 v[76:77], v[68:69], -v[4:5]
	v_add_f64 v[68:69], v[68:69], -v[76:77]
	;; [unrolled: 1-line block ×4, first 2 shown]
	v_add_f64 v[4:5], v[56:57], v[4:5]
	v_add_f64 v[54:55], v[74:75], -v[54:55]
	v_add_f64 v[4:5], v[54:55], v[4:5]
	v_add_f64 v[54:55], v[58:59], v[70:71]
	;; [unrolled: 1-line block ×3, first 2 shown]
	v_add_f64 v[56:57], v[54:55], -v[58:59]
	v_mul_f64 v[4:5], v[72:73], v[4:5]
	v_add_f64 v[56:57], v[70:71], -v[56:57]
	v_add_f64 v[4:5], v[56:57], v[4:5]
	v_add_f64 v[56:57], v[54:55], v[4:5]
	v_add_f64 v[54:55], v[56:57], -v[54:55]
	v_add_f64 v[4:5], v[4:5], -v[54:55]
	v_mul_f64 v[54:55], v[56:57], v[56:57]
	v_pk_mov_b32 v[58:59], v[22:23], v[22:23] op_sel:[0,1]
	v_fmac_f64_e32 v[58:59], s[14:15], v[54:55]
	v_pk_mov_b32 v[68:69], v[24:25], v[24:25] op_sel:[0,1]
	v_fmac_f64_e32 v[68:69], v[54:55], v[58:59]
	;; [unrolled: 2-line block ×6, first 2 shown]
	v_cvt_f64_i32_e32 v[58:59], v17
	v_mul_f64 v[70:71], v[58:59], s[16:17]
	v_fma_f64 v[72:73], v[58:59], s[16:17], -v[70:71]
	v_fmac_f64_e32 v[72:73], s[18:19], v[58:59]
	v_add_f64 v[58:59], v[70:71], v[72:73]
	v_add_f64 v[70:71], v[58:59], -v[70:71]
	v_mul_f64 v[54:55], v[56:57], v[54:55]
	v_add_f64 v[70:71], v[72:73], -v[70:71]
	v_ldexp_f64 v[72:73], v[56:57], 1
	v_mul_f64 v[54:55], v[54:55], v[68:69]
	v_add_f64 v[56:57], v[72:73], v[54:55]
	v_add_f64 v[68:69], v[56:57], -v[72:73]
	v_ldexp_f64 v[4:5], v[4:5], 1
	v_add_f64 v[54:55], v[54:55], -v[68:69]
	v_add_f64 v[4:5], v[4:5], v[54:55]
	v_add_f64 v[54:55], v[56:57], v[4:5]
	v_add_f64 v[56:57], v[54:55], -v[56:57]
	v_add_f64 v[4:5], v[4:5], -v[56:57]
	v_add_f64 v[56:57], v[58:59], v[54:55]
	v_add_f64 v[68:69], v[56:57], -v[58:59]
	v_add_f64 v[72:73], v[56:57], -v[68:69]
	;; [unrolled: 1-line block ×4, first 2 shown]
	v_add_f64 v[54:55], v[54:55], v[58:59]
	v_add_f64 v[58:59], v[70:71], v[4:5]
	v_add_f64 v[68:69], v[58:59], -v[70:71]
	v_add_f64 v[54:55], v[58:59], v[54:55]
	v_add_f64 v[72:73], v[58:59], -v[68:69]
	;; [unrolled: 2-line block ×3, first 2 shown]
	v_add_f64 v[4:5], v[4:5], -v[68:69]
	v_add_f64 v[56:57], v[58:59], -v[56:57]
	v_add_f64 v[4:5], v[4:5], v[70:71]
	v_add_f64 v[54:55], v[54:55], -v[56:57]
	v_add_f64 v[4:5], v[4:5], v[54:55]
	v_add_f64 v[4:5], v[58:59], v[4:5]
	v_cmp_eq_f64_e32 vcc, s[22:23], v[52:53]
	v_cndmask_b32_e32 v5, v5, v53, vcc
	v_cndmask_b32_e32 v4, v4, v52, vcc
	v_mul_f64 v[4:5], v[4:5], 0.5
	v_cmp_ngt_f64_e32 vcc, -1.0, v[52:53]
	v_cndmask_b32_e32 v5, v60, v5, vcc
	v_cmp_nge_f64_e32 vcc, -1.0, v[52:53]
	v_cndmask_b32_e32 v4, 0, v4, vcc
	v_cmp_neq_f64_e32 vcc, -1.0, v[52:53]
	v_cndmask_b32_e32 v5, v63, v5, vcc
.LBB210_67:                             ;   in Loop: Header=BB210_50 Depth=1
	s_or_b64 exec, exec, s[8:9]
.LBB210_68:                             ;   in Loop: Header=BB210_50 Depth=1
	s_or_b64 exec, exec, s[6:7]
	v_max_f64 v[52:53], |v[0:1]|, |v[0:1]|
	v_max_f64 v[54:55], |v[2:3]|, |v[2:3]|
	v_max_f64 v[52:53], v[52:53], v[54:55]
	v_frexp_exp_i32_f64_e32 v17, v[52:53]
	v_sub_u32_e32 v56, 0, v17
	v_ldexp_f64 v[52:53], |v[0:1]|, v56
	v_ldexp_f64 v[56:57], |v[2:3]|, v56
	v_mul_f64 v[56:57], v[56:57], v[56:57]
	v_fmac_f64_e32 v[56:57], v[52:53], v[52:53]
	v_rsq_f64_e32 v[52:53], v[56:57]
	v_cmp_eq_f64_e32 vcc, 0, v[56:57]
	v_cmp_class_f64_e64 s[6:7], v[0:1], s93
	v_cmp_class_f64_e64 s[84:85], v[2:3], s93
	v_mul_f64 v[58:59], v[56:57], v[52:53]
	v_mul_f64 v[52:53], v[52:53], 0.5
	v_fma_f64 v[68:69], -v[52:53], v[58:59], 0.5
	v_fmac_f64_e32 v[58:59], v[58:59], v[68:69]
	v_fmac_f64_e32 v[52:53], v[52:53], v[68:69]
	v_fma_f64 v[68:69], -v[58:59], v[58:59], v[56:57]
	v_fmac_f64_e32 v[58:59], v[68:69], v[52:53]
	v_cndmask_b32_e32 v53, v59, v57, vcc
	v_cndmask_b32_e32 v52, v58, v56, vcc
	v_ldexp_f64 v[52:53], v[52:53], v17
	v_cmp_u_f64_e32 vcc, v[0:1], v[2:3]
	s_or_b64 s[88:89], s[6:7], s[84:85]
	v_cmp_ngt_f64_e64 s[8:9], 0.5, v[52:53]
	v_add_f64 v[52:53], v[0:1], 1.0
	s_or_b64 s[88:89], s[88:89], vcc
	v_max_f64 v[56:57], |v[52:53]|, v[54:55]
	v_cmp_o_f64_e64 s[6:7], v[52:53], v[2:3]
	v_cmp_class_f64_e64 s[86:87], v[52:53], s93
	s_or_b64 s[8:9], s[88:89], s[8:9]
	s_and_saveexec_b64 s[88:89], s[8:9]
	s_xor_b64 s[88:89], exec, s[88:89]
	s_cbranch_execz .LBB210_70
; %bb.69:                               ;   in Loop: Header=BB210_50 Depth=1
	v_frexp_exp_i32_f64_e32 v17, v[56:57]
	v_sub_u32_e32 v58, 0, v17
	v_ldexp_f64 v[0:1], |v[52:53]|, v58
	v_ldexp_f64 v[58:59], |v[2:3]|, v58
	v_mul_f64 v[58:59], v[58:59], v[58:59]
	v_fmac_f64_e32 v[58:59], v[0:1], v[0:1]
	v_rsq_f64_e32 v[0:1], v[58:59]
	v_cmp_eq_f64_e32 vcc, 0, v[58:59]
	v_mul_f64 v[68:69], v[58:59], v[0:1]
	v_mul_f64 v[0:1], v[0:1], 0.5
	v_fma_f64 v[70:71], -v[0:1], v[68:69], 0.5
	v_fmac_f64_e32 v[68:69], v[68:69], v[70:71]
	v_fmac_f64_e32 v[0:1], v[0:1], v[70:71]
	v_fma_f64 v[70:71], -v[68:69], v[68:69], v[58:59]
	v_fmac_f64_e32 v[68:69], v[70:71], v[0:1]
	v_cndmask_b32_e32 v1, v69, v59, vcc
	v_cndmask_b32_e32 v0, v68, v58, vcc
	v_ldexp_f64 v[0:1], v[0:1], v17
	v_cndmask_b32_e64 v82, 0, v0, s[6:7]
	v_cndmask_b32_e64 v83, v60, v1, s[6:7]
	s_or_b64 vcc, s[86:87], s[84:85]
	v_cndmask_b32_e32 v59, v83, v61, vcc
	v_cndmask_b32_e64 v58, v82, 0, vcc
	v_frexp_mant_f64_e32 v[68:69], v[58:59]
	v_cmp_gt_f64_e64 s[8:9], s[12:13], v[68:69]
	v_cndmask_b32_e64 v17, v62, 2.0, s[8:9]
	v_frexp_exp_i32_f64_e32 v70, v[58:59]
	v_mul_f64 v[68:69], v[68:69], v[16:17]
	v_subbrev_co_u32_e64 v17, s[8:9], 0, v70, s[8:9]
	v_add_f64 v[70:71], v[68:69], 1.0
	v_rcp_f64_e32 v[72:73], v[70:71]
	v_add_f64 v[76:77], v[70:71], -1.0
	v_add_f64 v[74:75], v[68:69], -1.0
	v_add_f64 v[68:69], v[68:69], -v[76:77]
	v_fma_f64 v[76:77], -v[70:71], v[72:73], 1.0
	v_fmac_f64_e32 v[72:73], v[76:77], v[72:73]
	v_fma_f64 v[76:77], -v[70:71], v[72:73], 1.0
	v_fmac_f64_e32 v[72:73], v[76:77], v[72:73]
	v_mul_f64 v[76:77], v[74:75], v[72:73]
	v_mul_f64 v[78:79], v[70:71], v[76:77]
	v_fma_f64 v[70:71], v[76:77], v[70:71], -v[78:79]
	v_fmac_f64_e32 v[70:71], v[76:77], v[68:69]
	v_add_f64 v[68:69], v[78:79], v[70:71]
	v_add_f64 v[80:81], v[74:75], -v[68:69]
	v_add_f64 v[78:79], v[68:69], -v[78:79]
	;; [unrolled: 1-line block ×5, first 2 shown]
	v_add_f64 v[68:69], v[70:71], v[68:69]
	v_add_f64 v[68:69], v[80:81], v[68:69]
	v_mul_f64 v[68:69], v[72:73], v[68:69]
	v_add_f64 v[70:71], v[76:77], v[68:69]
	v_add_f64 v[72:73], v[70:71], -v[76:77]
	v_add_f64 v[68:69], v[68:69], -v[72:73]
	v_mul_f64 v[72:73], v[70:71], v[70:71]
	v_pk_mov_b32 v[74:75], v[22:23], v[22:23] op_sel:[0,1]
	v_fmac_f64_e32 v[74:75], s[14:15], v[72:73]
	v_pk_mov_b32 v[76:77], v[24:25], v[24:25] op_sel:[0,1]
	v_fmac_f64_e32 v[76:77], v[72:73], v[74:75]
	;; [unrolled: 2-line block ×6, first 2 shown]
	v_ldexp_f64 v[74:75], v[70:71], 1
	v_mul_f64 v[70:71], v[70:71], v[72:73]
	v_mul_f64 v[70:71], v[70:71], v[76:77]
	v_add_f64 v[72:73], v[74:75], v[70:71]
	v_add_f64 v[74:75], v[72:73], -v[74:75]
	v_ldexp_f64 v[68:69], v[68:69], 1
	v_add_f64 v[70:71], v[70:71], -v[74:75]
	v_add_f64 v[68:69], v[68:69], v[70:71]
	v_add_f64 v[70:71], v[72:73], v[68:69]
	v_add_f64 v[72:73], v[70:71], -v[72:73]
	v_add_f64 v[68:69], v[68:69], -v[72:73]
	v_cvt_f64_i32_e32 v[72:73], v17
	v_mul_f64 v[74:75], v[72:73], s[16:17]
	v_fma_f64 v[76:77], v[72:73], s[16:17], -v[74:75]
	v_fmac_f64_e32 v[76:77], s[18:19], v[72:73]
	v_add_f64 v[72:73], v[74:75], v[76:77]
	v_add_f64 v[74:75], v[72:73], -v[74:75]
	v_add_f64 v[74:75], v[76:77], -v[74:75]
	v_add_f64 v[76:77], v[72:73], v[70:71]
	v_add_f64 v[78:79], v[76:77], -v[72:73]
	v_add_f64 v[80:81], v[76:77], -v[78:79]
	;; [unrolled: 1-line block ×4, first 2 shown]
	v_add_f64 v[70:71], v[70:71], v[72:73]
	v_add_f64 v[72:73], v[74:75], v[68:69]
	v_add_f64 v[78:79], v[72:73], -v[74:75]
	v_add_f64 v[80:81], v[72:73], -v[78:79]
	v_add_f64 v[70:71], v[72:73], v[70:71]
	v_add_f64 v[74:75], v[74:75], -v[80:81]
	v_add_f64 v[68:69], v[68:69], -v[78:79]
	v_add_f64 v[72:73], v[76:77], v[70:71]
	v_add_f64 v[68:69], v[68:69], v[74:75]
	v_add_f64 v[74:75], v[72:73], -v[76:77]
	v_add_f64 v[70:71], v[70:71], -v[74:75]
	v_and_b32_e32 v1, 0x7fffffff, v1
	v_add_f64 v[68:69], v[68:69], v[70:71]
	v_cmp_eq_f64_e64 s[8:9], s[22:23], v[0:1]
	v_add_f64 v[68:69], v[72:73], v[68:69]
	s_and_b64 s[8:9], s[6:7], s[8:9]
	v_cndmask_b32_e64 v0, v69, v83, s[8:9]
	v_cndmask_b32_e64 v1, v68, v82, s[8:9]
	v_cndmask_b32_e64 v1, v1, 0, vcc
	v_cndmask_b32_e32 v0, v0, v61, vcc
	v_cmp_ngt_f64_e32 vcc, 0, v[58:59]
	v_cndmask_b32_e32 v17, v60, v0, vcc
	v_cmp_nge_f64_e32 vcc, 0, v[58:59]
	v_cndmask_b32_e32 v0, 0, v1, vcc
	v_cmp_neq_f64_e32 vcc, 0, v[58:59]
	v_cndmask_b32_e32 v1, v63, v17, vcc
.LBB210_70:                             ;   in Loop: Header=BB210_50 Depth=1
	s_andn2_saveexec_b64 s[8:9], s[88:89]
	s_cbranch_execz .LBB210_49
; %bb.71:                               ;   in Loop: Header=BB210_50 Depth=1
	v_add_f64 v[68:69], v[0:1], 2.0
	v_mul_f64 v[58:59], v[2:3], v[2:3]
	v_fmac_f64_e32 v[58:59], v[0:1], v[68:69]
	v_cmp_neq_f64_e32 vcc, 0, v[58:59]
	s_and_saveexec_b64 s[88:89], vcc
	s_cbranch_execz .LBB210_48
; %bb.72:                               ;   in Loop: Header=BB210_50 Depth=1
	v_add_f64 v[0:1], v[58:59], 1.0
	v_add_f64 v[68:69], v[0:1], -1.0
	v_add_f64 v[70:71], v[68:69], -v[0:1]
	v_add_f64 v[70:71], v[70:71], 1.0
	v_add_f64 v[68:69], v[58:59], -v[68:69]
	v_add_f64 v[68:69], v[68:69], v[70:71]
	v_frexp_mant_f64_e32 v[70:71], v[0:1]
	v_frexp_exp_i32_f64_e32 v17, v[0:1]
	v_cmp_gt_f64_e32 vcc, s[12:13], v[70:71]
	v_subbrev_co_u32_e32 v17, vcc, 0, v17, vcc
	v_sub_u32_e32 v70, 0, v17
	v_ldexp_f64 v[0:1], v[0:1], v70
	v_ldexp_f64 v[68:69], v[68:69], v70
	v_add_f64 v[70:71], v[0:1], -1.0
	v_add_f64 v[76:77], v[0:1], 1.0
	v_add_f64 v[72:73], v[70:71], 1.0
	v_add_f64 v[78:79], v[76:77], -1.0
	v_add_f64 v[72:73], v[0:1], -v[72:73]
	v_add_f64 v[0:1], v[0:1], -v[78:79]
	v_add_f64 v[0:1], v[68:69], v[0:1]
	v_add_f64 v[72:73], v[68:69], v[72:73]
	v_add_f64 v[68:69], v[76:77], v[0:1]
	v_rcp_f64_e32 v[78:79], v[68:69]
	v_add_f64 v[74:75], v[70:71], v[72:73]
	v_add_f64 v[70:71], v[74:75], -v[70:71]
	v_add_f64 v[70:71], v[72:73], -v[70:71]
	v_add_f64 v[72:73], v[68:69], -v[76:77]
	v_add_f64 v[0:1], v[0:1], -v[72:73]
	v_fma_f64 v[72:73], -v[68:69], v[78:79], 1.0
	v_fmac_f64_e32 v[78:79], v[72:73], v[78:79]
	v_fma_f64 v[72:73], -v[68:69], v[78:79], 1.0
	v_fmac_f64_e32 v[78:79], v[72:73], v[78:79]
	v_mul_f64 v[72:73], v[74:75], v[78:79]
	v_mul_f64 v[76:77], v[68:69], v[72:73]
	v_fma_f64 v[80:81], v[72:73], v[68:69], -v[76:77]
	v_fmac_f64_e32 v[80:81], v[72:73], v[0:1]
	v_add_f64 v[82:83], v[76:77], v[80:81]
	v_add_f64 v[84:85], v[74:75], -v[82:83]
	v_add_f64 v[74:75], v[74:75], -v[84:85]
	;; [unrolled: 1-line block ×4, first 2 shown]
	v_add_f64 v[70:71], v[70:71], v[74:75]
	v_add_f64 v[74:75], v[76:77], -v[80:81]
	v_add_f64 v[70:71], v[74:75], v[70:71]
	v_add_f64 v[74:75], v[84:85], v[70:71]
	v_add_f64 v[76:77], v[84:85], -v[74:75]
	v_add_f64 v[70:71], v[70:71], v[76:77]
	v_mul_f64 v[76:77], v[78:79], v[74:75]
	v_mul_f64 v[80:81], v[68:69], v[76:77]
	v_fma_f64 v[68:69], v[76:77], v[68:69], -v[80:81]
	v_fmac_f64_e32 v[68:69], v[76:77], v[0:1]
	v_add_f64 v[0:1], v[80:81], v[68:69]
	v_add_f64 v[82:83], v[74:75], -v[0:1]
	v_add_f64 v[74:75], v[74:75], -v[82:83]
	;; [unrolled: 1-line block ×4, first 2 shown]
	v_add_f64 v[0:1], v[70:71], v[0:1]
	v_add_f64 v[68:69], v[80:81], -v[68:69]
	v_add_f64 v[0:1], v[68:69], v[0:1]
	v_add_f64 v[68:69], v[72:73], v[76:77]
	v_add_f64 v[0:1], v[82:83], v[0:1]
	v_add_f64 v[70:71], v[68:69], -v[72:73]
	v_mul_f64 v[0:1], v[78:79], v[0:1]
	v_add_f64 v[70:71], v[76:77], -v[70:71]
	v_add_f64 v[0:1], v[70:71], v[0:1]
	v_add_f64 v[70:71], v[68:69], v[0:1]
	v_add_f64 v[68:69], v[70:71], -v[68:69]
	v_add_f64 v[0:1], v[0:1], -v[68:69]
	v_mul_f64 v[68:69], v[70:71], v[70:71]
	v_pk_mov_b32 v[72:73], v[22:23], v[22:23] op_sel:[0,1]
	v_fmac_f64_e32 v[72:73], s[14:15], v[68:69]
	v_pk_mov_b32 v[74:75], v[24:25], v[24:25] op_sel:[0,1]
	v_fmac_f64_e32 v[74:75], v[68:69], v[72:73]
	;; [unrolled: 2-line block ×6, first 2 shown]
	v_cvt_f64_i32_e32 v[72:73], v17
	v_mul_f64 v[76:77], v[72:73], s[16:17]
	v_fma_f64 v[78:79], v[72:73], s[16:17], -v[76:77]
	v_fmac_f64_e32 v[78:79], s[18:19], v[72:73]
	v_add_f64 v[72:73], v[76:77], v[78:79]
	v_add_f64 v[76:77], v[72:73], -v[76:77]
	v_mul_f64 v[68:69], v[70:71], v[68:69]
	v_add_f64 v[76:77], v[78:79], -v[76:77]
	v_ldexp_f64 v[78:79], v[70:71], 1
	v_mul_f64 v[68:69], v[68:69], v[74:75]
	v_add_f64 v[70:71], v[78:79], v[68:69]
	v_add_f64 v[74:75], v[70:71], -v[78:79]
	v_ldexp_f64 v[0:1], v[0:1], 1
	v_add_f64 v[68:69], v[68:69], -v[74:75]
	v_add_f64 v[0:1], v[0:1], v[68:69]
	v_add_f64 v[68:69], v[70:71], v[0:1]
	v_add_f64 v[70:71], v[68:69], -v[70:71]
	v_add_f64 v[0:1], v[0:1], -v[70:71]
	v_add_f64 v[70:71], v[72:73], v[68:69]
	v_add_f64 v[74:75], v[70:71], -v[72:73]
	v_add_f64 v[78:79], v[70:71], -v[74:75]
	;; [unrolled: 1-line block ×4, first 2 shown]
	v_add_f64 v[68:69], v[68:69], v[72:73]
	v_add_f64 v[72:73], v[76:77], v[0:1]
	v_add_f64 v[74:75], v[72:73], -v[76:77]
	v_add_f64 v[68:69], v[72:73], v[68:69]
	v_add_f64 v[78:79], v[72:73], -v[74:75]
	;; [unrolled: 2-line block ×3, first 2 shown]
	v_add_f64 v[0:1], v[0:1], -v[74:75]
	v_add_f64 v[70:71], v[72:73], -v[70:71]
	v_add_f64 v[0:1], v[0:1], v[76:77]
	v_add_f64 v[68:69], v[68:69], -v[70:71]
	v_add_f64 v[0:1], v[0:1], v[68:69]
	v_add_f64 v[0:1], v[72:73], v[0:1]
	v_cmp_eq_f64_e32 vcc, s[22:23], v[58:59]
	v_cndmask_b32_e32 v1, v1, v59, vcc
	v_cndmask_b32_e32 v0, v0, v58, vcc
	v_mul_f64 v[0:1], v[0:1], 0.5
	v_cmp_ngt_f64_e32 vcc, -1.0, v[58:59]
	v_cndmask_b32_e32 v1, v60, v1, vcc
	v_cmp_nge_f64_e32 vcc, -1.0, v[58:59]
	v_cndmask_b32_e32 v0, 0, v0, vcc
	v_cmp_neq_f64_e32 vcc, -1.0, v[58:59]
	v_cndmask_b32_e32 v1, v63, v1, vcc
	s_branch .LBB210_48
.LBB210_73:
	s_endpgm
	.section	.rodata,"a",@progbits
	.p2align	6, 0x0
	.amdhsa_kernel _ZN2at6native12_GLOBAL__N_125multi_tensor_apply_kernelINS1_18TensorListMetadataILi1EEENS1_14UnaryOpFunctorIN3c107complexIdEELi1ELi1ELi0EEEJNS0_5Log1pIS8_EEEEEvT_T0_DpT1_
		.amdhsa_group_segment_fixed_size 0
		.amdhsa_private_segment_fixed_size 0
		.amdhsa_kernarg_size 3632
		.amdhsa_user_sgpr_count 6
		.amdhsa_user_sgpr_private_segment_buffer 1
		.amdhsa_user_sgpr_dispatch_ptr 0
		.amdhsa_user_sgpr_queue_ptr 0
		.amdhsa_user_sgpr_kernarg_segment_ptr 1
		.amdhsa_user_sgpr_dispatch_id 0
		.amdhsa_user_sgpr_flat_scratch_init 0
		.amdhsa_user_sgpr_kernarg_preload_length 0
		.amdhsa_user_sgpr_kernarg_preload_offset 0
		.amdhsa_user_sgpr_private_segment_size 0
		.amdhsa_uses_dynamic_stack 0
		.amdhsa_system_sgpr_private_segment_wavefront_offset 0
		.amdhsa_system_sgpr_workgroup_id_x 1
		.amdhsa_system_sgpr_workgroup_id_y 0
		.amdhsa_system_sgpr_workgroup_id_z 0
		.amdhsa_system_sgpr_workgroup_info 0
		.amdhsa_system_vgpr_workitem_id 0
		.amdhsa_next_free_vgpr 134
		.amdhsa_next_free_sgpr 95
		.amdhsa_accum_offset 136
		.amdhsa_reserve_vcc 1
		.amdhsa_reserve_flat_scratch 0
		.amdhsa_float_round_mode_32 0
		.amdhsa_float_round_mode_16_64 0
		.amdhsa_float_denorm_mode_32 3
		.amdhsa_float_denorm_mode_16_64 3
		.amdhsa_dx10_clamp 1
		.amdhsa_ieee_mode 1
		.amdhsa_fp16_overflow 0
		.amdhsa_tg_split 0
		.amdhsa_exception_fp_ieee_invalid_op 0
		.amdhsa_exception_fp_denorm_src 0
		.amdhsa_exception_fp_ieee_div_zero 0
		.amdhsa_exception_fp_ieee_overflow 0
		.amdhsa_exception_fp_ieee_underflow 0
		.amdhsa_exception_fp_ieee_inexact 0
		.amdhsa_exception_int_div_zero 0
	.end_amdhsa_kernel
	.section	.text._ZN2at6native12_GLOBAL__N_125multi_tensor_apply_kernelINS1_18TensorListMetadataILi1EEENS1_14UnaryOpFunctorIN3c107complexIdEELi1ELi1ELi0EEEJNS0_5Log1pIS8_EEEEEvT_T0_DpT1_,"axG",@progbits,_ZN2at6native12_GLOBAL__N_125multi_tensor_apply_kernelINS1_18TensorListMetadataILi1EEENS1_14UnaryOpFunctorIN3c107complexIdEELi1ELi1ELi0EEEJNS0_5Log1pIS8_EEEEEvT_T0_DpT1_,comdat
.Lfunc_end210:
	.size	_ZN2at6native12_GLOBAL__N_125multi_tensor_apply_kernelINS1_18TensorListMetadataILi1EEENS1_14UnaryOpFunctorIN3c107complexIdEELi1ELi1ELi0EEEJNS0_5Log1pIS8_EEEEEvT_T0_DpT1_, .Lfunc_end210-_ZN2at6native12_GLOBAL__N_125multi_tensor_apply_kernelINS1_18TensorListMetadataILi1EEENS1_14UnaryOpFunctorIN3c107complexIdEELi1ELi1ELi0EEEJNS0_5Log1pIS8_EEEEEvT_T0_DpT1_
                                        ; -- End function
	.section	.AMDGPU.csdata,"",@progbits
; Kernel info:
; codeLenInByte = 22116
; NumSgprs: 99
; NumVgprs: 134
; NumAgprs: 0
; TotalNumVgprs: 134
; ScratchSize: 0
; MemoryBound: 1
; FloatMode: 240
; IeeeMode: 1
; LDSByteSize: 0 bytes/workgroup (compile time only)
; SGPRBlocks: 12
; VGPRBlocks: 16
; NumSGPRsForWavesPerEU: 99
; NumVGPRsForWavesPerEU: 134
; AccumOffset: 136
; Occupancy: 3
; WaveLimiterHint : 0
; COMPUTE_PGM_RSRC2:SCRATCH_EN: 0
; COMPUTE_PGM_RSRC2:USER_SGPR: 6
; COMPUTE_PGM_RSRC2:TRAP_HANDLER: 0
; COMPUTE_PGM_RSRC2:TGID_X_EN: 1
; COMPUTE_PGM_RSRC2:TGID_Y_EN: 0
; COMPUTE_PGM_RSRC2:TGID_Z_EN: 0
; COMPUTE_PGM_RSRC2:TIDIG_COMP_CNT: 0
; COMPUTE_PGM_RSRC3_GFX90A:ACCUM_OFFSET: 33
; COMPUTE_PGM_RSRC3_GFX90A:TG_SPLIT: 0
	.section	.text._ZN2at6native12_GLOBAL__N_125multi_tensor_apply_kernelINS1_18TensorListMetadataILi1EEENS1_14UnaryOpFunctorIN3c107complexIfEELi1ELi1ELi0EEEJNS0_5Log1pIS8_EEEEEvT_T0_DpT1_,"axG",@progbits,_ZN2at6native12_GLOBAL__N_125multi_tensor_apply_kernelINS1_18TensorListMetadataILi1EEENS1_14UnaryOpFunctorIN3c107complexIfEELi1ELi1ELi0EEEJNS0_5Log1pIS8_EEEEEvT_T0_DpT1_,comdat
	.globl	_ZN2at6native12_GLOBAL__N_125multi_tensor_apply_kernelINS1_18TensorListMetadataILi1EEENS1_14UnaryOpFunctorIN3c107complexIfEELi1ELi1ELi0EEEJNS0_5Log1pIS8_EEEEEvT_T0_DpT1_ ; -- Begin function _ZN2at6native12_GLOBAL__N_125multi_tensor_apply_kernelINS1_18TensorListMetadataILi1EEENS1_14UnaryOpFunctorIN3c107complexIfEELi1ELi1ELi0EEEJNS0_5Log1pIS8_EEEEEvT_T0_DpT1_
	.p2align	8
	.type	_ZN2at6native12_GLOBAL__N_125multi_tensor_apply_kernelINS1_18TensorListMetadataILi1EEENS1_14UnaryOpFunctorIN3c107complexIfEELi1ELi1ELi0EEEJNS0_5Log1pIS8_EEEEEvT_T0_DpT1_,@function
_ZN2at6native12_GLOBAL__N_125multi_tensor_apply_kernelINS1_18TensorListMetadataILi1EEENS1_14UnaryOpFunctorIN3c107complexIfEELi1ELi1ELi0EEEJNS0_5Log1pIS8_EEEEEvT_T0_DpT1_: ; @_ZN2at6native12_GLOBAL__N_125multi_tensor_apply_kernelINS1_18TensorListMetadataILi1EEENS1_14UnaryOpFunctorIN3c107complexIfEELi1ELi1ELi0EEEJNS0_5Log1pIS8_EEEEEvT_T0_DpT1_
; %bb.0:
	v_mov_b32_e32 v1, s6
	global_load_ubyte v1, v1, s[4:5] offset:1760
	s_add_u32 s0, s4, s6
	s_mul_hi_u32 s1, s6, 3
	s_mul_i32 s6, s6, 3
	s_addc_u32 s2, s5, 0
	s_add_u32 s0, s0, s6
	s_addc_u32 s1, s2, s1
	s_load_dword s0, s[0:1], 0x820
	s_mov_b32 s7, 0
	s_waitcnt vmcnt(0)
	v_readfirstlane_b32 s1, v1
	s_lshl_b32 s1, s1, 3
	s_load_dwordx2 s[14:15], s[4:5], s1 offset:0x0
	s_load_dwordx2 s[2:3], s[4:5], s1 offset:0x370
	s_waitcnt lgkmcnt(0)
	s_ashr_i32 s1, s0, 31
	s_lshl_b64 s[16:17], s[0:1], 19
	s_add_u32 s24, s14, s16
	s_addc_u32 s25, s15, s17
	s_lshl_b64 s[0:1], s[0:1], 16
	s_and_b32 s6, s24, 31
	s_sub_u32 s12, s2, s0
	s_subb_u32 s13, s3, s1
	s_and_b32 s0, s2, 3
	s_mov_b32 s1, s7
	s_or_b64 s[0:1], s[6:7], s[0:1]
	s_cmp_eq_u64 s[0:1], 0
	s_cbranch_scc1 .LBB211_45
; %bb.1:
	v_cmp_lt_i64_e64 s[0:1], s[12:13], 1
	s_and_b64 vcc, exec, s[0:1]
	s_cbranch_vccnz .LBB211_44
; %bb.2:
	s_load_dword s0, s[4:5], 0xd3c
	v_mov_b32_e32 v4, 0x10000
	v_mov_b32_e32 v5, 0
	v_cmp_lt_u64_e32 vcc, s[12:13], v[4:5]
	v_mov_b32_e32 v3, 0
	s_waitcnt lgkmcnt(0)
	s_and_b32 s2, s0, 0xffff
	s_mul_i32 s6, s2, 3
	s_and_b64 s[0:1], vcc, exec
	v_lshlrev_b32_e32 v2, 3, v0
	v_add_co_u32_e32 v1, vcc, s6, v0
	v_mad_u64_u32 v[4:5], s[0:1], s2, 24, v[2:3]
	v_addc_co_u32_e64 v3, s[0:1], 0, 0, vcc
	s_cselect_b32 s19, s13, 0
	s_cselect_b32 s18, s12, 0x10000
	s_lshl_b32 s0, s2, 4
	s_lshl_b32 s3, s2, 1
	v_add_co_u32_e32 v7, vcc, s0, v2
	v_addc_co_u32_e64 v18, s[0:1], 0, 0, vcc
	v_add_co_u32_e32 v19, vcc, s3, v0
	v_addc_co_u32_e64 v20, s[0:1], 0, 0, vcc
	v_add_co_u32_e32 v21, vcc, s2, v0
	s_lshl_b32 s26, s2, 2
	s_lshl_b32 s27, s2, 5
	v_addc_co_u32_e64 v22, s[0:1], 0, 0, vcc
	v_lshlrev_b32_e32 v6, 3, v21
	s_mov_b64 s[20:21], 0
	s_mov_b32 s28, 0x7f800000
	s_mov_b32 s29, 0x800000
	;; [unrolled: 1-line block ×4, first 2 shown]
	v_mov_b32_e32 v23, 0x3f2aaada
	s_mov_b32 s33, 0x3f317218
	s_mov_b32 s34, 0x33800000
	s_movk_i32 s35, 0x204
	v_mov_b32_e32 v24, 0x3d29fb3f
	v_mov_b32_e32 v25, 0xbd97d4d7
	;; [unrolled: 1-line block ×6, first 2 shown]
	s_brev_b32 s36, -2
	v_mov_b32_e32 v30, 0x7f800000
	v_mov_b32_e32 v31, 0x4f800000
	;; [unrolled: 1-line block ×9, first 2 shown]
	s_branch .LBB211_4
.LBB211_3:                              ;   in Loop: Header=BB211_4 Depth=1
	s_or_b64 exec, exec, s[2:3]
	s_add_u32 s20, s20, s26
	s_addc_u32 s21, s21, 0
	v_pk_mov_b32 v[10:11], s[12:13], s[12:13] op_sel:[0,1]
	v_cmp_ge_i64_e32 vcc, s[20:21], v[10:11]
	v_mov_b32_e32 v10, 0xffff
	v_mov_b32_e32 v11, 0
	v_cmp_gt_u64_e64 s[0:1], s[20:21], v[10:11]
	s_or_b64 s[0:1], vcc, s[0:1]
	s_add_u32 s24, s24, s27
	s_addc_u32 s25, s25, 0
	s_and_b64 vcc, exec, s[0:1]
	s_cbranch_vccnz .LBB211_44
.LBB211_4:                              ; =>This Inner Loop Header: Depth=1
	v_mov_b32_e32 v9, s21
	v_add_co_u32_e32 v10, vcc, s20, v0
	v_addc_co_u32_e32 v11, vcc, 0, v9, vcc
	v_cmp_gt_u64_e64 s[6:7], s[18:19], v[10:11]
	v_mov_b32_e32 v16, 0
	v_mov_b32_e32 v17, 0
	s_and_saveexec_b64 s[0:1], s[6:7]
	s_cbranch_execz .LBB211_6
; %bb.5:                                ;   in Loop: Header=BB211_4 Depth=1
	v_mov_b32_e32 v9, s25
	v_add_co_u32_e32 v10, vcc, s24, v2
	v_addc_co_u32_e32 v11, vcc, 0, v9, vcc
	global_load_dwordx2 v[16:17], v[10:11], off
.LBB211_6:                              ;   in Loop: Header=BB211_4 Depth=1
	s_or_b64 exec, exec, s[0:1]
	v_mov_b32_e32 v9, s21
	v_add_co_u32_e32 v10, vcc, s20, v21
	v_addc_co_u32_e32 v11, vcc, v22, v9, vcc
	v_cmp_gt_u64_e64 s[2:3], s[18:19], v[10:11]
	v_mov_b32_e32 v12, 0
	v_mov_b32_e32 v14, 0
	;; [unrolled: 1-line block ×3, first 2 shown]
	s_and_saveexec_b64 s[0:1], s[2:3]
	s_cbranch_execz .LBB211_8
; %bb.7:                                ;   in Loop: Header=BB211_4 Depth=1
	v_mov_b32_e32 v9, s25
	v_add_co_u32_e32 v10, vcc, s24, v6
	v_addc_co_u32_e32 v11, vcc, 0, v9, vcc
	global_load_dwordx2 v[14:15], v[10:11], off
.LBB211_8:                              ;   in Loop: Header=BB211_4 Depth=1
	s_or_b64 exec, exec, s[0:1]
	v_mov_b32_e32 v9, s21
	v_add_co_u32_e32 v10, vcc, s20, v19
	v_addc_co_u32_e32 v11, vcc, v20, v9, vcc
	v_cmp_gt_u64_e64 s[0:1], s[18:19], v[10:11]
	v_mov_b32_e32 v13, 0
	s_and_saveexec_b64 s[8:9], s[0:1]
	s_cbranch_execz .LBB211_10
; %bb.9:                                ;   in Loop: Header=BB211_4 Depth=1
	v_mov_b32_e32 v9, s25
	v_add_co_u32_e32 v10, vcc, s24, v7
	v_addc_co_u32_e32 v11, vcc, v9, v18, vcc
	global_load_dwordx2 v[12:13], v[10:11], off
.LBB211_10:                             ;   in Loop: Header=BB211_4 Depth=1
	s_or_b64 exec, exec, s[8:9]
	v_mov_b32_e32 v9, s21
	v_add_co_u32_e32 v10, vcc, s20, v1
	v_addc_co_u32_e32 v11, vcc, v3, v9, vcc
	v_cmp_gt_u64_e32 vcc, s[18:19], v[10:11]
	v_mov_b32_e32 v10, 0
	v_mov_b32_e32 v11, 0
	s_and_saveexec_b64 s[10:11], vcc
	s_cbranch_execz .LBB211_12
; %bb.11:                               ;   in Loop: Header=BB211_4 Depth=1
	v_mov_b32_e32 v9, s25
	v_add_co_u32_e64 v10, s[8:9], s24, v4
	v_addc_co_u32_e64 v11, s[8:9], v9, v5, s[8:9]
	global_load_dwordx2 v[10:11], v[10:11], off
.LBB211_12:                             ;   in Loop: Header=BB211_4 Depth=1
	s_or_b64 exec, exec, s[10:11]
	s_waitcnt vmcnt(0)
	v_max_f32_e64 v9, |v16|, |v16|
	v_max_f32_e64 v39, |v17|, |v17|
	v_max_f32_e32 v9, v9, v39
	v_cvt_f64_f32_e32 v[40:41], v9
	v_frexp_exp_i32_f64_e32 v38, v[40:41]
	v_sub_u32_e32 v40, 0, v38
	v_ldexp_f32 v41, |v16|, v40
	v_ldexp_f32 v40, |v17|, v40
	v_mul_f32_e32 v40, v40, v40
	v_fmac_f32_e32 v40, v41, v41
	v_sqrt_f32_e32 v40, v40
	v_cmp_eq_f32_e64 s[8:9], s28, v9
	v_ldexp_f32 v9, v40, v38
	v_cmp_ngt_f32_e64 s[10:11], 0.5, v9
	v_add_f32_e32 v38, 1.0, v16
	v_max_f32_e64 v40, |v38|, v39
	s_or_b64 s[8:9], s[8:9], s[10:11]
	s_and_saveexec_b64 s[10:11], s[8:9]
	s_xor_b64 s[22:23], exec, s[10:11]
	s_cbranch_execz .LBB211_14
; %bb.13:                               ;   in Loop: Header=BB211_4 Depth=1
	v_cvt_f64_f32_e32 v[42:43], v40
	v_frexp_exp_i32_f64_e32 v9, v[42:43]
	v_sub_u32_e32 v16, 0, v9
	v_ldexp_f32 v41, |v38|, v16
	v_ldexp_f32 v16, |v17|, v16
	v_mul_f32_e32 v16, v16, v16
	v_fmac_f32_e32 v16, v41, v41
	v_sqrt_f32_e32 v16, v16
	v_cmp_neq_f32_e64 s[8:9], s28, v40
	v_ldexp_f32 v9, v16, v9
	v_cndmask_b32_e64 v9, v30, v9, s[8:9]
	v_cmp_gt_f32_e64 s[8:9], s29, v9
	v_cndmask_b32_e64 v16, 1.0, v31, s[8:9]
	v_mul_f32_e32 v9, v9, v16
	v_log_f32_e32 v9, v9
	v_mul_f32_e32 v16, 0x3f317217, v9
	v_fma_f32 v41, v9, s30, -v16
	v_fmac_f32_e32 v41, 0x3377d1cf, v9
	v_add_f32_e32 v16, v16, v41
	v_cmp_lt_f32_e64 s[10:11], |v9|, s28
	v_cndmask_b32_e64 v9, v9, v16, s[10:11]
	v_cndmask_b32_e64 v16, 0, v32, s[8:9]
	v_sub_f32_e32 v16, v9, v16
.LBB211_14:                             ;   in Loop: Header=BB211_4 Depth=1
	s_andn2_saveexec_b64 s[10:11], s[22:23]
	s_cbranch_execz .LBB211_18
; %bb.15:                               ;   in Loop: Header=BB211_4 Depth=1
	v_add_f32_e32 v9, 2.0, v16
	v_mul_f32_e32 v41, v17, v17
	v_fmac_f32_e32 v41, v16, v9
	v_cmp_neq_f32_e64 s[8:9], 0, v41
	s_and_saveexec_b64 s[22:23], s[8:9]
	s_cbranch_execz .LBB211_17
; %bb.16:                               ;   in Loop: Header=BB211_4 Depth=1
	v_add_f32_e32 v9, 1.0, v41
	v_add_f32_e32 v16, -1.0, v9
	v_sub_f32_e32 v42, v16, v9
	v_add_f32_e32 v42, 1.0, v42
	v_sub_f32_e32 v16, v41, v16
	v_add_f32_e32 v16, v16, v42
	v_frexp_mant_f32_e32 v44, v9
	v_cvt_f64_f32_e32 v[42:43], v9
	v_frexp_exp_i32_f64_e32 v42, v[42:43]
	v_cmp_gt_f32_e64 s[8:9], s31, v44
	v_subbrev_co_u32_e64 v50, s[8:9], 0, v42, s[8:9]
	v_sub_u32_e32 v42, 0, v50
	v_ldexp_f32 v9, v9, v42
	v_ldexp_f32 v16, v16, v42
	v_add_f32_e32 v42, -1.0, v9
	v_add_f32_e32 v43, 1.0, v42
	v_sub_f32_e32 v43, v9, v43
	v_add_f32_e32 v44, v16, v43
	v_add_f32_e32 v43, 1.0, v9
	v_add_f32_e32 v45, -1.0, v43
	v_sub_f32_e32 v9, v9, v45
	v_add_f32_e32 v9, v16, v9
	v_add_f32_e32 v16, v43, v9
	v_rcp_f32_e32 v51, v16
	v_sub_f32_e32 v43, v16, v43
	v_sub_f32_e32 v9, v9, v43
	v_add_f32_e32 v43, v42, v44
	v_sub_f32_e32 v42, v43, v42
	v_mul_f32_e32 v53, v43, v51
	v_sub_f32_e32 v52, v44, v42
	v_mul_f32_e32 v44, v16, v53
	v_fma_f32 v46, v53, v16, -v44
	v_fmac_f32_e32 v46, v53, v9
	v_add_f32_e32 v42, v44, v46
	v_sub_f32_e32 v45, v43, v42
	v_pk_add_f32 v[48:49], v[42:43], v[44:45] neg_lo:[0,1] neg_hi:[0,1]
	v_mov_b32_e32 v47, v42
	v_pk_add_f32 v[42:43], v[48:49], v[46:47] neg_lo:[0,1] neg_hi:[0,1]
	v_add_f32_e32 v43, v52, v43
	v_add_f32_e32 v42, v42, v43
	;; [unrolled: 1-line block ×3, first 2 shown]
	v_mul_f32_e32 v52, v51, v43
	v_mul_f32_e32 v44, v16, v52
	v_fma_f32 v46, v52, v16, -v44
	v_fmac_f32_e32 v46, v52, v9
	v_sub_f32_e32 v9, v45, v43
	v_add_f32_e32 v9, v42, v9
	v_add_f32_e32 v42, v44, v46
	v_sub_f32_e32 v45, v43, v42
	v_pk_add_f32 v[48:49], v[42:43], v[44:45] neg_lo:[0,1] neg_hi:[0,1]
	v_mov_b32_e32 v47, v42
	v_pk_add_f32 v[42:43], v[48:49], v[46:47] neg_lo:[0,1] neg_hi:[0,1]
	v_add_f32_e32 v9, v9, v43
	v_add_f32_e32 v9, v42, v9
	;; [unrolled: 1-line block ×4, first 2 shown]
	v_sub_f32_e32 v42, v16, v53
	v_mul_f32_e32 v9, v51, v9
	v_sub_f32_e32 v42, v52, v42
	v_add_f32_e32 v43, v42, v9
	v_add_f32_e32 v44, v16, v43
	v_cvt_f32_i32_e32 v42, v50
	v_mul_f32_e32 v46, v44, v44
	v_mov_b32_e32 v9, 0x3ecc95a3
	v_fmac_f32_e32 v9, 0x3e9b6dac, v46
	v_sub_f32_e32 v16, v44, v16
	v_fma_f32 v9, v46, v9, v23
	v_sub_f32_e32 v16, v43, v16
	v_mul_f32_e32 v43, v44, v46
	v_pk_mul_f32 v[46:47], v[42:43], v[8:9]
	v_ldexp_f32 v45, v44, 1
	v_fma_f32 v44, v42, s33, -v46
	v_fmac_f32_e32 v44, 0xb102e308, v42
	v_pk_add_f32 v[42:43], v[46:47], v[44:45]
	v_sub_f32_e32 v9, v43, v45
	v_ldexp_f32 v16, v16, 1
	v_sub_f32_e32 v9, v47, v9
	v_add_f32_e32 v49, v16, v9
	v_mov_b32_e32 v48, v46
	v_pk_add_f32 v[46:47], v[42:43], v[46:47] neg_lo:[0,1] neg_hi:[0,1]
	v_pk_add_f32 v[50:51], v[42:43], v[48:49]
	v_mov_b32_e32 v47, v51
	v_mov_b32_e32 v45, v42
	v_pk_add_f32 v[52:53], v[44:45], v[46:47] neg_lo:[0,1] neg_hi:[0,1]
	v_pk_add_f32 v[44:45], v[44:45], v[46:47]
	v_mov_b32_e32 v16, v45
	v_pk_add_f32 v[46:47], v[16:17], v[42:43] neg_lo:[0,1] neg_hi:[0,1]
	v_mov_b32_e32 v9, v46
	v_pk_add_f32 v[54:55], v[50:51], v[8:9] neg_lo:[0,1] neg_hi:[0,1]
	v_mov_b32_e32 v44, v51
	v_mov_b32_e32 v50, v43
	;; [unrolled: 1-line block ×4, first 2 shown]
	v_pk_add_f32 v[44:45], v[44:45], v[50:51] neg_lo:[0,1] neg_hi:[0,1]
	v_mov_b32_e32 v46, v49
	v_mov_b32_e32 v47, v42
	v_pk_add_f32 v[42:43], v[46:47], v[44:45] neg_lo:[0,1] neg_hi:[0,1]
	v_mov_b32_e32 v54, v52
	v_pk_add_f32 v[44:45], v[54:55], v[42:43]
	v_mov_b32_e32 v46, v45
	v_pk_add_f32 v[46:47], v[44:45], v[46:47]
	v_pk_add_f32 v[48:49], v[16:17], v[46:47]
	v_mov_b32_e32 v45, v48
	v_pk_add_f32 v[50:51], v[44:45], v[52:53] neg_lo:[0,1] neg_hi:[0,1]
	v_mov_b32_e32 v43, v46
	v_sub_f32_e32 v9, v44, v50
	v_pk_add_f32 v[42:43], v[42:43], v[50:51] neg_lo:[0,1] neg_hi:[0,1]
	v_sub_f32_e32 v9, v52, v9
	v_add_f32_e32 v9, v42, v9
	v_add_f32_e32 v9, v9, v43
	v_add_f32_e32 v9, v48, v9
	v_cmp_eq_f32_e64 s[8:9], s28, v41
	v_cndmask_b32_e64 v9, v9, v41, s[8:9]
	v_cmp_ngt_f32_e64 s[8:9], -1.0, v41
	v_cndmask_b32_e64 v9, v33, v9, s[8:9]
	v_cmp_neq_f32_e64 s[8:9], -1.0, v41
	v_cndmask_b32_e64 v9, v34, v9, s[8:9]
	v_cmp_lt_f32_e64 s[8:9], |v41|, s34
	v_cndmask_b32_e64 v9, v9, v41, s[8:9]
	v_mul_f32_e32 v16, 0.5, v9
.LBB211_17:                             ;   in Loop: Header=BB211_4 Depth=1
	s_or_b64 exec, exec, s[22:23]
.LBB211_18:                             ;   in Loop: Header=BB211_4 Depth=1
	s_or_b64 exec, exec, s[10:11]
	v_max_f32_e64 v9, |v14|, |v14|
	v_max_f32_e64 v42, |v15|, |v15|
	v_max_f32_e32 v9, v9, v42
	v_cvt_f64_f32_e32 v[44:45], v9
	v_frexp_exp_i32_f64_e32 v41, v[44:45]
	v_sub_u32_e32 v43, 0, v41
	v_ldexp_f32 v44, |v14|, v43
	v_ldexp_f32 v43, |v15|, v43
	v_mul_f32_e32 v43, v43, v43
	v_fmac_f32_e32 v43, v44, v44
	v_sqrt_f32_e32 v43, v43
	v_cmp_eq_f32_e64 s[8:9], s28, v9
	v_ldexp_f32 v9, v43, v41
	v_cmp_ngt_f32_e64 s[10:11], 0.5, v9
	v_add_f32_e32 v41, 1.0, v14
	v_max_f32_e64 v43, |v41|, v42
	s_or_b64 s[8:9], s[8:9], s[10:11]
	s_and_saveexec_b64 s[10:11], s[8:9]
	s_xor_b64 s[22:23], exec, s[10:11]
	s_cbranch_execz .LBB211_20
; %bb.19:                               ;   in Loop: Header=BB211_4 Depth=1
	v_cvt_f64_f32_e32 v[44:45], v43
	v_frexp_exp_i32_f64_e32 v9, v[44:45]
	v_sub_u32_e32 v14, 0, v9
	v_ldexp_f32 v44, |v41|, v14
	v_ldexp_f32 v14, |v15|, v14
	v_mul_f32_e32 v14, v14, v14
	v_fmac_f32_e32 v14, v44, v44
	v_sqrt_f32_e32 v14, v14
	v_cmp_neq_f32_e64 s[8:9], s28, v43
	v_ldexp_f32 v9, v14, v9
	v_cndmask_b32_e64 v9, v30, v9, s[8:9]
	v_cmp_gt_f32_e64 s[8:9], s29, v9
	v_cndmask_b32_e64 v14, 1.0, v31, s[8:9]
	v_mul_f32_e32 v9, v9, v14
	v_log_f32_e32 v9, v9
	v_mul_f32_e32 v14, 0x3f317217, v9
	v_fma_f32 v44, v9, s30, -v14
	v_fmac_f32_e32 v44, 0x3377d1cf, v9
	v_add_f32_e32 v14, v14, v44
	v_cmp_lt_f32_e64 s[10:11], |v9|, s28
	v_cndmask_b32_e64 v9, v9, v14, s[10:11]
	v_cndmask_b32_e64 v14, 0, v32, s[8:9]
	v_sub_f32_e32 v14, v9, v14
.LBB211_20:                             ;   in Loop: Header=BB211_4 Depth=1
	s_andn2_saveexec_b64 s[10:11], s[22:23]
	s_cbranch_execz .LBB211_24
; %bb.21:                               ;   in Loop: Header=BB211_4 Depth=1
	v_add_f32_e32 v9, 2.0, v14
	v_mul_f32_e32 v44, v15, v15
	v_fmac_f32_e32 v44, v14, v9
	v_cmp_neq_f32_e64 s[8:9], 0, v44
	s_and_saveexec_b64 s[22:23], s[8:9]
	s_cbranch_execz .LBB211_23
; %bb.22:                               ;   in Loop: Header=BB211_4 Depth=1
	v_add_f32_e32 v9, 1.0, v44
	v_add_f32_e32 v14, -1.0, v9
	v_sub_f32_e32 v45, v14, v9
	v_add_f32_e32 v45, 1.0, v45
	v_sub_f32_e32 v14, v44, v14
	v_add_f32_e32 v14, v14, v45
	v_frexp_mant_f32_e32 v45, v9
	v_cvt_f64_f32_e32 v[46:47], v9
	v_frexp_exp_i32_f64_e32 v46, v[46:47]
	v_cmp_gt_f32_e64 s[8:9], s31, v45
	v_subbrev_co_u32_e64 v45, s[8:9], 0, v46, s[8:9]
	v_sub_u32_e32 v46, 0, v45
	v_ldexp_f32 v9, v9, v46
	v_ldexp_f32 v14, v14, v46
	v_add_f32_e32 v46, -1.0, v9
	v_add_f32_e32 v47, 1.0, v46
	v_sub_f32_e32 v47, v9, v47
	v_add_f32_e32 v48, v14, v47
	v_add_f32_e32 v47, 1.0, v9
	v_add_f32_e32 v49, -1.0, v47
	v_sub_f32_e32 v9, v9, v49
	v_add_f32_e32 v9, v14, v9
	v_add_f32_e32 v14, v47, v9
	v_rcp_f32_e32 v54, v14
	v_sub_f32_e32 v47, v14, v47
	v_sub_f32_e32 v9, v9, v47
	v_add_f32_e32 v47, v46, v48
	v_sub_f32_e32 v46, v47, v46
	v_mul_f32_e32 v56, v47, v54
	v_sub_f32_e32 v55, v48, v46
	v_mul_f32_e32 v48, v14, v56
	v_fma_f32 v50, v56, v14, -v48
	v_fmac_f32_e32 v50, v56, v9
	v_add_f32_e32 v46, v48, v50
	v_sub_f32_e32 v49, v47, v46
	v_pk_add_f32 v[52:53], v[46:47], v[48:49] neg_lo:[0,1] neg_hi:[0,1]
	v_mov_b32_e32 v51, v46
	v_pk_add_f32 v[46:47], v[52:53], v[50:51] neg_lo:[0,1] neg_hi:[0,1]
	v_add_f32_e32 v47, v55, v47
	v_add_f32_e32 v46, v46, v47
	;; [unrolled: 1-line block ×3, first 2 shown]
	v_mul_f32_e32 v55, v54, v47
	v_mul_f32_e32 v48, v14, v55
	v_fma_f32 v50, v55, v14, -v48
	v_fmac_f32_e32 v50, v55, v9
	v_sub_f32_e32 v9, v49, v47
	v_add_f32_e32 v9, v46, v9
	v_add_f32_e32 v46, v48, v50
	v_sub_f32_e32 v49, v47, v46
	v_pk_add_f32 v[52:53], v[46:47], v[48:49] neg_lo:[0,1] neg_hi:[0,1]
	v_mov_b32_e32 v51, v46
	v_pk_add_f32 v[46:47], v[52:53], v[50:51] neg_lo:[0,1] neg_hi:[0,1]
	v_add_f32_e32 v9, v9, v47
	v_add_f32_e32 v9, v46, v9
	;; [unrolled: 1-line block ×4, first 2 shown]
	v_sub_f32_e32 v46, v14, v56
	v_mul_f32_e32 v9, v54, v9
	v_sub_f32_e32 v46, v55, v46
	v_add_f32_e32 v47, v46, v9
	v_add_f32_e32 v48, v14, v47
	v_cvt_f32_i32_e32 v46, v45
	v_mul_f32_e32 v50, v48, v48
	v_mov_b32_e32 v9, 0x3ecc95a3
	v_fmac_f32_e32 v9, 0x3e9b6dac, v50
	v_sub_f32_e32 v14, v48, v14
	v_fma_f32 v9, v50, v9, v23
	v_sub_f32_e32 v14, v47, v14
	v_mul_f32_e32 v47, v48, v50
	v_pk_mul_f32 v[50:51], v[46:47], v[8:9]
	v_ldexp_f32 v49, v48, 1
	v_fma_f32 v48, v46, s33, -v50
	v_fmac_f32_e32 v48, 0xb102e308, v46
	v_pk_add_f32 v[46:47], v[50:51], v[48:49]
	v_sub_f32_e32 v9, v47, v49
	v_ldexp_f32 v14, v14, 1
	v_sub_f32_e32 v9, v51, v9
	v_add_f32_e32 v53, v14, v9
	v_mov_b32_e32 v52, v50
	v_pk_add_f32 v[50:51], v[46:47], v[50:51] neg_lo:[0,1] neg_hi:[0,1]
	v_pk_add_f32 v[54:55], v[46:47], v[52:53]
	v_mov_b32_e32 v51, v55
	v_mov_b32_e32 v49, v46
	v_pk_add_f32 v[56:57], v[48:49], v[50:51] neg_lo:[0,1] neg_hi:[0,1]
	v_pk_add_f32 v[48:49], v[48:49], v[50:51]
	v_mov_b32_e32 v14, v49
	v_pk_add_f32 v[50:51], v[14:15], v[46:47] neg_lo:[0,1] neg_hi:[0,1]
	v_mov_b32_e32 v9, v50
	v_pk_add_f32 v[58:59], v[54:55], v[8:9] neg_lo:[0,1] neg_hi:[0,1]
	v_mov_b32_e32 v48, v55
	v_mov_b32_e32 v54, v47
	;; [unrolled: 1-line block ×4, first 2 shown]
	v_pk_add_f32 v[48:49], v[48:49], v[54:55] neg_lo:[0,1] neg_hi:[0,1]
	v_mov_b32_e32 v50, v53
	v_mov_b32_e32 v51, v46
	v_pk_add_f32 v[46:47], v[50:51], v[48:49] neg_lo:[0,1] neg_hi:[0,1]
	v_mov_b32_e32 v58, v56
	v_pk_add_f32 v[48:49], v[58:59], v[46:47]
	v_mov_b32_e32 v50, v49
	v_pk_add_f32 v[50:51], v[48:49], v[50:51]
	v_pk_add_f32 v[52:53], v[14:15], v[50:51]
	v_mov_b32_e32 v49, v52
	v_pk_add_f32 v[54:55], v[48:49], v[56:57] neg_lo:[0,1] neg_hi:[0,1]
	v_mov_b32_e32 v47, v50
	v_sub_f32_e32 v9, v48, v54
	v_pk_add_f32 v[46:47], v[46:47], v[54:55] neg_lo:[0,1] neg_hi:[0,1]
	v_sub_f32_e32 v9, v56, v9
	v_add_f32_e32 v9, v46, v9
	v_add_f32_e32 v9, v9, v47
	;; [unrolled: 1-line block ×3, first 2 shown]
	v_cmp_eq_f32_e64 s[8:9], s28, v44
	v_cndmask_b32_e64 v9, v9, v44, s[8:9]
	v_cmp_ngt_f32_e64 s[8:9], -1.0, v44
	v_cndmask_b32_e64 v9, v33, v9, s[8:9]
	v_cmp_neq_f32_e64 s[8:9], -1.0, v44
	v_cndmask_b32_e64 v9, v34, v9, s[8:9]
	v_cmp_lt_f32_e64 s[8:9], |v44|, s34
	v_cndmask_b32_e64 v9, v9, v44, s[8:9]
	v_mul_f32_e32 v14, 0.5, v9
.LBB211_23:                             ;   in Loop: Header=BB211_4 Depth=1
	s_or_b64 exec, exec, s[22:23]
.LBB211_24:                             ;   in Loop: Header=BB211_4 Depth=1
	s_or_b64 exec, exec, s[10:11]
	v_max_f32_e64 v9, |v12|, |v12|
	v_max_f32_e64 v45, |v13|, |v13|
	v_max_f32_e32 v9, v9, v45
	v_cvt_f64_f32_e32 v[46:47], v9
	v_frexp_exp_i32_f64_e32 v44, v[46:47]
	v_sub_u32_e32 v46, 0, v44
	v_ldexp_f32 v47, |v12|, v46
	v_ldexp_f32 v46, |v13|, v46
	v_mul_f32_e32 v46, v46, v46
	v_fmac_f32_e32 v46, v47, v47
	v_sqrt_f32_e32 v46, v46
	v_cmp_eq_f32_e64 s[8:9], s28, v9
	v_ldexp_f32 v9, v46, v44
	v_cmp_ngt_f32_e64 s[10:11], 0.5, v9
	v_add_f32_e32 v44, 1.0, v12
	v_max_f32_e64 v46, |v44|, v45
	s_or_b64 s[8:9], s[8:9], s[10:11]
	s_and_saveexec_b64 s[10:11], s[8:9]
	s_xor_b64 s[22:23], exec, s[10:11]
	s_cbranch_execz .LBB211_26
; %bb.25:                               ;   in Loop: Header=BB211_4 Depth=1
	v_cvt_f64_f32_e32 v[48:49], v46
	v_frexp_exp_i32_f64_e32 v9, v[48:49]
	v_sub_u32_e32 v12, 0, v9
	v_ldexp_f32 v47, |v44|, v12
	v_ldexp_f32 v12, |v13|, v12
	v_mul_f32_e32 v12, v12, v12
	v_fmac_f32_e32 v12, v47, v47
	v_sqrt_f32_e32 v12, v12
	v_cmp_neq_f32_e64 s[8:9], s28, v46
	v_ldexp_f32 v9, v12, v9
	v_cndmask_b32_e64 v9, v30, v9, s[8:9]
	v_cmp_gt_f32_e64 s[8:9], s29, v9
	v_cndmask_b32_e64 v12, 1.0, v31, s[8:9]
	v_mul_f32_e32 v9, v9, v12
	v_log_f32_e32 v9, v9
	v_mul_f32_e32 v12, 0x3f317217, v9
	v_fma_f32 v47, v9, s30, -v12
	v_fmac_f32_e32 v47, 0x3377d1cf, v9
	v_add_f32_e32 v12, v12, v47
	v_cmp_lt_f32_e64 s[10:11], |v9|, s28
	v_cndmask_b32_e64 v9, v9, v12, s[10:11]
	v_cndmask_b32_e64 v12, 0, v32, s[8:9]
	v_sub_f32_e32 v12, v9, v12
.LBB211_26:                             ;   in Loop: Header=BB211_4 Depth=1
	s_andn2_saveexec_b64 s[10:11], s[22:23]
	s_cbranch_execz .LBB211_30
; %bb.27:                               ;   in Loop: Header=BB211_4 Depth=1
	v_add_f32_e32 v9, 2.0, v12
	v_mul_f32_e32 v47, v13, v13
	v_fmac_f32_e32 v47, v12, v9
	v_cmp_neq_f32_e64 s[8:9], 0, v47
	s_and_saveexec_b64 s[22:23], s[8:9]
	s_cbranch_execz .LBB211_29
; %bb.28:                               ;   in Loop: Header=BB211_4 Depth=1
	v_add_f32_e32 v9, 1.0, v47
	v_add_f32_e32 v12, -1.0, v9
	v_sub_f32_e32 v48, v12, v9
	v_add_f32_e32 v48, 1.0, v48
	v_sub_f32_e32 v12, v47, v12
	v_add_f32_e32 v12, v12, v48
	v_frexp_mant_f32_e32 v50, v9
	v_cvt_f64_f32_e32 v[48:49], v9
	v_frexp_exp_i32_f64_e32 v48, v[48:49]
	v_cmp_gt_f32_e64 s[8:9], s31, v50
	v_subbrev_co_u32_e64 v56, s[8:9], 0, v48, s[8:9]
	v_sub_u32_e32 v48, 0, v56
	v_ldexp_f32 v9, v9, v48
	v_ldexp_f32 v12, v12, v48
	v_add_f32_e32 v48, -1.0, v9
	v_add_f32_e32 v49, 1.0, v48
	v_sub_f32_e32 v49, v9, v49
	v_add_f32_e32 v50, v12, v49
	v_add_f32_e32 v49, 1.0, v9
	v_add_f32_e32 v51, -1.0, v49
	v_sub_f32_e32 v9, v9, v51
	v_add_f32_e32 v9, v12, v9
	v_add_f32_e32 v12, v49, v9
	v_rcp_f32_e32 v57, v12
	v_sub_f32_e32 v49, v12, v49
	v_sub_f32_e32 v9, v9, v49
	v_add_f32_e32 v49, v48, v50
	v_sub_f32_e32 v48, v49, v48
	v_mul_f32_e32 v59, v49, v57
	v_sub_f32_e32 v58, v50, v48
	v_mul_f32_e32 v50, v12, v59
	v_fma_f32 v52, v59, v12, -v50
	v_fmac_f32_e32 v52, v59, v9
	v_add_f32_e32 v48, v50, v52
	v_sub_f32_e32 v51, v49, v48
	v_pk_add_f32 v[54:55], v[48:49], v[50:51] neg_lo:[0,1] neg_hi:[0,1]
	v_mov_b32_e32 v53, v48
	v_pk_add_f32 v[48:49], v[54:55], v[52:53] neg_lo:[0,1] neg_hi:[0,1]
	v_add_f32_e32 v49, v58, v49
	v_add_f32_e32 v48, v48, v49
	;; [unrolled: 1-line block ×3, first 2 shown]
	v_mul_f32_e32 v58, v57, v49
	v_mul_f32_e32 v50, v12, v58
	v_fma_f32 v52, v58, v12, -v50
	v_fmac_f32_e32 v52, v58, v9
	v_sub_f32_e32 v9, v51, v49
	v_add_f32_e32 v9, v48, v9
	v_add_f32_e32 v48, v50, v52
	v_sub_f32_e32 v51, v49, v48
	v_pk_add_f32 v[54:55], v[48:49], v[50:51] neg_lo:[0,1] neg_hi:[0,1]
	v_mov_b32_e32 v53, v48
	v_pk_add_f32 v[48:49], v[54:55], v[52:53] neg_lo:[0,1] neg_hi:[0,1]
	v_add_f32_e32 v9, v9, v49
	v_add_f32_e32 v9, v48, v9
	v_add_f32_e32 v12, v59, v58
	v_add_f32_e32 v9, v51, v9
	v_sub_f32_e32 v48, v12, v59
	v_mul_f32_e32 v9, v57, v9
	v_sub_f32_e32 v48, v58, v48
	v_add_f32_e32 v49, v48, v9
	v_add_f32_e32 v50, v12, v49
	v_cvt_f32_i32_e32 v48, v56
	v_mul_f32_e32 v52, v50, v50
	v_mov_b32_e32 v9, 0x3ecc95a3
	v_fmac_f32_e32 v9, 0x3e9b6dac, v52
	v_sub_f32_e32 v12, v50, v12
	v_fma_f32 v9, v52, v9, v23
	v_sub_f32_e32 v12, v49, v12
	v_mul_f32_e32 v49, v50, v52
	v_pk_mul_f32 v[52:53], v[48:49], v[8:9]
	v_ldexp_f32 v51, v50, 1
	v_fma_f32 v50, v48, s33, -v52
	v_fmac_f32_e32 v50, 0xb102e308, v48
	v_pk_add_f32 v[48:49], v[52:53], v[50:51]
	v_sub_f32_e32 v9, v49, v51
	v_ldexp_f32 v12, v12, 1
	v_sub_f32_e32 v9, v53, v9
	v_add_f32_e32 v55, v12, v9
	v_mov_b32_e32 v54, v52
	v_pk_add_f32 v[52:53], v[48:49], v[52:53] neg_lo:[0,1] neg_hi:[0,1]
	v_pk_add_f32 v[56:57], v[48:49], v[54:55]
	v_mov_b32_e32 v53, v57
	v_mov_b32_e32 v51, v48
	v_pk_add_f32 v[58:59], v[50:51], v[52:53] neg_lo:[0,1] neg_hi:[0,1]
	v_pk_add_f32 v[50:51], v[50:51], v[52:53]
	v_mov_b32_e32 v12, v51
	v_pk_add_f32 v[52:53], v[12:13], v[48:49] neg_lo:[0,1] neg_hi:[0,1]
	v_mov_b32_e32 v9, v52
	v_pk_add_f32 v[60:61], v[56:57], v[8:9] neg_lo:[0,1] neg_hi:[0,1]
	v_mov_b32_e32 v50, v57
	v_mov_b32_e32 v56, v49
	;; [unrolled: 1-line block ×4, first 2 shown]
	v_pk_add_f32 v[50:51], v[50:51], v[56:57] neg_lo:[0,1] neg_hi:[0,1]
	v_mov_b32_e32 v52, v55
	v_mov_b32_e32 v53, v48
	v_pk_add_f32 v[48:49], v[52:53], v[50:51] neg_lo:[0,1] neg_hi:[0,1]
	v_mov_b32_e32 v60, v58
	v_pk_add_f32 v[50:51], v[60:61], v[48:49]
	v_mov_b32_e32 v52, v51
	v_pk_add_f32 v[52:53], v[50:51], v[52:53]
	v_pk_add_f32 v[54:55], v[12:13], v[52:53]
	v_mov_b32_e32 v51, v54
	v_pk_add_f32 v[56:57], v[50:51], v[58:59] neg_lo:[0,1] neg_hi:[0,1]
	v_mov_b32_e32 v49, v52
	v_sub_f32_e32 v9, v50, v56
	v_pk_add_f32 v[48:49], v[48:49], v[56:57] neg_lo:[0,1] neg_hi:[0,1]
	v_sub_f32_e32 v9, v58, v9
	v_add_f32_e32 v9, v48, v9
	v_add_f32_e32 v9, v9, v49
	;; [unrolled: 1-line block ×3, first 2 shown]
	v_cmp_eq_f32_e64 s[8:9], s28, v47
	v_cndmask_b32_e64 v9, v9, v47, s[8:9]
	v_cmp_ngt_f32_e64 s[8:9], -1.0, v47
	v_cndmask_b32_e64 v9, v33, v9, s[8:9]
	v_cmp_neq_f32_e64 s[8:9], -1.0, v47
	v_cndmask_b32_e64 v9, v34, v9, s[8:9]
	v_cmp_lt_f32_e64 s[8:9], |v47|, s34
	v_cndmask_b32_e64 v9, v9, v47, s[8:9]
	v_mul_f32_e32 v12, 0.5, v9
.LBB211_29:                             ;   in Loop: Header=BB211_4 Depth=1
	s_or_b64 exec, exec, s[22:23]
.LBB211_30:                             ;   in Loop: Header=BB211_4 Depth=1
	s_or_b64 exec, exec, s[10:11]
	v_max_f32_e64 v9, |v10|, |v10|
	v_max_f32_e64 v48, |v11|, |v11|
	v_max_f32_e32 v9, v9, v48
	v_cvt_f64_f32_e32 v[50:51], v9
	v_frexp_exp_i32_f64_e32 v47, v[50:51]
	v_sub_u32_e32 v49, 0, v47
	v_ldexp_f32 v50, |v10|, v49
	v_ldexp_f32 v49, |v11|, v49
	v_mul_f32_e32 v49, v49, v49
	v_fmac_f32_e32 v49, v50, v50
	v_sqrt_f32_e32 v49, v49
	v_cmp_eq_f32_e64 s[8:9], s28, v9
	v_ldexp_f32 v9, v49, v47
	v_cmp_ngt_f32_e64 s[10:11], 0.5, v9
	v_add_f32_e32 v47, 1.0, v10
	v_max_f32_e64 v49, |v47|, v48
	s_or_b64 s[8:9], s[8:9], s[10:11]
	s_and_saveexec_b64 s[10:11], s[8:9]
	s_xor_b64 s[22:23], exec, s[10:11]
	s_cbranch_execnz .LBB211_36
; %bb.31:                               ;   in Loop: Header=BB211_4 Depth=1
	s_andn2_saveexec_b64 s[10:11], s[22:23]
	s_cbranch_execnz .LBB211_37
.LBB211_32:                             ;   in Loop: Header=BB211_4 Depth=1
	s_or_b64 exec, exec, s[10:11]
	s_and_saveexec_b64 s[8:9], s[6:7]
	s_xor_b64 s[10:11], exec, s[8:9]
	s_cbranch_execnz .LBB211_40
.LBB211_33:                             ;   in Loop: Header=BB211_4 Depth=1
	s_or_b64 exec, exec, s[10:11]
	s_and_saveexec_b64 s[8:9], s[2:3]
	s_cbranch_execnz .LBB211_41
.LBB211_34:                             ;   in Loop: Header=BB211_4 Depth=1
	s_or_b64 exec, exec, s[8:9]
	s_and_saveexec_b64 s[6:7], s[0:1]
	s_cbranch_execnz .LBB211_42
.LBB211_35:                             ;   in Loop: Header=BB211_4 Depth=1
	s_or_b64 exec, exec, s[6:7]
	s_and_saveexec_b64 s[2:3], vcc
	s_cbranch_execz .LBB211_3
	s_branch .LBB211_43
.LBB211_36:                             ;   in Loop: Header=BB211_4 Depth=1
	v_cvt_f64_f32_e32 v[50:51], v49
	v_frexp_exp_i32_f64_e32 v9, v[50:51]
	v_sub_u32_e32 v10, 0, v9
	v_ldexp_f32 v50, |v47|, v10
	v_ldexp_f32 v10, |v11|, v10
	v_mul_f32_e32 v10, v10, v10
	v_fmac_f32_e32 v10, v50, v50
	v_sqrt_f32_e32 v10, v10
	v_cmp_neq_f32_e64 s[8:9], s28, v49
	v_ldexp_f32 v9, v10, v9
	v_cndmask_b32_e64 v9, v30, v9, s[8:9]
	v_cmp_gt_f32_e64 s[8:9], s29, v9
	v_cndmask_b32_e64 v10, 1.0, v31, s[8:9]
	v_mul_f32_e32 v9, v9, v10
	v_log_f32_e32 v9, v9
	v_mul_f32_e32 v10, 0x3f317217, v9
	v_fma_f32 v50, v9, s30, -v10
	v_fmac_f32_e32 v50, 0x3377d1cf, v9
	v_add_f32_e32 v10, v10, v50
	v_cmp_lt_f32_e64 s[10:11], |v9|, s28
	v_cndmask_b32_e64 v9, v9, v10, s[10:11]
	v_cndmask_b32_e64 v10, 0, v32, s[8:9]
	v_sub_f32_e32 v10, v9, v10
	s_andn2_saveexec_b64 s[10:11], s[22:23]
	s_cbranch_execz .LBB211_32
.LBB211_37:                             ;   in Loop: Header=BB211_4 Depth=1
	v_add_f32_e32 v9, 2.0, v10
	v_mul_f32_e32 v50, v11, v11
	v_fmac_f32_e32 v50, v10, v9
	v_cmp_neq_f32_e64 s[8:9], 0, v50
	s_and_saveexec_b64 s[22:23], s[8:9]
	s_cbranch_execz .LBB211_39
; %bb.38:                               ;   in Loop: Header=BB211_4 Depth=1
	v_add_f32_e32 v9, 1.0, v50
	v_add_f32_e32 v10, -1.0, v9
	v_sub_f32_e32 v51, v10, v9
	v_add_f32_e32 v51, 1.0, v51
	v_sub_f32_e32 v10, v50, v10
	v_add_f32_e32 v10, v10, v51
	v_frexp_mant_f32_e32 v51, v9
	v_cvt_f64_f32_e32 v[52:53], v9
	v_frexp_exp_i32_f64_e32 v52, v[52:53]
	v_cmp_gt_f32_e64 s[8:9], s31, v51
	v_subbrev_co_u32_e64 v51, s[8:9], 0, v52, s[8:9]
	v_sub_u32_e32 v52, 0, v51
	v_ldexp_f32 v9, v9, v52
	v_ldexp_f32 v10, v10, v52
	v_add_f32_e32 v52, -1.0, v9
	v_add_f32_e32 v53, 1.0, v52
	v_sub_f32_e32 v53, v9, v53
	v_add_f32_e32 v54, v10, v53
	v_add_f32_e32 v53, 1.0, v9
	v_add_f32_e32 v55, -1.0, v53
	v_sub_f32_e32 v9, v9, v55
	v_add_f32_e32 v9, v10, v9
	v_add_f32_e32 v10, v53, v9
	v_rcp_f32_e32 v60, v10
	v_sub_f32_e32 v53, v10, v53
	v_sub_f32_e32 v9, v9, v53
	v_add_f32_e32 v53, v52, v54
	v_sub_f32_e32 v52, v53, v52
	v_mul_f32_e32 v62, v53, v60
	v_sub_f32_e32 v61, v54, v52
	v_mul_f32_e32 v54, v10, v62
	v_fma_f32 v56, v62, v10, -v54
	v_fmac_f32_e32 v56, v62, v9
	v_add_f32_e32 v52, v54, v56
	v_sub_f32_e32 v55, v53, v52
	v_pk_add_f32 v[58:59], v[52:53], v[54:55] neg_lo:[0,1] neg_hi:[0,1]
	v_mov_b32_e32 v57, v52
	v_pk_add_f32 v[52:53], v[58:59], v[56:57] neg_lo:[0,1] neg_hi:[0,1]
	v_add_f32_e32 v53, v61, v53
	v_add_f32_e32 v52, v52, v53
	;; [unrolled: 1-line block ×3, first 2 shown]
	v_mul_f32_e32 v61, v60, v53
	v_mul_f32_e32 v54, v10, v61
	v_fma_f32 v56, v61, v10, -v54
	v_fmac_f32_e32 v56, v61, v9
	v_sub_f32_e32 v9, v55, v53
	v_add_f32_e32 v9, v52, v9
	v_add_f32_e32 v52, v54, v56
	v_sub_f32_e32 v55, v53, v52
	v_pk_add_f32 v[58:59], v[52:53], v[54:55] neg_lo:[0,1] neg_hi:[0,1]
	v_mov_b32_e32 v57, v52
	v_pk_add_f32 v[52:53], v[58:59], v[56:57] neg_lo:[0,1] neg_hi:[0,1]
	v_add_f32_e32 v9, v9, v53
	v_add_f32_e32 v9, v52, v9
	;; [unrolled: 1-line block ×4, first 2 shown]
	v_sub_f32_e32 v52, v10, v62
	v_mul_f32_e32 v9, v60, v9
	v_sub_f32_e32 v52, v61, v52
	v_add_f32_e32 v53, v52, v9
	v_add_f32_e32 v54, v10, v53
	v_cvt_f32_i32_e32 v52, v51
	v_mul_f32_e32 v56, v54, v54
	v_mov_b32_e32 v9, 0x3ecc95a3
	v_fmac_f32_e32 v9, 0x3e9b6dac, v56
	v_sub_f32_e32 v10, v54, v10
	v_fma_f32 v9, v56, v9, v23
	v_sub_f32_e32 v10, v53, v10
	v_mul_f32_e32 v53, v54, v56
	v_pk_mul_f32 v[56:57], v[52:53], v[8:9]
	v_ldexp_f32 v55, v54, 1
	v_fma_f32 v54, v52, s33, -v56
	v_fmac_f32_e32 v54, 0xb102e308, v52
	v_pk_add_f32 v[52:53], v[56:57], v[54:55]
	v_sub_f32_e32 v9, v53, v55
	v_ldexp_f32 v10, v10, 1
	v_sub_f32_e32 v9, v57, v9
	v_add_f32_e32 v59, v10, v9
	v_mov_b32_e32 v58, v56
	v_pk_add_f32 v[56:57], v[52:53], v[56:57] neg_lo:[0,1] neg_hi:[0,1]
	v_pk_add_f32 v[60:61], v[52:53], v[58:59]
	v_mov_b32_e32 v57, v61
	v_mov_b32_e32 v55, v52
	v_pk_add_f32 v[62:63], v[54:55], v[56:57] neg_lo:[0,1] neg_hi:[0,1]
	v_pk_add_f32 v[54:55], v[54:55], v[56:57]
	v_mov_b32_e32 v10, v55
	v_pk_add_f32 v[56:57], v[10:11], v[52:53] neg_lo:[0,1] neg_hi:[0,1]
	v_mov_b32_e32 v9, v56
	v_pk_add_f32 v[64:65], v[60:61], v[8:9] neg_lo:[0,1] neg_hi:[0,1]
	v_mov_b32_e32 v54, v61
	v_mov_b32_e32 v60, v53
	;; [unrolled: 1-line block ×4, first 2 shown]
	v_pk_add_f32 v[54:55], v[54:55], v[60:61] neg_lo:[0,1] neg_hi:[0,1]
	v_mov_b32_e32 v56, v59
	v_mov_b32_e32 v57, v52
	v_pk_add_f32 v[52:53], v[56:57], v[54:55] neg_lo:[0,1] neg_hi:[0,1]
	v_mov_b32_e32 v64, v62
	v_pk_add_f32 v[54:55], v[64:65], v[52:53]
	v_mov_b32_e32 v56, v55
	v_pk_add_f32 v[56:57], v[54:55], v[56:57]
	v_pk_add_f32 v[58:59], v[10:11], v[56:57]
	v_mov_b32_e32 v55, v58
	v_pk_add_f32 v[60:61], v[54:55], v[62:63] neg_lo:[0,1] neg_hi:[0,1]
	v_mov_b32_e32 v53, v56
	v_sub_f32_e32 v9, v54, v60
	v_pk_add_f32 v[52:53], v[52:53], v[60:61] neg_lo:[0,1] neg_hi:[0,1]
	v_sub_f32_e32 v9, v62, v9
	v_add_f32_e32 v9, v52, v9
	v_add_f32_e32 v9, v9, v53
	;; [unrolled: 1-line block ×3, first 2 shown]
	v_cmp_eq_f32_e64 s[8:9], s28, v50
	v_cndmask_b32_e64 v9, v9, v50, s[8:9]
	v_cmp_ngt_f32_e64 s[8:9], -1.0, v50
	v_cndmask_b32_e64 v9, v33, v9, s[8:9]
	v_cmp_neq_f32_e64 s[8:9], -1.0, v50
	v_cndmask_b32_e64 v9, v34, v9, s[8:9]
	v_cmp_lt_f32_e64 s[8:9], |v50|, s34
	v_cndmask_b32_e64 v9, v9, v50, s[8:9]
	v_mul_f32_e32 v10, 0.5, v9
.LBB211_39:                             ;   in Loop: Header=BB211_4 Depth=1
	s_or_b64 exec, exec, s[22:23]
	s_or_b64 exec, exec, s[10:11]
	s_and_saveexec_b64 s[8:9], s[6:7]
	s_xor_b64 s[10:11], exec, s[8:9]
	s_cbranch_execz .LBB211_33
.LBB211_40:                             ;   in Loop: Header=BB211_4 Depth=1
	v_max_f32_e64 v51, |v38|, |v38|
	v_min_f32_e32 v39, v51, v39
	v_frexp_mant_f32_e32 v51, v40
	v_rcp_f32_e32 v51, v51
	v_frexp_exp_i32_f32_e32 v40, v40
	v_frexp_exp_i32_f32_e32 v52, v39
	v_frexp_mant_f32_e32 v39, v39
	v_mul_f32_e32 v39, v39, v51
	v_sub_u32_e32 v40, v52, v40
	v_ldexp_f32 v39, v39, v40
	v_mul_f32_e32 v40, v39, v39
	v_mov_b32_e32 v51, 0xbc7a590c
	v_fmac_f32_e32 v51, 0x3b2d2a58, v40
	v_fma_f32 v51, v40, v51, v24
	v_fma_f32 v51, v40, v51, v25
	;; [unrolled: 1-line block ×6, first 2 shown]
	v_mul_f32_e32 v40, v40, v51
	v_cmp_gt_i32_e64 s[8:9], 0, v38
	v_fmac_f32_e32 v39, v39, v40
	v_cndmask_b32_e64 v50, 0, v37, s[8:9]
	v_sub_f32_e32 v40, 0x3fc90fdb, v39
	v_cmp_gt_f32_e64 s[8:9], |v17|, |v38|
	v_cndmask_b32_e64 v39, v39, v40, s[8:9]
	v_cmp_gt_f32_e64 s[6:7], 0, v38
	v_sub_f32_e32 v40, 0x40490fdb, v39
	v_cmp_class_f32_e64 s[22:23], v17, s35
	v_cmp_class_f32_e64 s[38:39], v38, s35
	v_cndmask_b32_e64 v9, v35, v36, s[6:7]
	v_cndmask_b32_e64 v39, v39, v40, s[6:7]
	v_cmp_eq_f32_e64 s[6:7], 0, v17
	v_cndmask_b32_e64 v39, v39, v50, s[6:7]
	s_and_b64 s[6:7], s[22:23], s[38:39]
	v_cndmask_b32_e64 v9, v39, v9, s[6:7]
	v_cmp_o_f32_e64 s[6:7], v38, v17
	v_cndmask_b32_e64 v9, v33, v9, s[6:7]
	v_bfi_b32 v17, s36, v9, v17
	v_mov_b32_e32 v9, s25
	v_add_co_u32_e64 v38, s[6:7], s24, v2
	v_addc_co_u32_e64 v39, s[6:7], 0, v9, s[6:7]
	global_store_dwordx2 v[38:39], v[16:17], off
	s_or_b64 exec, exec, s[10:11]
	s_and_saveexec_b64 s[8:9], s[2:3]
	s_cbranch_execz .LBB211_34
.LBB211_41:                             ;   in Loop: Header=BB211_4 Depth=1
	v_frexp_mant_f32_e32 v38, v43
	v_rcp_f32_e32 v38, v38
	v_max_f32_e64 v17, |v41|, |v41|
	v_min_f32_e32 v17, v17, v42
	v_frexp_exp_i32_f32_e32 v39, v43
	v_frexp_exp_i32_f32_e32 v40, v17
	v_frexp_mant_f32_e32 v17, v17
	v_mul_f32_e32 v17, v17, v38
	v_sub_u32_e32 v38, v40, v39
	v_ldexp_f32 v17, v17, v38
	v_mul_f32_e32 v38, v17, v17
	v_mov_b32_e32 v39, 0xbc7a590c
	v_fmac_f32_e32 v39, 0x3b2d2a58, v38
	v_fma_f32 v39, v38, v39, v24
	v_fma_f32 v39, v38, v39, v25
	;; [unrolled: 1-line block ×6, first 2 shown]
	v_mul_f32_e32 v38, v38, v39
	v_cmp_gt_i32_e64 s[6:7], 0, v41
	v_fmac_f32_e32 v17, v17, v38
	v_cndmask_b32_e64 v16, 0, v37, s[6:7]
	v_sub_f32_e32 v38, 0x3fc90fdb, v17
	v_cmp_gt_f32_e64 s[6:7], |v15|, |v41|
	v_cndmask_b32_e64 v17, v17, v38, s[6:7]
	v_cmp_gt_f32_e64 s[2:3], 0, v41
	v_sub_f32_e32 v38, 0x40490fdb, v17
	v_cmp_class_f32_e64 s[10:11], v15, s35
	v_cmp_class_f32_e64 s[22:23], v41, s35
	v_cndmask_b32_e64 v9, v35, v36, s[2:3]
	v_cndmask_b32_e64 v17, v17, v38, s[2:3]
	v_cmp_eq_f32_e64 s[2:3], 0, v15
	v_cndmask_b32_e64 v16, v17, v16, s[2:3]
	s_and_b64 s[2:3], s[10:11], s[22:23]
	v_cndmask_b32_e64 v9, v16, v9, s[2:3]
	v_cmp_o_f32_e64 s[2:3], v41, v15
	v_cndmask_b32_e64 v9, v33, v9, s[2:3]
	v_bfi_b32 v15, s36, v9, v15
	v_mov_b32_e32 v9, s25
	v_add_co_u32_e64 v16, s[2:3], s24, v6
	v_addc_co_u32_e64 v17, s[2:3], 0, v9, s[2:3]
	global_store_dwordx2 v[16:17], v[14:15], off
	s_or_b64 exec, exec, s[8:9]
	s_and_saveexec_b64 s[6:7], s[0:1]
	s_cbranch_execz .LBB211_35
.LBB211_42:                             ;   in Loop: Header=BB211_4 Depth=1
	v_frexp_mant_f32_e32 v16, v46
	v_rcp_f32_e32 v16, v16
	v_max_f32_e64 v15, |v44|, |v44|
	v_min_f32_e32 v15, v15, v45
	v_frexp_exp_i32_f32_e32 v17, v46
	v_frexp_exp_i32_f32_e32 v38, v15
	v_frexp_mant_f32_e32 v15, v15
	v_mul_f32_e32 v15, v15, v16
	v_sub_u32_e32 v16, v38, v17
	v_ldexp_f32 v15, v15, v16
	v_mul_f32_e32 v16, v15, v15
	v_mov_b32_e32 v17, 0xbc7a590c
	v_fmac_f32_e32 v17, 0x3b2d2a58, v16
	v_fma_f32 v17, v16, v17, v24
	v_fma_f32 v17, v16, v17, v25
	;; [unrolled: 1-line block ×6, first 2 shown]
	v_mul_f32_e32 v16, v16, v17
	v_cmp_gt_i32_e64 s[2:3], 0, v44
	v_fmac_f32_e32 v15, v15, v16
	v_cndmask_b32_e64 v14, 0, v37, s[2:3]
	v_sub_f32_e32 v16, 0x3fc90fdb, v15
	v_cmp_gt_f32_e64 s[2:3], |v13|, |v44|
	v_cndmask_b32_e64 v15, v15, v16, s[2:3]
	v_cmp_gt_f32_e64 s[0:1], 0, v44
	v_sub_f32_e32 v16, 0x40490fdb, v15
	v_cmp_class_f32_e64 s[8:9], v13, s35
	v_cmp_class_f32_e64 s[10:11], v44, s35
	v_cndmask_b32_e64 v9, v35, v36, s[0:1]
	v_cndmask_b32_e64 v15, v15, v16, s[0:1]
	v_cmp_eq_f32_e64 s[0:1], 0, v13
	v_cndmask_b32_e64 v14, v15, v14, s[0:1]
	s_and_b64 s[0:1], s[8:9], s[10:11]
	v_cndmask_b32_e64 v9, v14, v9, s[0:1]
	v_cmp_o_f32_e64 s[0:1], v44, v13
	v_cndmask_b32_e64 v9, v33, v9, s[0:1]
	v_bfi_b32 v13, s36, v9, v13
	v_mov_b32_e32 v9, s25
	v_add_co_u32_e64 v14, s[0:1], s24, v7
	v_addc_co_u32_e64 v15, s[0:1], v9, v18, s[0:1]
	global_store_dwordx2 v[14:15], v[12:13], off
	s_or_b64 exec, exec, s[6:7]
	s_and_saveexec_b64 s[2:3], vcc
	s_cbranch_execz .LBB211_3
.LBB211_43:                             ;   in Loop: Header=BB211_4 Depth=1
	v_frexp_mant_f32_e32 v14, v49
	v_rcp_f32_e32 v14, v14
	v_max_f32_e64 v13, |v47|, |v47|
	v_min_f32_e32 v13, v13, v48
	v_frexp_exp_i32_f32_e32 v15, v49
	v_frexp_exp_i32_f32_e32 v16, v13
	v_frexp_mant_f32_e32 v13, v13
	v_mul_f32_e32 v13, v13, v14
	v_sub_u32_e32 v14, v16, v15
	v_ldexp_f32 v13, v13, v14
	v_mul_f32_e32 v14, v13, v13
	v_mov_b32_e32 v15, 0xbc7a590c
	v_fmac_f32_e32 v15, 0x3b2d2a58, v14
	v_fma_f32 v15, v14, v15, v24
	v_fma_f32 v15, v14, v15, v25
	;; [unrolled: 1-line block ×6, first 2 shown]
	v_mul_f32_e32 v14, v14, v15
	v_cmp_gt_i32_e64 s[0:1], 0, v47
	v_fmac_f32_e32 v13, v13, v14
	v_cndmask_b32_e64 v12, 0, v37, s[0:1]
	v_sub_f32_e32 v14, 0x3fc90fdb, v13
	v_cmp_gt_f32_e64 s[0:1], |v11|, |v47|
	v_cndmask_b32_e64 v13, v13, v14, s[0:1]
	v_cmp_gt_f32_e32 vcc, 0, v47
	v_sub_f32_e32 v14, 0x40490fdb, v13
	v_cmp_class_f32_e64 s[6:7], v11, s35
	v_cmp_class_f32_e64 s[8:9], v47, s35
	v_cndmask_b32_e32 v9, v35, v36, vcc
	v_cndmask_b32_e32 v13, v13, v14, vcc
	v_cmp_eq_f32_e32 vcc, 0, v11
	v_cndmask_b32_e32 v12, v13, v12, vcc
	s_and_b64 vcc, s[6:7], s[8:9]
	v_cndmask_b32_e32 v9, v12, v9, vcc
	v_cmp_o_f32_e32 vcc, v47, v11
	v_cndmask_b32_e32 v9, v33, v9, vcc
	v_bfi_b32 v11, s36, v9, v11
	v_mov_b32_e32 v9, s25
	v_add_co_u32_e32 v12, vcc, s24, v4
	v_addc_co_u32_e32 v13, vcc, v9, v5, vcc
	global_store_dwordx2 v[12:13], v[10:11], off
	s_branch .LBB211_3
.LBB211_44:
	s_cbranch_execz .LBB211_46
	s_branch .LBB211_73
.LBB211_45:
.LBB211_46:
	v_mov_b32_e32 v17, 0
	v_lshlrev_b32_e32 v16, 2, v0
	s_mov_b32 s8, 0
	v_cmp_gt_i64_e32 vcc, s[12:13], v[16:17]
	s_and_saveexec_b64 s[0:1], vcc
	s_cbranch_execz .LBB211_73
; %bb.47:
	s_load_dword s0, s[4:5], 0xd3c
	v_lshlrev_b32_e32 v1, 5, v0
	s_mov_b32 s11, s8
	v_mov_b32_e32 v22, 0x3f2aaada
	s_mov_b32 s18, 0x3f317218
	s_waitcnt lgkmcnt(0)
	s_and_b32 s0, s0, 0xffff
	s_lshl_b32 s9, s0, 2
	s_add_u32 s1, s14, s16
	s_addc_u32 s2, s15, s17
	v_add_lshl_u32 v16, v0, s0, 2
	v_mov_b32_e32 v0, s2
	v_add_co_u32_e32 v18, vcc, s1, v1
	v_addc_co_u32_e32 v19, vcc, 0, v0, vcc
	s_lshl_b32 s10, s0, 5
	s_mov_b64 s[2:3], 0
	s_mov_b32 s14, 0x7f800000
	s_mov_b32 s15, 0x800000
	;; [unrolled: 1-line block ×5, first 2 shown]
	s_movk_i32 s20, 0x204
	v_mov_b32_e32 v23, 0x3d29fb3f
	v_mov_b32_e32 v24, 0xbd97d4d7
	;; [unrolled: 1-line block ×6, first 2 shown]
	s_brev_b32 s21, -2
	s_mov_b64 s[4:5], 0xffff
	v_mov_b32_e32 v29, 0x7f800000
	v_mov_b32_e32 v30, 0x4f800000
	;; [unrolled: 1-line block ×9, first 2 shown]
	s_branch .LBB211_50
.LBB211_48:                             ;   in Loop: Header=BB211_50 Depth=1
	s_or_b64 exec, exec, s[6:7]
	v_mov_b32_e32 v14, v2
.LBB211_49:                             ;   in Loop: Header=BB211_50 Depth=1
	s_or_b64 exec, exec, s[0:1]
	v_max_f32_e64 v42, |v6|, |v6|
	v_min_f32_e32 v13, v42, v13
	v_frexp_mant_f32_e32 v42, v39
	v_rcp_f32_e32 v42, v42
	v_frexp_exp_i32_f32_e32 v39, v39
	v_frexp_exp_i32_f32_e32 v43, v13
	v_frexp_mant_f32_e32 v13, v13
	v_mul_f32_e32 v13, v13, v42
	v_sub_u32_e32 v39, v43, v39
	v_ldexp_f32 v13, v13, v39
	v_mul_f32_e32 v39, v13, v13
	v_mov_b32_e32 v42, 0xbc7a590c
	v_fmac_f32_e32 v42, 0x3b2d2a58, v39
	v_fma_f32 v42, v39, v42, v23
	v_fma_f32 v42, v39, v42, v24
	;; [unrolled: 1-line block ×6, first 2 shown]
	v_mul_f32_e32 v39, v39, v42
	v_cmp_gt_i32_e64 s[0:1], 0, v6
	v_fmac_f32_e32 v13, v13, v39
	v_cndmask_b32_e64 v21, 0, v36, s[0:1]
	v_sub_f32_e32 v39, 0x3fc90fdb, v13
	v_cmp_gt_f32_e64 s[0:1], |v1|, |v6|
	v_cndmask_b32_e64 v13, v13, v39, s[0:1]
	v_cmp_gt_f32_e32 vcc, 0, v6
	v_sub_f32_e32 v39, 0x40490fdb, v13
	v_cmp_class_f32_e64 s[6:7], v1, s20
	v_cmp_class_f32_e64 s[22:23], v6, s20
	v_cndmask_b32_e32 v2, v34, v35, vcc
	v_cndmask_b32_e32 v13, v13, v39, vcc
	v_cmp_eq_f32_e32 vcc, 0, v1
	v_cndmask_b32_e32 v13, v13, v21, vcc
	s_and_b64 vcc, s[6:7], s[22:23]
	v_cndmask_b32_e32 v2, v13, v2, vcc
	v_cmp_o_f32_e32 vcc, v6, v1
	v_max_f32_e64 v6, |v4|, |v4|
	v_min_f32_e32 v6, v6, v11
	v_frexp_mant_f32_e32 v11, v38
	v_rcp_f32_e32 v11, v11
	v_frexp_exp_i32_f32_e32 v21, v38
	v_frexp_exp_i32_f32_e32 v38, v6
	v_frexp_mant_f32_e32 v6, v6
	v_mul_f32_e32 v6, v6, v11
	v_sub_u32_e32 v11, v38, v21
	v_ldexp_f32 v6, v6, v11
	v_mul_f32_e32 v11, v6, v6
	v_mov_b32_e32 v21, 0xbc7a590c
	v_fmac_f32_e32 v21, 0x3b2d2a58, v11
	v_fma_f32 v21, v11, v21, v23
	v_fma_f32 v21, v11, v21, v24
	;; [unrolled: 1-line block ×6, first 2 shown]
	v_mul_f32_e32 v11, v11, v21
	v_cndmask_b32_e32 v2, v32, v2, vcc
	v_cmp_gt_i32_e64 s[0:1], 0, v4
	v_fmac_f32_e32 v6, v6, v11
	v_bfi_b32 v13, s21, v2, v1
	v_cndmask_b32_e64 v2, 0, v36, s[0:1]
	v_sub_f32_e32 v11, 0x3fc90fdb, v6
	v_cmp_gt_f32_e64 s[0:1], |v7|, |v4|
	v_cndmask_b32_e64 v6, v6, v11, s[0:1]
	v_cmp_gt_f32_e32 vcc, 0, v4
	v_sub_f32_e32 v11, 0x40490fdb, v6
	v_cndmask_b32_e32 v1, v34, v35, vcc
	v_cndmask_b32_e32 v6, v6, v11, vcc
	v_cmp_eq_f32_e32 vcc, 0, v7
	v_cmp_class_f32_e64 s[6:7], v7, s20
	v_cmp_class_f32_e64 s[22:23], v4, s20
	v_cndmask_b32_e32 v2, v6, v2, vcc
	v_frexp_mant_f32_e32 v6, v37
	s_and_b64 vcc, s[6:7], s[22:23]
	v_rcp_f32_e32 v6, v6
	v_cndmask_b32_e32 v1, v2, v1, vcc
	v_cmp_o_f32_e32 vcc, v4, v7
	v_max_f32_e64 v4, |v9|, |v9|
	v_cndmask_b32_e32 v1, v32, v1, vcc
	v_min_f32_e32 v4, v4, v15
	v_bfi_b32 v11, s21, v1, v7
	v_frexp_exp_i32_f32_e32 v7, v37
	v_frexp_exp_i32_f32_e32 v15, v4
	v_frexp_mant_f32_e32 v4, v4
	v_mul_f32_e32 v4, v4, v6
	v_sub_u32_e32 v6, v15, v7
	v_ldexp_f32 v4, v4, v6
	v_mul_f32_e32 v6, v4, v4
	v_mov_b32_e32 v7, 0xbc7a590c
	v_fmac_f32_e32 v7, 0x3b2d2a58, v6
	v_fma_f32 v7, v6, v7, v23
	v_fma_f32 v7, v6, v7, v24
	;; [unrolled: 1-line block ×6, first 2 shown]
	v_mul_f32_e32 v6, v6, v7
	v_cmp_gt_i32_e64 s[0:1], 0, v9
	v_fmac_f32_e32 v4, v4, v6
	v_cndmask_b32_e64 v2, 0, v36, s[0:1]
	v_sub_f32_e32 v6, 0x3fc90fdb, v4
	v_cmp_gt_f32_e64 s[0:1], |v5|, |v9|
	v_cndmask_b32_e64 v4, v4, v6, s[0:1]
	v_cmp_gt_f32_e32 vcc, 0, v9
	v_sub_f32_e32 v6, 0x40490fdb, v4
	v_cmp_class_f32_e64 s[6:7], v5, s20
	v_cmp_class_f32_e64 s[22:23], v9, s20
	v_cndmask_b32_e32 v1, v34, v35, vcc
	v_cndmask_b32_e32 v4, v4, v6, vcc
	v_cmp_eq_f32_e32 vcc, 0, v5
	v_cndmask_b32_e32 v2, v4, v2, vcc
	s_and_b64 vcc, s[6:7], s[22:23]
	v_cndmask_b32_e32 v1, v2, v1, vcc
	v_cmp_o_f32_e32 vcc, v9, v5
	v_cndmask_b32_e32 v1, v32, v1, vcc
	v_bfi_b32 v9, s21, v1, v5
	v_frexp_mant_f32_e32 v5, v41
	v_rcp_f32_e32 v5, v5
	v_max_f32_e64 v4, |v0|, |v0|
	v_min_f32_e32 v4, v4, v40
	v_frexp_exp_i32_f32_e32 v6, v41
	v_frexp_exp_i32_f32_e32 v7, v4
	v_frexp_mant_f32_e32 v4, v4
	v_mul_f32_e32 v4, v4, v5
	v_sub_u32_e32 v5, v7, v6
	v_ldexp_f32 v4, v4, v5
	v_mul_f32_e32 v5, v4, v4
	v_mov_b32_e32 v6, 0xbc7a590c
	v_fmac_f32_e32 v6, 0x3b2d2a58, v5
	v_fma_f32 v6, v5, v6, v23
	v_fma_f32 v6, v5, v6, v24
	;; [unrolled: 1-line block ×6, first 2 shown]
	v_mul_f32_e32 v5, v5, v6
	v_cmp_gt_i32_e64 s[0:1], 0, v0
	v_fmac_f32_e32 v4, v4, v5
	v_cndmask_b32_e64 v2, 0, v36, s[0:1]
	v_sub_f32_e32 v5, 0x3fc90fdb, v4
	v_cmp_gt_f32_e64 s[0:1], |v3|, |v0|
	v_cndmask_b32_e64 v4, v4, v5, s[0:1]
	v_cmp_gt_f32_e32 vcc, 0, v0
	v_sub_f32_e32 v5, 0x40490fdb, v4
	v_cmp_class_f32_e64 s[6:7], v3, s20
	v_cmp_class_f32_e64 s[22:23], v0, s20
	v_cndmask_b32_e32 v1, v34, v35, vcc
	v_cndmask_b32_e32 v4, v4, v5, vcc
	v_cmp_eq_f32_e32 vcc, 0, v3
	v_cndmask_b32_e32 v2, v4, v2, vcc
	s_and_b64 vcc, s[6:7], s[22:23]
	v_cndmask_b32_e32 v1, v2, v1, vcc
	v_cmp_o_f32_e32 vcc, v0, v3
	v_cndmask_b32_e32 v0, v32, v1, vcc
	v_cmp_le_i64_e32 vcc, s[12:13], v[16:17]
	v_cmp_lt_u64_e64 s[0:1], s[4:5], v[16:17]
	v_bfi_b32 v15, s21, v0, v3
	s_or_b64 s[0:1], vcc, s[0:1]
	v_mov_b32_e32 v0, s8
	v_add_co_u32_e32 v16, vcc, s9, v16
	v_addc_co_u32_e32 v17, vcc, v17, v0, vcc
	global_store_dwordx4 v[18:19], v[8:11], off
	global_store_dwordx4 v[18:19], v[12:15], off offset:16
	v_mov_b32_e32 v0, s11
	s_and_b64 s[0:1], exec, s[0:1]
	v_add_co_u32_e32 v18, vcc, s10, v18
	s_or_b64 s[2:3], s[0:1], s[2:3]
	v_addc_co_u32_e32 v19, vcc, v19, v0, vcc
	s_andn2_b64 exec, exec, s[2:3]
	s_cbranch_execz .LBB211_73
.LBB211_50:                             ; =>This Inner Loop Header: Depth=1
	global_load_dwordx4 v[4:7], v[18:19], off
	global_load_dwordx4 v[0:3], v[18:19], off offset:16
	s_waitcnt vmcnt(1)
	v_max_f32_e64 v8, |v4|, |v4|
	v_max_f32_e64 v15, |v5|, |v5|
	v_max_f32_e32 v10, v8, v15
	v_cvt_f64_f32_e32 v[8:9], v10
	v_frexp_exp_i32_f64_e32 v8, v[8:9]
	v_sub_u32_e32 v9, 0, v8
	v_ldexp_f32 v11, |v4|, v9
	v_ldexp_f32 v9, |v5|, v9
	v_mul_f32_e32 v9, v9, v9
	v_fmac_f32_e32 v9, v11, v11
	v_sqrt_f32_e32 v11, v9
	v_add_f32_e32 v9, 1.0, v4
	v_cmp_eq_f32_e32 vcc, s14, v10
	v_max_f32_e64 v37, |v9|, v15
	v_ldexp_f32 v8, v11, v8
	v_cmp_ngt_f32_e64 s[0:1], 0.5, v8
	s_or_b64 s[0:1], vcc, s[0:1]
                                        ; implicit-def: $vgpr8
	s_and_saveexec_b64 s[6:7], s[0:1]
	s_xor_b64 s[6:7], exec, s[6:7]
	s_cbranch_execz .LBB211_52
; %bb.51:                               ;   in Loop: Header=BB211_50 Depth=1
	v_cvt_f64_f32_e32 v[10:11], v37
	v_frexp_exp_i32_f64_e32 v8, v[10:11]
	v_sub_u32_e32 v10, 0, v8
	v_ldexp_f32 v11, |v9|, v10
	v_ldexp_f32 v10, |v5|, v10
	v_mul_f32_e32 v10, v10, v10
	v_fmac_f32_e32 v10, v11, v11
	v_sqrt_f32_e32 v10, v10
	v_cmp_neq_f32_e32 vcc, s14, v37
	v_ldexp_f32 v8, v10, v8
	v_cndmask_b32_e32 v8, v29, v8, vcc
	v_cmp_gt_f32_e32 vcc, s15, v8
	v_cndmask_b32_e32 v10, 1.0, v30, vcc
	v_mul_f32_e32 v8, v8, v10
	v_log_f32_e32 v8, v8
	v_mul_f32_e32 v10, 0x3f317217, v8
	v_fma_f32 v11, v8, s16, -v10
	v_fmac_f32_e32 v11, 0x3377d1cf, v8
	v_add_f32_e32 v10, v10, v11
	v_cmp_lt_f32_e64 s[0:1], |v8|, s14
	v_cndmask_b32_e64 v8, v8, v10, s[0:1]
	v_cndmask_b32_e32 v10, 0, v31, vcc
	v_sub_f32_e32 v8, v8, v10
.LBB211_52:                             ;   in Loop: Header=BB211_50 Depth=1
	s_andn2_saveexec_b64 s[0:1], s[6:7]
	s_cbranch_execz .LBB211_56
; %bb.53:                               ;   in Loop: Header=BB211_50 Depth=1
	v_add_f32_e32 v8, 2.0, v4
	v_mul_f32_e32 v8, v4, v8
	v_fmac_f32_e32 v8, v5, v5
	v_cmp_neq_f32_e32 vcc, 0, v8
	s_and_saveexec_b64 s[6:7], vcc
	s_cbranch_execz .LBB211_55
; %bb.54:                               ;   in Loop: Header=BB211_50 Depth=1
	v_add_f32_e32 v4, 1.0, v8
	v_add_f32_e32 v10, -1.0, v4
	v_sub_f32_e32 v11, v10, v4
	v_add_f32_e32 v11, 1.0, v11
	v_sub_f32_e32 v10, v8, v10
	v_add_f32_e32 v12, v10, v11
	v_frexp_mant_f32_e32 v13, v4
	v_cvt_f64_f32_e32 v[10:11], v4
	v_frexp_exp_i32_f64_e32 v10, v[10:11]
	v_cmp_gt_f32_e32 vcc, s17, v13
	v_subbrev_co_u32_e32 v14, vcc, 0, v10, vcc
	v_sub_u32_e32 v10, 0, v14
	v_ldexp_f32 v4, v4, v10
	v_ldexp_f32 v10, v12, v10
	v_add_f32_e32 v12, -1.0, v4
	v_add_f32_e32 v11, 1.0, v12
	v_sub_f32_e32 v11, v4, v11
	v_add_f32_e32 v13, v10, v11
	v_add_f32_e32 v11, 1.0, v4
	v_add_f32_e32 v21, -1.0, v11
	v_sub_f32_e32 v4, v4, v21
	v_add_f32_e32 v4, v10, v4
	v_add_f32_e32 v21, v11, v4
	v_rcp_f32_e32 v42, v21
	v_sub_f32_e32 v10, v21, v11
	v_add_f32_e32 v11, v12, v13
	v_sub_f32_e32 v4, v4, v10
	v_mul_f32_e32 v44, v11, v42
	v_sub_f32_e32 v10, v11, v12
	v_mul_f32_e32 v12, v21, v44
	v_fma_f32 v38, v44, v21, -v12
	v_fmac_f32_e32 v38, v44, v4
	v_sub_f32_e32 v43, v13, v10
	v_add_f32_e32 v10, v12, v38
	v_sub_f32_e32 v13, v11, v10
	v_pk_add_f32 v[40:41], v[10:11], v[12:13] neg_lo:[0,1] neg_hi:[0,1]
	v_mov_b32_e32 v39, v10
	v_pk_add_f32 v[10:11], v[40:41], v[38:39] neg_lo:[0,1] neg_hi:[0,1]
	v_add_f32_e32 v11, v43, v11
	v_add_f32_e32 v10, v10, v11
	;; [unrolled: 1-line block ×3, first 2 shown]
	v_mul_f32_e32 v43, v42, v11
	v_mul_f32_e32 v12, v21, v43
	v_fma_f32 v38, v43, v21, -v12
	v_fmac_f32_e32 v38, v43, v4
	v_sub_f32_e32 v4, v13, v11
	v_add_f32_e32 v4, v10, v4
	v_add_f32_e32 v10, v12, v38
	v_sub_f32_e32 v13, v11, v10
	v_pk_add_f32 v[40:41], v[10:11], v[12:13] neg_lo:[0,1] neg_hi:[0,1]
	v_mov_b32_e32 v39, v10
	v_pk_add_f32 v[10:11], v[40:41], v[38:39] neg_lo:[0,1] neg_hi:[0,1]
	v_add_f32_e32 v4, v4, v11
	v_add_f32_e32 v4, v10, v4
	;; [unrolled: 1-line block ×4, first 2 shown]
	v_sub_f32_e32 v10, v11, v44
	v_mul_f32_e32 v4, v42, v4
	v_sub_f32_e32 v10, v43, v10
	v_add_f32_e32 v4, v10, v4
	v_add_f32_e32 v12, v11, v4
	v_mul_f32_e32 v38, v12, v12
	v_mov_b32_e32 v10, 0x3ecc95a3
	v_fmac_f32_e32 v10, 0x3e9b6dac, v38
	v_fma_f32 v21, v38, v10, v22
	v_cvt_f32_i32_e32 v10, v14
	v_sub_f32_e32 v11, v12, v11
	v_sub_f32_e32 v4, v4, v11
	v_mul_f32_e32 v11, v12, v38
	v_pk_mul_f32 v[38:39], v[10:11], v[20:21]
	v_ldexp_f32 v13, v12, 1
	v_fma_f32 v12, v10, s18, -v38
	v_fmac_f32_e32 v12, 0xb102e308, v10
	v_pk_add_f32 v[10:11], v[38:39], v[12:13]
	v_sub_f32_e32 v13, v11, v13
	v_ldexp_f32 v4, v4, 1
	v_sub_f32_e32 v13, v39, v13
	v_add_f32_e32 v41, v4, v13
	v_mov_b32_e32 v40, v38
	v_pk_add_f32 v[38:39], v[10:11], v[38:39] neg_lo:[0,1] neg_hi:[0,1]
	v_pk_add_f32 v[42:43], v[10:11], v[40:41]
	v_mov_b32_e32 v39, v43
	v_mov_b32_e32 v13, v10
	v_pk_add_f32 v[44:45], v[12:13], v[38:39] neg_lo:[0,1] neg_hi:[0,1]
	v_pk_add_f32 v[12:13], v[12:13], v[38:39]
	v_mov_b32_e32 v4, v13
	v_pk_add_f32 v[38:39], v[4:5], v[10:11] neg_lo:[0,1] neg_hi:[0,1]
	v_mov_b32_e32 v21, v38
	v_pk_add_f32 v[46:47], v[42:43], v[20:21] neg_lo:[0,1] neg_hi:[0,1]
	v_mov_b32_e32 v12, v43
	v_mov_b32_e32 v42, v11
	;; [unrolled: 1-line block ×4, first 2 shown]
	v_pk_add_f32 v[12:13], v[12:13], v[42:43] neg_lo:[0,1] neg_hi:[0,1]
	v_mov_b32_e32 v38, v41
	v_mov_b32_e32 v39, v10
	v_pk_add_f32 v[10:11], v[38:39], v[12:13] neg_lo:[0,1] neg_hi:[0,1]
	v_mov_b32_e32 v46, v44
	v_pk_add_f32 v[12:13], v[46:47], v[10:11]
	v_mov_b32_e32 v14, v13
	v_pk_add_f32 v[38:39], v[12:13], v[14:15]
	v_pk_add_f32 v[40:41], v[4:5], v[38:39]
	v_mov_b32_e32 v13, v40
	v_pk_add_f32 v[42:43], v[12:13], v[44:45] neg_lo:[0,1] neg_hi:[0,1]
	v_mov_b32_e32 v11, v38
	v_sub_f32_e32 v4, v12, v42
	v_pk_add_f32 v[10:11], v[10:11], v[42:43] neg_lo:[0,1] neg_hi:[0,1]
	v_sub_f32_e32 v4, v44, v4
	v_add_f32_e32 v4, v10, v4
	v_add_f32_e32 v4, v4, v11
	;; [unrolled: 1-line block ×3, first 2 shown]
	v_cmp_eq_f32_e32 vcc, s14, v8
	v_cndmask_b32_e32 v4, v4, v8, vcc
	v_cmp_ngt_f32_e32 vcc, -1.0, v8
	v_cndmask_b32_e32 v4, v32, v4, vcc
	v_cmp_neq_f32_e32 vcc, -1.0, v8
	v_cndmask_b32_e32 v4, v33, v4, vcc
	v_cmp_lt_f32_e64 vcc, |v8|, s19
	v_cndmask_b32_e32 v4, v4, v8, vcc
	v_mul_f32_e32 v4, 0.5, v4
.LBB211_55:                             ;   in Loop: Header=BB211_50 Depth=1
	s_or_b64 exec, exec, s[6:7]
	v_mov_b32_e32 v8, v4
.LBB211_56:                             ;   in Loop: Header=BB211_50 Depth=1
	s_or_b64 exec, exec, s[0:1]
	v_max_f32_e64 v4, |v6|, |v6|
	v_max_f32_e64 v11, |v7|, |v7|
	v_max_f32_e32 v4, v4, v11
	v_cvt_f64_f32_e32 v[12:13], v4
	v_frexp_exp_i32_f64_e32 v10, v[12:13]
	v_sub_u32_e32 v12, 0, v10
	v_ldexp_f32 v13, |v6|, v12
	v_ldexp_f32 v12, |v7|, v12
	v_mul_f32_e32 v12, v12, v12
	v_fmac_f32_e32 v12, v13, v13
	v_sqrt_f32_e32 v12, v12
	v_cmp_eq_f32_e32 vcc, s14, v4
	v_ldexp_f32 v4, v12, v10
	v_cmp_ngt_f32_e64 s[0:1], 0.5, v4
	v_add_f32_e32 v4, 1.0, v6
	v_max_f32_e64 v38, |v4|, v11
	s_or_b64 s[0:1], vcc, s[0:1]
	s_and_saveexec_b64 s[6:7], s[0:1]
	s_xor_b64 s[6:7], exec, s[6:7]
	s_cbranch_execz .LBB211_58
; %bb.57:                               ;   in Loop: Header=BB211_50 Depth=1
	v_cvt_f64_f32_e32 v[12:13], v38
	v_frexp_exp_i32_f64_e32 v10, v[12:13]
	v_sub_u32_e32 v12, 0, v10
	v_ldexp_f32 v13, |v4|, v12
	v_ldexp_f32 v12, |v7|, v12
	v_mul_f32_e32 v12, v12, v12
	v_fmac_f32_e32 v12, v13, v13
	v_sqrt_f32_e32 v12, v12
	v_cmp_neq_f32_e32 vcc, s14, v38
	v_ldexp_f32 v10, v12, v10
	v_cndmask_b32_e32 v10, v29, v10, vcc
	v_cmp_gt_f32_e32 vcc, s15, v10
	v_cndmask_b32_e32 v12, 1.0, v30, vcc
	v_mul_f32_e32 v10, v10, v12
	v_log_f32_e32 v10, v10
	v_mul_f32_e32 v12, 0x3f317217, v10
	v_fma_f32 v13, v10, s16, -v12
	v_fmac_f32_e32 v13, 0x3377d1cf, v10
	v_add_f32_e32 v12, v12, v13
	v_cmp_lt_f32_e64 s[0:1], |v10|, s14
	v_cndmask_b32_e64 v10, v10, v12, s[0:1]
	v_cndmask_b32_e32 v12, 0, v31, vcc
	v_sub_f32_e32 v10, v10, v12
.LBB211_58:                             ;   in Loop: Header=BB211_50 Depth=1
	s_andn2_saveexec_b64 s[0:1], s[6:7]
	s_cbranch_execz .LBB211_62
; %bb.59:                               ;   in Loop: Header=BB211_50 Depth=1
	v_add_f32_e32 v10, 2.0, v6
	v_mul_f32_e32 v10, v6, v10
	v_fmac_f32_e32 v10, v7, v7
	v_cmp_neq_f32_e32 vcc, 0, v10
	s_and_saveexec_b64 s[6:7], vcc
	s_cbranch_execz .LBB211_61
; %bb.60:                               ;   in Loop: Header=BB211_50 Depth=1
	v_add_f32_e32 v6, 1.0, v10
	v_add_f32_e32 v12, -1.0, v6
	v_sub_f32_e32 v13, v12, v6
	v_add_f32_e32 v13, 1.0, v13
	v_sub_f32_e32 v12, v10, v12
	v_add_f32_e32 v14, v12, v13
	v_frexp_mant_f32_e32 v21, v6
	v_cvt_f64_f32_e32 v[12:13], v6
	v_frexp_exp_i32_f64_e32 v12, v[12:13]
	v_cmp_gt_f32_e32 vcc, s17, v21
	v_subbrev_co_u32_e32 v39, vcc, 0, v12, vcc
	v_sub_u32_e32 v12, 0, v39
	v_ldexp_f32 v6, v6, v12
	v_ldexp_f32 v12, v14, v12
	v_add_f32_e32 v14, -1.0, v6
	v_add_f32_e32 v13, 1.0, v14
	v_sub_f32_e32 v13, v6, v13
	v_add_f32_e32 v21, v12, v13
	v_add_f32_e32 v13, 1.0, v6
	v_add_f32_e32 v40, -1.0, v13
	v_sub_f32_e32 v6, v6, v40
	v_add_f32_e32 v6, v12, v6
	v_add_f32_e32 v46, v13, v6
	v_rcp_f32_e32 v47, v46
	v_sub_f32_e32 v12, v46, v13
	v_add_f32_e32 v13, v14, v21
	v_sub_f32_e32 v6, v6, v12
	v_sub_f32_e32 v12, v13, v14
	;; [unrolled: 1-line block ×3, first 2 shown]
	v_mul_f32_e32 v21, v13, v47
	v_mul_f32_e32 v40, v46, v21
	v_fma_f32 v42, v21, v46, -v40
	v_fmac_f32_e32 v42, v21, v6
	v_add_f32_e32 v12, v40, v42
	v_sub_f32_e32 v41, v13, v12
	v_pk_add_f32 v[44:45], v[12:13], v[40:41] neg_lo:[0,1] neg_hi:[0,1]
	v_mov_b32_e32 v43, v12
	v_pk_add_f32 v[12:13], v[44:45], v[42:43] neg_lo:[0,1] neg_hi:[0,1]
	v_add_f32_e32 v13, v14, v13
	v_add_f32_e32 v12, v12, v13
	;; [unrolled: 1-line block ×3, first 2 shown]
	v_mul_f32_e32 v14, v47, v13
	v_mul_f32_e32 v40, v46, v14
	v_fma_f32 v42, v14, v46, -v40
	v_fmac_f32_e32 v42, v14, v6
	v_sub_f32_e32 v6, v41, v13
	v_add_f32_e32 v6, v12, v6
	v_add_f32_e32 v12, v40, v42
	v_sub_f32_e32 v41, v13, v12
	v_pk_add_f32 v[44:45], v[12:13], v[40:41] neg_lo:[0,1] neg_hi:[0,1]
	v_mov_b32_e32 v43, v12
	v_pk_add_f32 v[12:13], v[44:45], v[42:43] neg_lo:[0,1] neg_hi:[0,1]
	v_add_f32_e32 v6, v6, v13
	v_add_f32_e32 v6, v12, v6
	v_add_f32_e32 v13, v21, v14
	v_add_f32_e32 v6, v41, v6
	v_sub_f32_e32 v12, v13, v21
	v_mul_f32_e32 v6, v47, v6
	v_sub_f32_e32 v12, v14, v12
	v_add_f32_e32 v6, v12, v6
	v_add_f32_e32 v14, v13, v6
	v_mul_f32_e32 v40, v14, v14
	v_mov_b32_e32 v12, 0x3ecc95a3
	v_fmac_f32_e32 v12, 0x3e9b6dac, v40
	v_fma_f32 v21, v40, v12, v22
	v_cvt_f32_i32_e32 v12, v39
	v_sub_f32_e32 v13, v14, v13
	v_sub_f32_e32 v6, v6, v13
	v_mul_f32_e32 v13, v14, v40
	v_pk_mul_f32 v[42:43], v[12:13], v[20:21]
	v_fma_f32 v40, v12, s18, -v42
	v_ldexp_f32 v41, v14, 1
	v_fmac_f32_e32 v40, 0xb102e308, v12
	v_pk_add_f32 v[12:13], v[42:43], v[40:41]
	v_sub_f32_e32 v14, v13, v41
	v_ldexp_f32 v6, v6, 1
	v_sub_f32_e32 v14, v43, v14
	v_add_f32_e32 v45, v6, v14
	v_mov_b32_e32 v44, v42
	v_pk_add_f32 v[42:43], v[12:13], v[42:43] neg_lo:[0,1] neg_hi:[0,1]
	v_pk_add_f32 v[46:47], v[12:13], v[44:45]
	v_mov_b32_e32 v43, v47
	v_mov_b32_e32 v41, v12
	v_pk_add_f32 v[48:49], v[40:41], v[42:43] neg_lo:[0,1] neg_hi:[0,1]
	v_pk_add_f32 v[40:41], v[40:41], v[42:43]
	v_mov_b32_e32 v6, v41
	v_pk_add_f32 v[42:43], v[6:7], v[12:13] neg_lo:[0,1] neg_hi:[0,1]
	v_mov_b32_e32 v21, v42
	v_pk_add_f32 v[50:51], v[46:47], v[20:21] neg_lo:[0,1] neg_hi:[0,1]
	v_mov_b32_e32 v40, v47
	v_mov_b32_e32 v46, v13
	;; [unrolled: 1-line block ×4, first 2 shown]
	v_pk_add_f32 v[40:41], v[40:41], v[46:47] neg_lo:[0,1] neg_hi:[0,1]
	v_mov_b32_e32 v42, v45
	v_mov_b32_e32 v43, v12
	v_pk_add_f32 v[12:13], v[42:43], v[40:41] neg_lo:[0,1] neg_hi:[0,1]
	v_mov_b32_e32 v50, v48
	v_pk_add_f32 v[40:41], v[50:51], v[12:13]
	v_mov_b32_e32 v14, v41
	v_pk_add_f32 v[42:43], v[40:41], v[14:15]
	v_pk_add_f32 v[44:45], v[6:7], v[42:43]
	v_mov_b32_e32 v41, v44
	v_pk_add_f32 v[46:47], v[40:41], v[48:49] neg_lo:[0,1] neg_hi:[0,1]
	v_mov_b32_e32 v13, v42
	v_sub_f32_e32 v6, v40, v46
	v_pk_add_f32 v[12:13], v[12:13], v[46:47] neg_lo:[0,1] neg_hi:[0,1]
	v_sub_f32_e32 v6, v48, v6
	v_add_f32_e32 v6, v12, v6
	v_add_f32_e32 v6, v6, v13
	;; [unrolled: 1-line block ×3, first 2 shown]
	v_cmp_eq_f32_e32 vcc, s14, v10
	v_cndmask_b32_e32 v6, v6, v10, vcc
	v_cmp_ngt_f32_e32 vcc, -1.0, v10
	v_cndmask_b32_e32 v6, v32, v6, vcc
	v_cmp_neq_f32_e32 vcc, -1.0, v10
	v_cndmask_b32_e32 v6, v33, v6, vcc
	v_cmp_lt_f32_e64 vcc, |v10|, s19
	v_cndmask_b32_e32 v6, v6, v10, vcc
	v_mul_f32_e32 v6, 0.5, v6
.LBB211_61:                             ;   in Loop: Header=BB211_50 Depth=1
	s_or_b64 exec, exec, s[6:7]
	v_mov_b32_e32 v10, v6
.LBB211_62:                             ;   in Loop: Header=BB211_50 Depth=1
	s_or_b64 exec, exec, s[0:1]
	s_waitcnt vmcnt(0)
	v_max_f32_e64 v6, |v0|, |v0|
	v_max_f32_e64 v13, |v1|, |v1|
	v_max_f32_e32 v6, v6, v13
	v_cvt_f64_f32_e32 v[40:41], v6
	v_frexp_exp_i32_f64_e32 v12, v[40:41]
	v_sub_u32_e32 v14, 0, v12
	v_ldexp_f32 v21, |v0|, v14
	v_ldexp_f32 v14, |v1|, v14
	v_mul_f32_e32 v14, v14, v14
	v_fmac_f32_e32 v14, v21, v21
	v_sqrt_f32_e32 v14, v14
	v_cmp_eq_f32_e32 vcc, s14, v6
	v_ldexp_f32 v6, v14, v12
	v_cmp_ngt_f32_e64 s[0:1], 0.5, v6
	v_add_f32_e32 v6, 1.0, v0
	v_max_f32_e64 v39, |v6|, v13
	s_or_b64 s[0:1], vcc, s[0:1]
                                        ; implicit-def: $vgpr12
	s_and_saveexec_b64 s[6:7], s[0:1]
	s_xor_b64 s[6:7], exec, s[6:7]
	s_cbranch_execz .LBB211_64
; %bb.63:                               ;   in Loop: Header=BB211_50 Depth=1
	v_cvt_f64_f32_e32 v[40:41], v39
	v_frexp_exp_i32_f64_e32 v12, v[40:41]
	v_sub_u32_e32 v14, 0, v12
	v_ldexp_f32 v21, |v6|, v14
	v_ldexp_f32 v14, |v1|, v14
	v_mul_f32_e32 v14, v14, v14
	v_fmac_f32_e32 v14, v21, v21
	v_sqrt_f32_e32 v14, v14
	v_cmp_neq_f32_e32 vcc, s14, v39
	v_ldexp_f32 v12, v14, v12
	v_cndmask_b32_e32 v12, v29, v12, vcc
	v_cmp_gt_f32_e32 vcc, s15, v12
	v_cndmask_b32_e32 v14, 1.0, v30, vcc
	v_mul_f32_e32 v12, v12, v14
	v_log_f32_e32 v12, v12
	v_mul_f32_e32 v14, 0x3f317217, v12
	v_fma_f32 v21, v12, s16, -v14
	v_fmac_f32_e32 v21, 0x3377d1cf, v12
	v_add_f32_e32 v14, v14, v21
	v_cmp_lt_f32_e64 s[0:1], |v12|, s14
	v_cndmask_b32_e64 v12, v12, v14, s[0:1]
	v_cndmask_b32_e32 v14, 0, v31, vcc
	v_sub_f32_e32 v12, v12, v14
.LBB211_64:                             ;   in Loop: Header=BB211_50 Depth=1
	s_andn2_saveexec_b64 s[0:1], s[6:7]
	s_cbranch_execz .LBB211_68
; %bb.65:                               ;   in Loop: Header=BB211_50 Depth=1
	v_add_f32_e32 v12, 2.0, v0
	v_mul_f32_e32 v12, v0, v12
	v_fmac_f32_e32 v12, v1, v1
	v_cmp_neq_f32_e32 vcc, 0, v12
	s_and_saveexec_b64 s[6:7], vcc
	s_cbranch_execz .LBB211_67
; %bb.66:                               ;   in Loop: Header=BB211_50 Depth=1
	v_add_f32_e32 v0, 1.0, v12
	v_add_f32_e32 v14, -1.0, v0
	v_sub_f32_e32 v21, v14, v0
	v_add_f32_e32 v21, 1.0, v21
	v_sub_f32_e32 v14, v12, v14
	v_add_f32_e32 v14, v14, v21
	v_frexp_mant_f32_e32 v21, v0
	v_cvt_f64_f32_e32 v[40:41], v0
	v_frexp_exp_i32_f64_e32 v40, v[40:41]
	v_cmp_gt_f32_e32 vcc, s17, v21
	v_subbrev_co_u32_e32 v48, vcc, 0, v40, vcc
	v_sub_u32_e32 v21, 0, v48
	v_ldexp_f32 v0, v0, v21
	v_ldexp_f32 v14, v14, v21
	v_add_f32_e32 v21, -1.0, v0
	v_add_f32_e32 v41, 1.0, v0
	v_add_f32_e32 v40, 1.0, v21
	v_add_f32_e32 v42, -1.0, v41
	v_sub_f32_e32 v40, v0, v40
	v_sub_f32_e32 v0, v0, v42
	v_add_f32_e32 v0, v14, v0
	v_add_f32_e32 v40, v14, v40
	v_add_f32_e32 v14, v41, v0
	v_rcp_f32_e32 v49, v14
	v_sub_f32_e32 v41, v14, v41
	v_sub_f32_e32 v0, v0, v41
	v_add_f32_e32 v41, v21, v40
	v_mul_f32_e32 v50, v41, v49
	v_mul_f32_e32 v42, v14, v50
	v_fma_f32 v44, v50, v14, -v42
	v_sub_f32_e32 v21, v41, v21
	v_fmac_f32_e32 v44, v50, v0
	v_sub_f32_e32 v21, v40, v21
	v_add_f32_e32 v40, v42, v44
	v_sub_f32_e32 v43, v41, v40
	v_pk_add_f32 v[46:47], v[40:41], v[42:43] neg_lo:[0,1] neg_hi:[0,1]
	v_mov_b32_e32 v45, v40
	v_pk_add_f32 v[40:41], v[46:47], v[44:45] neg_lo:[0,1] neg_hi:[0,1]
	v_add_f32_e32 v21, v21, v41
	v_add_f32_e32 v21, v40, v21
	;; [unrolled: 1-line block ×3, first 2 shown]
	v_mul_f32_e32 v51, v49, v41
	v_mul_f32_e32 v42, v14, v51
	v_fma_f32 v44, v51, v14, -v42
	v_fmac_f32_e32 v44, v51, v0
	v_add_f32_e32 v40, v42, v44
	v_sub_f32_e32 v0, v43, v41
	v_sub_f32_e32 v43, v41, v40
	v_pk_add_f32 v[46:47], v[40:41], v[42:43] neg_lo:[0,1] neg_hi:[0,1]
	v_mov_b32_e32 v45, v40
	v_add_f32_e32 v0, v21, v0
	v_pk_add_f32 v[40:41], v[46:47], v[44:45] neg_lo:[0,1] neg_hi:[0,1]
	v_add_f32_e32 v0, v0, v41
	v_add_f32_e32 v0, v40, v0
	;; [unrolled: 1-line block ×4, first 2 shown]
	v_sub_f32_e32 v21, v14, v50
	v_mul_f32_e32 v0, v49, v0
	v_sub_f32_e32 v21, v51, v21
	v_add_f32_e32 v0, v21, v0
	v_add_f32_e32 v41, v14, v0
	v_cvt_f32_i32_e32 v40, v48
	v_mul_f32_e32 v42, v41, v41
	v_mov_b32_e32 v21, 0x3ecc95a3
	v_fmac_f32_e32 v21, 0x3e9b6dac, v42
	v_fma_f32 v21, v42, v21, v22
	v_sub_f32_e32 v14, v41, v14
	v_ldexp_f32 v43, v41, 1
	v_mul_f32_e32 v41, v41, v42
	v_pk_mul_f32 v[44:45], v[40:41], v[20:21]
	v_fma_f32 v42, v40, s18, -v44
	v_fmac_f32_e32 v42, 0xb102e308, v40
	v_pk_add_f32 v[40:41], v[44:45], v[42:43]
	v_sub_f32_e32 v0, v0, v14
	v_sub_f32_e32 v14, v41, v43
	v_ldexp_f32 v0, v0, 1
	v_sub_f32_e32 v14, v45, v14
	v_add_f32_e32 v47, v0, v14
	v_mov_b32_e32 v46, v44
	v_pk_add_f32 v[44:45], v[40:41], v[44:45] neg_lo:[0,1] neg_hi:[0,1]
	v_pk_add_f32 v[48:49], v[40:41], v[46:47]
	v_mov_b32_e32 v45, v49
	v_mov_b32_e32 v43, v40
	v_pk_add_f32 v[50:51], v[42:43], v[44:45] neg_lo:[0,1] neg_hi:[0,1]
	v_pk_add_f32 v[42:43], v[42:43], v[44:45]
	v_mov_b32_e32 v0, v43
	v_pk_add_f32 v[44:45], v[0:1], v[40:41] neg_lo:[0,1] neg_hi:[0,1]
	v_mov_b32_e32 v21, v44
	v_pk_add_f32 v[52:53], v[48:49], v[20:21] neg_lo:[0,1] neg_hi:[0,1]
	v_mov_b32_e32 v42, v49
	v_mov_b32_e32 v48, v41
	;; [unrolled: 1-line block ×4, first 2 shown]
	v_pk_add_f32 v[42:43], v[42:43], v[48:49] neg_lo:[0,1] neg_hi:[0,1]
	v_mov_b32_e32 v44, v47
	v_mov_b32_e32 v45, v40
	v_pk_add_f32 v[40:41], v[44:45], v[42:43] neg_lo:[0,1] neg_hi:[0,1]
	v_mov_b32_e32 v52, v50
	v_pk_add_f32 v[42:43], v[52:53], v[40:41]
	v_mov_b32_e32 v14, v43
	v_pk_add_f32 v[44:45], v[42:43], v[14:15]
	v_pk_add_f32 v[46:47], v[0:1], v[44:45]
	v_mov_b32_e32 v43, v46
	v_pk_add_f32 v[48:49], v[42:43], v[50:51] neg_lo:[0,1] neg_hi:[0,1]
	v_mov_b32_e32 v41, v44
	v_sub_f32_e32 v0, v42, v48
	v_pk_add_f32 v[40:41], v[40:41], v[48:49] neg_lo:[0,1] neg_hi:[0,1]
	v_sub_f32_e32 v0, v50, v0
	v_add_f32_e32 v0, v40, v0
	v_add_f32_e32 v0, v0, v41
	;; [unrolled: 1-line block ×3, first 2 shown]
	v_cmp_eq_f32_e32 vcc, s14, v12
	v_cndmask_b32_e32 v0, v0, v12, vcc
	v_cmp_ngt_f32_e32 vcc, -1.0, v12
	v_cndmask_b32_e32 v0, v32, v0, vcc
	v_cmp_neq_f32_e32 vcc, -1.0, v12
	v_cndmask_b32_e32 v0, v33, v0, vcc
	v_cmp_lt_f32_e64 vcc, |v12|, s19
	v_cndmask_b32_e32 v0, v0, v12, vcc
	v_mul_f32_e32 v0, 0.5, v0
.LBB211_67:                             ;   in Loop: Header=BB211_50 Depth=1
	s_or_b64 exec, exec, s[6:7]
	v_mov_b32_e32 v12, v0
.LBB211_68:                             ;   in Loop: Header=BB211_50 Depth=1
	s_or_b64 exec, exec, s[0:1]
	v_max_f32_e64 v0, |v2|, |v2|
	v_max_f32_e64 v40, |v3|, |v3|
	v_max_f32_e32 v0, v0, v40
	v_cvt_f64_f32_e32 v[42:43], v0
	v_frexp_exp_i32_f64_e32 v14, v[42:43]
	v_sub_u32_e32 v21, 0, v14
	v_ldexp_f32 v41, |v2|, v21
	v_ldexp_f32 v21, |v3|, v21
	v_mul_f32_e32 v21, v21, v21
	v_fmac_f32_e32 v21, v41, v41
	v_sqrt_f32_e32 v21, v21
	v_cmp_eq_f32_e32 vcc, s14, v0
	v_ldexp_f32 v0, v21, v14
	v_cmp_ngt_f32_e64 s[0:1], 0.5, v0
	v_add_f32_e32 v0, 1.0, v2
	v_max_f32_e64 v41, |v0|, v40
	s_or_b64 s[0:1], vcc, s[0:1]
	s_and_saveexec_b64 s[6:7], s[0:1]
	s_xor_b64 s[6:7], exec, s[6:7]
	s_cbranch_execz .LBB211_70
; %bb.69:                               ;   in Loop: Header=BB211_50 Depth=1
	v_cvt_f64_f32_e32 v[42:43], v41
	v_frexp_exp_i32_f64_e32 v14, v[42:43]
	v_sub_u32_e32 v21, 0, v14
	v_ldexp_f32 v42, |v0|, v21
	v_ldexp_f32 v21, |v3|, v21
	v_mul_f32_e32 v21, v21, v21
	v_fmac_f32_e32 v21, v42, v42
	v_sqrt_f32_e32 v21, v21
	v_cmp_neq_f32_e32 vcc, s14, v41
	v_ldexp_f32 v14, v21, v14
	v_cndmask_b32_e32 v14, v29, v14, vcc
	v_cmp_gt_f32_e32 vcc, s15, v14
	v_cndmask_b32_e32 v21, 1.0, v30, vcc
	v_mul_f32_e32 v14, v14, v21
	v_log_f32_e32 v14, v14
	v_mul_f32_e32 v21, 0x3f317217, v14
	v_fma_f32 v42, v14, s16, -v21
	v_fmac_f32_e32 v42, 0x3377d1cf, v14
	v_add_f32_e32 v21, v21, v42
	v_cmp_lt_f32_e64 s[0:1], |v14|, s14
	v_cndmask_b32_e64 v14, v14, v21, s[0:1]
	v_cndmask_b32_e32 v21, 0, v31, vcc
	v_sub_f32_e32 v14, v14, v21
.LBB211_70:                             ;   in Loop: Header=BB211_50 Depth=1
	s_andn2_saveexec_b64 s[0:1], s[6:7]
	s_cbranch_execz .LBB211_49
; %bb.71:                               ;   in Loop: Header=BB211_50 Depth=1
	v_add_f32_e32 v14, 2.0, v2
	v_mul_f32_e32 v14, v2, v14
	v_fmac_f32_e32 v14, v3, v3
	v_cmp_neq_f32_e32 vcc, 0, v14
	s_and_saveexec_b64 s[6:7], vcc
	s_cbranch_execz .LBB211_48
; %bb.72:                               ;   in Loop: Header=BB211_50 Depth=1
	v_add_f32_e32 v2, 1.0, v14
	v_add_f32_e32 v21, -1.0, v2
	v_sub_f32_e32 v42, v21, v2
	v_add_f32_e32 v42, 1.0, v42
	v_sub_f32_e32 v21, v14, v21
	v_add_f32_e32 v21, v21, v42
	v_frexp_mant_f32_e32 v44, v2
	v_cvt_f64_f32_e32 v[42:43], v2
	v_frexp_exp_i32_f64_e32 v42, v[42:43]
	v_cmp_gt_f32_e32 vcc, s17, v44
	v_subbrev_co_u32_e32 v50, vcc, 0, v42, vcc
	v_sub_u32_e32 v42, 0, v50
	v_ldexp_f32 v2, v2, v42
	v_ldexp_f32 v21, v21, v42
	v_add_f32_e32 v42, -1.0, v2
	v_add_f32_e32 v43, 1.0, v42
	v_sub_f32_e32 v43, v2, v43
	v_add_f32_e32 v44, v21, v43
	v_add_f32_e32 v43, 1.0, v2
	v_add_f32_e32 v45, -1.0, v43
	v_sub_f32_e32 v2, v2, v45
	v_add_f32_e32 v2, v21, v2
	v_add_f32_e32 v21, v43, v2
	v_rcp_f32_e32 v51, v21
	v_sub_f32_e32 v43, v21, v43
	v_sub_f32_e32 v2, v2, v43
	v_add_f32_e32 v43, v42, v44
	v_sub_f32_e32 v42, v43, v42
	v_mul_f32_e32 v53, v43, v51
	v_sub_f32_e32 v52, v44, v42
	v_mul_f32_e32 v44, v21, v53
	v_fma_f32 v46, v53, v21, -v44
	v_fmac_f32_e32 v46, v53, v2
	v_add_f32_e32 v42, v44, v46
	v_sub_f32_e32 v45, v43, v42
	v_pk_add_f32 v[48:49], v[42:43], v[44:45] neg_lo:[0,1] neg_hi:[0,1]
	v_mov_b32_e32 v47, v42
	v_pk_add_f32 v[42:43], v[48:49], v[46:47] neg_lo:[0,1] neg_hi:[0,1]
	v_add_f32_e32 v43, v52, v43
	v_add_f32_e32 v42, v42, v43
	;; [unrolled: 1-line block ×3, first 2 shown]
	v_mul_f32_e32 v52, v51, v43
	v_mul_f32_e32 v44, v21, v52
	v_fma_f32 v46, v52, v21, -v44
	v_fmac_f32_e32 v46, v52, v2
	v_sub_f32_e32 v2, v45, v43
	v_add_f32_e32 v2, v42, v2
	v_add_f32_e32 v42, v44, v46
	v_sub_f32_e32 v45, v43, v42
	v_pk_add_f32 v[48:49], v[42:43], v[44:45] neg_lo:[0,1] neg_hi:[0,1]
	v_mov_b32_e32 v47, v42
	v_pk_add_f32 v[42:43], v[48:49], v[46:47] neg_lo:[0,1] neg_hi:[0,1]
	v_add_f32_e32 v2, v2, v43
	v_add_f32_e32 v2, v42, v2
	;; [unrolled: 1-line block ×4, first 2 shown]
	v_sub_f32_e32 v21, v43, v53
	v_mul_f32_e32 v2, v51, v2
	v_sub_f32_e32 v21, v52, v21
	v_add_f32_e32 v2, v21, v2
	v_add_f32_e32 v44, v43, v2
	v_cvt_f32_i32_e32 v42, v50
	v_mul_f32_e32 v46, v44, v44
	v_mov_b32_e32 v21, 0x3ecc95a3
	v_fmac_f32_e32 v21, 0x3e9b6dac, v46
	v_sub_f32_e32 v43, v44, v43
	v_fma_f32 v21, v46, v21, v22
	v_sub_f32_e32 v2, v2, v43
	v_mul_f32_e32 v43, v44, v46
	v_pk_mul_f32 v[46:47], v[42:43], v[20:21]
	v_ldexp_f32 v45, v44, 1
	v_fma_f32 v44, v42, s18, -v46
	v_fmac_f32_e32 v44, 0xb102e308, v42
	v_pk_add_f32 v[42:43], v[46:47], v[44:45]
	v_sub_f32_e32 v21, v43, v45
	v_ldexp_f32 v2, v2, 1
	v_sub_f32_e32 v21, v47, v21
	v_add_f32_e32 v49, v2, v21
	v_mov_b32_e32 v48, v46
	v_pk_add_f32 v[46:47], v[42:43], v[46:47] neg_lo:[0,1] neg_hi:[0,1]
	v_pk_add_f32 v[50:51], v[42:43], v[48:49]
	v_mov_b32_e32 v47, v51
	v_mov_b32_e32 v45, v42
	v_pk_add_f32 v[52:53], v[44:45], v[46:47] neg_lo:[0,1] neg_hi:[0,1]
	v_pk_add_f32 v[44:45], v[44:45], v[46:47]
	v_mov_b32_e32 v2, v45
	v_pk_add_f32 v[46:47], v[2:3], v[42:43] neg_lo:[0,1] neg_hi:[0,1]
	v_mov_b32_e32 v21, v46
	v_pk_add_f32 v[54:55], v[50:51], v[20:21] neg_lo:[0,1] neg_hi:[0,1]
	v_mov_b32_e32 v44, v51
	v_mov_b32_e32 v50, v43
	;; [unrolled: 1-line block ×4, first 2 shown]
	v_pk_add_f32 v[44:45], v[44:45], v[50:51] neg_lo:[0,1] neg_hi:[0,1]
	v_mov_b32_e32 v46, v49
	v_mov_b32_e32 v47, v42
	v_pk_add_f32 v[42:43], v[46:47], v[44:45] neg_lo:[0,1] neg_hi:[0,1]
	v_mov_b32_e32 v54, v52
	v_pk_add_f32 v[44:45], v[54:55], v[42:43]
	v_mov_b32_e32 v46, v45
	v_pk_add_f32 v[46:47], v[44:45], v[46:47]
	v_pk_add_f32 v[48:49], v[2:3], v[46:47]
	v_mov_b32_e32 v45, v48
	v_pk_add_f32 v[50:51], v[44:45], v[52:53] neg_lo:[0,1] neg_hi:[0,1]
	v_mov_b32_e32 v43, v46
	v_sub_f32_e32 v2, v44, v50
	v_pk_add_f32 v[42:43], v[42:43], v[50:51] neg_lo:[0,1] neg_hi:[0,1]
	v_sub_f32_e32 v2, v52, v2
	v_add_f32_e32 v2, v42, v2
	v_add_f32_e32 v2, v2, v43
	;; [unrolled: 1-line block ×3, first 2 shown]
	v_cmp_eq_f32_e32 vcc, s14, v14
	v_cndmask_b32_e32 v2, v2, v14, vcc
	v_cmp_ngt_f32_e32 vcc, -1.0, v14
	v_cndmask_b32_e32 v2, v32, v2, vcc
	v_cmp_neq_f32_e32 vcc, -1.0, v14
	v_cndmask_b32_e32 v2, v33, v2, vcc
	v_cmp_lt_f32_e64 vcc, |v14|, s19
	v_cndmask_b32_e32 v2, v2, v14, vcc
	v_mul_f32_e32 v2, 0.5, v2
	s_branch .LBB211_48
.LBB211_73:
	s_endpgm
	.section	.rodata,"a",@progbits
	.p2align	6, 0x0
	.amdhsa_kernel _ZN2at6native12_GLOBAL__N_125multi_tensor_apply_kernelINS1_18TensorListMetadataILi1EEENS1_14UnaryOpFunctorIN3c107complexIfEELi1ELi1ELi0EEEJNS0_5Log1pIS8_EEEEEvT_T0_DpT1_
		.amdhsa_group_segment_fixed_size 0
		.amdhsa_private_segment_fixed_size 0
		.amdhsa_kernarg_size 3632
		.amdhsa_user_sgpr_count 6
		.amdhsa_user_sgpr_private_segment_buffer 1
		.amdhsa_user_sgpr_dispatch_ptr 0
		.amdhsa_user_sgpr_queue_ptr 0
		.amdhsa_user_sgpr_kernarg_segment_ptr 1
		.amdhsa_user_sgpr_dispatch_id 0
		.amdhsa_user_sgpr_flat_scratch_init 0
		.amdhsa_user_sgpr_kernarg_preload_length 0
		.amdhsa_user_sgpr_kernarg_preload_offset 0
		.amdhsa_user_sgpr_private_segment_size 0
		.amdhsa_uses_dynamic_stack 0
		.amdhsa_system_sgpr_private_segment_wavefront_offset 0
		.amdhsa_system_sgpr_workgroup_id_x 1
		.amdhsa_system_sgpr_workgroup_id_y 0
		.amdhsa_system_sgpr_workgroup_id_z 0
		.amdhsa_system_sgpr_workgroup_info 0
		.amdhsa_system_vgpr_workitem_id 0
		.amdhsa_next_free_vgpr 66
		.amdhsa_next_free_sgpr 40
		.amdhsa_accum_offset 68
		.amdhsa_reserve_vcc 1
		.amdhsa_reserve_flat_scratch 0
		.amdhsa_float_round_mode_32 0
		.amdhsa_float_round_mode_16_64 0
		.amdhsa_float_denorm_mode_32 3
		.amdhsa_float_denorm_mode_16_64 3
		.amdhsa_dx10_clamp 1
		.amdhsa_ieee_mode 1
		.amdhsa_fp16_overflow 0
		.amdhsa_tg_split 0
		.amdhsa_exception_fp_ieee_invalid_op 0
		.amdhsa_exception_fp_denorm_src 0
		.amdhsa_exception_fp_ieee_div_zero 0
		.amdhsa_exception_fp_ieee_overflow 0
		.amdhsa_exception_fp_ieee_underflow 0
		.amdhsa_exception_fp_ieee_inexact 0
		.amdhsa_exception_int_div_zero 0
	.end_amdhsa_kernel
	.section	.text._ZN2at6native12_GLOBAL__N_125multi_tensor_apply_kernelINS1_18TensorListMetadataILi1EEENS1_14UnaryOpFunctorIN3c107complexIfEELi1ELi1ELi0EEEJNS0_5Log1pIS8_EEEEEvT_T0_DpT1_,"axG",@progbits,_ZN2at6native12_GLOBAL__N_125multi_tensor_apply_kernelINS1_18TensorListMetadataILi1EEENS1_14UnaryOpFunctorIN3c107complexIfEELi1ELi1ELi0EEEJNS0_5Log1pIS8_EEEEEvT_T0_DpT1_,comdat
.Lfunc_end211:
	.size	_ZN2at6native12_GLOBAL__N_125multi_tensor_apply_kernelINS1_18TensorListMetadataILi1EEENS1_14UnaryOpFunctorIN3c107complexIfEELi1ELi1ELi0EEEJNS0_5Log1pIS8_EEEEEvT_T0_DpT1_, .Lfunc_end211-_ZN2at6native12_GLOBAL__N_125multi_tensor_apply_kernelINS1_18TensorListMetadataILi1EEENS1_14UnaryOpFunctorIN3c107complexIfEELi1ELi1ELi0EEEJNS0_5Log1pIS8_EEEEEvT_T0_DpT1_
                                        ; -- End function
	.section	.AMDGPU.csdata,"",@progbits
; Kernel info:
; codeLenInByte = 10644
; NumSgprs: 44
; NumVgprs: 66
; NumAgprs: 0
; TotalNumVgprs: 66
; ScratchSize: 0
; MemoryBound: 0
; FloatMode: 240
; IeeeMode: 1
; LDSByteSize: 0 bytes/workgroup (compile time only)
; SGPRBlocks: 5
; VGPRBlocks: 8
; NumSGPRsForWavesPerEU: 44
; NumVGPRsForWavesPerEU: 66
; AccumOffset: 68
; Occupancy: 7
; WaveLimiterHint : 0
; COMPUTE_PGM_RSRC2:SCRATCH_EN: 0
; COMPUTE_PGM_RSRC2:USER_SGPR: 6
; COMPUTE_PGM_RSRC2:TRAP_HANDLER: 0
; COMPUTE_PGM_RSRC2:TGID_X_EN: 1
; COMPUTE_PGM_RSRC2:TGID_Y_EN: 0
; COMPUTE_PGM_RSRC2:TGID_Z_EN: 0
; COMPUTE_PGM_RSRC2:TIDIG_COMP_CNT: 0
; COMPUTE_PGM_RSRC3_GFX90A:ACCUM_OFFSET: 16
; COMPUTE_PGM_RSRC3_GFX90A:TG_SPLIT: 0
	.section	.text._ZN2at6native12_GLOBAL__N_125multi_tensor_apply_kernelINS1_18TensorListMetadataILi1EEENS1_14UnaryOpFunctorIN3c104HalfELi1ELi1ELi0EEEJNS0_5Log1pIfEEEEEvT_T0_DpT1_,"axG",@progbits,_ZN2at6native12_GLOBAL__N_125multi_tensor_apply_kernelINS1_18TensorListMetadataILi1EEENS1_14UnaryOpFunctorIN3c104HalfELi1ELi1ELi0EEEJNS0_5Log1pIfEEEEEvT_T0_DpT1_,comdat
	.globl	_ZN2at6native12_GLOBAL__N_125multi_tensor_apply_kernelINS1_18TensorListMetadataILi1EEENS1_14UnaryOpFunctorIN3c104HalfELi1ELi1ELi0EEEJNS0_5Log1pIfEEEEEvT_T0_DpT1_ ; -- Begin function _ZN2at6native12_GLOBAL__N_125multi_tensor_apply_kernelINS1_18TensorListMetadataILi1EEENS1_14UnaryOpFunctorIN3c104HalfELi1ELi1ELi0EEEJNS0_5Log1pIfEEEEEvT_T0_DpT1_
	.p2align	8
	.type	_ZN2at6native12_GLOBAL__N_125multi_tensor_apply_kernelINS1_18TensorListMetadataILi1EEENS1_14UnaryOpFunctorIN3c104HalfELi1ELi1ELi0EEEJNS0_5Log1pIfEEEEEvT_T0_DpT1_,@function
_ZN2at6native12_GLOBAL__N_125multi_tensor_apply_kernelINS1_18TensorListMetadataILi1EEENS1_14UnaryOpFunctorIN3c104HalfELi1ELi1ELi0EEEJNS0_5Log1pIfEEEEEvT_T0_DpT1_: ; @_ZN2at6native12_GLOBAL__N_125multi_tensor_apply_kernelINS1_18TensorListMetadataILi1EEENS1_14UnaryOpFunctorIN3c104HalfELi1ELi1ELi0EEEJNS0_5Log1pIfEEEEEvT_T0_DpT1_
; %bb.0:
	v_mov_b32_e32 v1, s6
	global_load_ubyte v1, v1, s[4:5] offset:1760
	s_add_u32 s0, s4, s6
	s_mul_hi_u32 s1, s6, 3
	s_mul_i32 s6, s6, 3
	s_addc_u32 s2, s5, 0
	s_add_u32 s0, s0, s6
	s_addc_u32 s1, s2, s1
	s_load_dword s0, s[0:1], 0x820
	s_mov_b32 s7, 0
	s_waitcnt vmcnt(0)
	v_readfirstlane_b32 s2, v1
	s_lshl_b32 s1, s2, 3
	s_load_dwordx2 s[2:3], s[4:5], s1 offset:0x370
	s_load_dwordx2 s[12:13], s[4:5], s1 offset:0x0
	s_waitcnt lgkmcnt(0)
	s_ashr_i32 s1, s0, 31
	s_lshl_b64 s[14:15], s[0:1], 17
	s_lshl_b64 s[0:1], s[0:1], 16
	s_and_b32 s6, s12, 7
	s_sub_u32 s10, s2, s0
	s_subb_u32 s11, s3, s1
	s_and_b32 s0, s2, 3
	s_mov_b32 s1, s7
	s_or_b64 s[0:1], s[6:7], s[0:1]
	s_cmp_eq_u64 s[0:1], 0
	s_cbranch_scc1 .LBB212_21
; %bb.1:
	v_cmp_lt_i64_e64 s[0:1], s[10:11], 1
	s_and_b64 vcc, exec, s[0:1]
	s_cbranch_vccnz .LBB212_20
; %bb.2:
	s_load_dword s0, s[4:5], 0xd3c
	v_mov_b32_e32 v2, 0x10000
	v_mov_b32_e32 v3, 0
	v_cmp_lt_u64_e32 vcc, s[10:11], v[2:3]
	v_lshlrev_b32_e32 v1, 1, v0
	s_waitcnt lgkmcnt(0)
	s_and_b32 s2, s0, 0xffff
	s_and_b64 s[0:1], vcc, exec
	s_cselect_b32 s17, s11, 0
	s_cselect_b32 s16, s10, 0x10000
	s_lshl_b32 s3, s2, 1
	s_lshl_b32 s23, s2, 2
	s_add_u32 s6, s12, s14
	s_addc_u32 s7, s13, s15
	v_mov_b32_e32 v3, s7
	v_add_co_u32_e32 v2, vcc, s6, v1
	s_mul_i32 s0, s2, 3
	v_addc_co_u32_e32 v3, vcc, 0, v3, vcc
	v_add_co_u32_e32 v1, vcc, s0, v0
	v_addc_co_u32_e64 v8, s[0:1], 0, 0, vcc
	v_add_co_u32_e32 v9, vcc, s3, v0
	v_addc_co_u32_e64 v10, s[0:1], 0, 0, vcc
	v_add_co_u32_e32 v11, vcc, s2, v0
	v_lshlrev_b32_e32 v4, 1, v11
	s_mov_b32 s22, 0
	v_addc_co_u32_e64 v12, s[0:1], 0, 0, vcc
	v_mov_b32_e32 v5, s7
	v_add_co_u32_e32 v4, vcc, s6, v4
	s_lshl_b32 s24, s2, 3
	s_mov_b32 s25, s22
	s_mul_i32 s26, s2, 6
	s_mov_b32 s27, s22
	v_addc_co_u32_e32 v5, vcc, 0, v5, vcc
	s_mov_b64 s[18:19], 0
	s_mov_b32 s28, 0x33800000
	s_movk_i32 s29, 0x7c00
	s_mov_b32 s30, 0x3f2aaaab
	v_mov_b32_e32 v13, 0x3f2aaada
	s_mov_b32 s31, 0x3f317218
	v_mov_b32_e32 v6, 0x3f317218
	v_mov_b32_e32 v14, 0x7e00
	;; [unrolled: 1-line block ×3, first 2 shown]
	s_branch .LBB212_4
.LBB212_3:                              ;   in Loop: Header=BB212_4 Depth=1
	s_or_b64 exec, exec, s[0:1]
	s_add_u32 s18, s18, s23
	s_addc_u32 s19, s19, 0
	s_waitcnt vmcnt(0)
	v_pk_mov_b32 v[16:17], s[10:11], s[10:11] op_sel:[0,1]
	v_cmp_lt_i64_e32 vcc, s[18:19], v[16:17]
	v_mov_b32_e32 v16, 0x10000
	v_mov_b32_e32 v17, 0
	v_cmp_lt_u64_e64 s[0:1], s[18:19], v[16:17]
	s_and_b64 s[0:1], vcc, s[0:1]
	v_mov_b32_e32 v7, s25
	v_add_co_u32_e32 v2, vcc, s24, v2
	v_addc_co_u32_e32 v3, vcc, v3, v7, vcc
	v_add_co_u32_e32 v4, vcc, s24, v4
	v_addc_co_u32_e32 v5, vcc, v5, v7, vcc
	s_and_b64 vcc, exec, s[0:1]
	s_cbranch_vccz .LBB212_20
.LBB212_4:                              ; =>This Inner Loop Header: Depth=1
	v_mov_b32_e32 v7, s19
	v_add_co_u32_e32 v16, vcc, s18, v0
	v_addc_co_u32_e32 v17, vcc, 0, v7, vcc
	v_cmp_gt_u64_e64 s[6:7], s[16:17], v[16:17]
	v_mov_b32_e32 v19, 0
	s_and_saveexec_b64 s[0:1], s[6:7]
	s_cbranch_execz .LBB212_6
; %bb.5:                                ;   in Loop: Header=BB212_4 Depth=1
	global_load_ushort v19, v[2:3], off
.LBB212_6:                              ;   in Loop: Header=BB212_4 Depth=1
	s_or_b64 exec, exec, s[0:1]
	v_mov_b32_e32 v7, s19
	v_add_co_u32_e32 v16, vcc, s18, v11
	v_addc_co_u32_e32 v17, vcc, v12, v7, vcc
	v_cmp_gt_u64_e64 s[2:3], s[16:17], v[16:17]
	v_mov_b32_e32 v18, 0
	s_and_saveexec_b64 s[0:1], s[2:3]
	s_cbranch_execz .LBB212_8
; %bb.7:                                ;   in Loop: Header=BB212_4 Depth=1
	global_load_ushort v18, v[4:5], off
.LBB212_8:                              ;   in Loop: Header=BB212_4 Depth=1
	s_or_b64 exec, exec, s[0:1]
	v_mov_b32_e32 v7, s19
	v_add_co_u32_e32 v16, vcc, s18, v9
	v_addc_co_u32_e32 v17, vcc, v10, v7, vcc
	v_cmp_gt_u64_e64 s[0:1], s[16:17], v[16:17]
	v_mov_b32_e32 v16, 0
	v_mov_b32_e32 v17, 0
	s_and_saveexec_b64 s[8:9], s[0:1]
	s_cbranch_execz .LBB212_10
; %bb.9:                                ;   in Loop: Header=BB212_4 Depth=1
	v_mov_b32_e32 v7, s22
	v_add_co_u32_e32 v20, vcc, s23, v2
	v_addc_co_u32_e32 v21, vcc, v3, v7, vcc
	global_load_ushort v17, v[20:21], off
.LBB212_10:                             ;   in Loop: Header=BB212_4 Depth=1
	s_or_b64 exec, exec, s[8:9]
	v_mov_b32_e32 v7, s19
	v_add_co_u32_e32 v20, vcc, s18, v1
	v_addc_co_u32_e32 v21, vcc, v8, v7, vcc
	v_cmp_gt_u64_e32 vcc, s[16:17], v[20:21]
	s_and_saveexec_b64 s[20:21], vcc
	s_cbranch_execnz .LBB212_15
; %bb.11:                               ;   in Loop: Header=BB212_4 Depth=1
	s_or_b64 exec, exec, s[20:21]
	s_and_saveexec_b64 s[8:9], s[6:7]
	s_cbranch_execnz .LBB212_16
.LBB212_12:                             ;   in Loop: Header=BB212_4 Depth=1
	s_or_b64 exec, exec, s[8:9]
	s_and_saveexec_b64 s[6:7], s[2:3]
	s_cbranch_execnz .LBB212_17
.LBB212_13:                             ;   in Loop: Header=BB212_4 Depth=1
	s_or_b64 exec, exec, s[6:7]
	s_and_saveexec_b64 s[2:3], s[0:1]
	s_cbranch_execnz .LBB212_18
.LBB212_14:                             ;   in Loop: Header=BB212_4 Depth=1
	s_or_b64 exec, exec, s[2:3]
	s_and_saveexec_b64 s[0:1], vcc
	s_cbranch_execz .LBB212_3
	s_branch .LBB212_19
.LBB212_15:                             ;   in Loop: Header=BB212_4 Depth=1
	v_mov_b32_e32 v7, s27
	v_add_co_u32_e64 v20, s[8:9], s26, v2
	v_addc_co_u32_e64 v21, s[8:9], v3, v7, s[8:9]
	global_load_ushort v16, v[20:21], off
	s_or_b64 exec, exec, s[20:21]
	s_and_saveexec_b64 s[8:9], s[6:7]
	s_cbranch_execz .LBB212_12
.LBB212_16:                             ;   in Loop: Header=BB212_4 Depth=1
	s_waitcnt vmcnt(0)
	v_cvt_f32_f16_e32 v36, v19
	v_add_f32_e32 v7, 1.0, v36
	v_cvt_f64_f32_e32 v[20:21], v7
	v_frexp_mant_f32_e32 v22, v7
	v_frexp_exp_i32_f64_e32 v20, v[20:21]
	v_cmp_gt_f32_e64 s[6:7], s30, v22
	v_subbrev_co_u32_e64 v21, s[6:7], 0, v20, s[6:7]
	v_cvt_f32_i32_e32 v20, v21
	v_sub_u32_e32 v21, 0, v21
	v_add_f32_e32 v23, -1.0, v7
	v_ldexp_f32 v22, v7, v21
	v_sub_f32_e32 v7, v23, v7
	v_sub_f32_e32 v24, v36, v23
	v_add_f32_e32 v7, 1.0, v7
	v_add_f32_e32 v27, -1.0, v22
	v_add_f32_e32 v7, v24, v7
	v_add_f32_e32 v23, 1.0, v22
	v_ldexp_f32 v7, v7, v21
	v_add_f32_e32 v21, 1.0, v27
	v_add_f32_e32 v24, -1.0, v23
	v_sub_f32_e32 v21, v22, v21
	v_sub_f32_e32 v22, v22, v24
	v_add_f32_e32 v21, v7, v21
	v_add_f32_e32 v7, v7, v22
	;; [unrolled: 1-line block ×3, first 2 shown]
	v_rcp_f32_e32 v31, v30
	v_sub_f32_e32 v22, v30, v23
	v_add_f32_e32 v23, v27, v21
	v_sub_f32_e32 v7, v7, v22
	v_mul_f32_e32 v32, v23, v31
	v_mul_f32_e32 v24, v30, v32
	v_fma_f32 v26, v32, v30, -v24
	v_fmac_f32_e32 v26, v32, v7
	v_add_f32_e32 v22, v24, v26
	v_sub_f32_e32 v25, v23, v22
	v_sub_f32_e32 v27, v23, v27
	;; [unrolled: 1-line block ×3, first 2 shown]
	v_pk_add_f32 v[28:29], v[22:23], v[24:25] neg_lo:[0,1] neg_hi:[0,1]
	v_mov_b32_e32 v27, v22
	v_pk_add_f32 v[22:23], v[28:29], v[26:27] neg_lo:[0,1] neg_hi:[0,1]
	v_add_f32_e32 v21, v21, v23
	v_add_f32_e32 v21, v22, v21
	;; [unrolled: 1-line block ×3, first 2 shown]
	v_mul_f32_e32 v22, v31, v23
	v_add_f32_e32 v33, v32, v22
	v_sub_f32_e32 v24, v33, v32
	v_mul_f32_e32 v26, v30, v22
	v_sub_f32_e32 v32, v22, v24
	v_fma_f32 v24, v22, v30, -v26
	v_fmac_f32_e32 v24, v22, v7
	v_add_f32_e32 v22, v26, v24
	v_sub_f32_e32 v27, v23, v22
	v_sub_f32_e32 v7, v25, v23
	v_pk_add_f32 v[28:29], v[22:23], v[26:27] neg_lo:[0,1] neg_hi:[0,1]
	v_mov_b32_e32 v25, v22
	v_add_f32_e32 v7, v21, v7
	v_pk_add_f32 v[22:23], v[28:29], v[24:25] neg_lo:[0,1] neg_hi:[0,1]
	v_add_f32_e32 v7, v7, v23
	v_add_f32_e32 v7, v22, v7
	;; [unrolled: 1-line block ×3, first 2 shown]
	v_mul_f32_e32 v7, v31, v7
	v_add_f32_e32 v22, v32, v7
	v_add_f32_e32 v24, v33, v22
	v_mul_f32_e32 v7, v24, v24
	v_mov_b32_e32 v25, 0x3ecc95a3
	v_fmac_f32_e32 v25, 0x3e9b6dac, v7
	v_ldexp_f32 v23, v24, 1
	v_mul_f32_e32 v21, v24, v7
	v_fma_f32 v7, v7, v25, v13
	v_sub_f32_e32 v24, v24, v33
	v_sub_f32_e32 v22, v22, v24
	v_pk_mul_f32 v[24:25], v[20:21], v[6:7]
	v_ldexp_f32 v26, v22, 1
	v_fma_f32 v22, v20, s31, -v24
	v_fmac_f32_e32 v22, 0xb102e308, v20
	v_pk_add_f32 v[20:21], v[24:25], v[22:23]
	v_sub_f32_e32 v7, v21, v23
	v_sub_f32_e32 v7, v25, v7
	v_add_f32_e32 v27, v26, v7
	v_mov_b32_e32 v26, v24
	v_pk_add_f32 v[24:25], v[20:21], v[24:25] neg_lo:[0,1] neg_hi:[0,1]
	v_pk_add_f32 v[28:29], v[20:21], v[26:27]
	v_mov_b32_e32 v25, v29
	v_mov_b32_e32 v23, v20
	v_pk_add_f32 v[30:31], v[22:23], v[24:25] neg_lo:[0,1] neg_hi:[0,1]
	v_pk_add_f32 v[22:23], v[22:23], v[24:25]
	v_mov_b32_e32 v24, v23
	v_pk_add_f32 v[32:33], v[24:25], v[20:21] neg_lo:[0,1] neg_hi:[0,1]
	v_mov_b32_e32 v7, v32
	v_pk_add_f32 v[34:35], v[28:29], v[6:7] neg_lo:[0,1] neg_hi:[0,1]
	v_mov_b32_e32 v22, v29
	v_mov_b32_e32 v28, v21
	;; [unrolled: 1-line block ×4, first 2 shown]
	v_pk_add_f32 v[22:23], v[22:23], v[28:29] neg_lo:[0,1] neg_hi:[0,1]
	v_mov_b32_e32 v26, v27
	v_mov_b32_e32 v27, v20
	v_pk_add_f32 v[20:21], v[26:27], v[22:23] neg_lo:[0,1] neg_hi:[0,1]
	v_mov_b32_e32 v34, v30
	v_pk_add_f32 v[22:23], v[34:35], v[20:21]
	v_mov_b32_e32 v26, v23
	v_pk_add_f32 v[26:27], v[22:23], v[26:27]
	v_pk_add_f32 v[24:25], v[24:25], v[26:27]
	v_mov_b32_e32 v23, v24
	v_pk_add_f32 v[28:29], v[22:23], v[30:31] neg_lo:[0,1] neg_hi:[0,1]
	v_mov_b32_e32 v21, v26
	v_sub_f32_e32 v7, v22, v28
	v_pk_add_f32 v[20:21], v[20:21], v[28:29] neg_lo:[0,1] neg_hi:[0,1]
	v_sub_f32_e32 v7, v30, v7
	v_add_f32_e32 v7, v20, v7
	v_add_f32_e32 v7, v7, v21
	;; [unrolled: 1-line block ×3, first 2 shown]
	v_cvt_f16_f32_e32 v7, v7
	v_cmp_eq_f16_e64 s[6:7], s29, v19
	v_cndmask_b32_e64 v7, v7, v19, s[6:7]
	v_cmp_ngt_f16_e64 s[6:7], -1.0, v19
	v_cndmask_b32_e64 v7, v14, v7, s[6:7]
	v_cmp_neq_f16_e64 s[6:7], -1.0, v19
	v_cndmask_b32_e64 v7, v15, v7, s[6:7]
	v_cmp_lt_f32_e64 s[6:7], |v36|, s28
	v_cndmask_b32_e64 v7, v7, v19, s[6:7]
	global_store_short v[2:3], v7, off
	s_or_b64 exec, exec, s[8:9]
	s_and_saveexec_b64 s[6:7], s[2:3]
	s_cbranch_execz .LBB212_13
.LBB212_17:                             ;   in Loop: Header=BB212_4 Depth=1
	s_waitcnt vmcnt(0)
	v_cvt_f32_f16_e32 v7, v18
	v_add_f32_e32 v19, 1.0, v7
	v_frexp_mant_f32_e32 v23, v19
	v_cvt_f64_f32_e32 v[20:21], v19
	v_add_f32_e32 v22, -1.0, v19
	v_frexp_exp_i32_f64_e32 v20, v[20:21]
	v_cmp_gt_f32_e64 s[2:3], s30, v23
	v_sub_f32_e32 v24, v22, v19
	v_subbrev_co_u32_e64 v20, s[2:3], 0, v20, s[2:3]
	v_sub_f32_e32 v22, v7, v22
	v_add_f32_e32 v24, 1.0, v24
	v_sub_u32_e32 v21, 0, v20
	v_add_f32_e32 v22, v22, v24
	v_ldexp_f32 v19, v19, v21
	v_ldexp_f32 v21, v22, v21
	v_add_f32_e32 v22, -1.0, v19
	v_add_f32_e32 v25, 1.0, v19
	v_add_f32_e32 v23, 1.0, v22
	v_add_f32_e32 v26, -1.0, v25
	v_sub_f32_e32 v23, v19, v23
	v_sub_f32_e32 v19, v19, v26
	v_add_f32_e32 v19, v21, v19
	v_add_f32_e32 v23, v21, v23
	;; [unrolled: 1-line block ×3, first 2 shown]
	v_rcp_f32_e32 v26, v21
	v_add_f32_e32 v24, v22, v23
	v_sub_f32_e32 v22, v24, v22
	v_sub_f32_e32 v22, v23, v22
	;; [unrolled: 1-line block ×4, first 2 shown]
	v_mul_f32_e32 v23, v24, v26
	v_mul_f32_e32 v25, v21, v23
	v_fma_f32 v27, v23, v21, -v25
	v_fmac_f32_e32 v27, v23, v19
	v_add_f32_e32 v28, v25, v27
	v_sub_f32_e32 v29, v24, v28
	v_sub_f32_e32 v24, v24, v29
	;; [unrolled: 1-line block ×4, first 2 shown]
	v_add_f32_e32 v22, v22, v24
	v_sub_f32_e32 v24, v25, v27
	v_add_f32_e32 v22, v24, v22
	v_add_f32_e32 v24, v29, v22
	v_mul_f32_e32 v25, v26, v24
	v_mul_f32_e32 v27, v21, v25
	v_fma_f32 v21, v25, v21, -v27
	v_fmac_f32_e32 v21, v25, v19
	v_sub_f32_e32 v19, v29, v24
	v_add_f32_e32 v19, v22, v19
	v_add_f32_e32 v22, v27, v21
	v_sub_f32_e32 v28, v24, v22
	v_sub_f32_e32 v24, v24, v28
	;; [unrolled: 1-line block ×4, first 2 shown]
	v_add_f32_e32 v19, v19, v22
	v_sub_f32_e32 v21, v27, v21
	v_cvt_f32_i32_e32 v20, v20
	v_add_f32_e32 v19, v21, v19
	v_add_f32_e32 v21, v23, v25
	;; [unrolled: 1-line block ×3, first 2 shown]
	v_sub_f32_e32 v22, v21, v23
	v_mul_f32_e32 v19, v26, v19
	v_sub_f32_e32 v22, v25, v22
	v_add_f32_e32 v19, v22, v19
	v_mul_f32_e32 v25, 0x3f317218, v20
	v_add_f32_e32 v22, v21, v19
	v_fma_f32 v26, v20, s31, -v25
	v_mul_f32_e32 v23, v22, v22
	v_mov_b32_e32 v24, 0x3ecc95a3
	v_fmac_f32_e32 v26, 0xb102e308, v20
	v_sub_f32_e32 v20, v22, v21
	v_fmac_f32_e32 v24, 0x3e9b6dac, v23
	v_sub_f32_e32 v19, v19, v20
	v_add_f32_e32 v20, v25, v26
	v_fma_f32 v24, v23, v24, v13
	v_sub_f32_e32 v21, v20, v25
	v_ldexp_f32 v25, v22, 1
	v_mul_f32_e32 v22, v22, v23
	v_mul_f32_e32 v22, v22, v24
	v_add_f32_e32 v23, v25, v22
	v_sub_f32_e32 v24, v23, v25
	v_ldexp_f32 v19, v19, 1
	v_sub_f32_e32 v22, v22, v24
	v_add_f32_e32 v19, v19, v22
	v_add_f32_e32 v22, v23, v19
	v_sub_f32_e32 v23, v22, v23
	v_sub_f32_e32 v19, v19, v23
	v_add_f32_e32 v23, v20, v22
	v_sub_f32_e32 v24, v23, v20
	v_sub_f32_e32 v25, v23, v24
	;; [unrolled: 1-line block ×5, first 2 shown]
	v_add_f32_e32 v20, v22, v20
	v_add_f32_e32 v22, v21, v19
	v_sub_f32_e32 v24, v22, v21
	v_sub_f32_e32 v25, v22, v24
	;; [unrolled: 1-line block ×4, first 2 shown]
	v_add_f32_e32 v20, v22, v20
	v_add_f32_e32 v19, v19, v21
	;; [unrolled: 1-line block ×3, first 2 shown]
	v_sub_f32_e32 v22, v21, v23
	v_sub_f32_e32 v20, v20, v22
	v_add_f32_e32 v19, v19, v20
	v_add_f32_e32 v19, v21, v19
	v_cvt_f16_f32_e32 v19, v19
	v_cmp_eq_f16_e64 s[2:3], s29, v18
	v_cndmask_b32_e64 v19, v19, v18, s[2:3]
	v_cmp_ngt_f16_e64 s[2:3], -1.0, v18
	v_cndmask_b32_e64 v19, v14, v19, s[2:3]
	v_cmp_neq_f16_e64 s[2:3], -1.0, v18
	v_cndmask_b32_e64 v19, v15, v19, s[2:3]
	v_cmp_lt_f32_e64 s[2:3], |v7|, s28
	v_cndmask_b32_e64 v7, v19, v18, s[2:3]
	global_store_short v[4:5], v7, off
	s_or_b64 exec, exec, s[6:7]
	s_and_saveexec_b64 s[2:3], s[0:1]
	s_cbranch_execz .LBB212_14
.LBB212_18:                             ;   in Loop: Header=BB212_4 Depth=1
	s_waitcnt vmcnt(0)
	v_cvt_f32_f16_e32 v7, v17
	v_add_f32_e32 v20, 1.0, v7
	v_frexp_mant_f32_e32 v22, v20
	v_cvt_f64_f32_e32 v[18:19], v20
	v_add_f32_e32 v21, -1.0, v20
	v_frexp_exp_i32_f64_e32 v18, v[18:19]
	v_cmp_gt_f32_e64 s[0:1], s30, v22
	v_sub_f32_e32 v23, v21, v20
	v_subbrev_co_u32_e64 v18, s[0:1], 0, v18, s[0:1]
	v_sub_f32_e32 v21, v7, v21
	v_add_f32_e32 v23, 1.0, v23
	v_sub_u32_e32 v19, 0, v18
	v_add_f32_e32 v21, v21, v23
	v_ldexp_f32 v20, v20, v19
	v_ldexp_f32 v19, v21, v19
	v_add_f32_e32 v21, -1.0, v20
	v_add_f32_e32 v24, 1.0, v20
	v_add_f32_e32 v22, 1.0, v21
	v_add_f32_e32 v25, -1.0, v24
	v_sub_f32_e32 v22, v20, v22
	v_sub_f32_e32 v20, v20, v25
	v_add_f32_e32 v22, v19, v22
	v_add_f32_e32 v19, v19, v20
	;; [unrolled: 1-line block ×3, first 2 shown]
	v_rcp_f32_e32 v25, v20
	v_add_f32_e32 v23, v21, v22
	v_sub_f32_e32 v21, v23, v21
	v_sub_f32_e32 v21, v22, v21
	;; [unrolled: 1-line block ×4, first 2 shown]
	v_mul_f32_e32 v22, v23, v25
	v_mul_f32_e32 v24, v20, v22
	v_fma_f32 v26, v22, v20, -v24
	v_fmac_f32_e32 v26, v22, v19
	v_add_f32_e32 v27, v24, v26
	v_sub_f32_e32 v28, v23, v27
	v_sub_f32_e32 v23, v23, v28
	;; [unrolled: 1-line block ×4, first 2 shown]
	v_add_f32_e32 v21, v21, v23
	v_sub_f32_e32 v23, v24, v26
	v_add_f32_e32 v21, v23, v21
	v_add_f32_e32 v23, v28, v21
	v_mul_f32_e32 v24, v25, v23
	v_mul_f32_e32 v26, v20, v24
	v_fma_f32 v20, v24, v20, -v26
	v_fmac_f32_e32 v20, v24, v19
	v_sub_f32_e32 v19, v28, v23
	v_add_f32_e32 v19, v21, v19
	v_add_f32_e32 v21, v26, v20
	v_sub_f32_e32 v27, v23, v21
	v_sub_f32_e32 v23, v23, v27
	;; [unrolled: 1-line block ×4, first 2 shown]
	v_add_f32_e32 v19, v19, v21
	v_sub_f32_e32 v20, v26, v20
	v_cvt_f32_i32_e32 v18, v18
	v_add_f32_e32 v19, v20, v19
	v_add_f32_e32 v20, v22, v24
	;; [unrolled: 1-line block ×3, first 2 shown]
	v_sub_f32_e32 v21, v20, v22
	v_mul_f32_e32 v19, v25, v19
	v_sub_f32_e32 v21, v24, v21
	v_add_f32_e32 v19, v21, v19
	v_mul_f32_e32 v24, 0x3f317218, v18
	v_add_f32_e32 v21, v20, v19
	v_fma_f32 v25, v18, s31, -v24
	v_mul_f32_e32 v22, v21, v21
	v_mov_b32_e32 v23, 0x3ecc95a3
	v_fmac_f32_e32 v25, 0xb102e308, v18
	v_sub_f32_e32 v18, v21, v20
	v_fmac_f32_e32 v23, 0x3e9b6dac, v22
	v_sub_f32_e32 v18, v19, v18
	v_add_f32_e32 v19, v24, v25
	v_fma_f32 v23, v22, v23, v13
	v_sub_f32_e32 v20, v19, v24
	v_ldexp_f32 v24, v21, 1
	v_mul_f32_e32 v21, v21, v22
	v_mul_f32_e32 v21, v21, v23
	v_add_f32_e32 v22, v24, v21
	v_sub_f32_e32 v23, v22, v24
	v_ldexp_f32 v18, v18, 1
	v_sub_f32_e32 v21, v21, v23
	v_add_f32_e32 v18, v18, v21
	v_add_f32_e32 v21, v22, v18
	v_sub_f32_e32 v22, v21, v22
	v_sub_f32_e32 v18, v18, v22
	v_add_f32_e32 v22, v19, v21
	v_sub_f32_e32 v23, v22, v19
	v_sub_f32_e32 v24, v22, v23
	;; [unrolled: 1-line block ×5, first 2 shown]
	v_add_f32_e32 v19, v21, v19
	v_add_f32_e32 v21, v20, v18
	v_sub_f32_e32 v23, v21, v20
	v_sub_f32_e32 v24, v21, v23
	;; [unrolled: 1-line block ×4, first 2 shown]
	v_add_f32_e32 v19, v21, v19
	v_add_f32_e32 v18, v18, v20
	;; [unrolled: 1-line block ×3, first 2 shown]
	v_sub_f32_e32 v21, v20, v22
	v_sub_f32_e32 v19, v19, v21
	v_add_f32_e32 v18, v18, v19
	v_add_f32_e32 v18, v20, v18
	v_cvt_f16_f32_e32 v18, v18
	v_cmp_eq_f16_e64 s[0:1], s29, v17
	v_cndmask_b32_e64 v18, v18, v17, s[0:1]
	v_cmp_ngt_f16_e64 s[0:1], -1.0, v17
	v_cndmask_b32_e64 v18, v14, v18, s[0:1]
	v_cmp_neq_f16_e64 s[0:1], -1.0, v17
	v_cndmask_b32_e64 v18, v15, v18, s[0:1]
	v_cmp_lt_f32_e64 s[0:1], |v7|, s28
	v_cndmask_b32_e64 v7, v18, v17, s[0:1]
	v_mov_b32_e32 v17, s22
	v_add_co_u32_e64 v18, s[0:1], s23, v2
	v_addc_co_u32_e64 v19, s[0:1], v3, v17, s[0:1]
	global_store_short v[18:19], v7, off
	s_or_b64 exec, exec, s[2:3]
	s_and_saveexec_b64 s[0:1], vcc
	s_cbranch_execz .LBB212_3
.LBB212_19:                             ;   in Loop: Header=BB212_4 Depth=1
	s_waitcnt vmcnt(0)
	v_cvt_f32_f16_e32 v7, v16
	v_add_f32_e32 v17, 1.0, v7
	v_frexp_mant_f32_e32 v21, v17
	v_cvt_f64_f32_e32 v[18:19], v17
	v_add_f32_e32 v20, -1.0, v17
	v_frexp_exp_i32_f64_e32 v18, v[18:19]
	v_cmp_gt_f32_e32 vcc, s30, v21
	v_sub_f32_e32 v22, v20, v17
	v_subbrev_co_u32_e32 v18, vcc, 0, v18, vcc
	v_sub_f32_e32 v20, v7, v20
	v_add_f32_e32 v22, 1.0, v22
	v_sub_u32_e32 v19, 0, v18
	v_add_f32_e32 v20, v20, v22
	v_ldexp_f32 v17, v17, v19
	v_ldexp_f32 v19, v20, v19
	v_add_f32_e32 v20, -1.0, v17
	v_add_f32_e32 v23, 1.0, v17
	v_add_f32_e32 v21, 1.0, v20
	v_add_f32_e32 v24, -1.0, v23
	v_sub_f32_e32 v21, v17, v21
	v_sub_f32_e32 v17, v17, v24
	v_add_f32_e32 v17, v19, v17
	v_add_f32_e32 v21, v19, v21
	;; [unrolled: 1-line block ×3, first 2 shown]
	v_rcp_f32_e32 v24, v19
	v_add_f32_e32 v22, v20, v21
	v_sub_f32_e32 v20, v22, v20
	v_sub_f32_e32 v20, v21, v20
	;; [unrolled: 1-line block ×4, first 2 shown]
	v_mul_f32_e32 v21, v22, v24
	v_mul_f32_e32 v23, v19, v21
	v_fma_f32 v25, v21, v19, -v23
	v_fmac_f32_e32 v25, v21, v17
	v_add_f32_e32 v26, v23, v25
	v_sub_f32_e32 v27, v22, v26
	v_sub_f32_e32 v22, v22, v27
	;; [unrolled: 1-line block ×4, first 2 shown]
	v_add_f32_e32 v20, v20, v22
	v_sub_f32_e32 v22, v23, v25
	v_add_f32_e32 v20, v22, v20
	v_add_f32_e32 v22, v27, v20
	v_mul_f32_e32 v23, v24, v22
	v_mul_f32_e32 v25, v19, v23
	v_fma_f32 v19, v23, v19, -v25
	v_fmac_f32_e32 v19, v23, v17
	v_sub_f32_e32 v17, v27, v22
	v_add_f32_e32 v17, v20, v17
	v_add_f32_e32 v20, v25, v19
	v_sub_f32_e32 v26, v22, v20
	v_sub_f32_e32 v22, v22, v26
	;; [unrolled: 1-line block ×4, first 2 shown]
	v_add_f32_e32 v17, v17, v20
	v_sub_f32_e32 v19, v25, v19
	v_cvt_f32_i32_e32 v18, v18
	v_add_f32_e32 v17, v19, v17
	v_add_f32_e32 v19, v21, v23
	;; [unrolled: 1-line block ×3, first 2 shown]
	v_sub_f32_e32 v20, v19, v21
	v_mul_f32_e32 v17, v24, v17
	v_sub_f32_e32 v20, v23, v20
	v_add_f32_e32 v17, v20, v17
	v_mul_f32_e32 v23, 0x3f317218, v18
	v_add_f32_e32 v20, v19, v17
	v_fma_f32 v24, v18, s31, -v23
	v_mul_f32_e32 v21, v20, v20
	v_mov_b32_e32 v22, 0x3ecc95a3
	v_fmac_f32_e32 v24, 0xb102e308, v18
	v_sub_f32_e32 v18, v20, v19
	v_fmac_f32_e32 v22, 0x3e9b6dac, v21
	v_sub_f32_e32 v17, v17, v18
	v_add_f32_e32 v18, v23, v24
	v_fma_f32 v22, v21, v22, v13
	v_sub_f32_e32 v19, v18, v23
	v_ldexp_f32 v23, v20, 1
	v_mul_f32_e32 v20, v20, v21
	v_mul_f32_e32 v20, v20, v22
	v_add_f32_e32 v21, v23, v20
	v_sub_f32_e32 v22, v21, v23
	v_ldexp_f32 v17, v17, 1
	v_sub_f32_e32 v20, v20, v22
	v_add_f32_e32 v17, v17, v20
	v_add_f32_e32 v20, v21, v17
	v_sub_f32_e32 v21, v20, v21
	v_sub_f32_e32 v17, v17, v21
	v_add_f32_e32 v21, v18, v20
	v_sub_f32_e32 v22, v21, v18
	v_sub_f32_e32 v23, v21, v22
	;; [unrolled: 1-line block ×5, first 2 shown]
	v_add_f32_e32 v18, v20, v18
	v_add_f32_e32 v20, v19, v17
	v_sub_f32_e32 v22, v20, v19
	v_sub_f32_e32 v23, v20, v22
	;; [unrolled: 1-line block ×4, first 2 shown]
	v_add_f32_e32 v18, v20, v18
	v_add_f32_e32 v17, v17, v19
	;; [unrolled: 1-line block ×3, first 2 shown]
	v_sub_f32_e32 v20, v19, v21
	v_sub_f32_e32 v18, v18, v20
	v_add_f32_e32 v17, v17, v18
	v_add_f32_e32 v17, v19, v17
	v_cvt_f16_f32_e32 v17, v17
	v_cmp_eq_f16_e32 vcc, s29, v16
	v_cndmask_b32_e32 v17, v17, v16, vcc
	v_cmp_ngt_f16_e32 vcc, -1.0, v16
	v_cndmask_b32_e32 v17, v14, v17, vcc
	v_cmp_neq_f16_e32 vcc, -1.0, v16
	v_cndmask_b32_e32 v17, v15, v17, vcc
	v_cmp_lt_f32_e64 vcc, |v7|, s28
	v_cndmask_b32_e32 v7, v17, v16, vcc
	v_mov_b32_e32 v17, s27
	v_add_co_u32_e32 v16, vcc, s26, v2
	v_addc_co_u32_e32 v17, vcc, v3, v17, vcc
	global_store_short v[16:17], v7, off
	s_branch .LBB212_3
.LBB212_20:
	s_cbranch_execz .LBB212_22
	s_branch .LBB212_25
.LBB212_21:
.LBB212_22:
	v_mov_b32_e32 v3, 0
	v_lshlrev_b32_e32 v2, 2, v0
	s_mov_b32 s0, 0
	v_cmp_gt_i64_e32 vcc, s[10:11], v[2:3]
	s_and_saveexec_b64 s[2:3], vcc
	s_cbranch_execz .LBB212_25
; %bb.23:
	s_load_dword s1, s[4:5], 0xd3c
	v_lshlrev_b32_e32 v1, 3, v0
	s_mov_b32 s9, 0x3f2aaaab
	s_mov_b32 s8, 0x3ecc95a3
	;; [unrolled: 1-line block ×3, first 2 shown]
	s_waitcnt lgkmcnt(0)
	s_and_b32 s1, s1, 0xffff
	s_add_u32 s2, s12, s14
	s_addc_u32 s3, s13, s15
	v_mov_b32_e32 v2, s3
	v_add_co_u32_e32 v4, vcc, s2, v1
	v_addc_co_u32_e32 v5, vcc, 0, v2, vcc
	s_lshl_b32 s5, s1, 3
	v_add_lshl_u32 v2, v0, s1, 2
	s_lshl_b32 s7, s1, 2
	s_mov_b64 s[2:3], 0
	s_mov_b32 s6, 0x3e9b6dac
	v_pk_mov_b32 v[0:1], s[8:9], s[8:9] op_sel:[0,1]
	s_mov_b32 s8, 0x3f2aaada
	s_mov_b32 s12, 0xb102e308
	s_movk_i32 s13, 0x7c00
	v_mov_b32_e32 v8, 0x7e00
	s_mov_b32 s16, 0x33800000
	v_mov_b32_e32 v9, 0xfc00
	s_mov_b32 s17, 0x5040100
	s_mov_b64 s[14:15], 0xffff
	v_mov_b32_e32 v10, s0
	v_mov_b32_e32 v11, s0
.LBB212_24:                             ; =>This Inner Loop Header: Depth=1
	global_load_dwordx2 v[6:7], v[4:5], off
	v_cmp_lt_u64_e64 s[0:1], s[14:15], v[2:3]
	s_waitcnt vmcnt(0)
	v_cvt_f32_f16_e32 v50, v6
	v_lshrrev_b32_e32 v49, 16, v6
	v_cvt_f32_f16_e32 v51, v7
	v_cvt_f32_f16_e32 v53, v49
	v_add_f32_e32 v16, 1.0, v50
	v_lshrrev_b32_e32 v48, 16, v7
	v_frexp_mant_f32_e32 v19, v16
	v_cvt_f64_f32_e32 v[12:13], v16
	v_cvt_f32_f16_e32 v52, v48
	v_add_f32_e32 v17, 1.0, v51
	v_frexp_exp_i32_f64_e32 v25, v[12:13]
	v_cmp_gt_f32_e32 vcc, s9, v19
	v_add_f32_e32 v21, 1.0, v53
	v_frexp_mant_f32_e32 v20, v17
	v_cvt_f64_f32_e32 v[14:15], v17
	v_subbrev_co_u32_e32 v19, vcc, 0, v25, vcc
	v_cvt_f64_f32_e32 v[12:13], v21
	v_frexp_exp_i32_f64_e32 v27, v[14:15]
	v_cmp_gt_f32_e32 vcc, s9, v20
	v_add_f32_e32 v18, -1.0, v16
	v_frexp_mant_f32_e32 v26, v21
	v_frexp_exp_i32_f64_e32 v12, v[12:13]
	v_subbrev_co_u32_e32 v13, vcc, 0, v27, vcc
	v_add_f32_e32 v23, 1.0, v52
	v_add_f32_e32 v22, -1.0, v17
	v_sub_f32_e32 v24, v18, v16
	v_cmp_gt_f32_e32 vcc, s9, v26
	v_sub_f32_e32 v18, v50, v18
	v_frexp_mant_f32_e32 v28, v23
	v_cvt_f64_f32_e32 v[14:15], v23
	v_add_f32_e32 v29, -1.0, v21
	v_sub_f32_e32 v30, v22, v17
	v_add_f32_e32 v24, 1.0, v24
	v_subbrev_co_u32_e32 v26, vcc, 0, v12, vcc
	v_sub_f32_e32 v22, v51, v22
	v_frexp_exp_i32_f64_e32 v14, v[14:15]
	v_sub_f32_e32 v15, v29, v21
	v_add_f32_e32 v25, 1.0, v30
	v_add_f32_e32 v18, v18, v24
	v_sub_u32_e32 v24, 0, v19
	v_cmp_gt_f32_e32 vcc, s9, v28
	v_add_f32_e32 v31, -1.0, v23
	v_sub_f32_e32 v20, v53, v29
	v_subbrev_co_u32_e32 v28, vcc, 0, v14, vcc
	v_cvt_f32_i32_e32 v14, v19
	v_add_f32_e32 v19, 1.0, v15
	v_add_f32_e32 v22, v22, v25
	v_sub_u32_e32 v25, 0, v13
	v_ldexp_f32 v16, v16, v24
	v_ldexp_f32 v18, v18, v24
	v_sub_u32_e32 v24, 0, v26
	v_sub_f32_e32 v27, v31, v23
	v_add_f32_e32 v19, v20, v19
	v_ldexp_f32 v20, v17, v25
	v_ldexp_f32 v17, v21, v24
	v_sub_f32_e32 v29, v52, v31
	v_add_f32_e32 v27, 1.0, v27
	v_ldexp_f32 v22, v22, v25
	v_ldexp_f32 v19, v19, v24
	v_pk_add_f32 v[24:25], v[16:17], 1.0 op_sel_hi:[1,0]
	v_cvt_f32_i32_e32 v12, v13
	v_cvt_f32_i32_e32 v13, v28
	;; [unrolled: 1-line block ×3, first 2 shown]
	v_add_f32_e32 v44, v29, v27
	v_sub_u32_e32 v45, 0, v28
	v_pk_add_f32 v[26:27], -1.0, v[16:17] op_sel_hi:[0,1]
	v_pk_add_f32 v[28:29], -1.0, v[24:25] op_sel_hi:[0,1]
	v_pk_add_f32 v[30:31], v[26:27], 1.0 op_sel_hi:[1,0]
	v_pk_add_f32 v[28:29], v[16:17], v[28:29] neg_lo:[0,1] neg_hi:[0,1]
	v_pk_add_f32 v[16:17], v[16:17], v[30:31] neg_lo:[0,1] neg_hi:[0,1]
	v_pk_add_f32 v[28:29], v[18:19], v[28:29]
	v_pk_add_f32 v[16:17], v[18:19], v[16:17]
	;; [unrolled: 1-line block ×3, first 2 shown]
	v_rcp_f32_e32 v36, v18
	v_rcp_f32_e32 v37, v19
	v_pk_add_f32 v[30:31], v[26:27], v[16:17]
	v_pk_add_f32 v[26:27], v[30:31], v[26:27] neg_lo:[0,1] neg_hi:[0,1]
	v_pk_add_f32 v[24:25], v[18:19], v[24:25] neg_lo:[0,1] neg_hi:[0,1]
	;; [unrolled: 1-line block ×3, first 2 shown]
	v_pk_mul_f32 v[26:27], v[30:31], v[36:37]
	v_pk_add_f32 v[24:25], v[28:29], v[24:25] neg_lo:[0,1] neg_hi:[0,1]
	v_pk_mul_f32 v[28:29], v[18:19], v[26:27]
	v_pk_fma_f32 v[38:39], v[26:27], v[18:19], v[28:29] neg_lo:[0,0,1] neg_hi:[0,0,1]
	v_pk_fma_f32 v[38:39], v[26:27], v[24:25], v[38:39]
	v_pk_add_f32 v[40:41], v[28:29], v[38:39]
	v_pk_add_f32 v[42:43], v[30:31], v[40:41] neg_lo:[0,1] neg_hi:[0,1]
	v_pk_add_f32 v[30:31], v[30:31], v[42:43] neg_lo:[0,1] neg_hi:[0,1]
	;; [unrolled: 1-line block ×5, first 2 shown]
	v_pk_add_f32 v[16:17], v[16:17], v[30:31]
	v_pk_add_f32 v[16:17], v[28:29], v[16:17]
	;; [unrolled: 1-line block ×3, first 2 shown]
	v_pk_mul_f32 v[30:31], v[36:37], v[28:29]
	v_pk_add_f32 v[38:39], v[42:43], v[28:29] neg_lo:[0,1] neg_hi:[0,1]
	v_pk_mul_f32 v[40:41], v[18:19], v[30:31]
	v_pk_add_f32 v[16:17], v[16:17], v[38:39]
	v_pk_add_f32 v[38:39], v[26:27], v[30:31]
	v_pk_fma_f32 v[18:19], v[30:31], v[18:19], v[40:41] neg_lo:[0,0,1] neg_hi:[0,0,1]
	v_pk_add_f32 v[26:27], v[38:39], v[26:27] neg_lo:[0,1] neg_hi:[0,1]
	v_pk_fma_f32 v[18:19], v[30:31], v[24:25], v[18:19]
	v_pk_add_f32 v[24:25], v[30:31], v[26:27] neg_lo:[0,1] neg_hi:[0,1]
	v_pk_add_f32 v[26:27], v[40:41], v[18:19]
	v_pk_add_f32 v[30:31], v[26:27], v[40:41] neg_lo:[0,1] neg_hi:[0,1]
	v_pk_add_f32 v[40:41], v[28:29], v[26:27] neg_lo:[0,1] neg_hi:[0,1]
	;; [unrolled: 1-line block ×5, first 2 shown]
	v_pk_add_f32 v[16:17], v[16:17], v[26:27]
	v_pk_add_f32 v[16:17], v[18:19], v[16:17]
	;; [unrolled: 1-line block ×3, first 2 shown]
	v_pk_mul_f32 v[16:17], v[36:37], v[16:17]
	v_pk_add_f32 v[16:17], v[24:25], v[16:17]
	v_pk_add_f32 v[18:19], v[38:39], v[16:17]
	v_ldexp_f32 v21, v23, v45
	v_pk_add_f32 v[24:25], v[18:19], v[38:39] neg_lo:[0,1] neg_hi:[0,1]
	v_pk_add_f32 v[16:17], v[16:17], v[24:25] neg_lo:[0,1] neg_hi:[0,1]
	v_pk_add_f32 v[24:25], v[20:21], 1.0 op_sel_hi:[1,0]
	v_pk_add_f32 v[30:31], -1.0, v[24:25] op_sel_hi:[0,1]
	v_ldexp_f32 v23, v44, v45
	v_pk_add_f32 v[30:31], v[20:21], v[30:31] neg_lo:[0,1] neg_hi:[0,1]
	v_pk_add_f32 v[30:31], v[22:23], v[30:31]
	v_pk_add_f32 v[36:37], v[24:25], v[30:31]
	v_pk_add_f32 v[40:41], -1.0, v[20:21] op_sel_hi:[0,1]
	v_rcp_f32_e32 v38, v36
	v_pk_add_f32 v[42:43], v[40:41], 1.0 op_sel_hi:[1,0]
	v_rcp_f32_e32 v39, v37
	v_pk_add_f32 v[20:21], v[20:21], v[42:43] neg_lo:[0,1] neg_hi:[0,1]
	v_pk_add_f32 v[20:21], v[22:23], v[20:21]
	v_pk_add_f32 v[22:23], v[40:41], v[20:21]
	v_pk_add_f32 v[24:25], v[36:37], v[24:25] neg_lo:[0,1] neg_hi:[0,1]
	v_pk_add_f32 v[40:41], v[22:23], v[40:41] neg_lo:[0,1] neg_hi:[0,1]
	;; [unrolled: 1-line block ×3, first 2 shown]
	v_pk_mul_f32 v[30:31], v[22:23], v[38:39]
	v_pk_add_f32 v[20:21], v[20:21], v[40:41] neg_lo:[0,1] neg_hi:[0,1]
	v_pk_mul_f32 v[40:41], v[36:37], v[30:31]
	v_pk_fma_f32 v[42:43], v[30:31], v[36:37], v[40:41] neg_lo:[0,0,1] neg_hi:[0,0,1]
	v_pk_fma_f32 v[42:43], v[30:31], v[24:25], v[42:43]
	v_pk_add_f32 v[44:45], v[40:41], v[42:43]
	v_pk_add_f32 v[46:47], v[22:23], v[44:45] neg_lo:[0,1] neg_hi:[0,1]
	v_pk_add_f32 v[22:23], v[22:23], v[46:47] neg_lo:[0,1] neg_hi:[0,1]
	;; [unrolled: 1-line block ×4, first 2 shown]
	v_pk_add_f32 v[20:21], v[20:21], v[22:23]
	v_pk_add_f32 v[22:23], v[40:41], v[42:43] neg_lo:[0,1] neg_hi:[0,1]
	v_pk_add_f32 v[20:21], v[22:23], v[20:21]
	v_pk_add_f32 v[22:23], v[46:47], v[20:21]
	v_pk_mul_f32 v[40:41], v[38:39], v[22:23]
	v_pk_mul_f32 v[42:43], v[36:37], v[40:41]
	v_pk_fma_f32 v[36:37], v[40:41], v[36:37], v[42:43] neg_lo:[0,0,1] neg_hi:[0,0,1]
	v_pk_fma_f32 v[24:25], v[40:41], v[24:25], v[36:37]
	v_pk_add_f32 v[36:37], v[46:47], v[22:23] neg_lo:[0,1] neg_hi:[0,1]
	v_pk_add_f32 v[20:21], v[20:21], v[36:37]
	v_pk_add_f32 v[36:37], v[42:43], v[24:25]
	v_pk_add_f32 v[44:45], v[22:23], v[36:37] neg_lo:[0,1] neg_hi:[0,1]
	v_pk_add_f32 v[22:23], v[22:23], v[44:45] neg_lo:[0,1] neg_hi:[0,1]
	;; [unrolled: 1-line block ×4, first 2 shown]
	v_pk_add_f32 v[20:21], v[20:21], v[22:23]
	v_pk_add_f32 v[22:23], v[42:43], v[24:25] neg_lo:[0,1] neg_hi:[0,1]
	v_pk_add_f32 v[20:21], v[22:23], v[20:21]
	v_pk_add_f32 v[22:23], v[30:31], v[40:41]
	;; [unrolled: 1-line block ×3, first 2 shown]
	v_pk_add_f32 v[24:25], v[22:23], v[30:31] neg_lo:[0,1] neg_hi:[0,1]
	v_pk_mul_f32 v[20:21], v[38:39], v[20:21]
	v_pk_add_f32 v[24:25], v[40:41], v[24:25] neg_lo:[0,1] neg_hi:[0,1]
	v_pk_add_f32 v[20:21], v[24:25], v[20:21]
	v_pk_add_f32 v[24:25], v[22:23], v[20:21]
	v_pk_mul_f32 v[28:29], v[18:19], v[18:19]
	v_pk_mul_f32 v[36:37], v[24:25], v[24:25]
	v_pk_fma_f32 v[40:41], v[36:37], s[6:7], v[0:1] op_sel_hi:[1,0,0]
	v_pk_fma_f32 v[42:43], v[28:29], s[6:7], v[0:1] op_sel_hi:[1,0,0]
	v_ldexp_f32 v26, v18, 1
	v_ldexp_f32 v27, v19, 1
	v_pk_mul_f32 v[18:19], v[18:19], v[28:29]
	v_pk_mul_f32 v[38:39], v[24:25], v[36:37]
	v_pk_fma_f32 v[28:29], v[28:29], v[42:43], s[8:9] op_sel_hi:[1,1,0]
	v_pk_fma_f32 v[36:37], v[36:37], v[40:41], s[8:9] op_sel_hi:[1,1,0]
	v_ldexp_f32 v30, v24, 1
	v_ldexp_f32 v31, v25, 1
	v_pk_mul_f32 v[36:37], v[38:39], v[36:37]
	v_pk_mul_f32 v[18:19], v[18:19], v[28:29]
	v_pk_add_f32 v[28:29], v[26:27], v[18:19]
	v_pk_add_f32 v[38:39], v[30:31], v[36:37]
	v_pk_add_f32 v[22:23], v[24:25], v[22:23] neg_lo:[0,1] neg_hi:[0,1]
	v_pk_mul_f32 v[32:33], v[14:15], s[4:5] op_sel_hi:[1,0]
	v_pk_mul_f32 v[34:35], v[12:13], s[4:5] op_sel_hi:[1,0]
	v_pk_add_f32 v[20:21], v[20:21], v[22:23] neg_lo:[0,1] neg_hi:[0,1]
	v_sub_f32_e32 v30, v38, v30
	v_sub_f32_e32 v31, v39, v31
	;; [unrolled: 1-line block ×4, first 2 shown]
	v_ldexp_f32 v16, v16, 1
	v_ldexp_f32 v17, v17, 1
	;; [unrolled: 1-line block ×3, first 2 shown]
	v_pk_fma_f32 v[22:23], v[14:15], s[4:5], v[32:33] op_sel_hi:[1,0,1] neg_lo:[0,0,1] neg_hi:[0,0,1]
	v_pk_fma_f32 v[24:25], v[12:13], s[4:5], v[34:35] op_sel_hi:[1,0,1] neg_lo:[0,0,1] neg_hi:[0,0,1]
	v_ldexp_f32 v21, v21, 1
	v_sub_f32_e32 v19, v19, v27
	v_sub_f32_e32 v18, v18, v26
	;; [unrolled: 1-line block ×4, first 2 shown]
	v_pk_fma_f32 v[12:13], v[12:13], s[12:13], v[24:25] op_sel_hi:[1,0,1]
	v_pk_fma_f32 v[14:15], v[14:15], s[12:13], v[22:23] op_sel_hi:[1,0,1]
	v_pk_add_f32 v[20:21], v[20:21], v[26:27]
	v_pk_add_f32 v[16:17], v[16:17], v[18:19]
	;; [unrolled: 1-line block ×8, first 2 shown]
	v_sub_f32_e32 v44, v36, v22
	v_sub_f32_e32 v45, v37, v23
	;; [unrolled: 1-line block ×30, first 2 shown]
	v_pk_add_f32 v[22:23], v[18:19], v[12:13]
	v_pk_add_f32 v[26:27], v[40:41], v[44:45]
	v_sub_f32_e32 v17, v17, v28
	v_sub_f32_e32 v16, v16, v21
	;; [unrolled: 1-line block ×4, first 2 shown]
	v_pk_add_f32 v[20:21], v[16:17], v[14:15]
	v_sub_f32_e32 v35, v22, v28
	v_sub_f32_e32 v13, v27, v19
	v_pk_add_f32 v[24:25], v[42:43], v[46:47]
	v_sub_f32_e32 v29, v21, v15
	v_sub_f32_e32 v32, v20, v14
	;; [unrolled: 1-line block ×8, first 2 shown]
	v_pk_add_f32 v[12:13], v[18:19], v[12:13]
	v_pk_add_f32 v[18:19], v[24:25], v[20:21]
	v_sub_f32_e32 v15, v15, v34
	v_sub_f32_e32 v14, v14, v33
	;; [unrolled: 1-line block ×4, first 2 shown]
	v_pk_add_f32 v[20:21], v[36:37], v[18:19]
	v_pk_add_f32 v[14:15], v[16:17], v[14:15]
	;; [unrolled: 1-line block ×3, first 2 shown]
	v_sub_f32_e32 v26, v20, v36
	v_sub_f32_e32 v27, v21, v37
	v_pk_add_f32 v[22:23], v[30:31], v[16:17]
	v_sub_f32_e32 v19, v19, v27
	v_sub_f32_e32 v18, v18, v26
	v_sub_f32_e32 v24, v22, v30
	v_sub_f32_e32 v25, v23, v31
	v_pk_add_f32 v[14:15], v[14:15], v[18:19]
	v_sub_f32_e32 v17, v17, v25
	v_sub_f32_e32 v16, v16, v24
	v_pk_add_f32 v[14:15], v[20:21], v[14:15]
	v_pk_add_f32 v[12:13], v[12:13], v[16:17]
	v_cvt_f16_f32_e32 v15, v15
	v_pk_add_f32 v[12:13], v[22:23], v[12:13]
	v_cvt_f16_f32_e32 v14, v14
	v_cvt_f16_f32_e32 v13, v13
	;; [unrolled: 1-line block ×3, first 2 shown]
	v_cmp_eq_f16_e32 vcc, s13, v49
	v_cndmask_b32_e32 v15, v15, v49, vcc
	v_cmp_eq_f16_e32 vcc, s13, v6
	v_cndmask_b32_e32 v14, v14, v6, vcc
	v_cmp_eq_f16_e32 vcc, s13, v48
	v_cndmask_b32_e32 v13, v13, v48, vcc
	v_cmp_eq_f16_e32 vcc, s13, v7
	v_cndmask_b32_e32 v12, v12, v7, vcc
	v_cmp_ngt_f16_e32 vcc, -1.0, v7
	v_cndmask_b32_e32 v12, v8, v12, vcc
	v_cmp_ngt_f16_e32 vcc, -1.0, v48
	v_cndmask_b32_e32 v13, v8, v13, vcc
	;; [unrolled: 2-line block ×4, first 2 shown]
	v_cmp_neq_f16_e32 vcc, -1.0, v49
	v_cndmask_b32_e32 v15, v9, v15, vcc
	v_cmp_neq_f16_e32 vcc, -1.0, v6
	v_cndmask_b32_e32 v14, v9, v14, vcc
	;; [unrolled: 2-line block ×4, first 2 shown]
	v_cmp_lt_f32_e64 vcc, |v51|, s16
	v_cndmask_b32_e32 v7, v12, v7, vcc
	v_cmp_lt_f32_e64 vcc, |v52|, s16
	v_cndmask_b32_e32 v12, v13, v48, vcc
	;; [unrolled: 2-line block ×3, first 2 shown]
	v_cmp_lt_f32_e64 vcc, |v53|, s16
	v_perm_b32 v7, v12, v7, s17
	v_cndmask_b32_e32 v12, v15, v49, vcc
	v_perm_b32 v6, v12, v6, s17
	v_cmp_le_i64_e32 vcc, s[10:11], v[2:3]
	global_store_dwordx2 v[4:5], v[6:7], off
	s_or_b64 s[0:1], vcc, s[0:1]
	v_add_co_u32_e32 v4, vcc, s5, v4
	v_addc_co_u32_e32 v5, vcc, v5, v10, vcc
	s_and_b64 s[0:1], exec, s[0:1]
	v_add_co_u32_e32 v2, vcc, s7, v2
	s_or_b64 s[2:3], s[0:1], s[2:3]
	v_addc_co_u32_e32 v3, vcc, v3, v11, vcc
	s_andn2_b64 exec, exec, s[2:3]
	s_cbranch_execnz .LBB212_24
.LBB212_25:
	s_endpgm
	.section	.rodata,"a",@progbits
	.p2align	6, 0x0
	.amdhsa_kernel _ZN2at6native12_GLOBAL__N_125multi_tensor_apply_kernelINS1_18TensorListMetadataILi1EEENS1_14UnaryOpFunctorIN3c104HalfELi1ELi1ELi0EEEJNS0_5Log1pIfEEEEEvT_T0_DpT1_
		.amdhsa_group_segment_fixed_size 0
		.amdhsa_private_segment_fixed_size 0
		.amdhsa_kernarg_size 3632
		.amdhsa_user_sgpr_count 6
		.amdhsa_user_sgpr_private_segment_buffer 1
		.amdhsa_user_sgpr_dispatch_ptr 0
		.amdhsa_user_sgpr_queue_ptr 0
		.amdhsa_user_sgpr_kernarg_segment_ptr 1
		.amdhsa_user_sgpr_dispatch_id 0
		.amdhsa_user_sgpr_flat_scratch_init 0
		.amdhsa_user_sgpr_kernarg_preload_length 0
		.amdhsa_user_sgpr_kernarg_preload_offset 0
		.amdhsa_user_sgpr_private_segment_size 0
		.amdhsa_uses_dynamic_stack 0
		.amdhsa_system_sgpr_private_segment_wavefront_offset 0
		.amdhsa_system_sgpr_workgroup_id_x 1
		.amdhsa_system_sgpr_workgroup_id_y 0
		.amdhsa_system_sgpr_workgroup_id_z 0
		.amdhsa_system_sgpr_workgroup_info 0
		.amdhsa_system_vgpr_workitem_id 0
		.amdhsa_next_free_vgpr 54
		.amdhsa_next_free_sgpr 32
		.amdhsa_accum_offset 56
		.amdhsa_reserve_vcc 1
		.amdhsa_reserve_flat_scratch 0
		.amdhsa_float_round_mode_32 0
		.amdhsa_float_round_mode_16_64 0
		.amdhsa_float_denorm_mode_32 3
		.amdhsa_float_denorm_mode_16_64 3
		.amdhsa_dx10_clamp 1
		.amdhsa_ieee_mode 1
		.amdhsa_fp16_overflow 0
		.amdhsa_tg_split 0
		.amdhsa_exception_fp_ieee_invalid_op 0
		.amdhsa_exception_fp_denorm_src 0
		.amdhsa_exception_fp_ieee_div_zero 0
		.amdhsa_exception_fp_ieee_overflow 0
		.amdhsa_exception_fp_ieee_underflow 0
		.amdhsa_exception_fp_ieee_inexact 0
		.amdhsa_exception_int_div_zero 0
	.end_amdhsa_kernel
	.section	.text._ZN2at6native12_GLOBAL__N_125multi_tensor_apply_kernelINS1_18TensorListMetadataILi1EEENS1_14UnaryOpFunctorIN3c104HalfELi1ELi1ELi0EEEJNS0_5Log1pIfEEEEEvT_T0_DpT1_,"axG",@progbits,_ZN2at6native12_GLOBAL__N_125multi_tensor_apply_kernelINS1_18TensorListMetadataILi1EEENS1_14UnaryOpFunctorIN3c104HalfELi1ELi1ELi0EEEJNS0_5Log1pIfEEEEEvT_T0_DpT1_,comdat
.Lfunc_end212:
	.size	_ZN2at6native12_GLOBAL__N_125multi_tensor_apply_kernelINS1_18TensorListMetadataILi1EEENS1_14UnaryOpFunctorIN3c104HalfELi1ELi1ELi0EEEJNS0_5Log1pIfEEEEEvT_T0_DpT1_, .Lfunc_end212-_ZN2at6native12_GLOBAL__N_125multi_tensor_apply_kernelINS1_18TensorListMetadataILi1EEENS1_14UnaryOpFunctorIN3c104HalfELi1ELi1ELi0EEEJNS0_5Log1pIfEEEEEvT_T0_DpT1_
                                        ; -- End function
	.section	.AMDGPU.csdata,"",@progbits
; Kernel info:
; codeLenInByte = 5288
; NumSgprs: 36
; NumVgprs: 54
; NumAgprs: 0
; TotalNumVgprs: 54
; ScratchSize: 0
; MemoryBound: 0
; FloatMode: 240
; IeeeMode: 1
; LDSByteSize: 0 bytes/workgroup (compile time only)
; SGPRBlocks: 4
; VGPRBlocks: 6
; NumSGPRsForWavesPerEU: 36
; NumVGPRsForWavesPerEU: 54
; AccumOffset: 56
; Occupancy: 8
; WaveLimiterHint : 0
; COMPUTE_PGM_RSRC2:SCRATCH_EN: 0
; COMPUTE_PGM_RSRC2:USER_SGPR: 6
; COMPUTE_PGM_RSRC2:TRAP_HANDLER: 0
; COMPUTE_PGM_RSRC2:TGID_X_EN: 1
; COMPUTE_PGM_RSRC2:TGID_Y_EN: 0
; COMPUTE_PGM_RSRC2:TGID_Z_EN: 0
; COMPUTE_PGM_RSRC2:TIDIG_COMP_CNT: 0
; COMPUTE_PGM_RSRC3_GFX90A:ACCUM_OFFSET: 13
; COMPUTE_PGM_RSRC3_GFX90A:TG_SPLIT: 0
	.section	.text._ZN2at6native12_GLOBAL__N_125multi_tensor_apply_kernelINS1_18TensorListMetadataILi1EEENS1_14UnaryOpFunctorIN3c108BFloat16ELi1ELi1ELi0EEEJNS0_5Log1pIfEEEEEvT_T0_DpT1_,"axG",@progbits,_ZN2at6native12_GLOBAL__N_125multi_tensor_apply_kernelINS1_18TensorListMetadataILi1EEENS1_14UnaryOpFunctorIN3c108BFloat16ELi1ELi1ELi0EEEJNS0_5Log1pIfEEEEEvT_T0_DpT1_,comdat
	.globl	_ZN2at6native12_GLOBAL__N_125multi_tensor_apply_kernelINS1_18TensorListMetadataILi1EEENS1_14UnaryOpFunctorIN3c108BFloat16ELi1ELi1ELi0EEEJNS0_5Log1pIfEEEEEvT_T0_DpT1_ ; -- Begin function _ZN2at6native12_GLOBAL__N_125multi_tensor_apply_kernelINS1_18TensorListMetadataILi1EEENS1_14UnaryOpFunctorIN3c108BFloat16ELi1ELi1ELi0EEEJNS0_5Log1pIfEEEEEvT_T0_DpT1_
	.p2align	8
	.type	_ZN2at6native12_GLOBAL__N_125multi_tensor_apply_kernelINS1_18TensorListMetadataILi1EEENS1_14UnaryOpFunctorIN3c108BFloat16ELi1ELi1ELi0EEEJNS0_5Log1pIfEEEEEvT_T0_DpT1_,@function
_ZN2at6native12_GLOBAL__N_125multi_tensor_apply_kernelINS1_18TensorListMetadataILi1EEENS1_14UnaryOpFunctorIN3c108BFloat16ELi1ELi1ELi0EEEJNS0_5Log1pIfEEEEEvT_T0_DpT1_: ; @_ZN2at6native12_GLOBAL__N_125multi_tensor_apply_kernelINS1_18TensorListMetadataILi1EEENS1_14UnaryOpFunctorIN3c108BFloat16ELi1ELi1ELi0EEEJNS0_5Log1pIfEEEEEvT_T0_DpT1_
; %bb.0:
	v_mov_b32_e32 v1, s6
	global_load_ubyte v1, v1, s[4:5] offset:1760
	s_add_u32 s0, s4, s6
	s_mul_hi_u32 s1, s6, 3
	s_mul_i32 s6, s6, 3
	s_addc_u32 s2, s5, 0
	s_add_u32 s0, s0, s6
	s_addc_u32 s1, s2, s1
	s_load_dword s0, s[0:1], 0x820
	s_mov_b32 s7, 0
	s_waitcnt vmcnt(0)
	v_readfirstlane_b32 s2, v1
	s_lshl_b32 s1, s2, 3
	s_load_dwordx2 s[2:3], s[4:5], s1 offset:0x370
	s_load_dwordx2 s[12:13], s[4:5], s1 offset:0x0
	s_waitcnt lgkmcnt(0)
	s_ashr_i32 s1, s0, 31
	s_lshl_b64 s[14:15], s[0:1], 17
	s_lshl_b64 s[0:1], s[0:1], 16
	s_and_b32 s6, s12, 7
	s_sub_u32 s10, s2, s0
	s_subb_u32 s11, s3, s1
	s_and_b32 s0, s2, 3
	s_mov_b32 s1, s7
	s_or_b64 s[0:1], s[6:7], s[0:1]
	s_cmp_eq_u64 s[0:1], 0
	s_cbranch_scc1 .LBB213_21
; %bb.1:
	v_cmp_lt_i64_e64 s[0:1], s[10:11], 1
	s_and_b64 vcc, exec, s[0:1]
	s_cbranch_vccnz .LBB213_20
; %bb.2:
	s_load_dword s0, s[4:5], 0xd3c
	v_mov_b32_e32 v2, 0x10000
	v_mov_b32_e32 v3, 0
	v_cmp_lt_u64_e32 vcc, s[10:11], v[2:3]
	v_lshlrev_b32_e32 v1, 1, v0
	s_waitcnt lgkmcnt(0)
	s_and_b32 s2, s0, 0xffff
	s_and_b64 s[0:1], vcc, exec
	s_cselect_b32 s17, s11, 0
	s_cselect_b32 s16, s10, 0x10000
	s_lshl_b32 s3, s2, 1
	s_lshl_b32 s23, s2, 2
	s_add_u32 s6, s12, s14
	s_addc_u32 s7, s13, s15
	v_mov_b32_e32 v3, s7
	v_add_co_u32_e32 v2, vcc, s6, v1
	s_mul_i32 s0, s2, 3
	v_addc_co_u32_e32 v3, vcc, 0, v3, vcc
	v_add_co_u32_e32 v1, vcc, s0, v0
	v_addc_co_u32_e64 v8, s[0:1], 0, 0, vcc
	v_add_co_u32_e32 v9, vcc, s3, v0
	v_addc_co_u32_e64 v10, s[0:1], 0, 0, vcc
	v_add_co_u32_e32 v11, vcc, s2, v0
	v_lshlrev_b32_e32 v4, 1, v11
	s_mov_b32 s22, 0
	v_addc_co_u32_e64 v12, s[0:1], 0, 0, vcc
	v_mov_b32_e32 v5, s7
	v_add_co_u32_e32 v4, vcc, s6, v4
	s_lshl_b32 s24, s2, 3
	s_mov_b32 s25, s22
	s_mul_i32 s26, s2, 6
	s_mov_b32 s27, s22
	v_addc_co_u32_e32 v5, vcc, 0, v5, vcc
	s_mov_b64 s[18:19], 0
	s_mov_b32 s28, 0x33800000
	s_mov_b32 s29, 0x7f800000
	s_mov_b32 s30, 0x3f2aaaab
	v_mov_b32_e32 v13, 0x3f2aaada
	s_mov_b32 s31, 0x3f317218
	s_movk_i32 s33, 0x7fff
	v_mov_b32_e32 v6, 0x3f317218
	v_mov_b32_e32 v14, 0x7fc00000
	;; [unrolled: 1-line block ×4, first 2 shown]
	s_branch .LBB213_4
.LBB213_3:                              ;   in Loop: Header=BB213_4 Depth=1
	s_or_b64 exec, exec, s[0:1]
	s_add_u32 s18, s18, s23
	s_addc_u32 s19, s19, 0
	s_waitcnt vmcnt(0)
	v_pk_mov_b32 v[18:19], s[10:11], s[10:11] op_sel:[0,1]
	v_cmp_lt_i64_e32 vcc, s[18:19], v[18:19]
	v_mov_b32_e32 v18, 0x10000
	v_mov_b32_e32 v19, 0
	v_cmp_lt_u64_e64 s[0:1], s[18:19], v[18:19]
	s_and_b64 s[0:1], vcc, s[0:1]
	v_mov_b32_e32 v7, s25
	v_add_co_u32_e32 v2, vcc, s24, v2
	v_addc_co_u32_e32 v3, vcc, v3, v7, vcc
	v_add_co_u32_e32 v4, vcc, s24, v4
	v_addc_co_u32_e32 v5, vcc, v5, v7, vcc
	s_and_b64 vcc, exec, s[0:1]
	s_cbranch_vccz .LBB213_20
.LBB213_4:                              ; =>This Inner Loop Header: Depth=1
	v_mov_b32_e32 v7, s19
	v_add_co_u32_e32 v18, vcc, s18, v0
	v_addc_co_u32_e32 v19, vcc, 0, v7, vcc
	v_cmp_gt_u64_e64 s[6:7], s[16:17], v[18:19]
	v_mov_b32_e32 v7, 0
	s_and_saveexec_b64 s[0:1], s[6:7]
	s_cbranch_execz .LBB213_6
; %bb.5:                                ;   in Loop: Header=BB213_4 Depth=1
	global_load_ushort v7, v[2:3], off
.LBB213_6:                              ;   in Loop: Header=BB213_4 Depth=1
	s_or_b64 exec, exec, s[0:1]
	v_mov_b32_e32 v17, s19
	v_add_co_u32_e32 v18, vcc, s18, v11
	v_addc_co_u32_e32 v19, vcc, v12, v17, vcc
	v_cmp_gt_u64_e64 s[2:3], s[16:17], v[18:19]
	v_mov_b32_e32 v19, 0
	s_and_saveexec_b64 s[0:1], s[2:3]
	s_cbranch_execz .LBB213_8
; %bb.7:                                ;   in Loop: Header=BB213_4 Depth=1
	global_load_ushort v19, v[4:5], off
.LBB213_8:                              ;   in Loop: Header=BB213_4 Depth=1
	s_or_b64 exec, exec, s[0:1]
	v_mov_b32_e32 v17, s19
	v_add_co_u32_e32 v20, vcc, s18, v9
	v_addc_co_u32_e32 v21, vcc, v10, v17, vcc
	v_cmp_gt_u64_e64 s[0:1], s[16:17], v[20:21]
	v_mov_b32_e32 v17, 0
	v_mov_b32_e32 v18, 0
	s_and_saveexec_b64 s[8:9], s[0:1]
	s_cbranch_execz .LBB213_10
; %bb.9:                                ;   in Loop: Header=BB213_4 Depth=1
	v_mov_b32_e32 v18, s22
	v_add_co_u32_e32 v20, vcc, s23, v2
	v_addc_co_u32_e32 v21, vcc, v3, v18, vcc
	global_load_ushort v18, v[20:21], off
.LBB213_10:                             ;   in Loop: Header=BB213_4 Depth=1
	s_or_b64 exec, exec, s[8:9]
	v_mov_b32_e32 v21, s19
	v_add_co_u32_e32 v20, vcc, s18, v1
	v_addc_co_u32_e32 v21, vcc, v8, v21, vcc
	v_cmp_gt_u64_e32 vcc, s[16:17], v[20:21]
	s_and_saveexec_b64 s[20:21], vcc
	s_cbranch_execnz .LBB213_15
; %bb.11:                               ;   in Loop: Header=BB213_4 Depth=1
	s_or_b64 exec, exec, s[20:21]
	s_and_saveexec_b64 s[8:9], s[6:7]
	s_cbranch_execnz .LBB213_16
.LBB213_12:                             ;   in Loop: Header=BB213_4 Depth=1
	s_or_b64 exec, exec, s[8:9]
	s_and_saveexec_b64 s[6:7], s[2:3]
	s_cbranch_execnz .LBB213_17
.LBB213_13:                             ;   in Loop: Header=BB213_4 Depth=1
	s_or_b64 exec, exec, s[6:7]
	s_and_saveexec_b64 s[2:3], s[0:1]
	s_cbranch_execnz .LBB213_18
.LBB213_14:                             ;   in Loop: Header=BB213_4 Depth=1
	s_or_b64 exec, exec, s[2:3]
	s_and_saveexec_b64 s[0:1], vcc
	s_cbranch_execz .LBB213_3
	s_branch .LBB213_19
.LBB213_15:                             ;   in Loop: Header=BB213_4 Depth=1
	v_mov_b32_e32 v17, s27
	v_add_co_u32_e64 v20, s[8:9], s26, v2
	v_addc_co_u32_e64 v21, s[8:9], v3, v17, s[8:9]
	global_load_ushort v17, v[20:21], off
	s_or_b64 exec, exec, s[20:21]
	s_and_saveexec_b64 s[8:9], s[6:7]
	s_cbranch_execz .LBB213_12
.LBB213_16:                             ;   in Loop: Header=BB213_4 Depth=1
	s_waitcnt vmcnt(0)
	v_lshlrev_b32_e32 v36, 16, v7
	v_add_f32_e32 v7, 1.0, v36
	v_cvt_f64_f32_e32 v[20:21], v7
	v_frexp_exp_i32_f64_e32 v20, v[20:21]
	v_frexp_mant_f32_e32 v21, v7
	v_cmp_gt_f32_e64 s[6:7], s30, v21
	v_subbrev_co_u32_e64 v21, s[6:7], 0, v20, s[6:7]
	v_cvt_f32_i32_e32 v20, v21
	v_sub_u32_e32 v21, 0, v21
	v_add_f32_e32 v23, -1.0, v7
	v_ldexp_f32 v22, v7, v21
	v_sub_f32_e32 v7, v23, v7
	v_sub_f32_e32 v24, v36, v23
	v_add_f32_e32 v7, 1.0, v7
	v_add_f32_e32 v27, -1.0, v22
	v_add_f32_e32 v7, v24, v7
	v_add_f32_e32 v23, 1.0, v22
	v_ldexp_f32 v7, v7, v21
	v_add_f32_e32 v21, 1.0, v27
	v_add_f32_e32 v24, -1.0, v23
	v_sub_f32_e32 v21, v22, v21
	v_sub_f32_e32 v22, v22, v24
	v_add_f32_e32 v21, v7, v21
	v_add_f32_e32 v7, v7, v22
	;; [unrolled: 1-line block ×3, first 2 shown]
	v_rcp_f32_e32 v31, v30
	v_sub_f32_e32 v22, v30, v23
	v_add_f32_e32 v23, v27, v21
	v_sub_f32_e32 v7, v7, v22
	v_mul_f32_e32 v32, v23, v31
	v_mul_f32_e32 v24, v30, v32
	v_fma_f32 v26, v32, v30, -v24
	v_fmac_f32_e32 v26, v32, v7
	v_add_f32_e32 v22, v24, v26
	v_sub_f32_e32 v25, v23, v22
	v_sub_f32_e32 v27, v23, v27
	;; [unrolled: 1-line block ×3, first 2 shown]
	v_pk_add_f32 v[28:29], v[22:23], v[24:25] neg_lo:[0,1] neg_hi:[0,1]
	v_mov_b32_e32 v27, v22
	v_pk_add_f32 v[22:23], v[28:29], v[26:27] neg_lo:[0,1] neg_hi:[0,1]
	v_add_f32_e32 v21, v21, v23
	v_add_f32_e32 v21, v22, v21
	;; [unrolled: 1-line block ×3, first 2 shown]
	v_mul_f32_e32 v22, v31, v23
	v_add_f32_e32 v33, v32, v22
	v_sub_f32_e32 v24, v33, v32
	v_mul_f32_e32 v26, v30, v22
	v_sub_f32_e32 v32, v22, v24
	v_fma_f32 v24, v22, v30, -v26
	v_fmac_f32_e32 v24, v22, v7
	v_add_f32_e32 v22, v26, v24
	v_sub_f32_e32 v27, v23, v22
	v_sub_f32_e32 v7, v25, v23
	v_pk_add_f32 v[28:29], v[22:23], v[26:27] neg_lo:[0,1] neg_hi:[0,1]
	v_mov_b32_e32 v25, v22
	v_add_f32_e32 v7, v21, v7
	v_pk_add_f32 v[22:23], v[28:29], v[24:25] neg_lo:[0,1] neg_hi:[0,1]
	v_add_f32_e32 v7, v7, v23
	v_add_f32_e32 v7, v22, v7
	;; [unrolled: 1-line block ×3, first 2 shown]
	v_mul_f32_e32 v7, v31, v7
	v_add_f32_e32 v22, v32, v7
	v_add_f32_e32 v24, v33, v22
	v_mul_f32_e32 v7, v24, v24
	v_mov_b32_e32 v25, 0x3ecc95a3
	v_fmac_f32_e32 v25, 0x3e9b6dac, v7
	v_ldexp_f32 v23, v24, 1
	v_mul_f32_e32 v21, v24, v7
	v_fma_f32 v7, v7, v25, v13
	v_sub_f32_e32 v24, v24, v33
	v_sub_f32_e32 v22, v22, v24
	v_pk_mul_f32 v[24:25], v[20:21], v[6:7]
	v_ldexp_f32 v26, v22, 1
	v_fma_f32 v22, v20, s31, -v24
	v_fmac_f32_e32 v22, 0xb102e308, v20
	v_pk_add_f32 v[20:21], v[24:25], v[22:23]
	v_sub_f32_e32 v7, v21, v23
	v_sub_f32_e32 v7, v25, v7
	v_add_f32_e32 v27, v26, v7
	v_mov_b32_e32 v26, v24
	v_pk_add_f32 v[24:25], v[20:21], v[24:25] neg_lo:[0,1] neg_hi:[0,1]
	v_pk_add_f32 v[28:29], v[20:21], v[26:27]
	v_mov_b32_e32 v25, v29
	v_mov_b32_e32 v23, v20
	v_pk_add_f32 v[30:31], v[22:23], v[24:25] neg_lo:[0,1] neg_hi:[0,1]
	v_pk_add_f32 v[22:23], v[22:23], v[24:25]
	v_mov_b32_e32 v24, v23
	v_pk_add_f32 v[32:33], v[24:25], v[20:21] neg_lo:[0,1] neg_hi:[0,1]
	v_mov_b32_e32 v7, v32
	v_pk_add_f32 v[34:35], v[28:29], v[6:7] neg_lo:[0,1] neg_hi:[0,1]
	v_mov_b32_e32 v22, v29
	v_mov_b32_e32 v28, v21
	;; [unrolled: 1-line block ×4, first 2 shown]
	v_pk_add_f32 v[22:23], v[22:23], v[28:29] neg_lo:[0,1] neg_hi:[0,1]
	v_mov_b32_e32 v26, v27
	v_mov_b32_e32 v27, v20
	v_pk_add_f32 v[20:21], v[26:27], v[22:23] neg_lo:[0,1] neg_hi:[0,1]
	v_mov_b32_e32 v34, v30
	v_pk_add_f32 v[22:23], v[34:35], v[20:21]
	v_mov_b32_e32 v26, v23
	v_pk_add_f32 v[26:27], v[22:23], v[26:27]
	v_pk_add_f32 v[24:25], v[24:25], v[26:27]
	v_mov_b32_e32 v23, v24
	v_pk_add_f32 v[28:29], v[22:23], v[30:31] neg_lo:[0,1] neg_hi:[0,1]
	v_mov_b32_e32 v21, v26
	v_sub_f32_e32 v7, v22, v28
	v_pk_add_f32 v[20:21], v[20:21], v[28:29] neg_lo:[0,1] neg_hi:[0,1]
	v_sub_f32_e32 v7, v30, v7
	v_add_f32_e32 v7, v20, v7
	v_add_f32_e32 v7, v7, v21
	;; [unrolled: 1-line block ×3, first 2 shown]
	v_cmp_eq_f32_e64 s[6:7], s29, v36
	v_cndmask_b32_e64 v7, v7, v36, s[6:7]
	v_cmp_ngt_f32_e64 s[6:7], -1.0, v36
	v_cndmask_b32_e64 v7, v14, v7, s[6:7]
	v_cmp_neq_f32_e64 s[6:7], -1.0, v36
	v_cndmask_b32_e64 v7, v15, v7, s[6:7]
	v_cmp_lt_f32_e64 s[6:7], |v36|, s28
	v_cndmask_b32_e64 v7, v7, v36, s[6:7]
	v_bfe_u32 v20, v7, 16, 1
	v_add3_u32 v20, v7, v20, s33
	v_lshrrev_b32_e32 v20, 16, v20
	v_cmp_o_f32_e64 s[6:7], v7, v7
	v_cndmask_b32_e64 v7, v16, v20, s[6:7]
	global_store_short v[2:3], v7, off
	s_or_b64 exec, exec, s[8:9]
	s_and_saveexec_b64 s[6:7], s[2:3]
	s_cbranch_execz .LBB213_13
.LBB213_17:                             ;   in Loop: Header=BB213_4 Depth=1
	s_waitcnt vmcnt(0)
	v_lshlrev_b32_e32 v19, 16, v19
	v_add_f32_e32 v7, 1.0, v19
	v_add_f32_e32 v20, -1.0, v7
	v_sub_f32_e32 v21, v20, v7
	v_add_f32_e32 v21, 1.0, v21
	v_sub_f32_e32 v20, v19, v20
	v_add_f32_e32 v22, v20, v21
	v_frexp_mant_f32_e32 v23, v7
	v_cvt_f64_f32_e32 v[20:21], v7
	v_frexp_exp_i32_f64_e32 v20, v[20:21]
	v_cmp_gt_f32_e64 s[2:3], s30, v23
	v_subbrev_co_u32_e64 v28, s[2:3], 0, v20, s[2:3]
	v_sub_u32_e32 v20, 0, v28
	v_ldexp_f32 v7, v7, v20
	v_ldexp_f32 v20, v22, v20
	v_add_f32_e32 v22, -1.0, v7
	v_add_f32_e32 v21, 1.0, v22
	v_sub_f32_e32 v21, v7, v21
	v_add_f32_e32 v23, v20, v21
	v_add_f32_e32 v21, 1.0, v7
	v_add_f32_e32 v24, -1.0, v21
	v_sub_f32_e32 v7, v7, v24
	v_add_f32_e32 v7, v20, v7
	v_add_f32_e32 v29, v21, v7
	v_rcp_f32_e32 v30, v29
	v_sub_f32_e32 v20, v29, v21
	v_add_f32_e32 v21, v22, v23
	v_sub_f32_e32 v7, v7, v20
	v_mul_f32_e32 v32, v21, v30
	v_sub_f32_e32 v20, v21, v22
	v_mul_f32_e32 v22, v29, v32
	v_fma_f32 v24, v32, v29, -v22
	v_fmac_f32_e32 v24, v32, v7
	v_sub_f32_e32 v31, v23, v20
	v_add_f32_e32 v20, v22, v24
	v_sub_f32_e32 v23, v21, v20
	v_pk_add_f32 v[26:27], v[20:21], v[22:23] neg_lo:[0,1] neg_hi:[0,1]
	v_mov_b32_e32 v25, v20
	v_pk_add_f32 v[20:21], v[26:27], v[24:25] neg_lo:[0,1] neg_hi:[0,1]
	v_add_f32_e32 v21, v31, v21
	v_add_f32_e32 v20, v20, v21
	v_add_f32_e32 v21, v23, v20
	v_mul_f32_e32 v31, v30, v21
	v_mul_f32_e32 v22, v29, v31
	v_fma_f32 v24, v31, v29, -v22
	v_fmac_f32_e32 v24, v31, v7
	v_sub_f32_e32 v7, v23, v21
	v_add_f32_e32 v7, v20, v7
	v_add_f32_e32 v20, v22, v24
	v_sub_f32_e32 v23, v21, v20
	v_pk_add_f32 v[26:27], v[20:21], v[22:23] neg_lo:[0,1] neg_hi:[0,1]
	v_mov_b32_e32 v25, v20
	v_pk_add_f32 v[20:21], v[26:27], v[24:25] neg_lo:[0,1] neg_hi:[0,1]
	v_add_f32_e32 v7, v7, v21
	v_add_f32_e32 v7, v20, v7
	;; [unrolled: 1-line block ×4, first 2 shown]
	v_sub_f32_e32 v20, v21, v32
	v_mul_f32_e32 v7, v30, v7
	v_sub_f32_e32 v20, v31, v20
	v_add_f32_e32 v22, v20, v7
	v_add_f32_e32 v24, v21, v22
	v_cvt_f32_i32_e32 v20, v28
	v_mul_f32_e32 v25, v24, v24
	v_mov_b32_e32 v7, 0x3ecc95a3
	v_sub_f32_e32 v21, v24, v21
	v_fmac_f32_e32 v7, 0x3e9b6dac, v25
	v_sub_f32_e32 v21, v22, v21
	v_fma_f32 v7, v25, v7, v13
	v_ldexp_f32 v26, v21, 1
	v_mul_f32_e32 v21, v24, v25
	v_ldexp_f32 v23, v24, 1
	v_pk_mul_f32 v[24:25], v[20:21], v[6:7]
	v_fma_f32 v22, v20, s31, -v24
	v_fmac_f32_e32 v22, 0xb102e308, v20
	v_pk_add_f32 v[20:21], v[24:25], v[22:23]
	v_sub_f32_e32 v7, v21, v23
	v_sub_f32_e32 v7, v25, v7
	v_add_f32_e32 v27, v26, v7
	v_mov_b32_e32 v26, v24
	v_pk_add_f32 v[24:25], v[20:21], v[24:25] neg_lo:[0,1] neg_hi:[0,1]
	v_pk_add_f32 v[28:29], v[20:21], v[26:27]
	v_mov_b32_e32 v25, v29
	v_mov_b32_e32 v23, v20
	v_pk_add_f32 v[30:31], v[22:23], v[24:25] neg_lo:[0,1] neg_hi:[0,1]
	v_pk_add_f32 v[22:23], v[22:23], v[24:25]
	v_mov_b32_e32 v24, v23
	v_pk_add_f32 v[32:33], v[24:25], v[20:21] neg_lo:[0,1] neg_hi:[0,1]
	v_mov_b32_e32 v7, v32
	v_pk_add_f32 v[34:35], v[28:29], v[6:7] neg_lo:[0,1] neg_hi:[0,1]
	v_mov_b32_e32 v22, v29
	v_mov_b32_e32 v28, v21
	;; [unrolled: 1-line block ×4, first 2 shown]
	v_pk_add_f32 v[22:23], v[22:23], v[28:29] neg_lo:[0,1] neg_hi:[0,1]
	v_mov_b32_e32 v26, v27
	v_mov_b32_e32 v27, v20
	v_pk_add_f32 v[20:21], v[26:27], v[22:23] neg_lo:[0,1] neg_hi:[0,1]
	v_mov_b32_e32 v34, v30
	v_pk_add_f32 v[22:23], v[34:35], v[20:21]
	v_mov_b32_e32 v26, v23
	v_pk_add_f32 v[26:27], v[22:23], v[26:27]
	v_pk_add_f32 v[24:25], v[24:25], v[26:27]
	v_mov_b32_e32 v23, v24
	v_pk_add_f32 v[28:29], v[22:23], v[30:31] neg_lo:[0,1] neg_hi:[0,1]
	v_mov_b32_e32 v21, v26
	v_sub_f32_e32 v7, v22, v28
	v_pk_add_f32 v[20:21], v[20:21], v[28:29] neg_lo:[0,1] neg_hi:[0,1]
	v_sub_f32_e32 v7, v30, v7
	v_add_f32_e32 v7, v20, v7
	v_add_f32_e32 v7, v7, v21
	;; [unrolled: 1-line block ×3, first 2 shown]
	v_cmp_eq_f32_e64 s[2:3], s29, v19
	v_cndmask_b32_e64 v7, v7, v19, s[2:3]
	v_cmp_ngt_f32_e64 s[2:3], -1.0, v19
	v_cndmask_b32_e64 v7, v14, v7, s[2:3]
	v_cmp_neq_f32_e64 s[2:3], -1.0, v19
	v_cndmask_b32_e64 v7, v15, v7, s[2:3]
	v_cmp_lt_f32_e64 s[2:3], |v19|, s28
	v_cndmask_b32_e64 v7, v7, v19, s[2:3]
	v_bfe_u32 v19, v7, 16, 1
	v_add3_u32 v19, v7, v19, s33
	v_lshrrev_b32_e32 v19, 16, v19
	v_cmp_o_f32_e64 s[2:3], v7, v7
	v_cndmask_b32_e64 v7, v16, v19, s[2:3]
	global_store_short v[4:5], v7, off
	s_or_b64 exec, exec, s[6:7]
	s_and_saveexec_b64 s[2:3], s[0:1]
	s_cbranch_execz .LBB213_14
.LBB213_18:                             ;   in Loop: Header=BB213_4 Depth=1
	s_waitcnt vmcnt(0)
	v_lshlrev_b32_e32 v34, 16, v18
	v_add_f32_e32 v7, 1.0, v34
	v_add_f32_e32 v18, -1.0, v7
	v_sub_f32_e32 v19, v18, v7
	v_add_f32_e32 v19, 1.0, v19
	v_sub_f32_e32 v18, v34, v18
	v_add_f32_e32 v20, v18, v19
	v_frexp_mant_f32_e32 v21, v7
	v_cvt_f64_f32_e32 v[18:19], v7
	v_frexp_exp_i32_f64_e32 v18, v[18:19]
	v_cmp_gt_f32_e64 s[0:1], s30, v21
	v_subbrev_co_u32_e64 v26, s[0:1], 0, v18, s[0:1]
	v_sub_u32_e32 v18, 0, v26
	v_ldexp_f32 v7, v7, v18
	v_ldexp_f32 v18, v20, v18
	v_add_f32_e32 v20, -1.0, v7
	v_add_f32_e32 v19, 1.0, v20
	v_sub_f32_e32 v19, v7, v19
	v_add_f32_e32 v21, v18, v19
	v_add_f32_e32 v19, 1.0, v7
	v_add_f32_e32 v22, -1.0, v19
	v_sub_f32_e32 v7, v7, v22
	v_add_f32_e32 v7, v18, v7
	v_add_f32_e32 v27, v19, v7
	v_rcp_f32_e32 v28, v27
	v_sub_f32_e32 v18, v27, v19
	v_add_f32_e32 v19, v20, v21
	v_sub_f32_e32 v7, v7, v18
	v_mul_f32_e32 v30, v19, v28
	v_sub_f32_e32 v18, v19, v20
	v_mul_f32_e32 v20, v27, v30
	v_fma_f32 v22, v30, v27, -v20
	v_fmac_f32_e32 v22, v30, v7
	v_sub_f32_e32 v29, v21, v18
	v_add_f32_e32 v18, v20, v22
	v_sub_f32_e32 v21, v19, v18
	v_pk_add_f32 v[24:25], v[18:19], v[20:21] neg_lo:[0,1] neg_hi:[0,1]
	v_mov_b32_e32 v23, v18
	v_pk_add_f32 v[18:19], v[24:25], v[22:23] neg_lo:[0,1] neg_hi:[0,1]
	v_add_f32_e32 v19, v29, v19
	v_add_f32_e32 v18, v18, v19
	;; [unrolled: 1-line block ×3, first 2 shown]
	v_mul_f32_e32 v29, v28, v19
	v_mul_f32_e32 v20, v27, v29
	v_fma_f32 v22, v29, v27, -v20
	v_fmac_f32_e32 v22, v29, v7
	v_sub_f32_e32 v7, v21, v19
	v_add_f32_e32 v7, v18, v7
	v_add_f32_e32 v18, v20, v22
	v_sub_f32_e32 v21, v19, v18
	v_pk_add_f32 v[24:25], v[18:19], v[20:21] neg_lo:[0,1] neg_hi:[0,1]
	v_mov_b32_e32 v23, v18
	v_pk_add_f32 v[18:19], v[24:25], v[22:23] neg_lo:[0,1] neg_hi:[0,1]
	v_add_f32_e32 v7, v7, v19
	v_add_f32_e32 v7, v18, v7
	;; [unrolled: 1-line block ×4, first 2 shown]
	v_sub_f32_e32 v18, v19, v30
	v_mul_f32_e32 v7, v28, v7
	v_sub_f32_e32 v18, v29, v18
	v_add_f32_e32 v20, v18, v7
	v_add_f32_e32 v22, v19, v20
	v_cvt_f32_i32_e32 v18, v26
	v_mul_f32_e32 v23, v22, v22
	v_mov_b32_e32 v7, 0x3ecc95a3
	v_sub_f32_e32 v19, v22, v19
	v_fmac_f32_e32 v7, 0x3e9b6dac, v23
	v_sub_f32_e32 v19, v20, v19
	v_fma_f32 v7, v23, v7, v13
	v_ldexp_f32 v24, v19, 1
	v_mul_f32_e32 v19, v22, v23
	v_ldexp_f32 v21, v22, 1
	v_pk_mul_f32 v[22:23], v[18:19], v[6:7]
	v_fma_f32 v20, v18, s31, -v22
	v_fmac_f32_e32 v20, 0xb102e308, v18
	v_pk_add_f32 v[18:19], v[22:23], v[20:21]
	v_sub_f32_e32 v7, v19, v21
	v_sub_f32_e32 v7, v23, v7
	v_add_f32_e32 v25, v24, v7
	v_mov_b32_e32 v24, v22
	v_pk_add_f32 v[22:23], v[18:19], v[22:23] neg_lo:[0,1] neg_hi:[0,1]
	v_pk_add_f32 v[26:27], v[18:19], v[24:25]
	v_mov_b32_e32 v23, v27
	v_mov_b32_e32 v21, v18
	v_pk_add_f32 v[28:29], v[20:21], v[22:23] neg_lo:[0,1] neg_hi:[0,1]
	v_pk_add_f32 v[20:21], v[20:21], v[22:23]
	v_mov_b32_e32 v22, v21
	v_pk_add_f32 v[30:31], v[22:23], v[18:19] neg_lo:[0,1] neg_hi:[0,1]
	v_mov_b32_e32 v7, v30
	v_pk_add_f32 v[32:33], v[26:27], v[6:7] neg_lo:[0,1] neg_hi:[0,1]
	v_mov_b32_e32 v20, v27
	v_mov_b32_e32 v26, v19
	;; [unrolled: 1-line block ×4, first 2 shown]
	v_pk_add_f32 v[20:21], v[20:21], v[26:27] neg_lo:[0,1] neg_hi:[0,1]
	v_mov_b32_e32 v24, v25
	v_mov_b32_e32 v25, v18
	v_pk_add_f32 v[18:19], v[24:25], v[20:21] neg_lo:[0,1] neg_hi:[0,1]
	v_mov_b32_e32 v32, v28
	v_pk_add_f32 v[20:21], v[32:33], v[18:19]
	v_mov_b32_e32 v24, v21
	v_pk_add_f32 v[24:25], v[20:21], v[24:25]
	v_pk_add_f32 v[22:23], v[22:23], v[24:25]
	v_mov_b32_e32 v21, v22
	v_pk_add_f32 v[26:27], v[20:21], v[28:29] neg_lo:[0,1] neg_hi:[0,1]
	v_mov_b32_e32 v19, v24
	v_sub_f32_e32 v7, v20, v26
	v_pk_add_f32 v[18:19], v[18:19], v[26:27] neg_lo:[0,1] neg_hi:[0,1]
	v_sub_f32_e32 v7, v28, v7
	v_add_f32_e32 v7, v18, v7
	v_add_f32_e32 v7, v7, v19
	v_add_f32_e32 v7, v22, v7
	v_cmp_eq_f32_e64 s[0:1], s29, v34
	v_cndmask_b32_e64 v7, v7, v34, s[0:1]
	v_cmp_ngt_f32_e64 s[0:1], -1.0, v34
	v_cndmask_b32_e64 v7, v14, v7, s[0:1]
	v_cmp_neq_f32_e64 s[0:1], -1.0, v34
	v_cndmask_b32_e64 v7, v15, v7, s[0:1]
	v_cmp_lt_f32_e64 s[0:1], |v34|, s28
	v_cndmask_b32_e64 v7, v7, v34, s[0:1]
	v_bfe_u32 v18, v7, 16, 1
	v_add3_u32 v18, v7, v18, s33
	v_lshrrev_b32_e32 v18, 16, v18
	v_cmp_o_f32_e64 s[0:1], v7, v7
	v_cndmask_b32_e64 v7, v16, v18, s[0:1]
	v_mov_b32_e32 v19, s22
	v_add_co_u32_e64 v18, s[0:1], s23, v2
	v_addc_co_u32_e64 v19, s[0:1], v3, v19, s[0:1]
	global_store_short v[18:19], v7, off
	s_or_b64 exec, exec, s[2:3]
	s_and_saveexec_b64 s[0:1], vcc
	s_cbranch_execz .LBB213_3
.LBB213_19:                             ;   in Loop: Header=BB213_4 Depth=1
	s_waitcnt vmcnt(0)
	v_lshlrev_b32_e32 v17, 16, v17
	v_add_f32_e32 v7, 1.0, v17
	v_add_f32_e32 v18, -1.0, v7
	v_sub_f32_e32 v19, v18, v7
	v_add_f32_e32 v19, 1.0, v19
	v_sub_f32_e32 v18, v17, v18
	v_add_f32_e32 v20, v18, v19
	v_frexp_mant_f32_e32 v21, v7
	v_cvt_f64_f32_e32 v[18:19], v7
	v_frexp_exp_i32_f64_e32 v18, v[18:19]
	v_cmp_gt_f32_e32 vcc, s30, v21
	v_subbrev_co_u32_e32 v26, vcc, 0, v18, vcc
	v_sub_u32_e32 v18, 0, v26
	v_ldexp_f32 v7, v7, v18
	v_ldexp_f32 v18, v20, v18
	v_add_f32_e32 v20, -1.0, v7
	v_add_f32_e32 v19, 1.0, v20
	v_sub_f32_e32 v19, v7, v19
	v_add_f32_e32 v21, v18, v19
	v_add_f32_e32 v19, 1.0, v7
	v_add_f32_e32 v22, -1.0, v19
	v_sub_f32_e32 v7, v7, v22
	v_add_f32_e32 v7, v18, v7
	v_add_f32_e32 v27, v19, v7
	v_rcp_f32_e32 v28, v27
	v_sub_f32_e32 v18, v27, v19
	v_add_f32_e32 v19, v20, v21
	v_sub_f32_e32 v7, v7, v18
	v_mul_f32_e32 v30, v19, v28
	v_sub_f32_e32 v18, v19, v20
	v_mul_f32_e32 v20, v27, v30
	v_fma_f32 v22, v30, v27, -v20
	v_fmac_f32_e32 v22, v30, v7
	v_sub_f32_e32 v29, v21, v18
	v_add_f32_e32 v18, v20, v22
	v_sub_f32_e32 v21, v19, v18
	v_pk_add_f32 v[24:25], v[18:19], v[20:21] neg_lo:[0,1] neg_hi:[0,1]
	v_mov_b32_e32 v23, v18
	v_pk_add_f32 v[18:19], v[24:25], v[22:23] neg_lo:[0,1] neg_hi:[0,1]
	v_add_f32_e32 v19, v29, v19
	v_add_f32_e32 v18, v18, v19
	;; [unrolled: 1-line block ×3, first 2 shown]
	v_mul_f32_e32 v29, v28, v19
	v_mul_f32_e32 v20, v27, v29
	v_fma_f32 v22, v29, v27, -v20
	v_fmac_f32_e32 v22, v29, v7
	v_sub_f32_e32 v7, v21, v19
	v_add_f32_e32 v7, v18, v7
	v_add_f32_e32 v18, v20, v22
	v_sub_f32_e32 v21, v19, v18
	v_pk_add_f32 v[24:25], v[18:19], v[20:21] neg_lo:[0,1] neg_hi:[0,1]
	v_mov_b32_e32 v23, v18
	v_pk_add_f32 v[18:19], v[24:25], v[22:23] neg_lo:[0,1] neg_hi:[0,1]
	v_add_f32_e32 v7, v7, v19
	v_add_f32_e32 v7, v18, v7
	;; [unrolled: 1-line block ×4, first 2 shown]
	v_sub_f32_e32 v18, v19, v30
	v_mul_f32_e32 v7, v28, v7
	v_sub_f32_e32 v18, v29, v18
	v_add_f32_e32 v20, v18, v7
	v_add_f32_e32 v22, v19, v20
	v_cvt_f32_i32_e32 v18, v26
	v_mul_f32_e32 v23, v22, v22
	v_mov_b32_e32 v7, 0x3ecc95a3
	v_sub_f32_e32 v19, v22, v19
	v_fmac_f32_e32 v7, 0x3e9b6dac, v23
	v_sub_f32_e32 v19, v20, v19
	v_fma_f32 v7, v23, v7, v13
	v_ldexp_f32 v24, v19, 1
	v_mul_f32_e32 v19, v22, v23
	v_ldexp_f32 v21, v22, 1
	v_pk_mul_f32 v[22:23], v[18:19], v[6:7]
	v_fma_f32 v20, v18, s31, -v22
	v_fmac_f32_e32 v20, 0xb102e308, v18
	v_pk_add_f32 v[18:19], v[22:23], v[20:21]
	v_sub_f32_e32 v7, v19, v21
	v_sub_f32_e32 v7, v23, v7
	v_add_f32_e32 v25, v24, v7
	v_mov_b32_e32 v24, v22
	v_pk_add_f32 v[22:23], v[18:19], v[22:23] neg_lo:[0,1] neg_hi:[0,1]
	v_pk_add_f32 v[26:27], v[18:19], v[24:25]
	v_mov_b32_e32 v23, v27
	v_mov_b32_e32 v21, v18
	v_pk_add_f32 v[28:29], v[20:21], v[22:23] neg_lo:[0,1] neg_hi:[0,1]
	v_pk_add_f32 v[20:21], v[20:21], v[22:23]
	v_mov_b32_e32 v22, v21
	v_pk_add_f32 v[30:31], v[22:23], v[18:19] neg_lo:[0,1] neg_hi:[0,1]
	v_mov_b32_e32 v7, v30
	v_pk_add_f32 v[32:33], v[26:27], v[6:7] neg_lo:[0,1] neg_hi:[0,1]
	v_mov_b32_e32 v20, v27
	v_mov_b32_e32 v26, v19
	;; [unrolled: 1-line block ×4, first 2 shown]
	v_pk_add_f32 v[20:21], v[20:21], v[26:27] neg_lo:[0,1] neg_hi:[0,1]
	v_mov_b32_e32 v24, v25
	v_mov_b32_e32 v25, v18
	v_pk_add_f32 v[18:19], v[24:25], v[20:21] neg_lo:[0,1] neg_hi:[0,1]
	v_mov_b32_e32 v32, v28
	v_pk_add_f32 v[20:21], v[32:33], v[18:19]
	v_mov_b32_e32 v24, v21
	v_pk_add_f32 v[24:25], v[20:21], v[24:25]
	v_pk_add_f32 v[22:23], v[22:23], v[24:25]
	v_mov_b32_e32 v21, v22
	v_pk_add_f32 v[26:27], v[20:21], v[28:29] neg_lo:[0,1] neg_hi:[0,1]
	v_mov_b32_e32 v19, v24
	v_sub_f32_e32 v7, v20, v26
	v_pk_add_f32 v[18:19], v[18:19], v[26:27] neg_lo:[0,1] neg_hi:[0,1]
	v_sub_f32_e32 v7, v28, v7
	v_add_f32_e32 v7, v18, v7
	v_add_f32_e32 v7, v7, v19
	;; [unrolled: 1-line block ×3, first 2 shown]
	v_cmp_eq_f32_e32 vcc, s29, v17
	v_cndmask_b32_e32 v7, v7, v17, vcc
	v_cmp_ngt_f32_e32 vcc, -1.0, v17
	v_cndmask_b32_e32 v7, v14, v7, vcc
	v_cmp_neq_f32_e32 vcc, -1.0, v17
	v_cndmask_b32_e32 v7, v15, v7, vcc
	v_cmp_lt_f32_e64 vcc, |v17|, s28
	v_cndmask_b32_e32 v7, v7, v17, vcc
	v_bfe_u32 v17, v7, 16, 1
	v_add3_u32 v17, v7, v17, s33
	v_lshrrev_b32_e32 v17, 16, v17
	v_cmp_o_f32_e32 vcc, v7, v7
	v_cndmask_b32_e32 v7, v16, v17, vcc
	v_mov_b32_e32 v17, s27
	v_add_co_u32_e32 v18, vcc, s26, v2
	v_addc_co_u32_e32 v19, vcc, v3, v17, vcc
	global_store_short v[18:19], v7, off
	s_branch .LBB213_3
.LBB213_20:
	s_cbranch_execz .LBB213_22
	s_branch .LBB213_25
.LBB213_21:
.LBB213_22:
	v_mov_b32_e32 v3, 0
	v_lshlrev_b32_e32 v2, 2, v0
	s_mov_b32 s0, 0
	v_cmp_gt_i64_e32 vcc, s[10:11], v[2:3]
	s_and_saveexec_b64 s[2:3], vcc
	s_cbranch_execz .LBB213_25
; %bb.23:
	s_load_dword s1, s[4:5], 0xd3c
	v_lshlrev_b32_e32 v1, 3, v0
	s_mov_b32 s9, 0x3f2aaaab
	s_mov_b32 s8, 0x3ecc95a3
	s_mov_b32 s4, 0x3f317218
	s_waitcnt lgkmcnt(0)
	s_and_b32 s1, s1, 0xffff
	s_add_u32 s2, s12, s14
	s_addc_u32 s3, s13, s15
	v_mov_b32_e32 v2, s3
	v_add_co_u32_e32 v4, vcc, s2, v1
	v_addc_co_u32_e32 v5, vcc, 0, v2, vcc
	s_lshl_b32 s5, s1, 3
	v_add_lshl_u32 v2, v0, s1, 2
	s_lshl_b32 s7, s1, 2
	s_mov_b64 s[2:3], 0
	s_mov_b32 s6, 0x3e9b6dac
	v_pk_mov_b32 v[0:1], s[8:9], s[8:9] op_sel:[0,1]
	s_mov_b32 s8, 0x3f2aaada
	s_mov_b32 s12, 0xb102e308
	;; [unrolled: 1-line block ×3, first 2 shown]
	v_mov_b32_e32 v6, 0x7fc00000
	v_mov_b32_e32 v7, 0xff800000
	s_mov_b32 s16, 0x33800000
	s_movk_i32 s17, 0x7fff
	v_mov_b32_e32 v8, 0x7fc0
	s_mov_b64 s[14:15], 0xffff
	v_mov_b32_e32 v9, s0
	v_mov_b32_e32 v10, s0
.LBB213_24:                             ; =>This Inner Loop Header: Depth=1
	global_load_dwordx2 v[12:13], v[4:5], off
	v_cmp_lt_u64_e64 s[0:1], s[14:15], v[2:3]
	s_waitcnt vmcnt(0)
	v_lshlrev_b32_e32 v48, 16, v12
	v_add_f32_e32 v18, 1.0, v48
	v_alignbit_b32 v11, v13, v12, 16
	v_and_b32_e32 v49, 0xffff0000, v13
	v_and_b32_e32 v50, 0xffff0000, v12
	v_frexp_mant_f32_e32 v21, v18
	v_cvt_f64_f32_e32 v[12:13], v18
	v_add_f32_e32 v19, 1.0, v50
	v_frexp_exp_i32_f64_e32 v29, v[12:13]
	v_cmp_gt_f32_e32 vcc, s9, v21
	v_frexp_mant_f32_e32 v22, v19
	v_cvt_f64_f32_e32 v[14:15], v19
	v_subbrev_co_u32_e32 v21, vcc, 0, v29, vcc
	v_add_f32_e32 v25, 1.0, v49
	v_frexp_exp_i32_f64_e32 v14, v[14:15]
	v_cmp_gt_f32_e32 vcc, s9, v22
	v_and_b32_e32 v11, 0xffff0000, v11
	v_frexp_mant_f32_e32 v23, v25
	v_cvt_f64_f32_e32 v[16:17], v25
	v_subbrev_co_u32_e32 v14, vcc, 0, v14, vcc
	v_add_f32_e32 v20, -1.0, v18
	v_add_f32_e32 v24, 1.0, v11
	v_add_f32_e32 v26, -1.0, v19
	v_frexp_exp_i32_f64_e32 v16, v[16:17]
	v_cmp_gt_f32_e32 vcc, s9, v23
	v_sub_f32_e32 v28, v20, v18
	v_frexp_mant_f32_e32 v15, v24
	v_cvt_f64_f32_e32 v[12:13], v24
	v_sub_f32_e32 v17, v26, v19
	v_subbrev_co_u32_e32 v44, vcc, 0, v16, vcc
	v_sub_f32_e32 v20, v48, v20
	v_sub_f32_e32 v26, v50, v26
	v_add_f32_e32 v30, -1.0, v24
	v_add_f32_e32 v28, 1.0, v28
	v_frexp_exp_i32_f64_e32 v12, v[12:13]
	v_add_f32_e32 v16, 1.0, v17
	v_cmp_gt_f32_e32 vcc, s9, v15
	v_sub_f32_e32 v17, v30, v24
	v_add_f32_e32 v20, v20, v28
	v_sub_u32_e32 v23, 0, v21
	v_subbrev_co_u32_e32 v28, vcc, 0, v12, vcc
	v_cvt_f32_i32_e32 v12, v21
	v_add_f32_e32 v21, v26, v16
	v_sub_u32_e32 v26, 0, v14
	v_sub_f32_e32 v22, v11, v30
	v_add_f32_e32 v29, 1.0, v17
	v_ldexp_f32 v16, v18, v23
	v_ldexp_f32 v17, v19, v26
	v_add_f32_e32 v27, -1.0, v25
	v_cvt_f32_i32_e32 v13, v14
	v_ldexp_f32 v18, v20, v23
	v_cvt_f32_i32_e32 v14, v28
	v_ldexp_f32 v19, v21, v26
	v_add_f32_e32 v26, v22, v29
	v_sub_u32_e32 v28, 0, v28
	v_pk_add_f32 v[20:21], v[16:17], 1.0 op_sel_hi:[1,0]
	v_sub_f32_e32 v31, v27, v25
	v_pk_add_f32 v[22:23], -1.0, v[16:17] op_sel_hi:[0,1]
	v_ldexp_f32 v24, v24, v28
	v_ldexp_f32 v26, v26, v28
	v_pk_add_f32 v[28:29], -1.0, v[20:21] op_sel_hi:[0,1]
	v_add_f32_e32 v45, 1.0, v31
	v_pk_add_f32 v[30:31], v[22:23], 1.0 op_sel_hi:[1,0]
	v_pk_add_f32 v[28:29], v[16:17], v[28:29] neg_lo:[0,1] neg_hi:[0,1]
	v_pk_add_f32 v[16:17], v[16:17], v[30:31] neg_lo:[0,1] neg_hi:[0,1]
	v_pk_add_f32 v[28:29], v[18:19], v[28:29]
	v_pk_add_f32 v[16:17], v[18:19], v[16:17]
	;; [unrolled: 1-line block ×3, first 2 shown]
	v_rcp_f32_e32 v36, v18
	v_rcp_f32_e32 v37, v19
	v_pk_add_f32 v[34:35], v[22:23], v[16:17]
	v_pk_add_f32 v[22:23], v[34:35], v[22:23] neg_lo:[0,1] neg_hi:[0,1]
	v_pk_add_f32 v[20:21], v[18:19], v[20:21] neg_lo:[0,1] neg_hi:[0,1]
	;; [unrolled: 1-line block ×3, first 2 shown]
	v_pk_mul_f32 v[22:23], v[34:35], v[36:37]
	v_pk_add_f32 v[20:21], v[28:29], v[20:21] neg_lo:[0,1] neg_hi:[0,1]
	v_pk_mul_f32 v[28:29], v[18:19], v[22:23]
	v_pk_fma_f32 v[38:39], v[22:23], v[18:19], v[28:29] neg_lo:[0,0,1] neg_hi:[0,0,1]
	v_pk_fma_f32 v[38:39], v[22:23], v[20:21], v[38:39]
	v_pk_add_f32 v[40:41], v[28:29], v[38:39]
	v_pk_add_f32 v[42:43], v[34:35], v[40:41] neg_lo:[0,1] neg_hi:[0,1]
	v_pk_add_f32 v[34:35], v[34:35], v[42:43] neg_lo:[0,1] neg_hi:[0,1]
	;; [unrolled: 1-line block ×5, first 2 shown]
	v_pk_add_f32 v[16:17], v[16:17], v[34:35]
	v_pk_add_f32 v[16:17], v[28:29], v[16:17]
	;; [unrolled: 1-line block ×3, first 2 shown]
	v_pk_mul_f32 v[34:35], v[36:37], v[28:29]
	v_pk_add_f32 v[38:39], v[42:43], v[28:29] neg_lo:[0,1] neg_hi:[0,1]
	v_pk_mul_f32 v[40:41], v[18:19], v[34:35]
	v_pk_add_f32 v[16:17], v[16:17], v[38:39]
	v_pk_add_f32 v[38:39], v[22:23], v[34:35]
	v_pk_fma_f32 v[18:19], v[34:35], v[18:19], v[40:41] neg_lo:[0,0,1] neg_hi:[0,0,1]
	v_pk_add_f32 v[22:23], v[38:39], v[22:23] neg_lo:[0,1] neg_hi:[0,1]
	v_pk_fma_f32 v[18:19], v[34:35], v[20:21], v[18:19]
	v_pk_add_f32 v[20:21], v[34:35], v[22:23] neg_lo:[0,1] neg_hi:[0,1]
	v_pk_add_f32 v[22:23], v[40:41], v[18:19]
	v_pk_add_f32 v[34:35], v[22:23], v[40:41] neg_lo:[0,1] neg_hi:[0,1]
	v_pk_add_f32 v[40:41], v[28:29], v[22:23] neg_lo:[0,1] neg_hi:[0,1]
	v_pk_add_f32 v[28:29], v[28:29], v[40:41] neg_lo:[0,1] neg_hi:[0,1]
	v_pk_add_f32 v[22:23], v[28:29], v[22:23] neg_lo:[0,1] neg_hi:[0,1]
	v_pk_add_f32 v[18:19], v[34:35], v[18:19] neg_lo:[0,1] neg_hi:[0,1]
	v_pk_add_f32 v[16:17], v[16:17], v[22:23]
	v_pk_add_f32 v[16:17], v[18:19], v[16:17]
	;; [unrolled: 1-line block ×3, first 2 shown]
	v_pk_mul_f32 v[16:17], v[36:37], v[16:17]
	v_pk_add_f32 v[16:17], v[20:21], v[16:17]
	v_pk_add_f32 v[18:19], v[38:39], v[16:17]
	v_pk_add_f32 v[20:21], v[18:19], v[38:39] neg_lo:[0,1] neg_hi:[0,1]
	v_sub_f32_e32 v27, v49, v27
	v_pk_add_f32 v[16:17], v[16:17], v[20:21] neg_lo:[0,1] neg_hi:[0,1]
	v_sub_u32_e32 v21, 0, v44
	v_add_f32_e32 v20, v27, v45
	v_ldexp_f32 v25, v25, v21
	v_ldexp_f32 v27, v20, v21
	v_pk_add_f32 v[20:21], v[24:25], 1.0 op_sel_hi:[1,0]
	v_pk_add_f32 v[34:35], -1.0, v[20:21] op_sel_hi:[0,1]
	v_pk_add_f32 v[34:35], v[24:25], v[34:35] neg_lo:[0,1] neg_hi:[0,1]
	v_pk_add_f32 v[34:35], v[26:27], v[34:35]
	v_pk_add_f32 v[36:37], v[20:21], v[34:35]
	v_pk_add_f32 v[40:41], -1.0, v[24:25] op_sel_hi:[0,1]
	v_rcp_f32_e32 v38, v36
	v_pk_add_f32 v[42:43], v[40:41], 1.0 op_sel_hi:[1,0]
	v_rcp_f32_e32 v39, v37
	v_pk_add_f32 v[24:25], v[24:25], v[42:43] neg_lo:[0,1] neg_hi:[0,1]
	v_pk_add_f32 v[24:25], v[26:27], v[24:25]
	v_pk_add_f32 v[26:27], v[40:41], v[24:25]
	v_pk_add_f32 v[20:21], v[36:37], v[20:21] neg_lo:[0,1] neg_hi:[0,1]
	v_pk_add_f32 v[40:41], v[26:27], v[40:41] neg_lo:[0,1] neg_hi:[0,1]
	;; [unrolled: 1-line block ×3, first 2 shown]
	v_pk_mul_f32 v[34:35], v[26:27], v[38:39]
	v_pk_add_f32 v[24:25], v[24:25], v[40:41] neg_lo:[0,1] neg_hi:[0,1]
	v_pk_mul_f32 v[40:41], v[36:37], v[34:35]
	v_pk_fma_f32 v[42:43], v[34:35], v[36:37], v[40:41] neg_lo:[0,0,1] neg_hi:[0,0,1]
	v_pk_fma_f32 v[42:43], v[34:35], v[20:21], v[42:43]
	v_cvt_f32_i32_e32 v15, v44
	v_pk_add_f32 v[44:45], v[40:41], v[42:43]
	v_pk_add_f32 v[46:47], v[26:27], v[44:45] neg_lo:[0,1] neg_hi:[0,1]
	v_pk_add_f32 v[26:27], v[26:27], v[46:47] neg_lo:[0,1] neg_hi:[0,1]
	;; [unrolled: 1-line block ×4, first 2 shown]
	v_pk_add_f32 v[24:25], v[24:25], v[26:27]
	v_pk_add_f32 v[26:27], v[40:41], v[42:43] neg_lo:[0,1] neg_hi:[0,1]
	v_pk_add_f32 v[24:25], v[26:27], v[24:25]
	v_pk_add_f32 v[26:27], v[46:47], v[24:25]
	v_pk_mul_f32 v[40:41], v[38:39], v[26:27]
	v_pk_mul_f32 v[42:43], v[36:37], v[40:41]
	v_pk_fma_f32 v[36:37], v[40:41], v[36:37], v[42:43] neg_lo:[0,0,1] neg_hi:[0,0,1]
	v_pk_fma_f32 v[20:21], v[40:41], v[20:21], v[36:37]
	v_pk_add_f32 v[36:37], v[46:47], v[26:27] neg_lo:[0,1] neg_hi:[0,1]
	v_pk_add_f32 v[24:25], v[24:25], v[36:37]
	v_pk_add_f32 v[36:37], v[42:43], v[20:21]
	v_pk_add_f32 v[44:45], v[26:27], v[36:37] neg_lo:[0,1] neg_hi:[0,1]
	v_pk_add_f32 v[26:27], v[26:27], v[44:45] neg_lo:[0,1] neg_hi:[0,1]
	;; [unrolled: 1-line block ×4, first 2 shown]
	v_pk_add_f32 v[24:25], v[24:25], v[26:27]
	v_pk_add_f32 v[20:21], v[42:43], v[20:21] neg_lo:[0,1] neg_hi:[0,1]
	v_pk_add_f32 v[20:21], v[20:21], v[24:25]
	v_pk_add_f32 v[24:25], v[34:35], v[40:41]
	;; [unrolled: 1-line block ×3, first 2 shown]
	v_pk_add_f32 v[26:27], v[24:25], v[34:35] neg_lo:[0,1] neg_hi:[0,1]
	v_pk_mul_f32 v[20:21], v[38:39], v[20:21]
	v_pk_add_f32 v[26:27], v[40:41], v[26:27] neg_lo:[0,1] neg_hi:[0,1]
	v_pk_add_f32 v[20:21], v[26:27], v[20:21]
	v_pk_mul_f32 v[28:29], v[18:19], v[18:19]
	v_pk_add_f32 v[26:27], v[24:25], v[20:21]
	v_pk_mul_f32 v[36:37], v[26:27], v[26:27]
	v_pk_fma_f32 v[42:43], v[28:29], s[6:7], v[0:1] op_sel_hi:[1,0,0]
	v_ldexp_f32 v22, v18, 1
	v_ldexp_f32 v23, v19, 1
	v_pk_mul_f32 v[18:19], v[18:19], v[28:29]
	v_pk_fma_f32 v[40:41], v[36:37], s[6:7], v[0:1] op_sel_hi:[1,0,0]
	v_pk_fma_f32 v[28:29], v[28:29], v[42:43], s[8:9] op_sel_hi:[1,1,0]
	v_pk_mul_f32 v[38:39], v[26:27], v[36:37]
	v_pk_fma_f32 v[36:37], v[36:37], v[40:41], s[8:9] op_sel_hi:[1,1,0]
	v_pk_mul_f32 v[18:19], v[18:19], v[28:29]
	v_ldexp_f32 v34, v26, 1
	v_ldexp_f32 v35, v27, 1
	v_pk_mul_f32 v[36:37], v[38:39], v[36:37]
	v_pk_add_f32 v[28:29], v[22:23], v[18:19]
	v_pk_mul_f32 v[32:33], v[12:13], s[4:5] op_sel_hi:[1,0]
	v_pk_add_f32 v[38:39], v[34:35], v[36:37]
	v_pk_add_f32 v[24:25], v[26:27], v[24:25] neg_lo:[0,1] neg_hi:[0,1]
	v_sub_f32_e32 v22, v28, v22
	v_sub_f32_e32 v23, v29, v23
	v_pk_mul_f32 v[30:31], v[14:15], s[4:5] op_sel_hi:[1,0]
	v_ldexp_f32 v16, v16, 1
	v_ldexp_f32 v17, v17, 1
	v_pk_add_f32 v[20:21], v[20:21], v[24:25] neg_lo:[0,1] neg_hi:[0,1]
	v_pk_fma_f32 v[24:25], v[12:13], s[4:5], v[32:33] op_sel_hi:[1,0,1] neg_lo:[0,0,1] neg_hi:[0,0,1]
	v_sub_f32_e32 v34, v38, v34
	v_sub_f32_e32 v35, v39, v35
	v_sub_f32_e32 v19, v19, v23
	v_sub_f32_e32 v18, v18, v22
	v_ldexp_f32 v20, v20, 1
	v_pk_fma_f32 v[26:27], v[14:15], s[4:5], v[30:31] op_sel_hi:[1,0,1] neg_lo:[0,0,1] neg_hi:[0,0,1]
	v_pk_fma_f32 v[12:13], v[12:13], s[12:13], v[24:25] op_sel_hi:[1,0,1]
	v_ldexp_f32 v21, v21, 1
	v_sub_f32_e32 v23, v37, v35
	v_sub_f32_e32 v22, v36, v34
	v_pk_add_f32 v[16:17], v[16:17], v[18:19]
	v_pk_fma_f32 v[14:15], v[14:15], s[12:13], v[26:27] op_sel_hi:[1,0,1]
	v_pk_add_f32 v[24:25], v[32:33], v[12:13]
	v_pk_add_f32 v[20:21], v[20:21], v[22:23]
	;; [unrolled: 1-line block ×7, first 2 shown]
	v_sub_f32_e32 v44, v36, v24
	v_sub_f32_e32 v45, v37, v25
	;; [unrolled: 1-line block ×32, first 2 shown]
	v_pk_add_f32 v[22:23], v[16:17], v[12:13]
	v_pk_add_f32 v[20:21], v[18:19], v[14:15]
	v_sub_f32_e32 v19, v23, v13
	v_sub_f32_e32 v28, v22, v12
	v_pk_add_f32 v[26:27], v[40:41], v[44:45]
	v_sub_f32_e32 v32, v22, v28
	v_sub_f32_e32 v33, v23, v19
	;; [unrolled: 3-line block ×3, first 2 shown]
	v_sub_f32_e32 v13, v13, v33
	v_sub_f32_e32 v12, v12, v32
	;; [unrolled: 1-line block ×6, first 2 shown]
	v_pk_add_f32 v[12:13], v[16:17], v[12:13]
	v_pk_add_f32 v[16:17], v[24:25], v[22:23]
	v_sub_f32_e32 v15, v41, v15
	v_sub_f32_e32 v14, v14, v31
	;; [unrolled: 1-line block ×4, first 2 shown]
	v_pk_add_f32 v[22:23], v[36:37], v[16:17]
	v_pk_add_f32 v[14:15], v[18:19], v[14:15]
	;; [unrolled: 1-line block ×3, first 2 shown]
	v_sub_f32_e32 v24, v22, v36
	v_sub_f32_e32 v25, v23, v37
	v_pk_add_f32 v[20:21], v[34:35], v[18:19]
	v_sub_f32_e32 v17, v17, v25
	v_sub_f32_e32 v16, v16, v24
	v_sub_f32_e32 v26, v20, v34
	v_sub_f32_e32 v27, v21, v35
	v_pk_add_f32 v[12:13], v[12:13], v[16:17]
	v_sub_f32_e32 v19, v19, v27
	v_sub_f32_e32 v18, v18, v26
	v_pk_add_f32 v[12:13], v[22:23], v[12:13]
	v_cmp_eq_f32_e32 vcc, s13, v48
	v_pk_add_f32 v[14:15], v[14:15], v[18:19]
	v_cndmask_b32_e32 v12, v12, v48, vcc
	v_cmp_eq_f32_e32 vcc, s13, v50
	v_pk_add_f32 v[14:15], v[20:21], v[14:15]
	v_cndmask_b32_e32 v13, v13, v50, vcc
	v_cmp_eq_f32_e32 vcc, s13, v11
	v_cndmask_b32_e32 v14, v14, v11, vcc
	v_cmp_eq_f32_e32 vcc, s13, v49
	v_cndmask_b32_e32 v15, v15, v49, vcc
	v_cmp_ngt_f32_e32 vcc, -1.0, v49
	v_cndmask_b32_e32 v15, v6, v15, vcc
	v_cmp_ngt_f32_e32 vcc, -1.0, v11
	;; [unrolled: 2-line block ×4, first 2 shown]
	v_cndmask_b32_e32 v12, v6, v12, vcc
	v_cmp_neq_f32_e32 vcc, -1.0, v48
	v_cndmask_b32_e32 v12, v7, v12, vcc
	v_cmp_neq_f32_e32 vcc, -1.0, v50
	;; [unrolled: 2-line block ×4, first 2 shown]
	v_cndmask_b32_e32 v15, v7, v15, vcc
	v_cmp_lt_f32_e64 vcc, |v49|, s16
	v_cndmask_b32_e32 v15, v15, v49, vcc
	v_cmp_lt_f32_e64 vcc, |v11|, s16
	v_cndmask_b32_e32 v11, v14, v11, vcc
	v_cmp_lt_f32_e64 vcc, |v50|, s16
	v_cndmask_b32_e32 v13, v13, v50, vcc
	v_cmp_lt_f32_e64 vcc, |v48|, s16
	v_cndmask_b32_e32 v12, v12, v48, vcc
	v_bfe_u32 v17, v11, 16, 1
	v_bfe_u32 v14, v12, 16, 1
	v_add3_u32 v17, v11, v17, s17
	v_add3_u32 v14, v12, v14, s17
	v_bfe_u32 v18, v15, 16, 1
	v_lshrrev_b32_e32 v17, 16, v17
	v_cmp_o_f32_e32 vcc, v11, v11
	v_lshrrev_b32_e32 v14, 16, v14
	v_bfe_u32 v16, v13, 16, 1
	v_add3_u32 v18, v15, v18, s17
	v_cndmask_b32_e32 v11, v8, v17, vcc
	v_cmp_o_f32_e32 vcc, v12, v12
	v_add3_u32 v16, v13, v16, s17
	v_and_b32_e32 v18, 0xffff0000, v18
	v_cndmask_b32_e32 v12, v8, v14, vcc
	v_cmp_o_f32_e32 vcc, v15, v15
	v_and_b32_e32 v16, 0xffff0000, v16
	v_cndmask_b32_e32 v14, v6, v18, vcc
	v_cmp_o_f32_e32 vcc, v13, v13
	v_cndmask_b32_e32 v15, v6, v16, vcc
	v_or3_b32 v13, 0, v11, v14
	v_or3_b32 v12, v12, 0, v15
	v_cmp_le_i64_e32 vcc, s[10:11], v[2:3]
	global_store_dwordx2 v[4:5], v[12:13], off
	s_or_b64 s[0:1], vcc, s[0:1]
	v_add_co_u32_e32 v4, vcc, s5, v4
	v_addc_co_u32_e32 v5, vcc, v5, v9, vcc
	s_and_b64 s[0:1], exec, s[0:1]
	v_add_co_u32_e32 v2, vcc, s7, v2
	s_or_b64 s[2:3], s[0:1], s[2:3]
	v_addc_co_u32_e32 v3, vcc, v3, v10, vcc
	s_andn2_b64 exec, exec, s[2:3]
	s_cbranch_execnz .LBB213_24
.LBB213_25:
	s_endpgm
	.section	.rodata,"a",@progbits
	.p2align	6, 0x0
	.amdhsa_kernel _ZN2at6native12_GLOBAL__N_125multi_tensor_apply_kernelINS1_18TensorListMetadataILi1EEENS1_14UnaryOpFunctorIN3c108BFloat16ELi1ELi1ELi0EEEJNS0_5Log1pIfEEEEEvT_T0_DpT1_
		.amdhsa_group_segment_fixed_size 0
		.amdhsa_private_segment_fixed_size 0
		.amdhsa_kernarg_size 3632
		.amdhsa_user_sgpr_count 6
		.amdhsa_user_sgpr_private_segment_buffer 1
		.amdhsa_user_sgpr_dispatch_ptr 0
		.amdhsa_user_sgpr_queue_ptr 0
		.amdhsa_user_sgpr_kernarg_segment_ptr 1
		.amdhsa_user_sgpr_dispatch_id 0
		.amdhsa_user_sgpr_flat_scratch_init 0
		.amdhsa_user_sgpr_kernarg_preload_length 0
		.amdhsa_user_sgpr_kernarg_preload_offset 0
		.amdhsa_user_sgpr_private_segment_size 0
		.amdhsa_uses_dynamic_stack 0
		.amdhsa_system_sgpr_private_segment_wavefront_offset 0
		.amdhsa_system_sgpr_workgroup_id_x 1
		.amdhsa_system_sgpr_workgroup_id_y 0
		.amdhsa_system_sgpr_workgroup_id_z 0
		.amdhsa_system_sgpr_workgroup_info 0
		.amdhsa_system_vgpr_workitem_id 0
		.amdhsa_next_free_vgpr 51
		.amdhsa_next_free_sgpr 34
		.amdhsa_accum_offset 52
		.amdhsa_reserve_vcc 1
		.amdhsa_reserve_flat_scratch 0
		.amdhsa_float_round_mode_32 0
		.amdhsa_float_round_mode_16_64 0
		.amdhsa_float_denorm_mode_32 3
		.amdhsa_float_denorm_mode_16_64 3
		.amdhsa_dx10_clamp 1
		.amdhsa_ieee_mode 1
		.amdhsa_fp16_overflow 0
		.amdhsa_tg_split 0
		.amdhsa_exception_fp_ieee_invalid_op 0
		.amdhsa_exception_fp_denorm_src 0
		.amdhsa_exception_fp_ieee_div_zero 0
		.amdhsa_exception_fp_ieee_overflow 0
		.amdhsa_exception_fp_ieee_underflow 0
		.amdhsa_exception_fp_ieee_inexact 0
		.amdhsa_exception_int_div_zero 0
	.end_amdhsa_kernel
	.section	.text._ZN2at6native12_GLOBAL__N_125multi_tensor_apply_kernelINS1_18TensorListMetadataILi1EEENS1_14UnaryOpFunctorIN3c108BFloat16ELi1ELi1ELi0EEEJNS0_5Log1pIfEEEEEvT_T0_DpT1_,"axG",@progbits,_ZN2at6native12_GLOBAL__N_125multi_tensor_apply_kernelINS1_18TensorListMetadataILi1EEENS1_14UnaryOpFunctorIN3c108BFloat16ELi1ELi1ELi0EEEJNS0_5Log1pIfEEEEEvT_T0_DpT1_,comdat
.Lfunc_end213:
	.size	_ZN2at6native12_GLOBAL__N_125multi_tensor_apply_kernelINS1_18TensorListMetadataILi1EEENS1_14UnaryOpFunctorIN3c108BFloat16ELi1ELi1ELi0EEEJNS0_5Log1pIfEEEEEvT_T0_DpT1_, .Lfunc_end213-_ZN2at6native12_GLOBAL__N_125multi_tensor_apply_kernelINS1_18TensorListMetadataILi1EEENS1_14UnaryOpFunctorIN3c108BFloat16ELi1ELi1ELi0EEEJNS0_5Log1pIfEEEEEvT_T0_DpT1_
                                        ; -- End function
	.section	.AMDGPU.csdata,"",@progbits
; Kernel info:
; codeLenInByte = 5836
; NumSgprs: 38
; NumVgprs: 51
; NumAgprs: 0
; TotalNumVgprs: 51
; ScratchSize: 0
; MemoryBound: 0
; FloatMode: 240
; IeeeMode: 1
; LDSByteSize: 0 bytes/workgroup (compile time only)
; SGPRBlocks: 4
; VGPRBlocks: 6
; NumSGPRsForWavesPerEU: 38
; NumVGPRsForWavesPerEU: 51
; AccumOffset: 52
; Occupancy: 8
; WaveLimiterHint : 0
; COMPUTE_PGM_RSRC2:SCRATCH_EN: 0
; COMPUTE_PGM_RSRC2:USER_SGPR: 6
; COMPUTE_PGM_RSRC2:TRAP_HANDLER: 0
; COMPUTE_PGM_RSRC2:TGID_X_EN: 1
; COMPUTE_PGM_RSRC2:TGID_Y_EN: 0
; COMPUTE_PGM_RSRC2:TGID_Z_EN: 0
; COMPUTE_PGM_RSRC2:TIDIG_COMP_CNT: 0
; COMPUTE_PGM_RSRC3_GFX90A:ACCUM_OFFSET: 12
; COMPUTE_PGM_RSRC3_GFX90A:TG_SPLIT: 0
	.section	.text._ZN2at6native12_GLOBAL__N_125multi_tensor_apply_kernelINS1_18TensorListMetadataILi2EEENS1_14UnaryOpFunctorIdLi2ELi1ELi1EEEJNS0_3CosIdEEEEEvT_T0_DpT1_,"axG",@progbits,_ZN2at6native12_GLOBAL__N_125multi_tensor_apply_kernelINS1_18TensorListMetadataILi2EEENS1_14UnaryOpFunctorIdLi2ELi1ELi1EEEJNS0_3CosIdEEEEEvT_T0_DpT1_,comdat
	.globl	_ZN2at6native12_GLOBAL__N_125multi_tensor_apply_kernelINS1_18TensorListMetadataILi2EEENS1_14UnaryOpFunctorIdLi2ELi1ELi1EEEJNS0_3CosIdEEEEEvT_T0_DpT1_ ; -- Begin function _ZN2at6native12_GLOBAL__N_125multi_tensor_apply_kernelINS1_18TensorListMetadataILi2EEENS1_14UnaryOpFunctorIdLi2ELi1ELi1EEEJNS0_3CosIdEEEEEvT_T0_DpT1_
	.p2align	8
	.type	_ZN2at6native12_GLOBAL__N_125multi_tensor_apply_kernelINS1_18TensorListMetadataILi2EEENS1_14UnaryOpFunctorIdLi2ELi1ELi1EEEJNS0_3CosIdEEEEEvT_T0_DpT1_,@function
_ZN2at6native12_GLOBAL__N_125multi_tensor_apply_kernelINS1_18TensorListMetadataILi2EEENS1_14UnaryOpFunctorIdLi2ELi1ELi1EEEJNS0_3CosIdEEEEEvT_T0_DpT1_: ; @_ZN2at6native12_GLOBAL__N_125multi_tensor_apply_kernelINS1_18TensorListMetadataILi2EEENS1_14UnaryOpFunctorIdLi2ELi1ELi1EEEJNS0_3CosIdEEEEEvT_T0_DpT1_
; %bb.0:
	v_mov_b32_e32 v1, s6
	global_load_ubyte v1, v1, s[4:5] offset:1536
	s_add_u32 s0, s4, s6
	s_mul_hi_u32 s3, s6, 3
	s_mul_i32 s6, s6, 3
	s_addc_u32 s7, s5, 0
	s_add_u32 s2, s0, s6
	s_addc_u32 s3, s7, s3
	s_load_dword s14, s[2:3], 0x740
	s_mov_b32 s9, 0
	s_mov_b32 s13, s9
	;; [unrolled: 1-line block ×3, first 2 shown]
	s_waitcnt lgkmcnt(0)
	s_ashr_i32 s15, s14, 31
	s_lshl_b64 s[10:11], s[14:15], 19
	s_waitcnt vmcnt(0)
	v_readfirstlane_b32 s0, v1
	s_lshl_b32 s0, s0, 3
	s_load_dwordx2 s[6:7], s[4:5], s0 offset:0x0
	s_load_dwordx2 s[16:17], s[4:5], s0 offset:0x400
	;; [unrolled: 1-line block ×3, first 2 shown]
	s_waitcnt lgkmcnt(0)
	s_add_u32 s33, s6, s10
	s_addc_u32 s68, s7, s11
	s_and_b32 s8, s33, 31
	s_add_u32 s69, s2, s10
	s_addc_u32 s70, s3, s11
	s_and_b32 s12, s16, 3
	s_and_b32 s0, s69, 31
	s_or_b64 s[12:13], s[8:9], s[12:13]
	s_or_b64 s[0:1], s[0:1], s[12:13]
	s_lshl_b64 s[12:13], s[14:15], 16
	s_sub_u32 s12, s16, s12
	s_subb_u32 s13, s17, s13
	s_cmp_eq_u64 s[0:1], 0
	s_mov_b64 s[0:1], -1
	s_cbranch_scc0 .LBB214_21
; %bb.1:
	v_mov_b32_e32 v10, 0
	v_lshlrev_b32_e32 v2, 2, v0
	v_mov_b32_e32 v3, v10
	v_cmp_gt_i64_e32 vcc, s[12:13], v[2:3]
	s_and_saveexec_b64 s[14:15], vcc
	s_cbranch_execz .LBB214_20
; %bb.2:
	s_load_dword s0, s[4:5], 0xc5c
	s_mov_b32 s18, 0
	s_mov_b32 s20, 0
	;; [unrolled: 1-line block ×4, first 2 shown]
	s_waitcnt lgkmcnt(0)
	s_and_b32 s0, s0, 0xffff
	s_mov_b32 s34, 0x6dc9c883
	s_mov_b32 s36, 0x33145c00
	;; [unrolled: 1-line block ×15, first 2 shown]
	v_mov_b32_e32 v13, v10
	v_lshlrev_b32_e32 v14, 5, v0
	v_add_lshl_u32 v12, v0, s0, 2
	s_lshl_b32 s8, s0, 2
	s_lshl_b32 s71, s0, 5
	s_mov_b64 s[16:17], 0
	s_mov_b32 s19, 0x41d00000
	s_mov_b32 s21, 0x7b000000
	s_movk_i32 s72, 0xff80
	s_mov_b32 s23, 0x7ff00000
	s_mov_b32 s25, 0x3ff921fb
	;; [unrolled: 1-line block ×20, first 2 shown]
	s_movk_i32 s73, 0x1f8
	s_mov_b64 s[64:65], 0xffff
	v_mov_b32_e32 v1, 0x40100000
	v_mov_b32_e32 v15, 0x3ff00000
	;; [unrolled: 1-line block ×3, first 2 shown]
	s_branch .LBB214_4
.LBB214_3:                              ;   in Loop: Header=BB214_4 Depth=1
	s_or_b64 exec, exec, s[0:1]
	v_mul_f64 v[38:39], v[24:25], v[24:25]
	v_pk_mov_b32 v[46:47], s[40:41], s[40:41] op_sel:[0,1]
	v_mul_f64 v[40:41], v[38:39], 0.5
	v_fma_f64 v[48:49], s[42:43], v[38:39], v[46:47]
	v_add_f64 v[42:43], -v[40:41], 1.0
	v_fma_f64 v[48:49], v[38:39], v[48:49], s[44:45]
	v_add_f64 v[44:45], -v[42:43], 1.0
	v_fma_f64 v[48:49], v[38:39], v[48:49], s[46:47]
	v_add_f64 v[40:41], v[44:45], -v[40:41]
	v_fma_f64 v[48:49], v[38:39], v[48:49], s[48:49]
	v_mul_f64 v[44:45], v[38:39], v[38:39]
	v_fma_f64 v[48:49], v[38:39], v[48:49], s[50:51]
	v_fma_f64 v[40:41], v[24:25], -v[26:27], v[40:41]
	v_fmac_f64_e32 v[40:41], v[44:45], v[48:49]
	v_add_f64 v[40:41], v[42:43], v[40:41]
	v_pk_mov_b32 v[42:43], s[54:55], s[54:55] op_sel:[0,1]
	v_fma_f64 v[44:45], s[56:57], v[38:39], v[42:43]
	v_fma_f64 v[44:45], v[38:39], v[44:45], s[58:59]
	;; [unrolled: 1-line block ×4, first 2 shown]
	v_mul_f64 v[48:49], v[24:25], -v[38:39]
	v_mul_f64 v[50:51], v[26:27], 0.5
	v_fmac_f64_e32 v[50:51], v[48:49], v[44:45]
	v_fma_f64 v[26:27], v[38:39], v[50:51], -v[26:27]
	v_fmac_f64_e32 v[26:27], s[52:53], v[48:49]
	v_add_f64 v[24:25], v[24:25], -v[26:27]
	v_xor_b32_e32 v11, 0x80000000, v25
	v_and_b32_e32 v25, 1, v35
	v_cmp_eq_u32_e32 vcc, 0, v25
	v_lshlrev_b32_e32 v25, 30, v35
	v_cndmask_b32_e32 v24, v24, v40, vcc
	v_cndmask_b32_e32 v11, v11, v41, vcc
	v_and_b32_e32 v25, 0x80000000, v25
	v_cmp_class_f64_e64 vcc, v[2:3], s73
	v_xor_b32_e32 v11, v11, v25
	v_cndmask_b32_e32 v2, 0, v24, vcc
	v_mul_f64 v[24:25], v[20:21], v[20:21]
	v_mul_f64 v[26:27], v[24:25], 0.5
	v_fma_f64 v[44:45], s[42:43], v[24:25], v[46:47]
	v_add_f64 v[38:39], -v[26:27], 1.0
	v_fma_f64 v[44:45], v[24:25], v[44:45], s[44:45]
	v_add_f64 v[40:41], -v[38:39], 1.0
	v_fma_f64 v[44:45], v[24:25], v[44:45], s[46:47]
	v_add_f64 v[26:27], v[40:41], -v[26:27]
	v_fma_f64 v[44:45], v[24:25], v[44:45], s[48:49]
	v_mul_f64 v[40:41], v[24:25], v[24:25]
	v_fma_f64 v[44:45], v[24:25], v[44:45], s[50:51]
	v_fma_f64 v[26:27], v[20:21], -v[22:23], v[26:27]
	v_fmac_f64_e32 v[26:27], v[40:41], v[44:45]
	v_add_f64 v[26:27], v[38:39], v[26:27]
	v_fma_f64 v[38:39], s[56:57], v[24:25], v[42:43]
	v_fma_f64 v[38:39], v[24:25], v[38:39], s[58:59]
	v_fma_f64 v[38:39], v[24:25], v[38:39], s[60:61]
	v_fma_f64 v[38:39], v[24:25], v[38:39], s[62:63]
	v_mul_f64 v[40:41], v[20:21], -v[24:25]
	v_mul_f64 v[44:45], v[22:23], 0.5
	v_fmac_f64_e32 v[44:45], v[40:41], v[38:39]
	v_fma_f64 v[22:23], v[24:25], v[44:45], -v[22:23]
	v_fmac_f64_e32 v[22:23], s[52:53], v[40:41]
	v_add_f64 v[20:21], v[20:21], -v[22:23]
	v_cndmask_b32_e32 v3, v32, v11, vcc
	v_xor_b32_e32 v11, 0x80000000, v21
	v_and_b32_e32 v21, 1, v34
	v_cmp_eq_u32_e32 vcc, 0, v21
	v_lshlrev_b32_e32 v21, 30, v34
	v_cndmask_b32_e32 v20, v20, v26, vcc
	v_cndmask_b32_e32 v11, v11, v27, vcc
	v_and_b32_e32 v21, 0x80000000, v21
	v_cmp_class_f64_e64 vcc, v[8:9], s73
	v_xor_b32_e32 v11, v11, v21
	v_cndmask_b32_e32 v8, 0, v20, vcc
	v_mul_f64 v[20:21], v[16:17], v[16:17]
	v_mul_f64 v[22:23], v[20:21], 0.5
	v_fma_f64 v[34:35], s[42:43], v[20:21], v[46:47]
	v_add_f64 v[24:25], -v[22:23], 1.0
	v_fma_f64 v[34:35], v[20:21], v[34:35], s[44:45]
	v_add_f64 v[26:27], -v[24:25], 1.0
	v_fma_f64 v[34:35], v[20:21], v[34:35], s[46:47]
	v_add_f64 v[22:23], v[26:27], -v[22:23]
	v_fma_f64 v[34:35], v[20:21], v[34:35], s[48:49]
	v_mul_f64 v[26:27], v[20:21], v[20:21]
	v_fma_f64 v[34:35], v[20:21], v[34:35], s[50:51]
	v_fma_f64 v[22:23], v[16:17], -v[18:19], v[22:23]
	v_fmac_f64_e32 v[22:23], v[26:27], v[34:35]
	v_add_f64 v[22:23], v[24:25], v[22:23]
	v_fma_f64 v[24:25], s[56:57], v[20:21], v[42:43]
	v_fma_f64 v[24:25], v[20:21], v[24:25], s[58:59]
	v_fma_f64 v[24:25], v[20:21], v[24:25], s[60:61]
	v_fma_f64 v[24:25], v[20:21], v[24:25], s[62:63]
	v_mul_f64 v[26:27], v[16:17], -v[20:21]
	v_mul_f64 v[34:35], v[18:19], 0.5
	v_fmac_f64_e32 v[34:35], v[26:27], v[24:25]
	v_fma_f64 v[18:19], v[20:21], v[34:35], -v[18:19]
	v_fmac_f64_e32 v[18:19], s[52:53], v[26:27]
	v_add_f64 v[16:17], v[16:17], -v[18:19]
	v_cndmask_b32_e32 v9, v32, v11, vcc
	;; [unrolled: 35-line block ×3, first 2 shown]
	v_xor_b32_e32 v11, 0x80000000, v17
	v_and_b32_e32 v17, 1, v36
	v_cmp_eq_u32_e32 vcc, 0, v17
	v_lshlrev_b32_e32 v17, 30, v36
	v_cndmask_b32_e32 v11, v11, v19, vcc
	v_and_b32_e32 v17, 0x80000000, v17
	v_cndmask_b32_e32 v16, v16, v18, vcc
	v_xor_b32_e32 v11, v11, v17
	v_cmp_class_f64_e64 vcc, v[4:5], s73
	v_cndmask_b32_e32 v4, 0, v16, vcc
	v_cndmask_b32_e32 v5, v32, v11, vcc
	v_mov_b32_e32 v11, s70
	v_add_co_u32_e32 v16, vcc, s69, v14
	v_addc_co_u32_e32 v17, vcc, 0, v11, vcc
	v_cmp_le_i64_e32 vcc, s[12:13], v[12:13]
	v_cmp_lt_u64_e64 s[0:1], s[64:65], v[12:13]
	s_or_b64 s[0:1], vcc, s[0:1]
	s_add_u32 s33, s33, s71
	s_addc_u32 s68, s68, 0
	s_add_u32 s69, s69, s71
	s_addc_u32 s70, s70, 0
	global_store_dwordx4 v[16:17], v[6:9], off
	global_store_dwordx4 v[16:17], v[2:5], off offset:16
	s_and_b64 s[0:1], exec, s[0:1]
	v_mov_b32_e32 v2, s9
	v_add_co_u32_e32 v12, vcc, s8, v12
	s_or_b64 s[16:17], s[0:1], s[16:17]
	v_addc_co_u32_e32 v13, vcc, v13, v2, vcc
	s_andn2_b64 exec, exec, s[16:17]
	s_cbranch_execz .LBB214_20
.LBB214_4:                              ; =>This Inner Loop Header: Depth=1
	v_mov_b32_e32 v3, s68
	v_add_co_u32_e32 v2, vcc, s33, v14
	v_addc_co_u32_e32 v3, vcc, 0, v3, vcc
	global_load_dwordx4 v[6:9], v[2:3], off
	s_nop 0
	global_load_dwordx4 v[2:5], v[2:3], off offset:16
                                        ; implicit-def: $vgpr33
                                        ; implicit-def: $vgpr16_vgpr17
                                        ; implicit-def: $vgpr18_vgpr19
	s_waitcnt vmcnt(1)
	v_cmp_nlt_f64_e64 s[0:1], |v[6:7]|, s[18:19]
	s_and_saveexec_b64 s[66:67], s[0:1]
	s_xor_b64 s[66:67], exec, s[66:67]
	s_cbranch_execz .LBB214_6
; %bb.5:                                ;   in Loop: Header=BB214_4 Depth=1
	v_and_b32_e32 v11, 0x7fffffff, v7
	v_ldexp_f64 v[20:21], |v[6:7]|, s72
	v_cmp_ge_f64_e64 vcc, |v[6:7]|, s[20:21]
	v_trig_preop_f64 v[16:17], |v[6:7]|, 0
	v_cndmask_b32_e32 v21, v11, v21, vcc
	v_cndmask_b32_e32 v20, v6, v20, vcc
	v_trig_preop_f64 v[18:19], |v[6:7]|, 1
	v_mul_f64 v[24:25], v[16:17], v[20:21]
	v_mul_f64 v[22:23], v[18:19], v[20:21]
	v_fma_f64 v[16:17], v[16:17], v[20:21], -v[24:25]
	v_add_f64 v[26:27], v[22:23], v[16:17]
	v_add_f64 v[28:29], v[24:25], v[26:27]
	v_ldexp_f64 v[30:31], v[28:29], -2
	v_fract_f64_e32 v[34:35], v[30:31]
	v_cmp_neq_f64_e64 vcc, |v[30:31]|, s[22:23]
	v_cndmask_b32_e32 v31, 0, v35, vcc
	v_cndmask_b32_e32 v30, 0, v34, vcc
	v_add_f64 v[34:35], v[26:27], -v[22:23]
	v_add_f64 v[16:17], v[16:17], -v[34:35]
	;; [unrolled: 1-line block ×4, first 2 shown]
	v_fma_f64 v[18:19], v[18:19], v[20:21], -v[22:23]
	v_trig_preop_f64 v[22:23], |v[6:7]|, 2
	v_add_f64 v[16:17], v[16:17], v[34:35]
	v_mul_f64 v[34:35], v[22:23], v[20:21]
	v_add_f64 v[36:37], v[34:35], v[18:19]
	v_add_f64 v[38:39], v[36:37], v[16:17]
	v_add_f64 v[24:25], v[28:29], -v[24:25]
	v_add_f64 v[28:29], v[38:39], -v[36:37]
	;; [unrolled: 1-line block ×5, first 2 shown]
	v_add_f64 v[16:17], v[16:17], v[28:29]
	v_add_f64 v[28:29], v[36:37], -v[34:35]
	v_add_f64 v[18:19], v[18:19], -v[28:29]
	;; [unrolled: 1-line block ×4, first 2 shown]
	v_add_f64 v[18:19], v[18:19], v[28:29]
	v_add_f64 v[24:25], v[26:27], -v[24:25]
	v_add_f64 v[16:17], v[18:19], v[16:17]
	v_fma_f64 v[18:19], v[22:23], v[20:21], -v[34:35]
	v_add_f64 v[26:27], v[24:25], v[38:39]
	v_add_f64 v[16:17], v[18:19], v[16:17]
	v_ldexp_f64 v[18:19], v[30:31], 2
	v_add_f64 v[20:21], v[26:27], v[18:19]
	v_cmp_gt_f64_e32 vcc, 0, v[20:21]
	v_cndmask_b32_e32 v11, 0, v1, vcc
	v_add_f64 v[18:19], v[18:19], v[10:11]
	v_add_f64 v[20:21], v[26:27], v[18:19]
	v_cvt_i32_f64_e32 v11, v[20:21]
	v_cvt_f64_i32_e32 v[20:21], v11
	v_add_f64 v[18:19], v[18:19], -v[20:21]
	v_add_f64 v[24:25], v[26:27], -v[24:25]
	v_add_f64 v[20:21], v[26:27], v[18:19]
	v_add_f64 v[24:25], v[38:39], -v[24:25]
	v_add_f64 v[18:19], v[20:21], -v[18:19]
	v_cmp_le_f64_e32 vcc, 0.5, v[20:21]
	v_add_f64 v[16:17], v[24:25], v[16:17]
	v_add_f64 v[18:19], v[26:27], -v[18:19]
	v_addc_co_u32_e64 v33, s[0:1], 0, v11, vcc
	v_cndmask_b32_e32 v11, 0, v15, vcc
	v_add_f64 v[16:17], v[16:17], v[18:19]
	v_add_f64 v[18:19], v[20:21], -v[10:11]
	v_add_f64 v[20:21], v[18:19], v[16:17]
	v_add_f64 v[18:19], v[20:21], -v[18:19]
	s_mov_b32 s24, s26
	v_add_f64 v[16:17], v[16:17], -v[18:19]
	v_mul_f64 v[18:19], v[20:21], s[24:25]
	v_fma_f64 v[22:23], v[20:21], s[24:25], -v[18:19]
	s_mov_b32 s31, s29
	v_fmac_f64_e32 v[22:23], s[30:31], v[20:21]
	v_fmac_f64_e32 v[22:23], s[24:25], v[16:17]
	v_add_f64 v[16:17], v[18:19], v[22:23]
	v_add_f64 v[18:19], v[16:17], -v[18:19]
	v_add_f64 v[18:19], v[22:23], -v[18:19]
.LBB214_6:                              ;   in Loop: Header=BB214_4 Depth=1
	s_andn2_saveexec_b64 s[0:1], s[66:67]
	s_cbranch_execz .LBB214_8
; %bb.7:                                ;   in Loop: Header=BB214_4 Depth=1
	v_mul_f64 v[16:17], |v[6:7]|, s[34:35]
	v_rndne_f64_e32 v[20:21], v[16:17]
	v_fma_f64 v[16:17], v[20:21], s[26:27], |v[6:7]|
	v_mul_f64 v[22:23], v[20:21], s[36:37]
	v_add_f64 v[26:27], v[16:17], v[22:23]
	v_fma_f64 v[18:19], s[36:37], v[20:21], v[16:17]
	s_mov_b32 s28, s36
	v_add_f64 v[16:17], v[16:17], -v[26:27]
	v_fma_f64 v[24:25], s[28:29], v[20:21], v[22:23]
	v_add_f64 v[16:17], v[16:17], v[22:23]
	v_add_f64 v[22:23], v[26:27], -v[18:19]
	v_add_f64 v[16:17], v[22:23], v[16:17]
	v_add_f64 v[22:23], v[16:17], -v[24:25]
	v_fmac_f64_e32 v[22:23], s[38:39], v[20:21]
	v_add_f64 v[16:17], v[18:19], v[22:23]
	v_add_f64 v[18:19], v[16:17], -v[18:19]
	v_add_f64 v[18:19], v[22:23], -v[18:19]
	v_cvt_i32_f64_e32 v33, v[20:21]
.LBB214_8:                              ;   in Loop: Header=BB214_4 Depth=1
	s_or_b64 exec, exec, s[0:1]
	v_cmp_nlt_f64_e64 s[0:1], |v[8:9]|, s[18:19]
                                        ; implicit-def: $vgpr34
                                        ; implicit-def: $vgpr20_vgpr21
                                        ; implicit-def: $vgpr22_vgpr23
	s_and_saveexec_b64 s[66:67], s[0:1]
	s_xor_b64 s[66:67], exec, s[66:67]
	s_cbranch_execz .LBB214_10
; %bb.9:                                ;   in Loop: Header=BB214_4 Depth=1
	v_and_b32_e32 v11, 0x7fffffff, v9
	v_ldexp_f64 v[24:25], |v[8:9]|, s72
	v_cmp_ge_f64_e64 vcc, |v[8:9]|, s[20:21]
	v_trig_preop_f64 v[20:21], |v[8:9]|, 0
	v_cndmask_b32_e32 v25, v11, v25, vcc
	v_cndmask_b32_e32 v24, v8, v24, vcc
	v_trig_preop_f64 v[22:23], |v[8:9]|, 1
	v_mul_f64 v[28:29], v[20:21], v[24:25]
	v_mul_f64 v[26:27], v[22:23], v[24:25]
	v_fma_f64 v[20:21], v[20:21], v[24:25], -v[28:29]
	v_add_f64 v[30:31], v[26:27], v[20:21]
	v_add_f64 v[34:35], v[28:29], v[30:31]
	v_ldexp_f64 v[36:37], v[34:35], -2
	v_fract_f64_e32 v[38:39], v[36:37]
	v_cmp_neq_f64_e64 vcc, |v[36:37]|, s[22:23]
	v_cndmask_b32_e32 v37, 0, v39, vcc
	v_cndmask_b32_e32 v36, 0, v38, vcc
	v_add_f64 v[38:39], v[30:31], -v[26:27]
	v_add_f64 v[20:21], v[20:21], -v[38:39]
	;; [unrolled: 1-line block ×4, first 2 shown]
	v_fma_f64 v[22:23], v[22:23], v[24:25], -v[26:27]
	v_trig_preop_f64 v[26:27], |v[8:9]|, 2
	v_add_f64 v[20:21], v[20:21], v[38:39]
	v_mul_f64 v[38:39], v[26:27], v[24:25]
	v_add_f64 v[40:41], v[38:39], v[22:23]
	v_add_f64 v[42:43], v[40:41], v[20:21]
	v_add_f64 v[28:29], v[34:35], -v[28:29]
	v_add_f64 v[34:35], v[42:43], -v[40:41]
	;; [unrolled: 1-line block ×5, first 2 shown]
	v_add_f64 v[20:21], v[20:21], v[34:35]
	v_add_f64 v[34:35], v[40:41], -v[38:39]
	v_add_f64 v[22:23], v[22:23], -v[34:35]
	;; [unrolled: 1-line block ×4, first 2 shown]
	v_add_f64 v[22:23], v[22:23], v[34:35]
	v_add_f64 v[28:29], v[30:31], -v[28:29]
	v_add_f64 v[20:21], v[22:23], v[20:21]
	v_fma_f64 v[22:23], v[26:27], v[24:25], -v[38:39]
	v_add_f64 v[30:31], v[28:29], v[42:43]
	v_add_f64 v[20:21], v[22:23], v[20:21]
	v_ldexp_f64 v[22:23], v[36:37], 2
	v_add_f64 v[24:25], v[30:31], v[22:23]
	v_cmp_gt_f64_e32 vcc, 0, v[24:25]
	v_cndmask_b32_e32 v11, 0, v1, vcc
	v_add_f64 v[22:23], v[22:23], v[10:11]
	v_add_f64 v[24:25], v[30:31], v[22:23]
	v_cvt_i32_f64_e32 v11, v[24:25]
	v_cvt_f64_i32_e32 v[24:25], v11
	v_add_f64 v[22:23], v[22:23], -v[24:25]
	v_add_f64 v[28:29], v[30:31], -v[28:29]
	v_add_f64 v[24:25], v[30:31], v[22:23]
	v_add_f64 v[28:29], v[42:43], -v[28:29]
	v_add_f64 v[22:23], v[24:25], -v[22:23]
	v_cmp_le_f64_e32 vcc, 0.5, v[24:25]
	v_add_f64 v[20:21], v[28:29], v[20:21]
	v_add_f64 v[22:23], v[30:31], -v[22:23]
	v_addc_co_u32_e64 v34, s[0:1], 0, v11, vcc
	v_cndmask_b32_e32 v11, 0, v15, vcc
	v_add_f64 v[20:21], v[20:21], v[22:23]
	v_add_f64 v[22:23], v[24:25], -v[10:11]
	v_add_f64 v[24:25], v[22:23], v[20:21]
	v_add_f64 v[22:23], v[24:25], -v[22:23]
	s_mov_b32 s24, s26
	v_add_f64 v[20:21], v[20:21], -v[22:23]
	v_mul_f64 v[22:23], v[24:25], s[24:25]
	v_fma_f64 v[26:27], v[24:25], s[24:25], -v[22:23]
	s_mov_b32 s31, s29
	v_fmac_f64_e32 v[26:27], s[30:31], v[24:25]
	v_fmac_f64_e32 v[26:27], s[24:25], v[20:21]
	v_add_f64 v[20:21], v[22:23], v[26:27]
	v_add_f64 v[22:23], v[20:21], -v[22:23]
	v_add_f64 v[22:23], v[26:27], -v[22:23]
.LBB214_10:                             ;   in Loop: Header=BB214_4 Depth=1
	s_andn2_saveexec_b64 s[0:1], s[66:67]
	s_cbranch_execz .LBB214_12
; %bb.11:                               ;   in Loop: Header=BB214_4 Depth=1
	v_mul_f64 v[20:21], |v[8:9]|, s[34:35]
	v_rndne_f64_e32 v[24:25], v[20:21]
	v_fma_f64 v[20:21], v[24:25], s[26:27], |v[8:9]|
	v_mul_f64 v[26:27], v[24:25], s[36:37]
	v_add_f64 v[30:31], v[20:21], v[26:27]
	v_fma_f64 v[22:23], s[36:37], v[24:25], v[20:21]
	s_mov_b32 s28, s36
	v_add_f64 v[20:21], v[20:21], -v[30:31]
	v_fma_f64 v[28:29], s[28:29], v[24:25], v[26:27]
	v_add_f64 v[20:21], v[20:21], v[26:27]
	v_add_f64 v[26:27], v[30:31], -v[22:23]
	v_add_f64 v[20:21], v[26:27], v[20:21]
	v_add_f64 v[26:27], v[20:21], -v[28:29]
	v_fmac_f64_e32 v[26:27], s[38:39], v[24:25]
	v_add_f64 v[20:21], v[22:23], v[26:27]
	v_add_f64 v[22:23], v[20:21], -v[22:23]
	v_add_f64 v[22:23], v[26:27], -v[22:23]
	v_cvt_i32_f64_e32 v34, v[24:25]
.LBB214_12:                             ;   in Loop: Header=BB214_4 Depth=1
	s_or_b64 exec, exec, s[0:1]
	s_waitcnt vmcnt(0)
	v_cmp_nlt_f64_e64 s[0:1], |v[2:3]|, s[18:19]
                                        ; implicit-def: $vgpr35
                                        ; implicit-def: $vgpr24_vgpr25
                                        ; implicit-def: $vgpr26_vgpr27
	s_and_saveexec_b64 s[66:67], s[0:1]
	s_xor_b64 s[66:67], exec, s[66:67]
	s_cbranch_execz .LBB214_14
; %bb.13:                               ;   in Loop: Header=BB214_4 Depth=1
	v_and_b32_e32 v11, 0x7fffffff, v3
	v_ldexp_f64 v[28:29], |v[2:3]|, s72
	v_cmp_ge_f64_e64 vcc, |v[2:3]|, s[20:21]
	v_trig_preop_f64 v[24:25], |v[2:3]|, 0
	v_cndmask_b32_e32 v29, v11, v29, vcc
	v_cndmask_b32_e32 v28, v2, v28, vcc
	v_trig_preop_f64 v[26:27], |v[2:3]|, 1
	v_mul_f64 v[36:37], v[24:25], v[28:29]
	v_mul_f64 v[30:31], v[26:27], v[28:29]
	v_fma_f64 v[24:25], v[24:25], v[28:29], -v[36:37]
	v_add_f64 v[38:39], v[30:31], v[24:25]
	v_add_f64 v[40:41], v[36:37], v[38:39]
	v_ldexp_f64 v[42:43], v[40:41], -2
	v_fract_f64_e32 v[44:45], v[42:43]
	v_cmp_neq_f64_e64 vcc, |v[42:43]|, s[22:23]
	v_cndmask_b32_e32 v43, 0, v45, vcc
	v_cndmask_b32_e32 v42, 0, v44, vcc
	v_add_f64 v[44:45], v[38:39], -v[30:31]
	v_add_f64 v[24:25], v[24:25], -v[44:45]
	;; [unrolled: 1-line block ×4, first 2 shown]
	v_fma_f64 v[26:27], v[26:27], v[28:29], -v[30:31]
	v_trig_preop_f64 v[30:31], |v[2:3]|, 2
	v_add_f64 v[24:25], v[24:25], v[44:45]
	v_mul_f64 v[44:45], v[30:31], v[28:29]
	v_add_f64 v[46:47], v[44:45], v[26:27]
	v_add_f64 v[48:49], v[46:47], v[24:25]
	v_add_f64 v[36:37], v[40:41], -v[36:37]
	v_add_f64 v[40:41], v[48:49], -v[46:47]
	;; [unrolled: 1-line block ×5, first 2 shown]
	v_add_f64 v[24:25], v[24:25], v[40:41]
	v_add_f64 v[40:41], v[46:47], -v[44:45]
	v_add_f64 v[26:27], v[26:27], -v[40:41]
	;; [unrolled: 1-line block ×4, first 2 shown]
	v_add_f64 v[26:27], v[26:27], v[40:41]
	v_add_f64 v[36:37], v[38:39], -v[36:37]
	v_add_f64 v[24:25], v[26:27], v[24:25]
	v_fma_f64 v[26:27], v[30:31], v[28:29], -v[44:45]
	v_add_f64 v[38:39], v[36:37], v[48:49]
	v_add_f64 v[24:25], v[26:27], v[24:25]
	v_ldexp_f64 v[26:27], v[42:43], 2
	v_add_f64 v[28:29], v[38:39], v[26:27]
	v_cmp_gt_f64_e32 vcc, 0, v[28:29]
	v_cndmask_b32_e32 v11, 0, v1, vcc
	v_add_f64 v[26:27], v[26:27], v[10:11]
	v_add_f64 v[28:29], v[38:39], v[26:27]
	v_cvt_i32_f64_e32 v11, v[28:29]
	v_cvt_f64_i32_e32 v[28:29], v11
	v_add_f64 v[26:27], v[26:27], -v[28:29]
	v_add_f64 v[36:37], v[38:39], -v[36:37]
	v_add_f64 v[28:29], v[38:39], v[26:27]
	v_add_f64 v[36:37], v[48:49], -v[36:37]
	v_add_f64 v[26:27], v[28:29], -v[26:27]
	v_cmp_le_f64_e32 vcc, 0.5, v[28:29]
	v_add_f64 v[24:25], v[36:37], v[24:25]
	v_add_f64 v[26:27], v[38:39], -v[26:27]
	v_addc_co_u32_e64 v35, s[0:1], 0, v11, vcc
	v_cndmask_b32_e32 v11, 0, v15, vcc
	v_add_f64 v[24:25], v[24:25], v[26:27]
	v_add_f64 v[26:27], v[28:29], -v[10:11]
	v_add_f64 v[28:29], v[26:27], v[24:25]
	v_add_f64 v[26:27], v[28:29], -v[26:27]
	s_mov_b32 s24, s26
	v_add_f64 v[24:25], v[24:25], -v[26:27]
	v_mul_f64 v[26:27], v[28:29], s[24:25]
	v_fma_f64 v[30:31], v[28:29], s[24:25], -v[26:27]
	s_mov_b32 s31, s29
	v_fmac_f64_e32 v[30:31], s[30:31], v[28:29]
	v_fmac_f64_e32 v[30:31], s[24:25], v[24:25]
	v_add_f64 v[24:25], v[26:27], v[30:31]
	v_add_f64 v[26:27], v[24:25], -v[26:27]
	v_add_f64 v[26:27], v[30:31], -v[26:27]
.LBB214_14:                             ;   in Loop: Header=BB214_4 Depth=1
	s_andn2_saveexec_b64 s[0:1], s[66:67]
	s_cbranch_execz .LBB214_16
; %bb.15:                               ;   in Loop: Header=BB214_4 Depth=1
	v_mul_f64 v[24:25], |v[2:3]|, s[34:35]
	v_rndne_f64_e32 v[28:29], v[24:25]
	v_fma_f64 v[24:25], v[28:29], s[26:27], |v[2:3]|
	v_mul_f64 v[30:31], v[28:29], s[36:37]
	v_add_f64 v[38:39], v[24:25], v[30:31]
	v_fma_f64 v[26:27], s[36:37], v[28:29], v[24:25]
	s_mov_b32 s28, s36
	v_add_f64 v[24:25], v[24:25], -v[38:39]
	v_fma_f64 v[36:37], s[28:29], v[28:29], v[30:31]
	v_add_f64 v[24:25], v[24:25], v[30:31]
	v_add_f64 v[30:31], v[38:39], -v[26:27]
	v_add_f64 v[24:25], v[30:31], v[24:25]
	v_add_f64 v[30:31], v[24:25], -v[36:37]
	v_fmac_f64_e32 v[30:31], s[38:39], v[28:29]
	v_add_f64 v[24:25], v[26:27], v[30:31]
	v_add_f64 v[26:27], v[24:25], -v[26:27]
	v_add_f64 v[26:27], v[30:31], -v[26:27]
	v_cvt_i32_f64_e32 v35, v[28:29]
.LBB214_16:                             ;   in Loop: Header=BB214_4 Depth=1
	s_or_b64 exec, exec, s[0:1]
	v_cmp_nlt_f64_e64 s[0:1], |v[4:5]|, s[18:19]
                                        ; implicit-def: $vgpr36
                                        ; implicit-def: $vgpr28_vgpr29
                                        ; implicit-def: $vgpr30_vgpr31
	s_and_saveexec_b64 s[66:67], s[0:1]
	s_xor_b64 s[66:67], exec, s[66:67]
	s_cbranch_execz .LBB214_18
; %bb.17:                               ;   in Loop: Header=BB214_4 Depth=1
	v_and_b32_e32 v11, 0x7fffffff, v5
	v_ldexp_f64 v[36:37], |v[4:5]|, s72
	v_cmp_ge_f64_e64 vcc, |v[4:5]|, s[20:21]
	v_trig_preop_f64 v[28:29], |v[4:5]|, 0
	v_cndmask_b32_e32 v37, v11, v37, vcc
	v_cndmask_b32_e32 v36, v4, v36, vcc
	v_trig_preop_f64 v[30:31], |v[4:5]|, 1
	v_mul_f64 v[40:41], v[28:29], v[36:37]
	v_mul_f64 v[38:39], v[30:31], v[36:37]
	v_fma_f64 v[28:29], v[28:29], v[36:37], -v[40:41]
	v_add_f64 v[42:43], v[38:39], v[28:29]
	v_add_f64 v[44:45], v[40:41], v[42:43]
	v_ldexp_f64 v[46:47], v[44:45], -2
	v_fract_f64_e32 v[48:49], v[46:47]
	v_cmp_neq_f64_e64 vcc, |v[46:47]|, s[22:23]
	v_cndmask_b32_e32 v47, 0, v49, vcc
	v_cndmask_b32_e32 v46, 0, v48, vcc
	v_add_f64 v[48:49], v[42:43], -v[38:39]
	v_add_f64 v[28:29], v[28:29], -v[48:49]
	v_add_f64 v[48:49], v[42:43], -v[48:49]
	v_add_f64 v[48:49], v[38:39], -v[48:49]
	v_fma_f64 v[30:31], v[30:31], v[36:37], -v[38:39]
	v_trig_preop_f64 v[38:39], |v[4:5]|, 2
	v_add_f64 v[28:29], v[28:29], v[48:49]
	v_mul_f64 v[48:49], v[38:39], v[36:37]
	v_add_f64 v[50:51], v[48:49], v[30:31]
	v_add_f64 v[52:53], v[50:51], v[28:29]
	v_add_f64 v[40:41], v[44:45], -v[40:41]
	v_add_f64 v[44:45], v[52:53], -v[50:51]
	;; [unrolled: 1-line block ×5, first 2 shown]
	v_add_f64 v[28:29], v[28:29], v[44:45]
	v_add_f64 v[44:45], v[50:51], -v[48:49]
	v_add_f64 v[30:31], v[30:31], -v[44:45]
	;; [unrolled: 1-line block ×4, first 2 shown]
	v_add_f64 v[30:31], v[30:31], v[44:45]
	v_add_f64 v[40:41], v[42:43], -v[40:41]
	v_add_f64 v[28:29], v[30:31], v[28:29]
	v_fma_f64 v[30:31], v[38:39], v[36:37], -v[48:49]
	v_add_f64 v[42:43], v[40:41], v[52:53]
	v_add_f64 v[28:29], v[30:31], v[28:29]
	v_ldexp_f64 v[30:31], v[46:47], 2
	v_add_f64 v[36:37], v[42:43], v[30:31]
	v_cmp_gt_f64_e32 vcc, 0, v[36:37]
	v_cndmask_b32_e32 v11, 0, v1, vcc
	v_add_f64 v[30:31], v[30:31], v[10:11]
	v_add_f64 v[36:37], v[42:43], v[30:31]
	v_cvt_i32_f64_e32 v11, v[36:37]
	v_cvt_f64_i32_e32 v[36:37], v11
	v_add_f64 v[30:31], v[30:31], -v[36:37]
	v_add_f64 v[40:41], v[42:43], -v[40:41]
	v_add_f64 v[38:39], v[42:43], v[30:31]
	v_add_f64 v[40:41], v[52:53], -v[40:41]
	v_add_f64 v[30:31], v[38:39], -v[30:31]
	v_cmp_le_f64_e32 vcc, 0.5, v[38:39]
	v_add_f64 v[28:29], v[40:41], v[28:29]
	v_add_f64 v[30:31], v[42:43], -v[30:31]
	v_addc_co_u32_e64 v36, s[0:1], 0, v11, vcc
	v_cndmask_b32_e32 v11, 0, v15, vcc
	v_add_f64 v[28:29], v[28:29], v[30:31]
	v_add_f64 v[30:31], v[38:39], -v[10:11]
	v_add_f64 v[38:39], v[30:31], v[28:29]
	v_add_f64 v[30:31], v[38:39], -v[30:31]
	s_mov_b32 s24, s26
	v_add_f64 v[28:29], v[28:29], -v[30:31]
	v_mul_f64 v[30:31], v[38:39], s[24:25]
	v_fma_f64 v[40:41], v[38:39], s[24:25], -v[30:31]
	s_mov_b32 s31, s29
	v_fmac_f64_e32 v[40:41], s[30:31], v[38:39]
	v_fmac_f64_e32 v[40:41], s[24:25], v[28:29]
	v_add_f64 v[28:29], v[30:31], v[40:41]
	v_add_f64 v[30:31], v[28:29], -v[30:31]
	v_add_f64 v[30:31], v[40:41], -v[30:31]
.LBB214_18:                             ;   in Loop: Header=BB214_4 Depth=1
	s_andn2_saveexec_b64 s[0:1], s[66:67]
	s_cbranch_execz .LBB214_3
; %bb.19:                               ;   in Loop: Header=BB214_4 Depth=1
	v_mul_f64 v[28:29], |v[4:5]|, s[34:35]
	v_rndne_f64_e32 v[36:37], v[28:29]
	v_fma_f64 v[28:29], v[36:37], s[26:27], |v[4:5]|
	v_mul_f64 v[38:39], v[36:37], s[36:37]
	v_add_f64 v[42:43], v[28:29], v[38:39]
	v_fma_f64 v[30:31], s[36:37], v[36:37], v[28:29]
	s_mov_b32 s28, s36
	v_add_f64 v[28:29], v[28:29], -v[42:43]
	v_fma_f64 v[40:41], s[28:29], v[36:37], v[38:39]
	v_add_f64 v[28:29], v[28:29], v[38:39]
	v_add_f64 v[38:39], v[42:43], -v[30:31]
	v_add_f64 v[28:29], v[38:39], v[28:29]
	v_add_f64 v[38:39], v[28:29], -v[40:41]
	v_fmac_f64_e32 v[38:39], s[38:39], v[36:37]
	v_add_f64 v[28:29], v[30:31], v[38:39]
	v_add_f64 v[30:31], v[28:29], -v[30:31]
	v_add_f64 v[30:31], v[38:39], -v[30:31]
	v_cvt_i32_f64_e32 v36, v[36:37]
	s_branch .LBB214_3
.LBB214_20:
	s_or_b64 exec, exec, s[14:15]
	s_mov_b64 s[0:1], 0
.LBB214_21:
	s_andn2_b64 vcc, exec, s[0:1]
	s_cbranch_vccnz .LBB214_57
; %bb.22:
	v_cmp_lt_i64_e64 s[0:1], s[12:13], 1
	s_and_b64 vcc, exec, s[0:1]
	s_cbranch_vccnz .LBB214_57
; %bb.23:
	s_load_dword s0, s[4:5], 0xc5c
	v_mov_b32_e32 v4, 0x10000
	v_mov_b32_e32 v5, 0
	v_cmp_lt_u64_e32 vcc, s[12:13], v[4:5]
	v_lshlrev_b32_e32 v12, 3, v0
	s_waitcnt lgkmcnt(0)
	s_and_b32 s4, s0, 0xffff
	s_and_b64 s[0:1], vcc, exec
	v_mov_b32_e32 v3, s7
	v_add_co_u32_e32 v4, vcc, s6, v12
	v_mov_b32_e32 v2, 0
	v_addc_co_u32_e32 v1, vcc, 0, v3, vcc
	v_mov_b32_e32 v13, v2
	v_mov_b32_e32 v17, s3
	v_add_co_u32_e32 v6, vcc, s2, v12
	v_addc_co_u32_e32 v5, vcc, 0, v17, vcc
	v_mad_u64_u32 v[10:11], s[0:1], s4, 24, v[12:13]
	v_add_co_u32_e32 v8, vcc, s6, v10
	v_addc_co_u32_e32 v7, vcc, v3, v11, vcc
	v_add_co_u32_e32 v10, vcc, s2, v10
	s_mul_i32 s8, s4, 3
	v_addc_co_u32_e32 v9, vcc, v17, v11, vcc
	v_add_co_u32_e32 v19, vcc, s8, v0
	v_addc_co_u32_e64 v62, s[0:1], 0, 0, vcc
	s_cselect_b32 s15, s13, 0
	s_cselect_b32 s14, s12, 0x10000
	s_lshl_b32 s0, s4, 4
	v_add_co_u32_e32 v13, vcc, s0, v12
	v_addc_co_u32_e64 v15, s[0:1], 0, 0, vcc
	v_add_co_u32_e32 v12, vcc, s6, v13
	v_addc_co_u32_e32 v11, vcc, v3, v15, vcc
	v_add_co_u32_e32 v14, vcc, s2, v13
	s_lshl_b32 s5, s4, 1
	v_addc_co_u32_e32 v13, vcc, v17, v15, vcc
	v_add_co_u32_e32 v63, vcc, s5, v0
	v_addc_co_u32_e64 v64, s[0:1], 0, 0, vcc
	v_add_co_u32_e32 v65, vcc, s4, v0
	v_lshlrev_b32_e32 v18, 3, v65
	v_addc_co_u32_e64 v66, s[0:1], 0, 0, vcc
	v_add_co_u32_e32 v16, vcc, s6, v18
	v_addc_co_u32_e32 v15, vcc, 0, v3, vcc
	v_add_co_u32_e32 v18, vcc, s2, v18
	s_mov_b32 s18, 0
	s_mov_b32 s20, 0
	;; [unrolled: 1-line block ×11, first 2 shown]
	s_lshl_b32 s48, s4, 2
	s_lshl_b32 s49, s4, 5
	v_addc_co_u32_e32 v17, vcc, 0, v17, vcc
	s_mov_b64 s[16:17], 0
	s_mov_b32 s19, 0x41d00000
	s_mov_b32 s21, 0x7b000000
	s_movk_i32 s50, 0xff80
	s_mov_b32 s23, 0x7ff00000
	s_mov_b32 s25, 0x3ff921fb
	s_mov_b32 s27, 0xbff921fb
	s_mov_b32 s29, 0x3c91a626
	s_mov_b32 s30, 0x33145c07
	s_mov_b32 s35, 0x3fe45f30
	s_mov_b32 s37, 0xbc91a626
	s_mov_b32 s39, 0xb97b839a
	s_mov_b32 s41, 0xbda907db
	s_mov_b32 s43, 0xbfc55555
	s_mov_b32 s45, 0x3de5e0b2
	s_movk_i32 s51, 0x1f8
	v_mov_b32_e32 v20, 0x9037ab78
	v_mov_b32_e32 v21, 0x3e21eeb6
	;; [unrolled: 1-line block ×21, first 2 shown]
	s_branch .LBB214_25
.LBB214_24:                             ;   in Loop: Header=BB214_25 Depth=1
	s_or_b64 exec, exec, s[0:1]
	s_add_u32 s16, s16, s48
	s_addc_u32 s17, s17, 0
	v_pk_mov_b32 v[38:39], s[12:13], s[12:13] op_sel:[0,1]
	v_cmp_ge_i64_e32 vcc, s[16:17], v[38:39]
	v_mov_b32_e32 v38, 0xffff
	v_mov_b32_e32 v39, 0
	v_cmp_gt_u64_e64 s[0:1], s[16:17], v[38:39]
	s_or_b64 s[0:1], vcc, s[0:1]
	v_mov_b32_e32 v3, s33
	v_add_co_u32_e32 v4, vcc, s49, v4
	v_addc_co_u32_e32 v1, vcc, v1, v3, vcc
	v_add_co_u32_e32 v6, vcc, s49, v6
	v_addc_co_u32_e32 v5, vcc, v5, v3, vcc
	;; [unrolled: 2-line block ×8, first 2 shown]
	s_and_b64 vcc, exec, s[0:1]
	s_cbranch_vccnz .LBB214_57
.LBB214_25:                             ; =>This Inner Loop Header: Depth=1
	v_mov_b32_e32 v3, s17
	v_add_co_u32_e32 v38, vcc, s16, v0
	v_addc_co_u32_e32 v39, vcc, 0, v3, vcc
	v_pk_mov_b32 v[42:43], 0, 0
	v_cmp_gt_u64_e64 s[4:5], s[14:15], v[38:39]
	v_pk_mov_b32 v[44:45], v[42:43], v[42:43] op_sel:[0,1]
	s_and_saveexec_b64 s[0:1], s[4:5]
	s_cbranch_execz .LBB214_27
; %bb.26:                               ;   in Loop: Header=BB214_25 Depth=1
	v_mov_b32_e32 v3, s11
	v_add_co_u32_e32 v38, vcc, s10, v4
	v_addc_co_u32_e32 v39, vcc, v1, v3, vcc
	global_load_dwordx2 v[44:45], v[38:39], off
.LBB214_27:                             ;   in Loop: Header=BB214_25 Depth=1
	s_or_b64 exec, exec, s[0:1]
	v_mov_b32_e32 v3, s17
	v_add_co_u32_e32 v38, vcc, s16, v65
	v_addc_co_u32_e32 v39, vcc, v66, v3, vcc
	v_cmp_gt_u64_e64 s[2:3], s[14:15], v[38:39]
	s_and_saveexec_b64 s[0:1], s[2:3]
	s_cbranch_execz .LBB214_29
; %bb.28:                               ;   in Loop: Header=BB214_25 Depth=1
	v_mov_b32_e32 v3, s11
	v_add_co_u32_e32 v38, vcc, s10, v16
	v_addc_co_u32_e32 v39, vcc, v15, v3, vcc
	global_load_dwordx2 v[42:43], v[38:39], off
.LBB214_29:                             ;   in Loop: Header=BB214_25 Depth=1
	s_or_b64 exec, exec, s[0:1]
	v_mov_b32_e32 v3, s17
	v_add_co_u32_e32 v38, vcc, s16, v63
	v_addc_co_u32_e32 v39, vcc, v64, v3, vcc
	v_cmp_gt_u64_e64 s[0:1], s[14:15], v[38:39]
	v_pk_mov_b32 v[38:39], 0, 0
	v_pk_mov_b32 v[40:41], v[38:39], v[38:39] op_sel:[0,1]
	s_and_saveexec_b64 s[6:7], s[0:1]
	s_cbranch_execz .LBB214_31
; %bb.30:                               ;   in Loop: Header=BB214_25 Depth=1
	v_mov_b32_e32 v3, s11
	v_add_co_u32_e32 v40, vcc, s10, v12
	v_addc_co_u32_e32 v41, vcc, v11, v3, vcc
	global_load_dwordx2 v[40:41], v[40:41], off
.LBB214_31:                             ;   in Loop: Header=BB214_25 Depth=1
	s_or_b64 exec, exec, s[6:7]
	v_mov_b32_e32 v3, s17
	v_add_co_u32_e32 v46, vcc, s16, v19
	v_addc_co_u32_e32 v47, vcc, v62, v3, vcc
	v_cmp_gt_u64_e32 vcc, s[14:15], v[46:47]
	s_and_saveexec_b64 s[8:9], vcc
	s_cbranch_execz .LBB214_33
; %bb.32:                               ;   in Loop: Header=BB214_25 Depth=1
	v_mov_b32_e32 v3, s11
	v_add_co_u32_e64 v38, s[6:7], s10, v8
	v_addc_co_u32_e64 v39, s[6:7], v7, v3, s[6:7]
	global_load_dwordx2 v[38:39], v[38:39], off
.LBB214_33:                             ;   in Loop: Header=BB214_25 Depth=1
	s_or_b64 exec, exec, s[8:9]
	s_waitcnt vmcnt(0)
	v_cmp_nlt_f64_e64 s[6:7], |v[44:45]|, s[18:19]
                                        ; implicit-def: $vgpr70
                                        ; implicit-def: $vgpr46_vgpr47
                                        ; implicit-def: $vgpr48_vgpr49
	s_and_saveexec_b64 s[8:9], s[6:7]
	s_xor_b64 s[46:47], exec, s[8:9]
	s_cbranch_execz .LBB214_35
; %bb.34:                               ;   in Loop: Header=BB214_25 Depth=1
	v_and_b32_e32 v3, 0x7fffffff, v45
	v_ldexp_f64 v[50:51], |v[44:45]|, s50
	v_cmp_ge_f64_e64 s[6:7], |v[44:45]|, s[20:21]
	v_trig_preop_f64 v[46:47], |v[44:45]|, 0
	v_cndmask_b32_e64 v51, v3, v51, s[6:7]
	v_cndmask_b32_e64 v50, v44, v50, s[6:7]
	v_trig_preop_f64 v[48:49], |v[44:45]|, 1
	v_mul_f64 v[54:55], v[46:47], v[50:51]
	v_mul_f64 v[52:53], v[48:49], v[50:51]
	v_fma_f64 v[46:47], v[46:47], v[50:51], -v[54:55]
	v_add_f64 v[56:57], v[52:53], v[46:47]
	v_add_f64 v[58:59], v[54:55], v[56:57]
	v_ldexp_f64 v[60:61], v[58:59], -2
	v_fract_f64_e32 v[70:71], v[60:61]
	v_cmp_neq_f64_e64 s[6:7], |v[60:61]|, s[22:23]
	v_cndmask_b32_e64 v61, 0, v71, s[6:7]
	v_cndmask_b32_e64 v60, 0, v70, s[6:7]
	v_add_f64 v[70:71], v[56:57], -v[52:53]
	v_add_f64 v[46:47], v[46:47], -v[70:71]
	;; [unrolled: 1-line block ×4, first 2 shown]
	v_fma_f64 v[48:49], v[48:49], v[50:51], -v[52:53]
	v_trig_preop_f64 v[52:53], |v[44:45]|, 2
	v_add_f64 v[46:47], v[46:47], v[70:71]
	v_mul_f64 v[70:71], v[52:53], v[50:51]
	v_add_f64 v[72:73], v[70:71], v[48:49]
	v_add_f64 v[74:75], v[72:73], v[46:47]
	v_add_f64 v[54:55], v[58:59], -v[54:55]
	v_add_f64 v[58:59], v[74:75], -v[72:73]
	;; [unrolled: 1-line block ×5, first 2 shown]
	v_add_f64 v[46:47], v[46:47], v[58:59]
	v_add_f64 v[58:59], v[72:73], -v[70:71]
	v_add_f64 v[48:49], v[48:49], -v[58:59]
	;; [unrolled: 1-line block ×4, first 2 shown]
	v_add_f64 v[48:49], v[48:49], v[58:59]
	v_add_f64 v[54:55], v[56:57], -v[54:55]
	v_add_f64 v[46:47], v[48:49], v[46:47]
	v_fma_f64 v[48:49], v[52:53], v[50:51], -v[70:71]
	v_add_f64 v[56:57], v[54:55], v[74:75]
	v_add_f64 v[46:47], v[48:49], v[46:47]
	v_ldexp_f64 v[48:49], v[60:61], 2
	v_add_f64 v[50:51], v[56:57], v[48:49]
	v_cmp_gt_f64_e64 s[6:7], 0, v[50:51]
	v_cndmask_b32_e64 v3, 0, v67, s[6:7]
	v_add_f64 v[48:49], v[48:49], v[2:3]
	v_add_f64 v[50:51], v[56:57], v[48:49]
	v_cvt_i32_f64_e32 v3, v[50:51]
	v_cvt_f64_i32_e32 v[50:51], v3
	v_add_f64 v[48:49], v[48:49], -v[50:51]
	v_add_f64 v[54:55], v[56:57], -v[54:55]
	v_add_f64 v[50:51], v[56:57], v[48:49]
	v_add_f64 v[54:55], v[74:75], -v[54:55]
	v_add_f64 v[48:49], v[50:51], -v[48:49]
	v_cmp_le_f64_e64 s[6:7], 0.5, v[50:51]
	v_add_f64 v[46:47], v[54:55], v[46:47]
	v_add_f64 v[48:49], v[56:57], -v[48:49]
	v_addc_co_u32_e64 v70, s[8:9], 0, v3, s[6:7]
	v_cndmask_b32_e64 v3, 0, v68, s[6:7]
	v_add_f64 v[46:47], v[46:47], v[48:49]
	v_add_f64 v[48:49], v[50:51], -v[2:3]
	v_add_f64 v[50:51], v[48:49], v[46:47]
	v_add_f64 v[48:49], v[50:51], -v[48:49]
	s_mov_b32 s24, s26
	v_add_f64 v[46:47], v[46:47], -v[48:49]
	v_mul_f64 v[48:49], v[50:51], s[24:25]
	v_fma_f64 v[52:53], v[50:51], s[24:25], -v[48:49]
	s_mov_b32 s31, s29
	v_fmac_f64_e32 v[52:53], s[30:31], v[50:51]
	v_fmac_f64_e32 v[52:53], s[24:25], v[46:47]
	v_add_f64 v[46:47], v[48:49], v[52:53]
	v_add_f64 v[48:49], v[46:47], -v[48:49]
	v_add_f64 v[48:49], v[52:53], -v[48:49]
.LBB214_35:                             ;   in Loop: Header=BB214_25 Depth=1
	s_andn2_saveexec_b64 s[6:7], s[46:47]
	s_cbranch_execz .LBB214_37
; %bb.36:                               ;   in Loop: Header=BB214_25 Depth=1
	v_mul_f64 v[46:47], |v[44:45]|, s[34:35]
	v_rndne_f64_e32 v[50:51], v[46:47]
	v_fma_f64 v[46:47], v[50:51], s[26:27], |v[44:45]|
	v_mul_f64 v[52:53], v[50:51], s[36:37]
	v_add_f64 v[56:57], v[46:47], v[52:53]
	v_fma_f64 v[48:49], s[36:37], v[50:51], v[46:47]
	s_mov_b32 s28, s36
	v_add_f64 v[46:47], v[46:47], -v[56:57]
	v_fma_f64 v[54:55], s[28:29], v[50:51], v[52:53]
	v_add_f64 v[46:47], v[46:47], v[52:53]
	v_add_f64 v[52:53], v[56:57], -v[48:49]
	v_add_f64 v[46:47], v[52:53], v[46:47]
	v_add_f64 v[52:53], v[46:47], -v[54:55]
	v_fmac_f64_e32 v[52:53], s[38:39], v[50:51]
	v_add_f64 v[46:47], v[48:49], v[52:53]
	v_add_f64 v[48:49], v[46:47], -v[48:49]
	v_add_f64 v[48:49], v[52:53], -v[48:49]
	v_cvt_i32_f64_e32 v70, v[50:51]
.LBB214_37:                             ;   in Loop: Header=BB214_25 Depth=1
	s_or_b64 exec, exec, s[6:7]
	v_cmp_nlt_f64_e64 s[6:7], |v[42:43]|, s[18:19]
                                        ; implicit-def: $vgpr71
                                        ; implicit-def: $vgpr50_vgpr51
                                        ; implicit-def: $vgpr52_vgpr53
	s_and_saveexec_b64 s[8:9], s[6:7]
	s_xor_b64 s[46:47], exec, s[8:9]
	s_cbranch_execz .LBB214_39
; %bb.38:                               ;   in Loop: Header=BB214_25 Depth=1
	v_and_b32_e32 v3, 0x7fffffff, v43
	v_ldexp_f64 v[54:55], |v[42:43]|, s50
	v_cmp_ge_f64_e64 s[6:7], |v[42:43]|, s[20:21]
	v_trig_preop_f64 v[50:51], |v[42:43]|, 0
	v_cndmask_b32_e64 v55, v3, v55, s[6:7]
	v_cndmask_b32_e64 v54, v42, v54, s[6:7]
	v_trig_preop_f64 v[52:53], |v[42:43]|, 1
	v_mul_f64 v[58:59], v[50:51], v[54:55]
	v_mul_f64 v[56:57], v[52:53], v[54:55]
	v_fma_f64 v[50:51], v[50:51], v[54:55], -v[58:59]
	v_add_f64 v[60:61], v[56:57], v[50:51]
	v_add_f64 v[72:73], v[58:59], v[60:61]
	v_ldexp_f64 v[74:75], v[72:73], -2
	v_fract_f64_e32 v[76:77], v[74:75]
	v_cmp_neq_f64_e64 s[6:7], |v[74:75]|, s[22:23]
	v_cndmask_b32_e64 v75, 0, v77, s[6:7]
	v_cndmask_b32_e64 v74, 0, v76, s[6:7]
	v_add_f64 v[76:77], v[60:61], -v[56:57]
	v_add_f64 v[50:51], v[50:51], -v[76:77]
	;; [unrolled: 1-line block ×4, first 2 shown]
	v_fma_f64 v[52:53], v[52:53], v[54:55], -v[56:57]
	v_trig_preop_f64 v[56:57], |v[42:43]|, 2
	v_add_f64 v[50:51], v[50:51], v[76:77]
	v_mul_f64 v[76:77], v[56:57], v[54:55]
	v_add_f64 v[78:79], v[76:77], v[52:53]
	v_add_f64 v[80:81], v[78:79], v[50:51]
	v_add_f64 v[58:59], v[72:73], -v[58:59]
	v_add_f64 v[72:73], v[80:81], -v[78:79]
	v_add_f64 v[50:51], v[50:51], -v[72:73]
	v_add_f64 v[72:73], v[80:81], -v[72:73]
	v_add_f64 v[72:73], v[78:79], -v[72:73]
	v_add_f64 v[50:51], v[50:51], v[72:73]
	v_add_f64 v[72:73], v[78:79], -v[76:77]
	v_add_f64 v[52:53], v[52:53], -v[72:73]
	;; [unrolled: 1-line block ×4, first 2 shown]
	v_add_f64 v[52:53], v[52:53], v[72:73]
	v_add_f64 v[58:59], v[60:61], -v[58:59]
	v_add_f64 v[50:51], v[52:53], v[50:51]
	v_fma_f64 v[52:53], v[56:57], v[54:55], -v[76:77]
	v_add_f64 v[60:61], v[58:59], v[80:81]
	v_add_f64 v[50:51], v[52:53], v[50:51]
	v_ldexp_f64 v[52:53], v[74:75], 2
	v_add_f64 v[54:55], v[60:61], v[52:53]
	v_cmp_gt_f64_e64 s[6:7], 0, v[54:55]
	v_cndmask_b32_e64 v3, 0, v67, s[6:7]
	v_add_f64 v[52:53], v[52:53], v[2:3]
	v_add_f64 v[54:55], v[60:61], v[52:53]
	v_cvt_i32_f64_e32 v3, v[54:55]
	v_cvt_f64_i32_e32 v[54:55], v3
	v_add_f64 v[52:53], v[52:53], -v[54:55]
	v_add_f64 v[58:59], v[60:61], -v[58:59]
	v_add_f64 v[54:55], v[60:61], v[52:53]
	v_add_f64 v[58:59], v[80:81], -v[58:59]
	v_add_f64 v[52:53], v[54:55], -v[52:53]
	v_cmp_le_f64_e64 s[6:7], 0.5, v[54:55]
	v_add_f64 v[50:51], v[58:59], v[50:51]
	v_add_f64 v[52:53], v[60:61], -v[52:53]
	v_addc_co_u32_e64 v71, s[8:9], 0, v3, s[6:7]
	v_cndmask_b32_e64 v3, 0, v68, s[6:7]
	v_add_f64 v[50:51], v[50:51], v[52:53]
	v_add_f64 v[52:53], v[54:55], -v[2:3]
	v_add_f64 v[54:55], v[52:53], v[50:51]
	v_add_f64 v[52:53], v[54:55], -v[52:53]
	s_mov_b32 s24, s26
	v_add_f64 v[50:51], v[50:51], -v[52:53]
	v_mul_f64 v[52:53], v[54:55], s[24:25]
	v_fma_f64 v[56:57], v[54:55], s[24:25], -v[52:53]
	s_mov_b32 s31, s29
	v_fmac_f64_e32 v[56:57], s[30:31], v[54:55]
	v_fmac_f64_e32 v[56:57], s[24:25], v[50:51]
	v_add_f64 v[50:51], v[52:53], v[56:57]
	v_add_f64 v[52:53], v[50:51], -v[52:53]
	v_add_f64 v[52:53], v[56:57], -v[52:53]
.LBB214_39:                             ;   in Loop: Header=BB214_25 Depth=1
	s_andn2_saveexec_b64 s[6:7], s[46:47]
	s_cbranch_execz .LBB214_41
; %bb.40:                               ;   in Loop: Header=BB214_25 Depth=1
	v_mul_f64 v[50:51], |v[42:43]|, s[34:35]
	v_rndne_f64_e32 v[54:55], v[50:51]
	v_fma_f64 v[50:51], v[54:55], s[26:27], |v[42:43]|
	v_mul_f64 v[56:57], v[54:55], s[36:37]
	v_add_f64 v[60:61], v[50:51], v[56:57]
	v_fma_f64 v[52:53], s[36:37], v[54:55], v[50:51]
	s_mov_b32 s28, s36
	v_add_f64 v[50:51], v[50:51], -v[60:61]
	v_fma_f64 v[58:59], s[28:29], v[54:55], v[56:57]
	v_add_f64 v[50:51], v[50:51], v[56:57]
	v_add_f64 v[56:57], v[60:61], -v[52:53]
	v_add_f64 v[50:51], v[56:57], v[50:51]
	v_add_f64 v[56:57], v[50:51], -v[58:59]
	v_fmac_f64_e32 v[56:57], s[38:39], v[54:55]
	v_add_f64 v[50:51], v[52:53], v[56:57]
	v_add_f64 v[52:53], v[50:51], -v[52:53]
	v_add_f64 v[52:53], v[56:57], -v[52:53]
	v_cvt_i32_f64_e32 v71, v[54:55]
.LBB214_41:                             ;   in Loop: Header=BB214_25 Depth=1
	s_or_b64 exec, exec, s[6:7]
	v_cmp_nlt_f64_e64 s[6:7], |v[40:41]|, s[18:19]
                                        ; implicit-def: $vgpr72
                                        ; implicit-def: $vgpr54_vgpr55
                                        ; implicit-def: $vgpr56_vgpr57
	s_and_saveexec_b64 s[8:9], s[6:7]
	s_xor_b64 s[46:47], exec, s[8:9]
	s_cbranch_execz .LBB214_43
; %bb.42:                               ;   in Loop: Header=BB214_25 Depth=1
	v_and_b32_e32 v3, 0x7fffffff, v41
	v_ldexp_f64 v[58:59], |v[40:41]|, s50
	v_cmp_ge_f64_e64 s[6:7], |v[40:41]|, s[20:21]
	v_trig_preop_f64 v[54:55], |v[40:41]|, 0
	v_cndmask_b32_e64 v59, v3, v59, s[6:7]
	v_cndmask_b32_e64 v58, v40, v58, s[6:7]
	v_trig_preop_f64 v[56:57], |v[40:41]|, 1
	v_mul_f64 v[72:73], v[54:55], v[58:59]
	v_mul_f64 v[60:61], v[56:57], v[58:59]
	v_fma_f64 v[54:55], v[54:55], v[58:59], -v[72:73]
	v_add_f64 v[74:75], v[60:61], v[54:55]
	v_add_f64 v[76:77], v[72:73], v[74:75]
	v_ldexp_f64 v[78:79], v[76:77], -2
	v_fract_f64_e32 v[80:81], v[78:79]
	v_cmp_neq_f64_e64 s[6:7], |v[78:79]|, s[22:23]
	v_cndmask_b32_e64 v79, 0, v81, s[6:7]
	v_cndmask_b32_e64 v78, 0, v80, s[6:7]
	v_add_f64 v[80:81], v[74:75], -v[60:61]
	v_add_f64 v[54:55], v[54:55], -v[80:81]
	;; [unrolled: 1-line block ×4, first 2 shown]
	v_fma_f64 v[56:57], v[56:57], v[58:59], -v[60:61]
	v_trig_preop_f64 v[60:61], |v[40:41]|, 2
	v_add_f64 v[54:55], v[54:55], v[80:81]
	v_mul_f64 v[80:81], v[60:61], v[58:59]
	v_add_f64 v[82:83], v[80:81], v[56:57]
	v_add_f64 v[84:85], v[82:83], v[54:55]
	v_add_f64 v[72:73], v[76:77], -v[72:73]
	v_add_f64 v[76:77], v[84:85], -v[82:83]
	;; [unrolled: 1-line block ×5, first 2 shown]
	v_add_f64 v[54:55], v[54:55], v[76:77]
	v_add_f64 v[76:77], v[82:83], -v[80:81]
	v_add_f64 v[56:57], v[56:57], -v[76:77]
	;; [unrolled: 1-line block ×4, first 2 shown]
	v_add_f64 v[56:57], v[56:57], v[76:77]
	v_add_f64 v[72:73], v[74:75], -v[72:73]
	v_add_f64 v[54:55], v[56:57], v[54:55]
	v_fma_f64 v[56:57], v[60:61], v[58:59], -v[80:81]
	v_add_f64 v[74:75], v[72:73], v[84:85]
	v_add_f64 v[54:55], v[56:57], v[54:55]
	v_ldexp_f64 v[56:57], v[78:79], 2
	v_add_f64 v[58:59], v[74:75], v[56:57]
	v_cmp_gt_f64_e64 s[6:7], 0, v[58:59]
	v_cndmask_b32_e64 v3, 0, v67, s[6:7]
	v_add_f64 v[56:57], v[56:57], v[2:3]
	v_add_f64 v[58:59], v[74:75], v[56:57]
	v_cvt_i32_f64_e32 v3, v[58:59]
	v_cvt_f64_i32_e32 v[58:59], v3
	v_add_f64 v[56:57], v[56:57], -v[58:59]
	v_add_f64 v[72:73], v[74:75], -v[72:73]
	v_add_f64 v[58:59], v[74:75], v[56:57]
	v_add_f64 v[72:73], v[84:85], -v[72:73]
	v_add_f64 v[56:57], v[58:59], -v[56:57]
	v_cmp_le_f64_e64 s[6:7], 0.5, v[58:59]
	v_add_f64 v[54:55], v[72:73], v[54:55]
	v_add_f64 v[56:57], v[74:75], -v[56:57]
	v_addc_co_u32_e64 v72, s[8:9], 0, v3, s[6:7]
	v_cndmask_b32_e64 v3, 0, v68, s[6:7]
	v_add_f64 v[54:55], v[54:55], v[56:57]
	v_add_f64 v[56:57], v[58:59], -v[2:3]
	v_add_f64 v[58:59], v[56:57], v[54:55]
	v_add_f64 v[56:57], v[58:59], -v[56:57]
	s_mov_b32 s24, s26
	v_add_f64 v[54:55], v[54:55], -v[56:57]
	v_mul_f64 v[56:57], v[58:59], s[24:25]
	v_fma_f64 v[60:61], v[58:59], s[24:25], -v[56:57]
	s_mov_b32 s31, s29
	v_fmac_f64_e32 v[60:61], s[30:31], v[58:59]
	v_fmac_f64_e32 v[60:61], s[24:25], v[54:55]
	v_add_f64 v[54:55], v[56:57], v[60:61]
	v_add_f64 v[56:57], v[54:55], -v[56:57]
	v_add_f64 v[56:57], v[60:61], -v[56:57]
.LBB214_43:                             ;   in Loop: Header=BB214_25 Depth=1
	s_andn2_saveexec_b64 s[6:7], s[46:47]
	s_cbranch_execz .LBB214_45
; %bb.44:                               ;   in Loop: Header=BB214_25 Depth=1
	v_mul_f64 v[54:55], |v[40:41]|, s[34:35]
	v_rndne_f64_e32 v[58:59], v[54:55]
	v_fma_f64 v[54:55], v[58:59], s[26:27], |v[40:41]|
	v_mul_f64 v[60:61], v[58:59], s[36:37]
	v_add_f64 v[74:75], v[54:55], v[60:61]
	v_fma_f64 v[56:57], s[36:37], v[58:59], v[54:55]
	s_mov_b32 s28, s36
	v_add_f64 v[54:55], v[54:55], -v[74:75]
	v_fma_f64 v[72:73], s[28:29], v[58:59], v[60:61]
	v_add_f64 v[54:55], v[54:55], v[60:61]
	v_add_f64 v[60:61], v[74:75], -v[56:57]
	v_add_f64 v[54:55], v[60:61], v[54:55]
	v_add_f64 v[60:61], v[54:55], -v[72:73]
	v_fmac_f64_e32 v[60:61], s[38:39], v[58:59]
	v_add_f64 v[54:55], v[56:57], v[60:61]
	v_add_f64 v[56:57], v[54:55], -v[56:57]
	v_add_f64 v[56:57], v[60:61], -v[56:57]
	v_cvt_i32_f64_e32 v72, v[58:59]
.LBB214_45:                             ;   in Loop: Header=BB214_25 Depth=1
	s_or_b64 exec, exec, s[6:7]
	v_cmp_nlt_f64_e64 s[6:7], |v[38:39]|, s[18:19]
                                        ; implicit-def: $vgpr73
                                        ; implicit-def: $vgpr58_vgpr59
                                        ; implicit-def: $vgpr60_vgpr61
	s_and_saveexec_b64 s[8:9], s[6:7]
	s_xor_b64 s[46:47], exec, s[8:9]
	s_cbranch_execnz .LBB214_51
; %bb.46:                               ;   in Loop: Header=BB214_25 Depth=1
	s_andn2_saveexec_b64 s[6:7], s[46:47]
	s_cbranch_execnz .LBB214_52
.LBB214_47:                             ;   in Loop: Header=BB214_25 Depth=1
	s_or_b64 exec, exec, s[6:7]
	s_and_saveexec_b64 s[6:7], s[4:5]
	s_xor_b64 s[6:7], exec, s[6:7]
	s_cbranch_execnz .LBB214_53
.LBB214_48:                             ;   in Loop: Header=BB214_25 Depth=1
	s_or_b64 exec, exec, s[6:7]
	s_and_saveexec_b64 s[4:5], s[2:3]
	s_cbranch_execnz .LBB214_54
.LBB214_49:                             ;   in Loop: Header=BB214_25 Depth=1
	s_or_b64 exec, exec, s[4:5]
	s_and_saveexec_b64 s[2:3], s[0:1]
	s_cbranch_execnz .LBB214_55
.LBB214_50:                             ;   in Loop: Header=BB214_25 Depth=1
	s_or_b64 exec, exec, s[2:3]
	s_and_saveexec_b64 s[0:1], vcc
	s_cbranch_execz .LBB214_24
	s_branch .LBB214_56
.LBB214_51:                             ;   in Loop: Header=BB214_25 Depth=1
	v_and_b32_e32 v3, 0x7fffffff, v39
	v_ldexp_f64 v[74:75], |v[38:39]|, s50
	v_cmp_ge_f64_e64 s[6:7], |v[38:39]|, s[20:21]
	v_trig_preop_f64 v[58:59], |v[38:39]|, 0
	v_cndmask_b32_e64 v75, v3, v75, s[6:7]
	v_cndmask_b32_e64 v74, v38, v74, s[6:7]
	v_trig_preop_f64 v[60:61], |v[38:39]|, 1
	v_mul_f64 v[78:79], v[58:59], v[74:75]
	v_mul_f64 v[76:77], v[60:61], v[74:75]
	v_fma_f64 v[58:59], v[58:59], v[74:75], -v[78:79]
	v_add_f64 v[80:81], v[76:77], v[58:59]
	v_add_f64 v[82:83], v[78:79], v[80:81]
	v_ldexp_f64 v[84:85], v[82:83], -2
	v_fract_f64_e32 v[86:87], v[84:85]
	v_cmp_neq_f64_e64 s[6:7], |v[84:85]|, s[22:23]
	v_cndmask_b32_e64 v85, 0, v87, s[6:7]
	v_cndmask_b32_e64 v84, 0, v86, s[6:7]
	v_add_f64 v[86:87], v[80:81], -v[76:77]
	v_add_f64 v[58:59], v[58:59], -v[86:87]
	;; [unrolled: 1-line block ×4, first 2 shown]
	v_fma_f64 v[60:61], v[60:61], v[74:75], -v[76:77]
	v_trig_preop_f64 v[76:77], |v[38:39]|, 2
	v_add_f64 v[58:59], v[58:59], v[86:87]
	v_mul_f64 v[86:87], v[76:77], v[74:75]
	v_add_f64 v[88:89], v[86:87], v[60:61]
	v_add_f64 v[90:91], v[88:89], v[58:59]
	v_add_f64 v[78:79], v[82:83], -v[78:79]
	v_add_f64 v[82:83], v[90:91], -v[88:89]
	;; [unrolled: 1-line block ×5, first 2 shown]
	v_add_f64 v[58:59], v[58:59], v[82:83]
	v_add_f64 v[82:83], v[88:89], -v[86:87]
	v_add_f64 v[60:61], v[60:61], -v[82:83]
	v_add_f64 v[82:83], v[88:89], -v[82:83]
	v_add_f64 v[82:83], v[86:87], -v[82:83]
	v_add_f64 v[60:61], v[60:61], v[82:83]
	v_add_f64 v[78:79], v[80:81], -v[78:79]
	v_add_f64 v[58:59], v[60:61], v[58:59]
	v_fma_f64 v[60:61], v[76:77], v[74:75], -v[86:87]
	v_add_f64 v[80:81], v[78:79], v[90:91]
	v_add_f64 v[58:59], v[60:61], v[58:59]
	v_ldexp_f64 v[60:61], v[84:85], 2
	v_add_f64 v[74:75], v[80:81], v[60:61]
	v_cmp_gt_f64_e64 s[6:7], 0, v[74:75]
	v_cndmask_b32_e64 v3, 0, v67, s[6:7]
	v_add_f64 v[60:61], v[60:61], v[2:3]
	v_add_f64 v[74:75], v[80:81], v[60:61]
	v_cvt_i32_f64_e32 v3, v[74:75]
	v_cvt_f64_i32_e32 v[74:75], v3
	v_add_f64 v[60:61], v[60:61], -v[74:75]
	v_add_f64 v[78:79], v[80:81], -v[78:79]
	v_add_f64 v[74:75], v[80:81], v[60:61]
	v_add_f64 v[78:79], v[90:91], -v[78:79]
	v_add_f64 v[60:61], v[74:75], -v[60:61]
	v_cmp_le_f64_e64 s[6:7], 0.5, v[74:75]
	v_add_f64 v[58:59], v[78:79], v[58:59]
	v_add_f64 v[60:61], v[80:81], -v[60:61]
	v_addc_co_u32_e64 v73, s[8:9], 0, v3, s[6:7]
	v_cndmask_b32_e64 v3, 0, v68, s[6:7]
	v_add_f64 v[58:59], v[58:59], v[60:61]
	v_add_f64 v[60:61], v[74:75], -v[2:3]
	v_add_f64 v[74:75], v[60:61], v[58:59]
	v_add_f64 v[60:61], v[74:75], -v[60:61]
	s_mov_b32 s24, s26
	v_add_f64 v[58:59], v[58:59], -v[60:61]
	v_mul_f64 v[60:61], v[74:75], s[24:25]
	v_fma_f64 v[76:77], v[74:75], s[24:25], -v[60:61]
	s_mov_b32 s31, s29
	v_fmac_f64_e32 v[76:77], s[30:31], v[74:75]
	v_fmac_f64_e32 v[76:77], s[24:25], v[58:59]
	v_add_f64 v[58:59], v[60:61], v[76:77]
	v_add_f64 v[60:61], v[58:59], -v[60:61]
	v_add_f64 v[60:61], v[76:77], -v[60:61]
	s_andn2_saveexec_b64 s[6:7], s[46:47]
	s_cbranch_execz .LBB214_47
.LBB214_52:                             ;   in Loop: Header=BB214_25 Depth=1
	v_mul_f64 v[58:59], |v[38:39]|, s[34:35]
	v_rndne_f64_e32 v[74:75], v[58:59]
	v_fma_f64 v[58:59], v[74:75], s[26:27], |v[38:39]|
	v_mul_f64 v[76:77], v[74:75], s[36:37]
	v_add_f64 v[80:81], v[58:59], v[76:77]
	v_fma_f64 v[60:61], s[36:37], v[74:75], v[58:59]
	s_mov_b32 s28, s36
	v_add_f64 v[58:59], v[58:59], -v[80:81]
	v_fma_f64 v[78:79], s[28:29], v[74:75], v[76:77]
	v_add_f64 v[58:59], v[58:59], v[76:77]
	v_add_f64 v[76:77], v[80:81], -v[60:61]
	v_add_f64 v[58:59], v[76:77], v[58:59]
	v_add_f64 v[76:77], v[58:59], -v[78:79]
	v_fmac_f64_e32 v[76:77], s[38:39], v[74:75]
	v_add_f64 v[58:59], v[60:61], v[76:77]
	v_add_f64 v[60:61], v[58:59], -v[60:61]
	v_add_f64 v[60:61], v[76:77], -v[60:61]
	v_cvt_i32_f64_e32 v73, v[74:75]
	s_or_b64 exec, exec, s[6:7]
	s_and_saveexec_b64 s[6:7], s[4:5]
	s_xor_b64 s[6:7], exec, s[6:7]
	s_cbranch_execz .LBB214_48
.LBB214_53:                             ;   in Loop: Header=BB214_25 Depth=1
	v_mul_f64 v[74:75], v[46:47], v[46:47]
	v_pk_mov_b32 v[82:83], v[20:21], v[20:21] op_sel:[0,1]
	v_mul_f64 v[76:77], v[74:75], 0.5
	v_fmac_f64_e32 v[82:83], s[40:41], v[74:75]
	v_pk_mov_b32 v[84:85], v[22:23], v[22:23] op_sel:[0,1]
	v_add_f64 v[78:79], -v[76:77], 1.0
	v_fmac_f64_e32 v[84:85], v[74:75], v[82:83]
	v_pk_mov_b32 v[82:83], v[24:25], v[24:25] op_sel:[0,1]
	v_add_f64 v[80:81], -v[78:79], 1.0
	v_fmac_f64_e32 v[82:83], v[74:75], v[84:85]
	v_pk_mov_b32 v[84:85], v[26:27], v[26:27] op_sel:[0,1]
	v_add_f64 v[76:77], v[80:81], -v[76:77]
	v_fmac_f64_e32 v[84:85], v[74:75], v[82:83]
	v_pk_mov_b32 v[82:83], v[28:29], v[28:29] op_sel:[0,1]
	v_mul_f64 v[80:81], v[74:75], v[74:75]
	v_fmac_f64_e32 v[82:83], v[74:75], v[84:85]
	v_fma_f64 v[76:77], v[46:47], -v[48:49], v[76:77]
	v_fmac_f64_e32 v[76:77], v[80:81], v[82:83]
	v_add_f64 v[76:77], v[78:79], v[76:77]
	v_pk_mov_b32 v[78:79], v[30:31], v[30:31] op_sel:[0,1]
	v_fmac_f64_e32 v[78:79], s[44:45], v[74:75]
	v_pk_mov_b32 v[80:81], v[32:33], v[32:33] op_sel:[0,1]
	v_fmac_f64_e32 v[80:81], v[74:75], v[78:79]
	;; [unrolled: 2-line block ×4, first 2 shown]
	v_mul_f64 v[78:79], v[46:47], -v[74:75]
	v_mul_f64 v[82:83], v[48:49], 0.5
	v_fmac_f64_e32 v[82:83], v[78:79], v[80:81]
	v_fma_f64 v[48:49], v[74:75], v[82:83], -v[48:49]
	v_fmac_f64_e32 v[48:49], s[42:43], v[78:79]
	v_add_f64 v[46:47], v[46:47], -v[48:49]
	v_xor_b32_e32 v3, 0x80000000, v47
	v_and_b32_e32 v47, 1, v70
	v_cmp_eq_u32_e64 s[4:5], 0, v47
	v_lshlrev_b32_e32 v47, 30, v70
	v_cndmask_b32_e64 v3, v3, v77, s[4:5]
	v_and_b32_e32 v47, 0x80000000, v47
	v_cndmask_b32_e64 v46, v46, v76, s[4:5]
	v_xor_b32_e32 v3, v3, v47
	v_cmp_class_f64_e64 s[4:5], v[44:45], s51
	v_cndmask_b32_e64 v44, 0, v46, s[4:5]
	v_cndmask_b32_e64 v45, v69, v3, s[4:5]
	v_mov_b32_e32 v3, s11
	v_add_co_u32_e64 v46, s[4:5], s10, v6
	v_addc_co_u32_e64 v47, s[4:5], v5, v3, s[4:5]
	global_store_dwordx2 v[46:47], v[44:45], off
	s_or_b64 exec, exec, s[6:7]
	s_and_saveexec_b64 s[4:5], s[2:3]
	s_cbranch_execz .LBB214_49
.LBB214_54:                             ;   in Loop: Header=BB214_25 Depth=1
	v_mul_f64 v[44:45], v[50:51], v[50:51]
	v_pk_mov_b32 v[76:77], v[20:21], v[20:21] op_sel:[0,1]
	v_mul_f64 v[46:47], v[44:45], 0.5
	v_fmac_f64_e32 v[76:77], s[40:41], v[44:45]
	v_pk_mov_b32 v[78:79], v[22:23], v[22:23] op_sel:[0,1]
	v_add_f64 v[48:49], -v[46:47], 1.0
	v_fmac_f64_e32 v[78:79], v[44:45], v[76:77]
	v_pk_mov_b32 v[76:77], v[24:25], v[24:25] op_sel:[0,1]
	v_add_f64 v[74:75], -v[48:49], 1.0
	v_fmac_f64_e32 v[76:77], v[44:45], v[78:79]
	v_pk_mov_b32 v[78:79], v[26:27], v[26:27] op_sel:[0,1]
	v_add_f64 v[46:47], v[74:75], -v[46:47]
	v_fmac_f64_e32 v[78:79], v[44:45], v[76:77]
	v_pk_mov_b32 v[76:77], v[28:29], v[28:29] op_sel:[0,1]
	v_mul_f64 v[74:75], v[44:45], v[44:45]
	v_fmac_f64_e32 v[76:77], v[44:45], v[78:79]
	v_fma_f64 v[46:47], v[50:51], -v[52:53], v[46:47]
	v_fmac_f64_e32 v[46:47], v[74:75], v[76:77]
	v_add_f64 v[46:47], v[48:49], v[46:47]
	v_pk_mov_b32 v[48:49], v[30:31], v[30:31] op_sel:[0,1]
	v_fmac_f64_e32 v[48:49], s[44:45], v[44:45]
	v_pk_mov_b32 v[74:75], v[32:33], v[32:33] op_sel:[0,1]
	v_fmac_f64_e32 v[74:75], v[44:45], v[48:49]
	;; [unrolled: 2-line block ×4, first 2 shown]
	v_mul_f64 v[48:49], v[50:51], -v[44:45]
	v_mul_f64 v[76:77], v[52:53], 0.5
	v_fmac_f64_e32 v[76:77], v[48:49], v[74:75]
	v_fma_f64 v[44:45], v[44:45], v[76:77], -v[52:53]
	v_fmac_f64_e32 v[44:45], s[42:43], v[48:49]
	v_add_f64 v[44:45], v[50:51], -v[44:45]
	v_xor_b32_e32 v3, 0x80000000, v45
	v_and_b32_e32 v45, 1, v71
	v_cmp_eq_u32_e64 s[2:3], 0, v45
	v_lshlrev_b32_e32 v45, 30, v71
	v_cndmask_b32_e64 v3, v3, v47, s[2:3]
	v_and_b32_e32 v45, 0x80000000, v45
	v_cndmask_b32_e64 v44, v44, v46, s[2:3]
	v_xor_b32_e32 v3, v3, v45
	v_cmp_class_f64_e64 s[2:3], v[42:43], s51
	v_cndmask_b32_e64 v42, 0, v44, s[2:3]
	v_cndmask_b32_e64 v43, v69, v3, s[2:3]
	v_mov_b32_e32 v3, s11
	v_add_co_u32_e64 v44, s[2:3], s10, v18
	v_addc_co_u32_e64 v45, s[2:3], v17, v3, s[2:3]
	global_store_dwordx2 v[44:45], v[42:43], off
	s_or_b64 exec, exec, s[4:5]
	s_and_saveexec_b64 s[2:3], s[0:1]
	s_cbranch_execz .LBB214_50
.LBB214_55:                             ;   in Loop: Header=BB214_25 Depth=1
	v_mul_f64 v[42:43], v[54:55], v[54:55]
	v_pk_mov_b32 v[50:51], v[20:21], v[20:21] op_sel:[0,1]
	v_mul_f64 v[44:45], v[42:43], 0.5
	v_fmac_f64_e32 v[50:51], s[40:41], v[42:43]
	v_pk_mov_b32 v[52:53], v[22:23], v[22:23] op_sel:[0,1]
	v_add_f64 v[46:47], -v[44:45], 1.0
	v_fmac_f64_e32 v[52:53], v[42:43], v[50:51]
	v_pk_mov_b32 v[50:51], v[24:25], v[24:25] op_sel:[0,1]
	v_add_f64 v[48:49], -v[46:47], 1.0
	v_fmac_f64_e32 v[50:51], v[42:43], v[52:53]
	v_pk_mov_b32 v[52:53], v[26:27], v[26:27] op_sel:[0,1]
	v_add_f64 v[44:45], v[48:49], -v[44:45]
	v_fmac_f64_e32 v[52:53], v[42:43], v[50:51]
	v_pk_mov_b32 v[50:51], v[28:29], v[28:29] op_sel:[0,1]
	v_mul_f64 v[48:49], v[42:43], v[42:43]
	v_fmac_f64_e32 v[50:51], v[42:43], v[52:53]
	v_fma_f64 v[44:45], v[54:55], -v[56:57], v[44:45]
	v_fmac_f64_e32 v[44:45], v[48:49], v[50:51]
	v_add_f64 v[44:45], v[46:47], v[44:45]
	v_pk_mov_b32 v[46:47], v[30:31], v[30:31] op_sel:[0,1]
	v_fmac_f64_e32 v[46:47], s[44:45], v[42:43]
	v_pk_mov_b32 v[48:49], v[32:33], v[32:33] op_sel:[0,1]
	v_fmac_f64_e32 v[48:49], v[42:43], v[46:47]
	;; [unrolled: 2-line block ×4, first 2 shown]
	v_mul_f64 v[46:47], v[54:55], -v[42:43]
	v_mul_f64 v[50:51], v[56:57], 0.5
	v_fmac_f64_e32 v[50:51], v[46:47], v[48:49]
	v_fma_f64 v[42:43], v[42:43], v[50:51], -v[56:57]
	v_fmac_f64_e32 v[42:43], s[42:43], v[46:47]
	v_add_f64 v[42:43], v[54:55], -v[42:43]
	v_xor_b32_e32 v3, 0x80000000, v43
	v_and_b32_e32 v43, 1, v72
	v_cmp_eq_u32_e64 s[0:1], 0, v43
	v_lshlrev_b32_e32 v43, 30, v72
	v_cndmask_b32_e64 v3, v3, v45, s[0:1]
	v_and_b32_e32 v43, 0x80000000, v43
	v_cndmask_b32_e64 v42, v42, v44, s[0:1]
	v_xor_b32_e32 v3, v3, v43
	v_cmp_class_f64_e64 s[0:1], v[40:41], s51
	v_cndmask_b32_e64 v40, 0, v42, s[0:1]
	v_cndmask_b32_e64 v41, v69, v3, s[0:1]
	v_mov_b32_e32 v3, s11
	v_add_co_u32_e64 v42, s[0:1], s10, v14
	v_addc_co_u32_e64 v43, s[0:1], v13, v3, s[0:1]
	global_store_dwordx2 v[42:43], v[40:41], off
	s_or_b64 exec, exec, s[2:3]
	s_and_saveexec_b64 s[0:1], vcc
	s_cbranch_execz .LBB214_24
.LBB214_56:                             ;   in Loop: Header=BB214_25 Depth=1
	v_mul_f64 v[40:41], v[58:59], v[58:59]
	v_pk_mov_b32 v[48:49], v[20:21], v[20:21] op_sel:[0,1]
	v_mul_f64 v[42:43], v[40:41], 0.5
	v_fmac_f64_e32 v[48:49], s[40:41], v[40:41]
	v_pk_mov_b32 v[50:51], v[22:23], v[22:23] op_sel:[0,1]
	v_add_f64 v[44:45], -v[42:43], 1.0
	v_fmac_f64_e32 v[50:51], v[40:41], v[48:49]
	v_pk_mov_b32 v[48:49], v[24:25], v[24:25] op_sel:[0,1]
	v_add_f64 v[46:47], -v[44:45], 1.0
	v_fmac_f64_e32 v[48:49], v[40:41], v[50:51]
	v_pk_mov_b32 v[50:51], v[26:27], v[26:27] op_sel:[0,1]
	v_add_f64 v[42:43], v[46:47], -v[42:43]
	v_fmac_f64_e32 v[50:51], v[40:41], v[48:49]
	v_pk_mov_b32 v[48:49], v[28:29], v[28:29] op_sel:[0,1]
	v_mul_f64 v[46:47], v[40:41], v[40:41]
	v_fmac_f64_e32 v[48:49], v[40:41], v[50:51]
	v_fma_f64 v[42:43], v[58:59], -v[60:61], v[42:43]
	v_fmac_f64_e32 v[42:43], v[46:47], v[48:49]
	v_add_f64 v[42:43], v[44:45], v[42:43]
	v_pk_mov_b32 v[44:45], v[30:31], v[30:31] op_sel:[0,1]
	v_fmac_f64_e32 v[44:45], s[44:45], v[40:41]
	v_pk_mov_b32 v[46:47], v[32:33], v[32:33] op_sel:[0,1]
	v_fmac_f64_e32 v[46:47], v[40:41], v[44:45]
	;; [unrolled: 2-line block ×4, first 2 shown]
	v_mul_f64 v[44:45], v[58:59], -v[40:41]
	v_mul_f64 v[48:49], v[60:61], 0.5
	v_fmac_f64_e32 v[48:49], v[44:45], v[46:47]
	v_fma_f64 v[40:41], v[40:41], v[48:49], -v[60:61]
	v_fmac_f64_e32 v[40:41], s[42:43], v[44:45]
	v_add_f64 v[40:41], v[58:59], -v[40:41]
	v_xor_b32_e32 v3, 0x80000000, v41
	v_and_b32_e32 v41, 1, v73
	v_cmp_eq_u32_e32 vcc, 0, v41
	v_lshlrev_b32_e32 v41, 30, v73
	v_cndmask_b32_e32 v3, v3, v43, vcc
	v_and_b32_e32 v41, 0x80000000, v41
	v_cndmask_b32_e32 v40, v40, v42, vcc
	v_xor_b32_e32 v3, v3, v41
	v_cmp_class_f64_e64 vcc, v[38:39], s51
	v_cndmask_b32_e32 v38, 0, v40, vcc
	v_cndmask_b32_e32 v39, v69, v3, vcc
	v_mov_b32_e32 v3, s11
	v_add_co_u32_e32 v40, vcc, s10, v10
	v_addc_co_u32_e32 v41, vcc, v9, v3, vcc
	global_store_dwordx2 v[40:41], v[38:39], off
	s_branch .LBB214_24
.LBB214_57:
	s_endpgm
	.section	.rodata,"a",@progbits
	.p2align	6, 0x0
	.amdhsa_kernel _ZN2at6native12_GLOBAL__N_125multi_tensor_apply_kernelINS1_18TensorListMetadataILi2EEENS1_14UnaryOpFunctorIdLi2ELi1ELi1EEEJNS0_3CosIdEEEEEvT_T0_DpT1_
		.amdhsa_group_segment_fixed_size 0
		.amdhsa_private_segment_fixed_size 0
		.amdhsa_kernarg_size 3408
		.amdhsa_user_sgpr_count 6
		.amdhsa_user_sgpr_private_segment_buffer 1
		.amdhsa_user_sgpr_dispatch_ptr 0
		.amdhsa_user_sgpr_queue_ptr 0
		.amdhsa_user_sgpr_kernarg_segment_ptr 1
		.amdhsa_user_sgpr_dispatch_id 0
		.amdhsa_user_sgpr_flat_scratch_init 0
		.amdhsa_user_sgpr_kernarg_preload_length 0
		.amdhsa_user_sgpr_kernarg_preload_offset 0
		.amdhsa_user_sgpr_private_segment_size 0
		.amdhsa_uses_dynamic_stack 0
		.amdhsa_system_sgpr_private_segment_wavefront_offset 0
		.amdhsa_system_sgpr_workgroup_id_x 1
		.amdhsa_system_sgpr_workgroup_id_y 0
		.amdhsa_system_sgpr_workgroup_id_z 0
		.amdhsa_system_sgpr_workgroup_info 0
		.amdhsa_system_vgpr_workitem_id 0
		.amdhsa_next_free_vgpr 92
		.amdhsa_next_free_sgpr 74
		.amdhsa_accum_offset 92
		.amdhsa_reserve_vcc 1
		.amdhsa_reserve_flat_scratch 0
		.amdhsa_float_round_mode_32 0
		.amdhsa_float_round_mode_16_64 0
		.amdhsa_float_denorm_mode_32 3
		.amdhsa_float_denorm_mode_16_64 3
		.amdhsa_dx10_clamp 1
		.amdhsa_ieee_mode 1
		.amdhsa_fp16_overflow 0
		.amdhsa_tg_split 0
		.amdhsa_exception_fp_ieee_invalid_op 0
		.amdhsa_exception_fp_denorm_src 0
		.amdhsa_exception_fp_ieee_div_zero 0
		.amdhsa_exception_fp_ieee_overflow 0
		.amdhsa_exception_fp_ieee_underflow 0
		.amdhsa_exception_fp_ieee_inexact 0
		.amdhsa_exception_int_div_zero 0
	.end_amdhsa_kernel
	.section	.text._ZN2at6native12_GLOBAL__N_125multi_tensor_apply_kernelINS1_18TensorListMetadataILi2EEENS1_14UnaryOpFunctorIdLi2ELi1ELi1EEEJNS0_3CosIdEEEEEvT_T0_DpT1_,"axG",@progbits,_ZN2at6native12_GLOBAL__N_125multi_tensor_apply_kernelINS1_18TensorListMetadataILi2EEENS1_14UnaryOpFunctorIdLi2ELi1ELi1EEEJNS0_3CosIdEEEEEvT_T0_DpT1_,comdat
.Lfunc_end214:
	.size	_ZN2at6native12_GLOBAL__N_125multi_tensor_apply_kernelINS1_18TensorListMetadataILi2EEENS1_14UnaryOpFunctorIdLi2ELi1ELi1EEEJNS0_3CosIdEEEEEvT_T0_DpT1_, .Lfunc_end214-_ZN2at6native12_GLOBAL__N_125multi_tensor_apply_kernelINS1_18TensorListMetadataILi2EEENS1_14UnaryOpFunctorIdLi2ELi1ELi1EEEJNS0_3CosIdEEEEEvT_T0_DpT1_
                                        ; -- End function
	.section	.AMDGPU.csdata,"",@progbits
; Kernel info:
; codeLenInByte = 9772
; NumSgprs: 78
; NumVgprs: 92
; NumAgprs: 0
; TotalNumVgprs: 92
; ScratchSize: 0
; MemoryBound: 1
; FloatMode: 240
; IeeeMode: 1
; LDSByteSize: 0 bytes/workgroup (compile time only)
; SGPRBlocks: 9
; VGPRBlocks: 11
; NumSGPRsForWavesPerEU: 78
; NumVGPRsForWavesPerEU: 92
; AccumOffset: 92
; Occupancy: 5
; WaveLimiterHint : 0
; COMPUTE_PGM_RSRC2:SCRATCH_EN: 0
; COMPUTE_PGM_RSRC2:USER_SGPR: 6
; COMPUTE_PGM_RSRC2:TRAP_HANDLER: 0
; COMPUTE_PGM_RSRC2:TGID_X_EN: 1
; COMPUTE_PGM_RSRC2:TGID_Y_EN: 0
; COMPUTE_PGM_RSRC2:TGID_Z_EN: 0
; COMPUTE_PGM_RSRC2:TIDIG_COMP_CNT: 0
; COMPUTE_PGM_RSRC3_GFX90A:ACCUM_OFFSET: 22
; COMPUTE_PGM_RSRC3_GFX90A:TG_SPLIT: 0
	.section	.text._ZN2at6native12_GLOBAL__N_125multi_tensor_apply_kernelINS1_18TensorListMetadataILi2EEENS1_14UnaryOpFunctorIfLi2ELi1ELi1EEEJNS0_3CosIfEEEEEvT_T0_DpT1_,"axG",@progbits,_ZN2at6native12_GLOBAL__N_125multi_tensor_apply_kernelINS1_18TensorListMetadataILi2EEENS1_14UnaryOpFunctorIfLi2ELi1ELi1EEEJNS0_3CosIfEEEEEvT_T0_DpT1_,comdat
	.globl	_ZN2at6native12_GLOBAL__N_125multi_tensor_apply_kernelINS1_18TensorListMetadataILi2EEENS1_14UnaryOpFunctorIfLi2ELi1ELi1EEEJNS0_3CosIfEEEEEvT_T0_DpT1_ ; -- Begin function _ZN2at6native12_GLOBAL__N_125multi_tensor_apply_kernelINS1_18TensorListMetadataILi2EEENS1_14UnaryOpFunctorIfLi2ELi1ELi1EEEJNS0_3CosIfEEEEEvT_T0_DpT1_
	.p2align	8
	.type	_ZN2at6native12_GLOBAL__N_125multi_tensor_apply_kernelINS1_18TensorListMetadataILi2EEENS1_14UnaryOpFunctorIfLi2ELi1ELi1EEEJNS0_3CosIfEEEEEvT_T0_DpT1_,@function
_ZN2at6native12_GLOBAL__N_125multi_tensor_apply_kernelINS1_18TensorListMetadataILi2EEENS1_14UnaryOpFunctorIfLi2ELi1ELi1EEEJNS0_3CosIfEEEEEvT_T0_DpT1_: ; @_ZN2at6native12_GLOBAL__N_125multi_tensor_apply_kernelINS1_18TensorListMetadataILi2EEENS1_14UnaryOpFunctorIfLi2ELi1ELi1EEEJNS0_3CosIfEEEEEvT_T0_DpT1_
; %bb.0:
	v_mov_b32_e32 v1, s6
	global_load_ubyte v1, v1, s[4:5] offset:1536
	s_add_u32 s0, s4, s6
	s_mul_hi_u32 s2, s6, 3
	s_mul_i32 s6, s6, 3
	s_addc_u32 s7, s5, 0
	s_add_u32 s6, s0, s6
	s_addc_u32 s7, s7, s2
	s_load_dword s6, s[6:7], 0x740
	s_mov_b32 s13, 0
	s_mov_b32 s3, s13
	s_mov_b32 s1, s13
	s_waitcnt lgkmcnt(0)
	s_ashr_i32 s7, s6, 31
	s_lshl_b64 s[14:15], s[6:7], 18
	s_waitcnt vmcnt(0)
	v_readfirstlane_b32 s0, v1
	s_lshl_b32 s0, s0, 3
	s_load_dwordx2 s[10:11], s[4:5], s0 offset:0x0
	s_load_dwordx2 s[16:17], s[4:5], s0 offset:0x400
	;; [unrolled: 1-line block ×3, first 2 shown]
	s_waitcnt lgkmcnt(0)
	s_add_u32 s26, s10, s14
	s_addc_u32 s27, s11, s15
	s_and_b32 s12, s26, 15
	s_add_u32 s28, s8, s14
	s_addc_u32 s29, s9, s15
	s_and_b32 s2, s16, 3
	s_and_b32 s0, s28, 15
	s_or_b64 s[2:3], s[12:13], s[2:3]
	s_or_b64 s[0:1], s[0:1], s[2:3]
	s_lshl_b64 s[2:3], s[6:7], 16
	s_sub_u32 s16, s16, s2
	s_subb_u32 s17, s17, s3
	s_cmp_eq_u64 s[0:1], 0
	s_mov_b64 s[0:1], -1
	s_cbranch_scc0 .LBB215_21
; %bb.1:
	v_mov_b32_e32 v7, 0
	v_lshlrev_b32_e32 v6, 2, v0
	v_cmp_gt_i64_e32 vcc, s[16:17], v[6:7]
	s_and_saveexec_b64 s[18:19], vcc
	s_cbranch_execz .LBB215_20
; %bb.2:
	s_load_dword s0, s[4:5], 0xc5c
	v_lshlrev_b32_e32 v8, 4, v0
	s_mov_b64 s[20:21], 0
	s_brev_b32 s31, 18
	s_mov_b32 s33, 0xfe5163ab
	s_waitcnt lgkmcnt(0)
	s_and_b32 s0, s0, 0xffff
	v_add_lshl_u32 v6, v0, s0, 2
	s_lshl_b32 s12, s0, 2
	s_lshl_b32 s30, s0, 4
	s_mov_b32 s34, 0x3c439041
	s_mov_b32 s35, 0xdb629599
	;; [unrolled: 1-line block ×9, first 2 shown]
	v_mov_b32_e32 v1, 0xbe2aaa9d
	v_mov_b32_e32 v9, 0x3d2aabf7
	;; [unrolled: 1-line block ×3, first 2 shown]
	s_movk_i32 s43, 0x1f8
	s_mov_b64 s[22:23], 0xffff
	v_not_b32_e32 v13, 63
	v_not_b32_e32 v14, 31
	v_mov_b32_e32 v15, 0x7fc00000
	v_pk_mov_b32 v[10:11], v[6:7], v[6:7] op_sel:[0,1]
	s_branch .LBB215_4
.LBB215_3:                              ;   in Loop: Header=BB215_4 Depth=1
	s_or_b64 exec, exec, s[0:1]
	v_mul_f32_e32 v23, v21, v21
	v_mov_b32_e32 v24, 0x3c0881c4
	v_fmac_f32_e32 v24, 0xb94c1982, v23
	v_fma_f32 v24, v23, v24, v1
	v_mul_f32_e32 v24, v23, v24
	v_fmac_f32_e32 v21, v21, v24
	v_mov_b32_e32 v24, 0xbab64f3b
	v_fmac_f32_e32 v24, 0x37d75334, v23
	v_fma_f32 v24, v23, v24, v9
	v_fma_f32 v24, v23, v24, v12
	v_fma_f32 v23, v23, v24, 1.0
	v_and_b32_e32 v24, 1, v20
	v_cmp_eq_u32_e32 vcc, 0, v24
	v_lshlrev_b32_e32 v20, 30, v20
	v_cndmask_b32_e64 v21, -v21, v23, vcc
	v_and_b32_e32 v20, 0x80000000, v20
	v_xor_b32_e32 v20, v20, v21
	v_cmp_class_f32_e64 vcc, v4, s43
	v_cndmask_b32_e32 v4, v15, v20, vcc
	v_mul_f32_e32 v20, v19, v19
	v_mov_b32_e32 v21, 0x3c0881c4
	v_fmac_f32_e32 v21, 0xb94c1982, v20
	v_fma_f32 v21, v20, v21, v1
	v_mul_f32_e32 v21, v20, v21
	v_fmac_f32_e32 v19, v19, v21
	v_mov_b32_e32 v21, 0xbab64f3b
	v_fmac_f32_e32 v21, 0x37d75334, v20
	v_fma_f32 v21, v20, v21, v9
	v_fma_f32 v21, v20, v21, v12
	v_fma_f32 v20, v20, v21, 1.0
	v_and_b32_e32 v21, 1, v18
	v_cmp_eq_u32_e32 vcc, 0, v21
	v_lshlrev_b32_e32 v18, 30, v18
	v_cndmask_b32_e64 v19, -v19, v20, vcc
	v_and_b32_e32 v18, 0x80000000, v18
	v_xor_b32_e32 v18, v18, v19
	v_cmp_class_f32_e64 vcc, v3, s43
	v_cndmask_b32_e32 v3, v15, v18, vcc
	;; [unrolled: 19-line block ×4, first 2 shown]
	v_mov_b32_e32 v6, s29
	v_add_co_u32_e32 v16, vcc, s28, v8
	v_addc_co_u32_e32 v17, vcc, 0, v6, vcc
	v_cmp_le_i64_e32 vcc, s[16:17], v[10:11]
	v_cmp_lt_u64_e64 s[0:1], s[22:23], v[10:11]
	s_or_b64 s[0:1], vcc, s[0:1]
	s_add_u32 s26, s26, s30
	s_addc_u32 s27, s27, 0
	s_add_u32 s28, s28, s30
	s_addc_u32 s29, s29, 0
	global_store_dwordx4 v[16:17], v[2:5], off
	s_and_b64 s[0:1], exec, s[0:1]
	v_mov_b32_e32 v2, s13
	v_add_co_u32_e32 v10, vcc, s12, v10
	s_or_b64 s[20:21], s[0:1], s[20:21]
	v_addc_co_u32_e32 v11, vcc, v11, v2, vcc
	s_andn2_b64 exec, exec, s[20:21]
	s_cbranch_execz .LBB215_20
.LBB215_4:                              ; =>This Inner Loop Header: Depth=1
	v_mov_b32_e32 v3, s27
	v_add_co_u32_e32 v2, vcc, s26, v8
	v_addc_co_u32_e32 v3, vcc, 0, v3, vcc
	global_load_dwordx4 v[2:5], v[2:3], off
                                        ; implicit-def: $vgpr16
                                        ; implicit-def: $vgpr17
	s_waitcnt vmcnt(0)
	v_cmp_nlt_f32_e64 s[0:1], |v2|, s31
	s_and_saveexec_b64 s[2:3], s[0:1]
	s_xor_b64 s[24:25], exec, s[2:3]
	s_cbranch_execz .LBB215_6
; %bb.5:                                ;   in Loop: Header=BB215_4 Depth=1
	v_and_b32_e32 v6, 0x7fffffff, v2
	v_lshrrev_b32_e32 v16, 23, v6
	v_add_u32_e32 v16, 0xffffff88, v16
	v_cmp_lt_u32_e32 vcc, 63, v16
	v_cndmask_b32_e32 v17, 0, v13, vcc
	v_add_u32_e32 v16, v17, v16
	v_cmp_lt_u32_e64 s[0:1], 31, v16
	v_cndmask_b32_e64 v17, 0, v14, s[0:1]
	v_add_u32_e32 v16, v17, v16
	v_cmp_lt_u32_e64 s[2:3], 31, v16
	v_and_b32_e32 v6, 0x7fffff, v6
	v_cndmask_b32_e64 v17, 0, v14, s[2:3]
	v_or_b32_e32 v28, 0x800000, v6
	v_add_u32_e32 v30, v17, v16
	v_mad_u64_u32 v[16:17], s[6:7], v28, s33, 0
	v_mov_b32_e32 v6, v17
	v_mad_u64_u32 v[18:19], s[6:7], v28, s34, v[6:7]
	v_mov_b32_e32 v6, v19
	;; [unrolled: 2-line block ×6, first 2 shown]
	v_mad_u64_u32 v[28:29], s[6:7], v28, s39, v[6:7]
	v_cndmask_b32_e32 v17, v26, v22, vcc
	v_cndmask_b32_e32 v6, v28, v24, vcc
	v_cndmask_b32_e32 v21, v29, v26, vcc
	v_cndmask_b32_e64 v19, v6, v17, s[0:1]
	v_cndmask_b32_e64 v6, v21, v6, s[0:1]
	v_cndmask_b32_e32 v21, v24, v20, vcc
	v_cndmask_b32_e64 v17, v17, v21, s[0:1]
	v_cndmask_b32_e32 v18, v22, v18, vcc
	v_cndmask_b32_e64 v6, v6, v19, s[2:3]
	v_cndmask_b32_e64 v19, v19, v17, s[2:3]
	v_sub_u32_e32 v23, 32, v30
	v_cndmask_b32_e64 v21, v21, v18, s[0:1]
	v_alignbit_b32 v24, v6, v19, v23
	v_cmp_eq_u32_e64 s[6:7], 0, v30
	v_cndmask_b32_e64 v17, v17, v21, s[2:3]
	v_cndmask_b32_e32 v16, v20, v16, vcc
	v_cndmask_b32_e64 v6, v24, v6, s[6:7]
	v_alignbit_b32 v22, v19, v17, v23
	v_cndmask_b32_e64 v16, v18, v16, s[0:1]
	v_cndmask_b32_e64 v19, v22, v19, s[6:7]
	v_bfe_u32 v25, v6, 29, 1
	v_cndmask_b32_e64 v16, v21, v16, s[2:3]
	v_alignbit_b32 v22, v6, v19, 30
	v_sub_u32_e32 v26, 0, v25
	v_alignbit_b32 v18, v17, v16, v23
	v_xor_b32_e32 v27, v22, v26
	v_cndmask_b32_e64 v17, v18, v17, s[6:7]
	v_alignbit_b32 v18, v19, v17, 30
	v_ffbh_u32_e32 v19, v27
	v_add_u32_e32 v19, 1, v19
	v_cmp_ne_u32_e32 vcc, v22, v26
	v_cndmask_b32_e32 v19, 33, v19, vcc
	v_alignbit_b32 v16, v17, v16, 30
	v_xor_b32_e32 v18, v18, v26
	v_sub_u32_e32 v20, 32, v19
	v_xor_b32_e32 v16, v16, v26
	v_alignbit_b32 v21, v27, v18, v20
	v_alignbit_b32 v16, v18, v16, v20
	v_alignbit_b32 v17, v21, v16, 9
	v_ffbh_u32_e32 v18, v17
	v_min_u32_e32 v18, 32, v18
	v_lshrrev_b32_e32 v24, 29, v6
	v_sub_u32_e32 v20, 31, v18
	v_alignbit_b32 v16, v17, v16, v20
	v_lshlrev_b32_e32 v17, 31, v24
	v_or_b32_e32 v20, 0x33800000, v17
	v_add_lshl_u32 v18, v18, v19, 23
	v_lshrrev_b32_e32 v16, 9, v16
	v_sub_u32_e32 v18, v20, v18
	v_or_b32_e32 v16, v18, v16
	v_alignbit_b32 v18, v19, v21, 9
	v_or_b32_e32 v17, v18, v17
	v_xor_b32_e32 v17, 1.0, v17
	v_mul_f32_e32 v18, 0x3fc90fda, v17
	v_fma_f32 v19, v17, s40, -v18
	v_fmac_f32_e32 v19, 0x33a22168, v17
	v_fmac_f32_e32 v19, 0x3fc90fda, v16
	v_lshrrev_b32_e32 v6, 30, v6
	v_add_f32_e32 v17, v18, v19
	v_add_u32_e32 v16, v25, v6
.LBB215_6:                              ;   in Loop: Header=BB215_4 Depth=1
	s_andn2_saveexec_b64 s[0:1], s[24:25]
; %bb.7:                                ;   in Loop: Header=BB215_4 Depth=1
	v_mul_f32_e64 v6, |v2|, s41
	v_rndne_f32_e32 v6, v6
	v_cvt_i32_f32_e32 v16, v6
	v_fma_f32 v17, v6, s42, |v2|
	v_fmac_f32_e32 v17, 0xb3a22168, v6
	v_fmac_f32_e32 v17, 0xa7c234c4, v6
; %bb.8:                                ;   in Loop: Header=BB215_4 Depth=1
	s_or_b64 exec, exec, s[0:1]
	v_cmp_nlt_f32_e64 s[0:1], |v3|, s31
                                        ; implicit-def: $vgpr18
                                        ; implicit-def: $vgpr19
	s_and_saveexec_b64 s[2:3], s[0:1]
	s_xor_b64 s[24:25], exec, s[2:3]
	s_cbranch_execz .LBB215_10
; %bb.9:                                ;   in Loop: Header=BB215_4 Depth=1
	v_and_b32_e32 v6, 0x7fffffff, v3
	v_lshrrev_b32_e32 v18, 23, v6
	v_add_u32_e32 v18, 0xffffff88, v18
	v_cmp_lt_u32_e32 vcc, 63, v18
	v_cndmask_b32_e32 v19, 0, v13, vcc
	v_add_u32_e32 v18, v19, v18
	v_cmp_lt_u32_e64 s[0:1], 31, v18
	v_cndmask_b32_e64 v19, 0, v14, s[0:1]
	v_add_u32_e32 v18, v19, v18
	v_cmp_lt_u32_e64 s[2:3], 31, v18
	v_and_b32_e32 v6, 0x7fffff, v6
	v_cndmask_b32_e64 v19, 0, v14, s[2:3]
	v_or_b32_e32 v30, 0x800000, v6
	v_add_u32_e32 v32, v19, v18
	v_mad_u64_u32 v[18:19], s[6:7], v30, s33, 0
	v_mov_b32_e32 v6, v19
	v_mad_u64_u32 v[20:21], s[6:7], v30, s34, v[6:7]
	v_mov_b32_e32 v6, v21
	;; [unrolled: 2-line block ×6, first 2 shown]
	v_mad_u64_u32 v[30:31], s[6:7], v30, s39, v[6:7]
	v_cndmask_b32_e32 v19, v28, v24, vcc
	v_cndmask_b32_e32 v6, v30, v26, vcc
	;; [unrolled: 1-line block ×3, first 2 shown]
	v_cndmask_b32_e64 v21, v6, v19, s[0:1]
	v_cndmask_b32_e64 v6, v23, v6, s[0:1]
	v_cndmask_b32_e32 v23, v26, v22, vcc
	v_cndmask_b32_e64 v19, v19, v23, s[0:1]
	v_cndmask_b32_e32 v20, v24, v20, vcc
	v_cndmask_b32_e64 v6, v6, v21, s[2:3]
	v_cndmask_b32_e64 v21, v21, v19, s[2:3]
	v_sub_u32_e32 v25, 32, v32
	v_cndmask_b32_e64 v23, v23, v20, s[0:1]
	v_alignbit_b32 v26, v6, v21, v25
	v_cmp_eq_u32_e64 s[6:7], 0, v32
	v_cndmask_b32_e64 v19, v19, v23, s[2:3]
	v_cndmask_b32_e32 v18, v22, v18, vcc
	v_cndmask_b32_e64 v6, v26, v6, s[6:7]
	v_alignbit_b32 v24, v21, v19, v25
	v_cndmask_b32_e64 v18, v20, v18, s[0:1]
	v_cndmask_b32_e64 v21, v24, v21, s[6:7]
	v_bfe_u32 v27, v6, 29, 1
	v_cndmask_b32_e64 v18, v23, v18, s[2:3]
	v_alignbit_b32 v24, v6, v21, 30
	v_sub_u32_e32 v28, 0, v27
	v_alignbit_b32 v20, v19, v18, v25
	v_xor_b32_e32 v29, v24, v28
	v_cndmask_b32_e64 v19, v20, v19, s[6:7]
	v_alignbit_b32 v20, v21, v19, 30
	v_ffbh_u32_e32 v21, v29
	v_add_u32_e32 v21, 1, v21
	v_cmp_ne_u32_e32 vcc, v24, v28
	v_cndmask_b32_e32 v21, 33, v21, vcc
	v_alignbit_b32 v18, v19, v18, 30
	v_xor_b32_e32 v20, v20, v28
	v_sub_u32_e32 v22, 32, v21
	v_xor_b32_e32 v18, v18, v28
	v_alignbit_b32 v23, v29, v20, v22
	v_alignbit_b32 v18, v20, v18, v22
	;; [unrolled: 1-line block ×3, first 2 shown]
	v_ffbh_u32_e32 v20, v19
	v_min_u32_e32 v20, 32, v20
	v_lshrrev_b32_e32 v26, 29, v6
	v_sub_u32_e32 v22, 31, v20
	v_alignbit_b32 v18, v19, v18, v22
	v_lshlrev_b32_e32 v19, 31, v26
	v_or_b32_e32 v22, 0x33800000, v19
	v_add_lshl_u32 v20, v20, v21, 23
	v_lshrrev_b32_e32 v18, 9, v18
	v_sub_u32_e32 v20, v22, v20
	v_or_b32_e32 v18, v20, v18
	v_alignbit_b32 v20, v21, v23, 9
	v_or_b32_e32 v19, v20, v19
	v_xor_b32_e32 v19, 1.0, v19
	v_mul_f32_e32 v20, 0x3fc90fda, v19
	v_fma_f32 v21, v19, s40, -v20
	v_fmac_f32_e32 v21, 0x33a22168, v19
	v_fmac_f32_e32 v21, 0x3fc90fda, v18
	v_lshrrev_b32_e32 v6, 30, v6
	v_add_f32_e32 v19, v20, v21
	v_add_u32_e32 v18, v27, v6
.LBB215_10:                             ;   in Loop: Header=BB215_4 Depth=1
	s_andn2_saveexec_b64 s[0:1], s[24:25]
; %bb.11:                               ;   in Loop: Header=BB215_4 Depth=1
	v_mul_f32_e64 v6, |v3|, s41
	v_rndne_f32_e32 v6, v6
	v_cvt_i32_f32_e32 v18, v6
	v_fma_f32 v19, v6, s42, |v3|
	v_fmac_f32_e32 v19, 0xb3a22168, v6
	v_fmac_f32_e32 v19, 0xa7c234c4, v6
; %bb.12:                               ;   in Loop: Header=BB215_4 Depth=1
	s_or_b64 exec, exec, s[0:1]
	v_cmp_nlt_f32_e64 s[0:1], |v4|, s31
                                        ; implicit-def: $vgpr20
                                        ; implicit-def: $vgpr21
	s_and_saveexec_b64 s[2:3], s[0:1]
	s_xor_b64 s[24:25], exec, s[2:3]
	s_cbranch_execz .LBB215_14
; %bb.13:                               ;   in Loop: Header=BB215_4 Depth=1
	v_and_b32_e32 v6, 0x7fffffff, v4
	v_lshrrev_b32_e32 v20, 23, v6
	v_add_u32_e32 v20, 0xffffff88, v20
	v_cmp_lt_u32_e32 vcc, 63, v20
	v_cndmask_b32_e32 v21, 0, v13, vcc
	v_add_u32_e32 v20, v21, v20
	v_cmp_lt_u32_e64 s[0:1], 31, v20
	v_cndmask_b32_e64 v21, 0, v14, s[0:1]
	v_add_u32_e32 v20, v21, v20
	v_cmp_lt_u32_e64 s[2:3], 31, v20
	v_and_b32_e32 v6, 0x7fffff, v6
	v_cndmask_b32_e64 v21, 0, v14, s[2:3]
	v_or_b32_e32 v32, 0x800000, v6
	v_add_u32_e32 v34, v21, v20
	v_mad_u64_u32 v[20:21], s[6:7], v32, s33, 0
	v_mov_b32_e32 v6, v21
	v_mad_u64_u32 v[22:23], s[6:7], v32, s34, v[6:7]
	v_mov_b32_e32 v6, v23
	;; [unrolled: 2-line block ×6, first 2 shown]
	v_mad_u64_u32 v[32:33], s[6:7], v32, s39, v[6:7]
	v_cndmask_b32_e32 v21, v30, v26, vcc
	v_cndmask_b32_e32 v6, v32, v28, vcc
	;; [unrolled: 1-line block ×3, first 2 shown]
	v_cndmask_b32_e64 v23, v6, v21, s[0:1]
	v_cndmask_b32_e64 v6, v25, v6, s[0:1]
	v_cndmask_b32_e32 v25, v28, v24, vcc
	v_cndmask_b32_e64 v21, v21, v25, s[0:1]
	v_cndmask_b32_e32 v22, v26, v22, vcc
	v_cndmask_b32_e64 v6, v6, v23, s[2:3]
	v_cndmask_b32_e64 v23, v23, v21, s[2:3]
	v_sub_u32_e32 v27, 32, v34
	v_cndmask_b32_e64 v25, v25, v22, s[0:1]
	v_alignbit_b32 v28, v6, v23, v27
	v_cmp_eq_u32_e64 s[6:7], 0, v34
	v_cndmask_b32_e64 v21, v21, v25, s[2:3]
	v_cndmask_b32_e32 v20, v24, v20, vcc
	v_cndmask_b32_e64 v6, v28, v6, s[6:7]
	v_alignbit_b32 v26, v23, v21, v27
	v_cndmask_b32_e64 v20, v22, v20, s[0:1]
	v_cndmask_b32_e64 v23, v26, v23, s[6:7]
	v_bfe_u32 v29, v6, 29, 1
	v_cndmask_b32_e64 v20, v25, v20, s[2:3]
	v_alignbit_b32 v26, v6, v23, 30
	v_sub_u32_e32 v30, 0, v29
	v_alignbit_b32 v22, v21, v20, v27
	v_xor_b32_e32 v31, v26, v30
	v_cndmask_b32_e64 v21, v22, v21, s[6:7]
	v_alignbit_b32 v22, v23, v21, 30
	v_ffbh_u32_e32 v23, v31
	v_add_u32_e32 v23, 1, v23
	v_cmp_ne_u32_e32 vcc, v26, v30
	v_cndmask_b32_e32 v23, 33, v23, vcc
	v_alignbit_b32 v20, v21, v20, 30
	v_xor_b32_e32 v22, v22, v30
	v_sub_u32_e32 v24, 32, v23
	v_xor_b32_e32 v20, v20, v30
	v_alignbit_b32 v25, v31, v22, v24
	v_alignbit_b32 v20, v22, v20, v24
	;; [unrolled: 1-line block ×3, first 2 shown]
	v_ffbh_u32_e32 v22, v21
	v_min_u32_e32 v22, 32, v22
	v_lshrrev_b32_e32 v28, 29, v6
	v_sub_u32_e32 v24, 31, v22
	v_alignbit_b32 v20, v21, v20, v24
	v_lshlrev_b32_e32 v21, 31, v28
	v_or_b32_e32 v24, 0x33800000, v21
	v_add_lshl_u32 v22, v22, v23, 23
	v_lshrrev_b32_e32 v20, 9, v20
	v_sub_u32_e32 v22, v24, v22
	v_or_b32_e32 v20, v22, v20
	v_alignbit_b32 v22, v23, v25, 9
	v_or_b32_e32 v21, v22, v21
	v_xor_b32_e32 v21, 1.0, v21
	v_mul_f32_e32 v22, 0x3fc90fda, v21
	v_fma_f32 v23, v21, s40, -v22
	v_fmac_f32_e32 v23, 0x33a22168, v21
	v_fmac_f32_e32 v23, 0x3fc90fda, v20
	v_lshrrev_b32_e32 v6, 30, v6
	v_add_f32_e32 v21, v22, v23
	v_add_u32_e32 v20, v29, v6
.LBB215_14:                             ;   in Loop: Header=BB215_4 Depth=1
	s_andn2_saveexec_b64 s[0:1], s[24:25]
; %bb.15:                               ;   in Loop: Header=BB215_4 Depth=1
	v_mul_f32_e64 v6, |v4|, s41
	v_rndne_f32_e32 v6, v6
	v_cvt_i32_f32_e32 v20, v6
	v_fma_f32 v21, v6, s42, |v4|
	v_fmac_f32_e32 v21, 0xb3a22168, v6
	v_fmac_f32_e32 v21, 0xa7c234c4, v6
; %bb.16:                               ;   in Loop: Header=BB215_4 Depth=1
	s_or_b64 exec, exec, s[0:1]
	v_cmp_nlt_f32_e64 s[0:1], |v5|, s31
                                        ; implicit-def: $vgpr6
                                        ; implicit-def: $vgpr22
	s_and_saveexec_b64 s[2:3], s[0:1]
	s_xor_b64 s[24:25], exec, s[2:3]
	s_cbranch_execz .LBB215_18
; %bb.17:                               ;   in Loop: Header=BB215_4 Depth=1
	v_and_b32_e32 v6, 0x7fffffff, v5
	v_lshrrev_b32_e32 v22, 23, v6
	v_add_u32_e32 v22, 0xffffff88, v22
	v_cmp_lt_u32_e32 vcc, 63, v22
	v_cndmask_b32_e32 v23, 0, v13, vcc
	v_add_u32_e32 v22, v23, v22
	v_cmp_lt_u32_e64 s[0:1], 31, v22
	v_cndmask_b32_e64 v23, 0, v14, s[0:1]
	v_add_u32_e32 v22, v23, v22
	v_cmp_lt_u32_e64 s[2:3], 31, v22
	v_and_b32_e32 v6, 0x7fffff, v6
	v_cndmask_b32_e64 v23, 0, v14, s[2:3]
	v_or_b32_e32 v34, 0x800000, v6
	v_add_u32_e32 v36, v23, v22
	v_mad_u64_u32 v[22:23], s[6:7], v34, s33, 0
	v_mov_b32_e32 v6, v23
	v_mad_u64_u32 v[24:25], s[6:7], v34, s34, v[6:7]
	v_mov_b32_e32 v6, v25
	;; [unrolled: 2-line block ×6, first 2 shown]
	v_mad_u64_u32 v[34:35], s[6:7], v34, s39, v[6:7]
	v_cndmask_b32_e32 v23, v32, v28, vcc
	v_cndmask_b32_e32 v6, v34, v30, vcc
	;; [unrolled: 1-line block ×3, first 2 shown]
	v_cndmask_b32_e64 v25, v6, v23, s[0:1]
	v_cndmask_b32_e64 v6, v27, v6, s[0:1]
	v_cndmask_b32_e32 v27, v30, v26, vcc
	v_cndmask_b32_e64 v23, v23, v27, s[0:1]
	v_cndmask_b32_e32 v24, v28, v24, vcc
	v_cndmask_b32_e64 v6, v6, v25, s[2:3]
	v_cndmask_b32_e64 v25, v25, v23, s[2:3]
	v_sub_u32_e32 v29, 32, v36
	v_cndmask_b32_e64 v27, v27, v24, s[0:1]
	v_alignbit_b32 v30, v6, v25, v29
	v_cmp_eq_u32_e64 s[6:7], 0, v36
	v_cndmask_b32_e64 v23, v23, v27, s[2:3]
	v_cndmask_b32_e32 v22, v26, v22, vcc
	v_cndmask_b32_e64 v6, v30, v6, s[6:7]
	v_alignbit_b32 v28, v25, v23, v29
	v_cndmask_b32_e64 v22, v24, v22, s[0:1]
	v_cndmask_b32_e64 v25, v28, v25, s[6:7]
	v_bfe_u32 v31, v6, 29, 1
	v_cndmask_b32_e64 v22, v27, v22, s[2:3]
	v_alignbit_b32 v28, v6, v25, 30
	v_sub_u32_e32 v32, 0, v31
	v_alignbit_b32 v24, v23, v22, v29
	v_xor_b32_e32 v33, v28, v32
	v_cndmask_b32_e64 v23, v24, v23, s[6:7]
	v_alignbit_b32 v24, v25, v23, 30
	v_ffbh_u32_e32 v25, v33
	v_add_u32_e32 v25, 1, v25
	v_cmp_ne_u32_e32 vcc, v28, v32
	v_cndmask_b32_e32 v25, 33, v25, vcc
	v_alignbit_b32 v22, v23, v22, 30
	v_xor_b32_e32 v24, v24, v32
	v_sub_u32_e32 v26, 32, v25
	v_xor_b32_e32 v22, v22, v32
	v_alignbit_b32 v27, v33, v24, v26
	v_alignbit_b32 v22, v24, v22, v26
	;; [unrolled: 1-line block ×3, first 2 shown]
	v_ffbh_u32_e32 v24, v23
	v_min_u32_e32 v24, 32, v24
	v_lshrrev_b32_e32 v30, 29, v6
	v_sub_u32_e32 v26, 31, v24
	v_alignbit_b32 v22, v23, v22, v26
	v_lshlrev_b32_e32 v23, 31, v30
	v_or_b32_e32 v26, 0x33800000, v23
	v_add_lshl_u32 v24, v24, v25, 23
	v_lshrrev_b32_e32 v22, 9, v22
	v_sub_u32_e32 v24, v26, v24
	v_or_b32_e32 v22, v24, v22
	v_alignbit_b32 v24, v25, v27, 9
	v_or_b32_e32 v23, v24, v23
	v_xor_b32_e32 v23, 1.0, v23
	v_mul_f32_e32 v24, 0x3fc90fda, v23
	v_fma_f32 v25, v23, s40, -v24
	v_fmac_f32_e32 v25, 0x33a22168, v23
	v_fmac_f32_e32 v25, 0x3fc90fda, v22
	v_lshrrev_b32_e32 v6, 30, v6
	v_add_f32_e32 v22, v24, v25
	v_add_u32_e32 v6, v31, v6
.LBB215_18:                             ;   in Loop: Header=BB215_4 Depth=1
	s_andn2_saveexec_b64 s[0:1], s[24:25]
	s_cbranch_execz .LBB215_3
; %bb.19:                               ;   in Loop: Header=BB215_4 Depth=1
	v_mul_f32_e64 v6, |v5|, s41
	v_rndne_f32_e32 v23, v6
	v_cvt_i32_f32_e32 v6, v23
	v_fma_f32 v22, v23, s42, |v5|
	v_fmac_f32_e32 v22, 0xb3a22168, v23
	v_fmac_f32_e32 v22, 0xa7c234c4, v23
	s_branch .LBB215_3
.LBB215_20:
	s_or_b64 exec, exec, s[18:19]
	s_mov_b64 s[0:1], 0
.LBB215_21:
	s_andn2_b64 vcc, exec, s[0:1]
	s_cbranch_vccnz .LBB215_57
; %bb.22:
	v_cmp_lt_i64_e64 s[0:1], s[16:17], 1
	s_and_b64 vcc, exec, s[0:1]
	s_cbranch_vccnz .LBB215_57
; %bb.23:
	s_load_dword s0, s[4:5], 0xc5c
	v_mov_b32_e32 v4, 0x10000
	v_mov_b32_e32 v5, 0
	v_cmp_lt_u64_e32 vcc, s[16:17], v[4:5]
	v_lshlrev_b32_e32 v2, 2, v0
	s_waitcnt lgkmcnt(0)
	s_and_b32 s2, s0, 0xffff
	s_and_b64 s[0:1], vcc, exec
	v_mov_b32_e32 v15, s11
	v_add_co_u32_e32 v4, vcc, s10, v2
	v_addc_co_u32_e32 v1, vcc, 0, v15, vcc
	v_mov_b32_e32 v3, 0
	v_mov_b32_e32 v17, s9
	v_add_co_u32_e32 v6, vcc, s8, v2
	v_addc_co_u32_e32 v5, vcc, 0, v17, vcc
	v_mad_u64_u32 v[10:11], s[0:1], s2, 12, v[2:3]
	v_add_co_u32_e32 v8, vcc, s10, v10
	v_addc_co_u32_e32 v7, vcc, v15, v11, vcc
	v_add_co_u32_e32 v10, vcc, s8, v10
	s_mul_i32 s4, s2, 3
	v_addc_co_u32_e32 v9, vcc, v17, v11, vcc
	v_add_co_u32_e32 v19, vcc, s4, v0
	v_addc_co_u32_e64 v20, s[0:1], 0, 0, vcc
	s_cselect_b32 s19, s17, 0
	s_cselect_b32 s18, s16, 0x10000
	s_lshl_b32 s0, s2, 3
	v_add_co_u32_e32 v2, vcc, s0, v2
	v_addc_co_u32_e64 v13, s[0:1], 0, 0, vcc
	v_add_co_u32_e32 v12, vcc, s10, v2
	v_addc_co_u32_e32 v11, vcc, v15, v13, vcc
	v_add_co_u32_e32 v14, vcc, s8, v2
	s_lshl_b32 s3, s2, 1
	v_addc_co_u32_e32 v13, vcc, v17, v13, vcc
	v_add_co_u32_e32 v21, vcc, s3, v0
	v_addc_co_u32_e64 v22, s[0:1], 0, 0, vcc
	v_add_co_u32_e32 v23, vcc, s2, v0
	v_lshlrev_b32_e32 v2, 2, v23
	v_addc_co_u32_e64 v24, s[0:1], 0, 0, vcc
	v_add_co_u32_e32 v16, vcc, s10, v2
	v_addc_co_u32_e32 v15, vcc, 0, v15, vcc
	v_add_co_u32_e32 v18, vcc, s8, v2
	s_mov_b32 s24, 0
	s_lshl_b32 s25, s2, 2
	s_lshl_b32 s26, s2, 4
	v_addc_co_u32_e32 v17, vcc, 0, v17, vcc
	s_mov_b64 s[20:21], 0
	s_brev_b32 s27, 18
	s_mov_b32 s28, 0xfe5163ab
	s_mov_b32 s29, 0x3c439041
	;; [unrolled: 1-line block ×10, first 2 shown]
	v_mov_b32_e32 v25, 0xbe2aaa9d
	v_mov_b32_e32 v26, 0x3d2aabf7
	;; [unrolled: 1-line block ×3, first 2 shown]
	s_movk_i32 s39, 0x1f8
	v_not_b32_e32 v28, 63
	v_not_b32_e32 v29, 31
	v_mov_b32_e32 v30, 0x7fc00000
	s_branch .LBB215_25
.LBB215_24:                             ;   in Loop: Header=BB215_25 Depth=1
	s_or_b64 exec, exec, s[0:1]
	s_add_u32 s20, s20, s25
	s_addc_u32 s21, s21, 0
	v_pk_mov_b32 v[32:33], s[16:17], s[16:17] op_sel:[0,1]
	v_cmp_ge_i64_e32 vcc, s[20:21], v[32:33]
	v_mov_b32_e32 v32, 0xffff
	v_mov_b32_e32 v33, 0
	v_cmp_gt_u64_e64 s[0:1], s[20:21], v[32:33]
	s_or_b64 s[0:1], vcc, s[0:1]
	v_mov_b32_e32 v2, s24
	v_add_co_u32_e32 v4, vcc, s26, v4
	v_addc_co_u32_e32 v1, vcc, v1, v2, vcc
	v_add_co_u32_e32 v6, vcc, s26, v6
	v_addc_co_u32_e32 v5, vcc, v5, v2, vcc
	;; [unrolled: 2-line block ×8, first 2 shown]
	s_and_b64 vcc, exec, s[0:1]
	s_cbranch_vccnz .LBB215_57
.LBB215_25:                             ; =>This Inner Loop Header: Depth=1
	v_mov_b32_e32 v2, s21
	v_add_co_u32_e32 v32, vcc, s20, v0
	v_addc_co_u32_e32 v33, vcc, 0, v2, vcc
	v_cmp_gt_u64_e64 s[4:5], s[18:19], v[32:33]
	v_mov_b32_e32 v34, 0
	s_and_saveexec_b64 s[0:1], s[4:5]
	s_cbranch_execz .LBB215_27
; %bb.26:                               ;   in Loop: Header=BB215_25 Depth=1
	v_mov_b32_e32 v2, s15
	v_add_co_u32_e32 v32, vcc, s14, v4
	v_addc_co_u32_e32 v33, vcc, v1, v2, vcc
	global_load_dword v34, v[32:33], off
.LBB215_27:                             ;   in Loop: Header=BB215_25 Depth=1
	s_or_b64 exec, exec, s[0:1]
	v_mov_b32_e32 v2, s21
	v_add_co_u32_e32 v32, vcc, s20, v23
	v_addc_co_u32_e32 v33, vcc, v24, v2, vcc
	v_cmp_gt_u64_e64 s[2:3], s[18:19], v[32:33]
	v_mov_b32_e32 v33, 0
	s_and_saveexec_b64 s[0:1], s[2:3]
	s_cbranch_execz .LBB215_29
; %bb.28:                               ;   in Loop: Header=BB215_25 Depth=1
	v_mov_b32_e32 v2, s15
	v_add_co_u32_e32 v32, vcc, s14, v16
	v_addc_co_u32_e32 v33, vcc, v15, v2, vcc
	global_load_dword v33, v[32:33], off
.LBB215_29:                             ;   in Loop: Header=BB215_25 Depth=1
	s_or_b64 exec, exec, s[0:1]
	v_mov_b32_e32 v2, s21
	v_add_co_u32_e32 v36, vcc, s20, v21
	v_addc_co_u32_e32 v37, vcc, v22, v2, vcc
	v_cmp_gt_u64_e64 s[0:1], s[18:19], v[36:37]
	v_mov_b32_e32 v31, 0
	v_mov_b32_e32 v32, 0
	s_and_saveexec_b64 s[6:7], s[0:1]
	s_cbranch_execz .LBB215_31
; %bb.30:                               ;   in Loop: Header=BB215_25 Depth=1
	v_mov_b32_e32 v2, s15
	v_add_co_u32_e32 v36, vcc, s14, v12
	v_addc_co_u32_e32 v37, vcc, v11, v2, vcc
	global_load_dword v32, v[36:37], off
.LBB215_31:                             ;   in Loop: Header=BB215_25 Depth=1
	s_or_b64 exec, exec, s[6:7]
	v_mov_b32_e32 v2, s21
	v_add_co_u32_e32 v36, vcc, s20, v19
	v_addc_co_u32_e32 v37, vcc, v20, v2, vcc
	v_cmp_gt_u64_e32 vcc, s[18:19], v[36:37]
	s_and_saveexec_b64 s[8:9], vcc
	s_cbranch_execz .LBB215_33
; %bb.32:                               ;   in Loop: Header=BB215_25 Depth=1
	v_mov_b32_e32 v2, s15
	v_add_co_u32_e64 v36, s[6:7], s14, v8
	v_addc_co_u32_e64 v37, s[6:7], v7, v2, s[6:7]
	global_load_dword v31, v[36:37], off
.LBB215_33:                             ;   in Loop: Header=BB215_25 Depth=1
	s_or_b64 exec, exec, s[8:9]
	s_waitcnt vmcnt(0)
	v_cmp_nlt_f32_e64 s[6:7], |v34|, s27
                                        ; implicit-def: $vgpr35
                                        ; implicit-def: $vgpr36
	s_and_saveexec_b64 s[8:9], s[6:7]
	s_xor_b64 s[22:23], exec, s[8:9]
	s_cbranch_execz .LBB215_35
; %bb.34:                               ;   in Loop: Header=BB215_25 Depth=1
	v_and_b32_e32 v2, 0x7fffffff, v34
	v_lshrrev_b32_e32 v35, 23, v2
	v_add_u32_e32 v35, 0xffffff88, v35
	v_cmp_lt_u32_e64 s[6:7], 63, v35
	v_cndmask_b32_e64 v36, 0, v28, s[6:7]
	v_add_u32_e32 v35, v36, v35
	v_cmp_lt_u32_e64 s[8:9], 31, v35
	v_cndmask_b32_e64 v36, 0, v29, s[8:9]
	v_add_u32_e32 v35, v36, v35
	v_cmp_lt_u32_e64 s[10:11], 31, v35
	v_and_b32_e32 v2, 0x7fffff, v2
	v_cndmask_b32_e64 v36, 0, v29, s[10:11]
	v_or_b32_e32 v48, 0x800000, v2
	v_add_u32_e32 v35, v36, v35
	v_mad_u64_u32 v[36:37], s[12:13], v48, s28, 0
	v_mov_b32_e32 v2, v37
	v_mad_u64_u32 v[38:39], s[12:13], v48, s29, v[2:3]
	v_mov_b32_e32 v2, v39
	;; [unrolled: 2-line block ×6, first 2 shown]
	v_mad_u64_u32 v[48:49], s[12:13], v48, s35, v[2:3]
	v_cndmask_b32_e64 v37, v46, v42, s[6:7]
	v_cndmask_b32_e64 v2, v48, v44, s[6:7]
	v_cndmask_b32_e64 v41, v49, v46, s[6:7]
	v_cndmask_b32_e64 v39, v2, v37, s[8:9]
	v_cndmask_b32_e64 v2, v41, v2, s[8:9]
	v_cndmask_b32_e64 v41, v44, v40, s[6:7]
	v_cndmask_b32_e64 v37, v37, v41, s[8:9]
	v_sub_u32_e32 v43, 32, v35
	v_cmp_eq_u32_e64 s[12:13], 0, v35
	v_cndmask_b32_e64 v35, v42, v38, s[6:7]
	v_cndmask_b32_e64 v2, v2, v39, s[10:11]
	;; [unrolled: 1-line block ×4, first 2 shown]
	v_alignbit_b32 v44, v2, v39, v43
	v_cndmask_b32_e64 v37, v37, v38, s[10:11]
	v_cndmask_b32_e64 v2, v44, v2, s[12:13]
	v_alignbit_b32 v41, v39, v37, v43
	v_cndmask_b32_e64 v39, v41, v39, s[12:13]
	v_bfe_u32 v44, v2, 29, 1
	v_cndmask_b32_e64 v36, v40, v36, s[6:7]
	v_alignbit_b32 v41, v2, v39, 30
	v_sub_u32_e32 v45, 0, v44
	v_cndmask_b32_e64 v35, v35, v36, s[8:9]
	v_xor_b32_e32 v46, v41, v45
	v_cndmask_b32_e64 v35, v38, v35, s[10:11]
	v_alignbit_b32 v36, v37, v35, v43
	v_ffbh_u32_e32 v38, v46
	v_cndmask_b32_e64 v36, v36, v37, s[12:13]
	v_add_u32_e32 v38, 1, v38
	v_cmp_ne_u32_e64 s[6:7], v41, v45
	v_alignbit_b32 v37, v39, v36, 30
	v_cndmask_b32_e64 v38, 33, v38, s[6:7]
	v_alignbit_b32 v35, v36, v35, 30
	v_xor_b32_e32 v37, v37, v45
	v_sub_u32_e32 v39, 32, v38
	v_xor_b32_e32 v35, v35, v45
	v_alignbit_b32 v40, v46, v37, v39
	v_alignbit_b32 v35, v37, v35, v39
	;; [unrolled: 1-line block ×3, first 2 shown]
	v_ffbh_u32_e32 v37, v36
	v_min_u32_e32 v37, 32, v37
	v_lshrrev_b32_e32 v42, 29, v2
	v_sub_u32_e32 v39, 31, v37
	v_alignbit_b32 v35, v36, v35, v39
	v_lshlrev_b32_e32 v36, 31, v42
	v_or_b32_e32 v39, 0x33800000, v36
	v_add_lshl_u32 v37, v37, v38, 23
	v_lshrrev_b32_e32 v35, 9, v35
	v_sub_u32_e32 v37, v39, v37
	v_or_b32_e32 v35, v37, v35
	v_alignbit_b32 v37, v38, v40, 9
	v_or_b32_e32 v36, v37, v36
	v_xor_b32_e32 v36, 1.0, v36
	v_mul_f32_e32 v37, 0x3fc90fda, v36
	v_fma_f32 v38, v36, s36, -v37
	v_fmac_f32_e32 v38, 0x33a22168, v36
	v_fmac_f32_e32 v38, 0x3fc90fda, v35
	v_lshrrev_b32_e32 v2, 30, v2
	v_add_f32_e32 v36, v37, v38
	v_add_u32_e32 v35, v44, v2
.LBB215_35:                             ;   in Loop: Header=BB215_25 Depth=1
	s_andn2_saveexec_b64 s[6:7], s[22:23]
; %bb.36:                               ;   in Loop: Header=BB215_25 Depth=1
	v_mul_f32_e64 v2, |v34|, s37
	v_rndne_f32_e32 v2, v2
	v_cvt_i32_f32_e32 v35, v2
	v_fma_f32 v36, v2, s38, |v34|
	v_fmac_f32_e32 v36, 0xb3a22168, v2
	v_fmac_f32_e32 v36, 0xa7c234c4, v2
; %bb.37:                               ;   in Loop: Header=BB215_25 Depth=1
	s_or_b64 exec, exec, s[6:7]
	v_cmp_nlt_f32_e64 s[6:7], |v33|, s27
                                        ; implicit-def: $vgpr37
                                        ; implicit-def: $vgpr38
	s_and_saveexec_b64 s[8:9], s[6:7]
	s_xor_b64 s[22:23], exec, s[8:9]
	s_cbranch_execz .LBB215_39
; %bb.38:                               ;   in Loop: Header=BB215_25 Depth=1
	v_and_b32_e32 v2, 0x7fffffff, v33
	v_lshrrev_b32_e32 v37, 23, v2
	v_add_u32_e32 v37, 0xffffff88, v37
	v_cmp_lt_u32_e64 s[6:7], 63, v37
	v_cndmask_b32_e64 v38, 0, v28, s[6:7]
	v_add_u32_e32 v37, v38, v37
	v_cmp_lt_u32_e64 s[8:9], 31, v37
	v_cndmask_b32_e64 v38, 0, v29, s[8:9]
	v_add_u32_e32 v37, v38, v37
	v_cmp_lt_u32_e64 s[10:11], 31, v37
	v_and_b32_e32 v2, 0x7fffff, v2
	v_cndmask_b32_e64 v38, 0, v29, s[10:11]
	v_or_b32_e32 v50, 0x800000, v2
	v_add_u32_e32 v37, v38, v37
	v_mad_u64_u32 v[38:39], s[12:13], v50, s28, 0
	v_mov_b32_e32 v2, v39
	v_mad_u64_u32 v[40:41], s[12:13], v50, s29, v[2:3]
	v_mov_b32_e32 v2, v41
	;; [unrolled: 2-line block ×6, first 2 shown]
	v_mad_u64_u32 v[50:51], s[12:13], v50, s35, v[2:3]
	v_cndmask_b32_e64 v39, v48, v44, s[6:7]
	v_cndmask_b32_e64 v2, v50, v46, s[6:7]
	;; [unrolled: 1-line block ×7, first 2 shown]
	v_sub_u32_e32 v45, 32, v37
	v_cmp_eq_u32_e64 s[12:13], 0, v37
	v_cndmask_b32_e64 v37, v44, v40, s[6:7]
	v_cndmask_b32_e64 v2, v2, v41, s[10:11]
	;; [unrolled: 1-line block ×4, first 2 shown]
	v_alignbit_b32 v46, v2, v41, v45
	v_cndmask_b32_e64 v39, v39, v40, s[10:11]
	v_cndmask_b32_e64 v2, v46, v2, s[12:13]
	v_alignbit_b32 v43, v41, v39, v45
	v_cndmask_b32_e64 v41, v43, v41, s[12:13]
	v_bfe_u32 v46, v2, 29, 1
	v_cndmask_b32_e64 v38, v42, v38, s[6:7]
	v_alignbit_b32 v43, v2, v41, 30
	v_sub_u32_e32 v47, 0, v46
	v_cndmask_b32_e64 v37, v37, v38, s[8:9]
	v_xor_b32_e32 v48, v43, v47
	v_cndmask_b32_e64 v37, v40, v37, s[10:11]
	v_alignbit_b32 v38, v39, v37, v45
	v_ffbh_u32_e32 v40, v48
	v_cndmask_b32_e64 v38, v38, v39, s[12:13]
	v_add_u32_e32 v40, 1, v40
	v_cmp_ne_u32_e64 s[6:7], v43, v47
	v_alignbit_b32 v39, v41, v38, 30
	v_cndmask_b32_e64 v40, 33, v40, s[6:7]
	v_alignbit_b32 v37, v38, v37, 30
	v_xor_b32_e32 v39, v39, v47
	v_sub_u32_e32 v41, 32, v40
	v_xor_b32_e32 v37, v37, v47
	v_alignbit_b32 v42, v48, v39, v41
	v_alignbit_b32 v37, v39, v37, v41
	;; [unrolled: 1-line block ×3, first 2 shown]
	v_ffbh_u32_e32 v39, v38
	v_min_u32_e32 v39, 32, v39
	v_lshrrev_b32_e32 v44, 29, v2
	v_sub_u32_e32 v41, 31, v39
	v_alignbit_b32 v37, v38, v37, v41
	v_lshlrev_b32_e32 v38, 31, v44
	v_or_b32_e32 v41, 0x33800000, v38
	v_add_lshl_u32 v39, v39, v40, 23
	v_lshrrev_b32_e32 v37, 9, v37
	v_sub_u32_e32 v39, v41, v39
	v_or_b32_e32 v37, v39, v37
	v_alignbit_b32 v39, v40, v42, 9
	v_or_b32_e32 v38, v39, v38
	v_xor_b32_e32 v38, 1.0, v38
	v_mul_f32_e32 v39, 0x3fc90fda, v38
	v_fma_f32 v40, v38, s36, -v39
	v_fmac_f32_e32 v40, 0x33a22168, v38
	v_fmac_f32_e32 v40, 0x3fc90fda, v37
	v_lshrrev_b32_e32 v2, 30, v2
	v_add_f32_e32 v38, v39, v40
	v_add_u32_e32 v37, v46, v2
.LBB215_39:                             ;   in Loop: Header=BB215_25 Depth=1
	s_andn2_saveexec_b64 s[6:7], s[22:23]
; %bb.40:                               ;   in Loop: Header=BB215_25 Depth=1
	v_mul_f32_e64 v2, |v33|, s37
	v_rndne_f32_e32 v2, v2
	v_cvt_i32_f32_e32 v37, v2
	v_fma_f32 v38, v2, s38, |v33|
	v_fmac_f32_e32 v38, 0xb3a22168, v2
	v_fmac_f32_e32 v38, 0xa7c234c4, v2
; %bb.41:                               ;   in Loop: Header=BB215_25 Depth=1
	s_or_b64 exec, exec, s[6:7]
	v_cmp_nlt_f32_e64 s[6:7], |v32|, s27
                                        ; implicit-def: $vgpr39
                                        ; implicit-def: $vgpr40
	s_and_saveexec_b64 s[8:9], s[6:7]
	s_xor_b64 s[22:23], exec, s[8:9]
	s_cbranch_execz .LBB215_43
; %bb.42:                               ;   in Loop: Header=BB215_25 Depth=1
	v_and_b32_e32 v2, 0x7fffffff, v32
	v_lshrrev_b32_e32 v39, 23, v2
	v_add_u32_e32 v39, 0xffffff88, v39
	v_cmp_lt_u32_e64 s[6:7], 63, v39
	v_cndmask_b32_e64 v40, 0, v28, s[6:7]
	v_add_u32_e32 v39, v40, v39
	v_cmp_lt_u32_e64 s[8:9], 31, v39
	v_cndmask_b32_e64 v40, 0, v29, s[8:9]
	v_add_u32_e32 v39, v40, v39
	v_cmp_lt_u32_e64 s[10:11], 31, v39
	v_and_b32_e32 v2, 0x7fffff, v2
	v_cndmask_b32_e64 v40, 0, v29, s[10:11]
	v_or_b32_e32 v52, 0x800000, v2
	v_add_u32_e32 v39, v40, v39
	v_mad_u64_u32 v[40:41], s[12:13], v52, s28, 0
	v_mov_b32_e32 v2, v41
	v_mad_u64_u32 v[42:43], s[12:13], v52, s29, v[2:3]
	v_mov_b32_e32 v2, v43
	;; [unrolled: 2-line block ×6, first 2 shown]
	v_mad_u64_u32 v[52:53], s[12:13], v52, s35, v[2:3]
	v_cndmask_b32_e64 v41, v50, v46, s[6:7]
	v_cndmask_b32_e64 v2, v52, v48, s[6:7]
	;; [unrolled: 1-line block ×7, first 2 shown]
	v_sub_u32_e32 v47, 32, v39
	v_cmp_eq_u32_e64 s[12:13], 0, v39
	v_cndmask_b32_e64 v39, v46, v42, s[6:7]
	v_cndmask_b32_e64 v2, v2, v43, s[10:11]
	;; [unrolled: 1-line block ×4, first 2 shown]
	v_alignbit_b32 v48, v2, v43, v47
	v_cndmask_b32_e64 v41, v41, v42, s[10:11]
	v_cndmask_b32_e64 v2, v48, v2, s[12:13]
	v_alignbit_b32 v45, v43, v41, v47
	v_cndmask_b32_e64 v43, v45, v43, s[12:13]
	v_bfe_u32 v48, v2, 29, 1
	v_cndmask_b32_e64 v40, v44, v40, s[6:7]
	v_alignbit_b32 v45, v2, v43, 30
	v_sub_u32_e32 v49, 0, v48
	v_cndmask_b32_e64 v39, v39, v40, s[8:9]
	v_xor_b32_e32 v50, v45, v49
	v_cndmask_b32_e64 v39, v42, v39, s[10:11]
	v_alignbit_b32 v40, v41, v39, v47
	v_ffbh_u32_e32 v42, v50
	v_cndmask_b32_e64 v40, v40, v41, s[12:13]
	v_add_u32_e32 v42, 1, v42
	v_cmp_ne_u32_e64 s[6:7], v45, v49
	v_alignbit_b32 v41, v43, v40, 30
	v_cndmask_b32_e64 v42, 33, v42, s[6:7]
	v_alignbit_b32 v39, v40, v39, 30
	v_xor_b32_e32 v41, v41, v49
	v_sub_u32_e32 v43, 32, v42
	v_xor_b32_e32 v39, v39, v49
	v_alignbit_b32 v44, v50, v41, v43
	v_alignbit_b32 v39, v41, v39, v43
	;; [unrolled: 1-line block ×3, first 2 shown]
	v_ffbh_u32_e32 v41, v40
	v_min_u32_e32 v41, 32, v41
	v_lshrrev_b32_e32 v46, 29, v2
	v_sub_u32_e32 v43, 31, v41
	v_alignbit_b32 v39, v40, v39, v43
	v_lshlrev_b32_e32 v40, 31, v46
	v_or_b32_e32 v43, 0x33800000, v40
	v_add_lshl_u32 v41, v41, v42, 23
	v_lshrrev_b32_e32 v39, 9, v39
	v_sub_u32_e32 v41, v43, v41
	v_or_b32_e32 v39, v41, v39
	v_alignbit_b32 v41, v42, v44, 9
	v_or_b32_e32 v40, v41, v40
	v_xor_b32_e32 v40, 1.0, v40
	v_mul_f32_e32 v41, 0x3fc90fda, v40
	v_fma_f32 v42, v40, s36, -v41
	v_fmac_f32_e32 v42, 0x33a22168, v40
	v_fmac_f32_e32 v42, 0x3fc90fda, v39
	v_lshrrev_b32_e32 v2, 30, v2
	v_add_f32_e32 v40, v41, v42
	v_add_u32_e32 v39, v48, v2
.LBB215_43:                             ;   in Loop: Header=BB215_25 Depth=1
	s_andn2_saveexec_b64 s[6:7], s[22:23]
; %bb.44:                               ;   in Loop: Header=BB215_25 Depth=1
	v_mul_f32_e64 v2, |v32|, s37
	v_rndne_f32_e32 v2, v2
	v_cvt_i32_f32_e32 v39, v2
	v_fma_f32 v40, v2, s38, |v32|
	v_fmac_f32_e32 v40, 0xb3a22168, v2
	v_fmac_f32_e32 v40, 0xa7c234c4, v2
; %bb.45:                               ;   in Loop: Header=BB215_25 Depth=1
	s_or_b64 exec, exec, s[6:7]
	v_cmp_nlt_f32_e64 s[6:7], |v31|, s27
                                        ; implicit-def: $vgpr2
                                        ; implicit-def: $vgpr41
	s_and_saveexec_b64 s[8:9], s[6:7]
	s_xor_b64 s[22:23], exec, s[8:9]
	s_cbranch_execnz .LBB215_51
; %bb.46:                               ;   in Loop: Header=BB215_25 Depth=1
	s_andn2_saveexec_b64 s[6:7], s[22:23]
	s_cbranch_execnz .LBB215_52
.LBB215_47:                             ;   in Loop: Header=BB215_25 Depth=1
	s_or_b64 exec, exec, s[6:7]
	s_and_saveexec_b64 s[6:7], s[4:5]
	s_xor_b64 s[6:7], exec, s[6:7]
	s_cbranch_execnz .LBB215_53
.LBB215_48:                             ;   in Loop: Header=BB215_25 Depth=1
	s_or_b64 exec, exec, s[6:7]
	s_and_saveexec_b64 s[4:5], s[2:3]
	s_cbranch_execnz .LBB215_54
.LBB215_49:                             ;   in Loop: Header=BB215_25 Depth=1
	s_or_b64 exec, exec, s[4:5]
	s_and_saveexec_b64 s[2:3], s[0:1]
	s_cbranch_execnz .LBB215_55
.LBB215_50:                             ;   in Loop: Header=BB215_25 Depth=1
	s_or_b64 exec, exec, s[2:3]
	s_and_saveexec_b64 s[0:1], vcc
	s_cbranch_execz .LBB215_24
	s_branch .LBB215_56
.LBB215_51:                             ;   in Loop: Header=BB215_25 Depth=1
	v_and_b32_e32 v2, 0x7fffffff, v31
	v_lshrrev_b32_e32 v41, 23, v2
	v_add_u32_e32 v41, 0xffffff88, v41
	v_cmp_lt_u32_e64 s[6:7], 63, v41
	v_cndmask_b32_e64 v42, 0, v28, s[6:7]
	v_add_u32_e32 v41, v42, v41
	v_cmp_lt_u32_e64 s[8:9], 31, v41
	v_cndmask_b32_e64 v42, 0, v29, s[8:9]
	v_add_u32_e32 v41, v42, v41
	v_cmp_lt_u32_e64 s[10:11], 31, v41
	v_and_b32_e32 v2, 0x7fffff, v2
	v_cndmask_b32_e64 v42, 0, v29, s[10:11]
	v_or_b32_e32 v54, 0x800000, v2
	v_add_u32_e32 v41, v42, v41
	v_mad_u64_u32 v[42:43], s[12:13], v54, s28, 0
	v_mov_b32_e32 v2, v43
	v_mad_u64_u32 v[44:45], s[12:13], v54, s29, v[2:3]
	v_mov_b32_e32 v2, v45
	;; [unrolled: 2-line block ×6, first 2 shown]
	v_mad_u64_u32 v[54:55], s[12:13], v54, s35, v[2:3]
	v_cndmask_b32_e64 v43, v52, v48, s[6:7]
	v_cndmask_b32_e64 v2, v54, v50, s[6:7]
	;; [unrolled: 1-line block ×7, first 2 shown]
	v_sub_u32_e32 v49, 32, v41
	v_cmp_eq_u32_e64 s[12:13], 0, v41
	v_cndmask_b32_e64 v41, v48, v44, s[6:7]
	v_cndmask_b32_e64 v2, v2, v45, s[10:11]
	;; [unrolled: 1-line block ×4, first 2 shown]
	v_alignbit_b32 v50, v2, v45, v49
	v_cndmask_b32_e64 v43, v43, v44, s[10:11]
	v_cndmask_b32_e64 v2, v50, v2, s[12:13]
	v_alignbit_b32 v47, v45, v43, v49
	v_cndmask_b32_e64 v45, v47, v45, s[12:13]
	v_bfe_u32 v50, v2, 29, 1
	v_cndmask_b32_e64 v42, v46, v42, s[6:7]
	v_alignbit_b32 v47, v2, v45, 30
	v_sub_u32_e32 v51, 0, v50
	v_cndmask_b32_e64 v41, v41, v42, s[8:9]
	v_xor_b32_e32 v52, v47, v51
	v_cndmask_b32_e64 v41, v44, v41, s[10:11]
	v_alignbit_b32 v42, v43, v41, v49
	v_ffbh_u32_e32 v44, v52
	v_cndmask_b32_e64 v42, v42, v43, s[12:13]
	v_add_u32_e32 v44, 1, v44
	v_cmp_ne_u32_e64 s[6:7], v47, v51
	v_alignbit_b32 v43, v45, v42, 30
	v_cndmask_b32_e64 v44, 33, v44, s[6:7]
	v_alignbit_b32 v41, v42, v41, 30
	v_xor_b32_e32 v43, v43, v51
	v_sub_u32_e32 v45, 32, v44
	v_xor_b32_e32 v41, v41, v51
	v_alignbit_b32 v46, v52, v43, v45
	v_alignbit_b32 v41, v43, v41, v45
	;; [unrolled: 1-line block ×3, first 2 shown]
	v_ffbh_u32_e32 v43, v42
	v_min_u32_e32 v43, 32, v43
	v_lshrrev_b32_e32 v48, 29, v2
	v_sub_u32_e32 v45, 31, v43
	v_alignbit_b32 v41, v42, v41, v45
	v_lshlrev_b32_e32 v42, 31, v48
	v_or_b32_e32 v45, 0x33800000, v42
	v_add_lshl_u32 v43, v43, v44, 23
	v_lshrrev_b32_e32 v41, 9, v41
	v_sub_u32_e32 v43, v45, v43
	v_or_b32_e32 v41, v43, v41
	v_alignbit_b32 v43, v44, v46, 9
	v_or_b32_e32 v42, v43, v42
	v_xor_b32_e32 v42, 1.0, v42
	v_mul_f32_e32 v43, 0x3fc90fda, v42
	v_fma_f32 v44, v42, s36, -v43
	v_fmac_f32_e32 v44, 0x33a22168, v42
	v_fmac_f32_e32 v44, 0x3fc90fda, v41
	v_lshrrev_b32_e32 v2, 30, v2
	v_add_f32_e32 v41, v43, v44
	v_add_u32_e32 v2, v50, v2
	s_andn2_saveexec_b64 s[6:7], s[22:23]
	s_cbranch_execz .LBB215_47
.LBB215_52:                             ;   in Loop: Header=BB215_25 Depth=1
	v_mul_f32_e64 v2, |v31|, s37
	v_rndne_f32_e32 v42, v2
	v_cvt_i32_f32_e32 v2, v42
	v_fma_f32 v41, v42, s38, |v31|
	v_fmac_f32_e32 v41, 0xb3a22168, v42
	v_fmac_f32_e32 v41, 0xa7c234c4, v42
	s_or_b64 exec, exec, s[6:7]
	s_and_saveexec_b64 s[6:7], s[4:5]
	s_xor_b64 s[6:7], exec, s[6:7]
	s_cbranch_execz .LBB215_48
.LBB215_53:                             ;   in Loop: Header=BB215_25 Depth=1
	v_mul_f32_e32 v42, v36, v36
	v_mov_b32_e32 v43, 0x3c0881c4
	v_fmac_f32_e32 v43, 0xb94c1982, v42
	v_fma_f32 v43, v42, v43, v25
	v_mul_f32_e32 v43, v42, v43
	v_fmac_f32_e32 v36, v36, v43
	v_mov_b32_e32 v43, 0xbab64f3b
	v_fmac_f32_e32 v43, 0x37d75334, v42
	v_fma_f32 v43, v42, v43, v26
	v_fma_f32 v43, v42, v43, v27
	v_fma_f32 v42, v42, v43, 1.0
	v_and_b32_e32 v43, 1, v35
	v_cmp_eq_u32_e64 s[4:5], 0, v43
	v_lshlrev_b32_e32 v35, 30, v35
	v_cndmask_b32_e64 v36, -v36, v42, s[4:5]
	v_and_b32_e32 v35, 0x80000000, v35
	v_xor_b32_e32 v35, v35, v36
	v_cmp_class_f32_e64 s[4:5], v34, s39
	v_cndmask_b32_e64 v36, v30, v35, s[4:5]
	v_mov_b32_e32 v35, s15
	v_add_co_u32_e64 v34, s[4:5], s14, v6
	v_addc_co_u32_e64 v35, s[4:5], v5, v35, s[4:5]
	global_store_dword v[34:35], v36, off
	s_or_b64 exec, exec, s[6:7]
	s_and_saveexec_b64 s[4:5], s[2:3]
	s_cbranch_execz .LBB215_49
.LBB215_54:                             ;   in Loop: Header=BB215_25 Depth=1
	v_mul_f32_e32 v34, v38, v38
	v_mov_b32_e32 v35, 0x3c0881c4
	v_fmac_f32_e32 v35, 0xb94c1982, v34
	v_fma_f32 v35, v34, v35, v25
	v_mul_f32_e32 v35, v34, v35
	v_fmac_f32_e32 v38, v38, v35
	v_mov_b32_e32 v35, 0xbab64f3b
	v_fmac_f32_e32 v35, 0x37d75334, v34
	v_fma_f32 v35, v34, v35, v26
	v_fma_f32 v35, v34, v35, v27
	v_fma_f32 v34, v34, v35, 1.0
	v_and_b32_e32 v35, 1, v37
	v_cmp_eq_u32_e64 s[2:3], 0, v35
	v_lshlrev_b32_e32 v35, 30, v37
	v_cndmask_b32_e64 v34, -v38, v34, s[2:3]
	v_and_b32_e32 v35, 0x80000000, v35
	v_xor_b32_e32 v34, v35, v34
	v_cmp_class_f32_e64 s[2:3], v33, s39
	v_cndmask_b32_e64 v33, v30, v34, s[2:3]
	v_mov_b32_e32 v35, s15
	v_add_co_u32_e64 v34, s[2:3], s14, v18
	v_addc_co_u32_e64 v35, s[2:3], v17, v35, s[2:3]
	global_store_dword v[34:35], v33, off
	s_or_b64 exec, exec, s[4:5]
	s_and_saveexec_b64 s[2:3], s[0:1]
	s_cbranch_execz .LBB215_50
.LBB215_55:                             ;   in Loop: Header=BB215_25 Depth=1
	v_mul_f32_e32 v33, v40, v40
	v_mov_b32_e32 v34, 0x3c0881c4
	v_fmac_f32_e32 v34, 0xb94c1982, v33
	v_fma_f32 v34, v33, v34, v25
	v_mul_f32_e32 v34, v33, v34
	v_fmac_f32_e32 v40, v40, v34
	v_mov_b32_e32 v34, 0xbab64f3b
	v_fmac_f32_e32 v34, 0x37d75334, v33
	v_fma_f32 v34, v33, v34, v26
	v_fma_f32 v34, v33, v34, v27
	v_fma_f32 v33, v33, v34, 1.0
	v_and_b32_e32 v34, 1, v39
	v_cmp_eq_u32_e64 s[0:1], 0, v34
	v_lshlrev_b32_e32 v34, 30, v39
	v_cndmask_b32_e64 v33, -v40, v33, s[0:1]
	v_and_b32_e32 v34, 0x80000000, v34
	v_xor_b32_e32 v33, v34, v33
	v_cmp_class_f32_e64 s[0:1], v32, s39
	v_cndmask_b32_e64 v34, v30, v33, s[0:1]
	v_mov_b32_e32 v33, s15
	v_add_co_u32_e64 v32, s[0:1], s14, v14
	v_addc_co_u32_e64 v33, s[0:1], v13, v33, s[0:1]
	global_store_dword v[32:33], v34, off
	s_or_b64 exec, exec, s[2:3]
	s_and_saveexec_b64 s[0:1], vcc
	s_cbranch_execz .LBB215_24
.LBB215_56:                             ;   in Loop: Header=BB215_25 Depth=1
	v_mul_f32_e32 v32, v41, v41
	v_mov_b32_e32 v33, 0x3c0881c4
	v_fmac_f32_e32 v33, 0xb94c1982, v32
	v_fma_f32 v33, v32, v33, v25
	v_mul_f32_e32 v33, v32, v33
	v_fmac_f32_e32 v41, v41, v33
	v_mov_b32_e32 v33, 0xbab64f3b
	v_fmac_f32_e32 v33, 0x37d75334, v32
	v_fma_f32 v33, v32, v33, v26
	v_fma_f32 v33, v32, v33, v27
	v_fma_f32 v32, v32, v33, 1.0
	v_and_b32_e32 v33, 1, v2
	v_cmp_eq_u32_e32 vcc, 0, v33
	v_lshlrev_b32_e32 v2, 30, v2
	v_cndmask_b32_e64 v32, -v41, v32, vcc
	v_and_b32_e32 v2, 0x80000000, v2
	v_xor_b32_e32 v2, v2, v32
	v_cmp_class_f32_e64 vcc, v31, s39
	v_cndmask_b32_e32 v2, v30, v2, vcc
	v_mov_b32_e32 v31, s15
	v_add_co_u32_e32 v32, vcc, s14, v10
	v_addc_co_u32_e32 v33, vcc, v9, v31, vcc
	global_store_dword v[32:33], v2, off
	s_branch .LBB215_24
.LBB215_57:
	s_endpgm
	.section	.rodata,"a",@progbits
	.p2align	6, 0x0
	.amdhsa_kernel _ZN2at6native12_GLOBAL__N_125multi_tensor_apply_kernelINS1_18TensorListMetadataILi2EEENS1_14UnaryOpFunctorIfLi2ELi1ELi1EEEJNS0_3CosIfEEEEEvT_T0_DpT1_
		.amdhsa_group_segment_fixed_size 0
		.amdhsa_private_segment_fixed_size 0
		.amdhsa_kernarg_size 3408
		.amdhsa_user_sgpr_count 6
		.amdhsa_user_sgpr_private_segment_buffer 1
		.amdhsa_user_sgpr_dispatch_ptr 0
		.amdhsa_user_sgpr_queue_ptr 0
		.amdhsa_user_sgpr_kernarg_segment_ptr 1
		.amdhsa_user_sgpr_dispatch_id 0
		.amdhsa_user_sgpr_flat_scratch_init 0
		.amdhsa_user_sgpr_kernarg_preload_length 0
		.amdhsa_user_sgpr_kernarg_preload_offset 0
		.amdhsa_user_sgpr_private_segment_size 0
		.amdhsa_uses_dynamic_stack 0
		.amdhsa_system_sgpr_private_segment_wavefront_offset 0
		.amdhsa_system_sgpr_workgroup_id_x 1
		.amdhsa_system_sgpr_workgroup_id_y 0
		.amdhsa_system_sgpr_workgroup_id_z 0
		.amdhsa_system_sgpr_workgroup_info 0
		.amdhsa_system_vgpr_workitem_id 0
		.amdhsa_next_free_vgpr 56
		.amdhsa_next_free_sgpr 44
		.amdhsa_accum_offset 56
		.amdhsa_reserve_vcc 1
		.amdhsa_reserve_flat_scratch 0
		.amdhsa_float_round_mode_32 0
		.amdhsa_float_round_mode_16_64 0
		.amdhsa_float_denorm_mode_32 3
		.amdhsa_float_denorm_mode_16_64 3
		.amdhsa_dx10_clamp 1
		.amdhsa_ieee_mode 1
		.amdhsa_fp16_overflow 0
		.amdhsa_tg_split 0
		.amdhsa_exception_fp_ieee_invalid_op 0
		.amdhsa_exception_fp_denorm_src 0
		.amdhsa_exception_fp_ieee_div_zero 0
		.amdhsa_exception_fp_ieee_overflow 0
		.amdhsa_exception_fp_ieee_underflow 0
		.amdhsa_exception_fp_ieee_inexact 0
		.amdhsa_exception_int_div_zero 0
	.end_amdhsa_kernel
	.section	.text._ZN2at6native12_GLOBAL__N_125multi_tensor_apply_kernelINS1_18TensorListMetadataILi2EEENS1_14UnaryOpFunctorIfLi2ELi1ELi1EEEJNS0_3CosIfEEEEEvT_T0_DpT1_,"axG",@progbits,_ZN2at6native12_GLOBAL__N_125multi_tensor_apply_kernelINS1_18TensorListMetadataILi2EEENS1_14UnaryOpFunctorIfLi2ELi1ELi1EEEJNS0_3CosIfEEEEEvT_T0_DpT1_,comdat
.Lfunc_end215:
	.size	_ZN2at6native12_GLOBAL__N_125multi_tensor_apply_kernelINS1_18TensorListMetadataILi2EEENS1_14UnaryOpFunctorIfLi2ELi1ELi1EEEJNS0_3CosIfEEEEEvT_T0_DpT1_, .Lfunc_end215-_ZN2at6native12_GLOBAL__N_125multi_tensor_apply_kernelINS1_18TensorListMetadataILi2EEENS1_14UnaryOpFunctorIfLi2ELi1ELi1EEEJNS0_3CosIfEEEEEvT_T0_DpT1_
                                        ; -- End function
	.section	.AMDGPU.csdata,"",@progbits
; Kernel info:
; codeLenInByte = 7404
; NumSgprs: 48
; NumVgprs: 56
; NumAgprs: 0
; TotalNumVgprs: 56
; ScratchSize: 0
; MemoryBound: 0
; FloatMode: 240
; IeeeMode: 1
; LDSByteSize: 0 bytes/workgroup (compile time only)
; SGPRBlocks: 5
; VGPRBlocks: 6
; NumSGPRsForWavesPerEU: 48
; NumVGPRsForWavesPerEU: 56
; AccumOffset: 56
; Occupancy: 8
; WaveLimiterHint : 0
; COMPUTE_PGM_RSRC2:SCRATCH_EN: 0
; COMPUTE_PGM_RSRC2:USER_SGPR: 6
; COMPUTE_PGM_RSRC2:TRAP_HANDLER: 0
; COMPUTE_PGM_RSRC2:TGID_X_EN: 1
; COMPUTE_PGM_RSRC2:TGID_Y_EN: 0
; COMPUTE_PGM_RSRC2:TGID_Z_EN: 0
; COMPUTE_PGM_RSRC2:TIDIG_COMP_CNT: 0
; COMPUTE_PGM_RSRC3_GFX90A:ACCUM_OFFSET: 13
; COMPUTE_PGM_RSRC3_GFX90A:TG_SPLIT: 0
	.section	.text._ZN2at6native12_GLOBAL__N_125multi_tensor_apply_kernelINS1_18TensorListMetadataILi2EEENS1_14UnaryOpFunctorIN3c107complexIdEELi2ELi1ELi1EEEJNS0_3CosIS8_EEEEEvT_T0_DpT1_,"axG",@progbits,_ZN2at6native12_GLOBAL__N_125multi_tensor_apply_kernelINS1_18TensorListMetadataILi2EEENS1_14UnaryOpFunctorIN3c107complexIdEELi2ELi1ELi1EEEJNS0_3CosIS8_EEEEEvT_T0_DpT1_,comdat
	.globl	_ZN2at6native12_GLOBAL__N_125multi_tensor_apply_kernelINS1_18TensorListMetadataILi2EEENS1_14UnaryOpFunctorIN3c107complexIdEELi2ELi1ELi1EEEJNS0_3CosIS8_EEEEEvT_T0_DpT1_ ; -- Begin function _ZN2at6native12_GLOBAL__N_125multi_tensor_apply_kernelINS1_18TensorListMetadataILi2EEENS1_14UnaryOpFunctorIN3c107complexIdEELi2ELi1ELi1EEEJNS0_3CosIS8_EEEEEvT_T0_DpT1_
	.p2align	8
	.type	_ZN2at6native12_GLOBAL__N_125multi_tensor_apply_kernelINS1_18TensorListMetadataILi2EEENS1_14UnaryOpFunctorIN3c107complexIdEELi2ELi1ELi1EEEJNS0_3CosIS8_EEEEEvT_T0_DpT1_,@function
_ZN2at6native12_GLOBAL__N_125multi_tensor_apply_kernelINS1_18TensorListMetadataILi2EEENS1_14UnaryOpFunctorIN3c107complexIdEELi2ELi1ELi1EEEJNS0_3CosIS8_EEEEEvT_T0_DpT1_: ; @_ZN2at6native12_GLOBAL__N_125multi_tensor_apply_kernelINS1_18TensorListMetadataILi2EEENS1_14UnaryOpFunctorIN3c107complexIdEELi2ELi1ELi1EEEJNS0_3CosIS8_EEEEEvT_T0_DpT1_
; %bb.0:
	v_mov_b32_e32 v54, v0
	v_mov_b32_e32 v0, s8
	global_load_ubyte v0, v0, s[4:5] offset:1536
	s_add_u32 flat_scratch_lo, s6, s9
	s_addc_u32 flat_scratch_hi, s7, 0
	s_add_u32 s0, s0, s9
	s_addc_u32 s1, s1, 0
	s_mov_b64 s[40:41], s[4:5]
	s_add_u32 s4, s40, s8
	s_mul_hi_u32 s6, s8, 3
	s_mul_i32 s8, s8, 3
	s_addc_u32 s9, s41, 0
	s_add_u32 s8, s4, s8
	s_addc_u32 s9, s9, s6
	s_load_dword s8, s[8:9], 0x740
	s_mov_b32 s5, 0
	s_mov_b32 s7, s5
	;; [unrolled: 1-line block ×4, first 2 shown]
	s_waitcnt lgkmcnt(0)
	s_ashr_i32 s9, s8, 31
	s_lshl_b64 s[46:47], s[8:9], 20
	s_waitcnt vmcnt(0)
	v_readfirstlane_b32 s4, v0
	s_lshl_b32 s4, s4, 3
	s_load_dwordx2 s[44:45], s[40:41], s4 offset:0x0
	s_load_dwordx2 s[10:11], s[40:41], s4 offset:0x400
	;; [unrolled: 1-line block ×3, first 2 shown]
	s_waitcnt lgkmcnt(0)
	s_add_u32 s33, s44, s46
	s_addc_u32 s56, s45, s47
	s_add_u32 s57, s42, s46
	s_addc_u32 s58, s43, s47
	s_and_b32 s6, s33, 63
	s_and_b32 s12, s10, 3
	;; [unrolled: 1-line block ×3, first 2 shown]
	s_or_b64 s[6:7], s[6:7], s[12:13]
	s_lshl_b64 s[8:9], s[8:9], 16
	s_or_b64 s[6:7], s[4:5], s[6:7]
	s_sub_u32 s48, s10, s8
	s_subb_u32 s49, s11, s9
	s_cmp_eq_u64 s[6:7], 0
	s_mov_b64 s[6:7], -1
	s_cbranch_scc0 .LBB216_5
; %bb.1:
	v_mov_b32_e32 v61, 0
	v_lshlrev_b32_e32 v60, 2, v54
	v_cmp_gt_i64_e32 vcc, s[48:49], v[60:61]
	s_and_saveexec_b64 s[50:51], vcc
	s_cbranch_execz .LBB216_4
; %bb.2:
	s_load_dword s4, s[40:41], 0xc5c
	v_lshlrev_b32_e32 v62, 6, v54
	s_mov_b64 s[52:53], 0
	s_mov_b64 s[54:55], 0xffff
	v_mov_b32_e32 v41, s5
	s_waitcnt lgkmcnt(0)
	s_and_b32 s4, s4, 0xffff
	v_add_lshl_u32 v60, v54, s4, 2
	s_lshl_b32 s59, s4, 2
	s_lshl_b32 s60, s4, 6
.LBB216_3:                              ; =>This Inner Loop Header: Depth=1
	v_mov_b32_e32 v1, s56
	v_add_co_u32_e32 v0, vcc, s33, v62
	v_addc_co_u32_e32 v1, vcc, 0, v1, vcc
	global_load_dwordx4 v[2:5], v[0:1], off
	global_load_dwordx4 v[42:45], v[0:1], off offset:16
	global_load_dwordx4 v[46:49], v[0:1], off offset:48
	;; [unrolled: 1-line block ×3, first 2 shown]
	s_getpc_b64 s[62:63]
	s_add_u32 s62, s62, _ZN6thrust23THRUST_200600_302600_NS6detail7complex5ccoshERKNS0_7complexIdEE@rel32@lo+4
	s_addc_u32 s63, s63, _ZN6thrust23THRUST_200600_302600_NS6detail7complex5ccoshERKNS0_7complexIdEE@rel32@hi+12
	s_waitcnt vmcnt(3)
	v_xor_b32_e32 v1, 0x80000000, v5
	v_mov_b32_e32 v0, v4
	s_swappc_b64 s[30:31], s[62:63]
	v_mov_b32_e32 v56, v0
	v_mov_b32_e32 v57, v1
	v_mov_b32_e32 v58, v2
	v_mov_b32_e32 v59, v3
	v_xor_b32_e32 v1, 0x80000000, v45
	v_mov_b32_e32 v0, v44
	v_mov_b32_e32 v2, v42
	v_mov_b32_e32 v3, v43
	s_swappc_b64 s[30:31], s[62:63]
	v_mov_b32_e32 v42, v0
	v_mov_b32_e32 v43, v1
	v_mov_b32_e32 v44, v2
	v_mov_b32_e32 v45, v3
	v_xor_b32_e32 v1, 0x80000000, v53
	v_mov_b32_e32 v0, v52
	v_mov_b32_e32 v2, v50
	;; [unrolled: 9-line block ×3, first 2 shown]
	v_mov_b32_e32 v3, v47
	s_swappc_b64 s[30:31], s[62:63]
	v_cmp_le_i64_e32 vcc, s[48:49], v[60:61]
	v_cmp_lt_u64_e64 s[4:5], s[54:55], v[60:61]
	s_or_b64 s[4:5], vcc, s[4:5]
	v_add_co_u32_e64 v60, s[6:7], s59, v60
	s_add_u32 s33, s33, s60
	v_addc_co_u32_e64 v61, s[6:7], v61, v41, s[6:7]
	s_addc_u32 s56, s56, 0
	v_add_co_u32_e64 v4, s[6:7], s57, v62
	s_add_u32 s57, s57, s60
	v_mov_b32_e32 v5, s58
	s_addc_u32 s58, s58, 0
	s_and_b64 s[4:5], exec, s[4:5]
	v_addc_co_u32_e64 v5, s[6:7], 0, v5, s[6:7]
	s_or_b64 s[52:53], s[4:5], s[52:53]
	global_store_dwordx4 v[4:5], v[56:59], off
	global_store_dwordx4 v[4:5], v[42:45], off offset:16
	global_store_dwordx4 v[4:5], v[50:53], off offset:32
	;; [unrolled: 1-line block ×3, first 2 shown]
	s_andn2_b64 exec, exec, s[52:53]
	s_cbranch_execnz .LBB216_3
.LBB216_4:
	s_or_b64 exec, exec, s[50:51]
	s_mov_b64 s[6:7], 0
.LBB216_5:
	s_andn2_b64 vcc, exec, s[6:7]
	s_cbranch_vccnz .LBB216_25
; %bb.6:
	v_cmp_lt_i64_e64 s[4:5], s[48:49], 1
	s_and_b64 vcc, exec, s[4:5]
	s_cbranch_vccnz .LBB216_25
; %bb.7:
	s_load_dword s4, s[40:41], 0xc5c
	v_mov_b32_e32 v0, 0x10000
	v_mov_b32_e32 v1, 0
	v_cmp_lt_u64_e32 vcc, s[48:49], v[0:1]
	v_lshl_or_b32 v0, v54, 4, 8
	s_waitcnt lgkmcnt(0)
	s_and_b32 s58, s4, 0xffff
	s_and_b64 s[4:5], vcc, exec
	v_mov_b32_e32 v4, s45
	v_add_co_u32_e32 v56, vcc, s44, v0
	v_addc_co_u32_e32 v57, vcc, 0, v4, vcc
	v_mov_b32_e32 v5, s43
	v_add_co_u32_e32 v58, vcc, s42, v0
	v_mov_b32_e32 v55, 0
	v_addc_co_u32_e32 v59, vcc, 0, v5, vcc
	v_add_lshl_u32 v6, v54, s58, 4
	v_mov_b32_e32 v1, v55
	v_add_co_u32_e32 v60, vcc, s42, v6
	v_addc_co_u32_e32 v61, vcc, 0, v5, vcc
	v_mad_u64_u32 v[2:3], s[4:5], s58, 48, v[0:1]
	v_add_co_u32_e32 v62, vcc, s44, v2
	v_addc_co_u32_e32 v63, vcc, v4, v3, vcc
	v_add_co_u32_e32 v64, vcc, s44, v6
	v_addc_co_u32_e32 v65, vcc, 0, v4, vcc
	v_add_co_u32_e32 v66, vcc, s42, v2
	s_cselect_b32 s51, s49, 0
	s_cselect_b32 s50, s48, 0x10000
	v_addc_co_u32_e32 v67, vcc, v5, v3, vcc
	s_lshl_b32 s4, s58, 5
	v_add_co_u32_e32 v0, vcc, s4, v0
	v_addc_co_u32_e64 v1, s[4:5], 0, 0, vcc
	v_add_co_u32_e32 v68, vcc, s44, v0
	s_mov_b32 s33, 0
	v_addc_co_u32_e32 v69, vcc, v4, v1, vcc
	s_lshl_b32 s52, s58, 2
	s_mov_b32 s53, s33
	v_add_co_u32_e32 v70, vcc, s42, v0
	s_lshl_b32 s59, s58, 1
	s_mov_b32 s60, s33
	s_mul_i32 s61, s58, 3
	s_mov_b32 s62, s33
	s_lshl_b32 s63, s58, 6
	s_mov_b32 s64, s33
	v_addc_co_u32_e32 v71, vcc, v5, v1, vcc
	s_mov_b64 s[54:55], s[52:53]
	s_branch .LBB216_9
.LBB216_8:                              ;   in Loop: Header=BB216_9 Depth=1
	s_or_b64 exec, exec, s[42:43]
	v_pk_mov_b32 v[0:1], s[48:49], s[48:49] op_sel:[0,1]
	v_cmp_ge_i64_e32 vcc, s[54:55], v[0:1]
	v_mov_b32_e32 v0, 0xffff
	v_mov_b32_e32 v1, 0
	v_cmp_gt_u64_e64 s[4:5], s[54:55], v[0:1]
	s_or_b64 s[4:5], vcc, s[4:5]
	v_mov_b32_e32 v0, s53
	v_add_co_u32_e32 v54, vcc, s52, v54
	v_addc_co_u32_e32 v55, vcc, v55, v0, vcc
	v_mov_b32_e32 v0, s64
	v_add_co_u32_e32 v56, vcc, s63, v56
	v_addc_co_u32_e32 v57, vcc, v57, v0, vcc
	v_add_co_u32_e32 v58, vcc, s63, v58
	v_addc_co_u32_e32 v59, vcc, v59, v0, vcc
	;; [unrolled: 2-line block ×7, first 2 shown]
	v_add_co_u32_e32 v70, vcc, s63, v70
	s_add_u32 s54, s54, s52
	v_addc_co_u32_e32 v71, vcc, v71, v0, vcc
	s_addc_u32 s55, s55, 0
	s_and_b64 vcc, exec, s[4:5]
	s_cbranch_vccnz .LBB216_25
.LBB216_9:                              ; =>This Inner Loop Header: Depth=1
	s_waitcnt vmcnt(0)
	v_pk_mov_b32 v[48:49], 0, 0
	v_cmp_gt_u64_e32 vcc, s[50:51], v[54:55]
	v_pk_mov_b32 v[4:5], v[48:49], v[48:49] op_sel:[0,1]
	v_pk_mov_b32 v[2:3], v[48:49], v[48:49] op_sel:[0,1]
	s_and_saveexec_b64 s[6:7], vcc
	s_cbranch_execz .LBB216_11
; %bb.10:                               ;   in Loop: Header=BB216_9 Depth=1
	v_mov_b32_e32 v1, s47
	v_add_co_u32_e64 v0, s[4:5], s46, v56
	v_addc_co_u32_e64 v1, s[4:5], v57, v1, s[4:5]
	global_load_dwordx4 v[2:5], v[0:1], off offset:-8
.LBB216_11:                             ;   in Loop: Header=BB216_9 Depth=1
	s_or_b64 exec, exec, s[6:7]
	v_mov_b32_e32 v1, s33
	v_add_co_u32_e64 v0, s[4:5], s58, v54
	v_addc_co_u32_e64 v1, s[4:5], v1, v55, s[4:5]
	v_cmp_gt_u64_e64 s[44:45], s[50:51], v[0:1]
	v_pk_mov_b32 v[46:47], v[48:49], v[48:49] op_sel:[0,1]
	s_and_saveexec_b64 s[6:7], s[44:45]
	s_cbranch_execz .LBB216_13
; %bb.12:                               ;   in Loop: Header=BB216_9 Depth=1
	v_mov_b32_e32 v1, s47
	v_add_co_u32_e64 v0, s[4:5], s46, v64
	v_addc_co_u32_e64 v1, s[4:5], v65, v1, s[4:5]
	global_load_dwordx4 v[46:49], v[0:1], off
.LBB216_13:                             ;   in Loop: Header=BB216_9 Depth=1
	s_or_b64 exec, exec, s[6:7]
	v_mov_b32_e32 v1, s60
	v_add_co_u32_e64 v0, s[4:5], s59, v54
	v_addc_co_u32_e64 v1, s[4:5], v1, v55, s[4:5]
	v_pk_mov_b32 v[44:45], 0, 0
	v_cmp_gt_u64_e64 s[42:43], s[50:51], v[0:1]
	v_pk_mov_b32 v[52:53], v[44:45], v[44:45] op_sel:[0,1]
	v_pk_mov_b32 v[50:51], v[44:45], v[44:45] op_sel:[0,1]
	s_and_saveexec_b64 s[6:7], s[42:43]
	s_cbranch_execz .LBB216_15
; %bb.14:                               ;   in Loop: Header=BB216_9 Depth=1
	v_mov_b32_e32 v1, s47
	v_add_co_u32_e64 v0, s[4:5], s46, v68
	v_addc_co_u32_e64 v1, s[4:5], v69, v1, s[4:5]
	global_load_dwordx4 v[50:53], v[0:1], off offset:-8
.LBB216_15:                             ;   in Loop: Header=BB216_9 Depth=1
	s_or_b64 exec, exec, s[6:7]
	v_mov_b32_e32 v1, s62
	v_add_co_u32_e64 v0, s[4:5], s61, v54
	v_addc_co_u32_e64 v1, s[4:5], v1, v55, s[4:5]
	v_cmp_gt_u64_e64 s[40:41], s[50:51], v[0:1]
	v_pk_mov_b32 v[42:43], v[44:45], v[44:45] op_sel:[0,1]
	s_and_saveexec_b64 s[6:7], s[40:41]
	s_cbranch_execnz .LBB216_20
; %bb.16:                               ;   in Loop: Header=BB216_9 Depth=1
	s_or_b64 exec, exec, s[6:7]
	s_and_saveexec_b64 s[56:57], vcc
	s_cbranch_execnz .LBB216_21
.LBB216_17:                             ;   in Loop: Header=BB216_9 Depth=1
	s_or_b64 exec, exec, s[56:57]
	s_and_saveexec_b64 s[56:57], s[44:45]
	s_cbranch_execnz .LBB216_22
.LBB216_18:                             ;   in Loop: Header=BB216_9 Depth=1
	s_or_b64 exec, exec, s[56:57]
	s_and_saveexec_b64 s[44:45], s[42:43]
	s_cbranch_execnz .LBB216_23
.LBB216_19:                             ;   in Loop: Header=BB216_9 Depth=1
	s_or_b64 exec, exec, s[44:45]
	s_and_saveexec_b64 s[42:43], s[40:41]
	s_cbranch_execz .LBB216_8
	s_branch .LBB216_24
.LBB216_20:                             ;   in Loop: Header=BB216_9 Depth=1
	v_mov_b32_e32 v1, s47
	v_add_co_u32_e64 v0, s[4:5], s46, v62
	v_addc_co_u32_e64 v1, s[4:5], v63, v1, s[4:5]
	global_load_dwordx4 v[42:45], v[0:1], off offset:-8
	s_or_b64 exec, exec, s[6:7]
	s_and_saveexec_b64 s[56:57], vcc
	s_cbranch_execz .LBB216_17
.LBB216_21:                             ;   in Loop: Header=BB216_9 Depth=1
	s_waitcnt vmcnt(0)
	v_xor_b32_e32 v1, 0x80000000, v5
	v_mov_b32_e32 v0, v4
	s_getpc_b64 s[4:5]
	s_add_u32 s4, s4, _ZN6thrust23THRUST_200600_302600_NS6detail7complex5ccoshERKNS0_7complexIdEE@rel32@lo+4
	s_addc_u32 s5, s5, _ZN6thrust23THRUST_200600_302600_NS6detail7complex5ccoshERKNS0_7complexIdEE@rel32@hi+12
	s_swappc_b64 s[30:31], s[4:5]
	v_mov_b32_e32 v5, s47
	v_add_co_u32_e32 v4, vcc, s46, v58
	v_addc_co_u32_e32 v5, vcc, v59, v5, vcc
	global_store_dwordx4 v[4:5], v[0:3], off offset:-8
	s_or_b64 exec, exec, s[56:57]
	s_and_saveexec_b64 s[56:57], s[44:45]
	s_cbranch_execz .LBB216_18
.LBB216_22:                             ;   in Loop: Header=BB216_9 Depth=1
	s_waitcnt vmcnt(0)
	v_xor_b32_e32 v1, 0x80000000, v49
	v_mov_b32_e32 v0, v48
	v_mov_b32_e32 v2, v46
	;; [unrolled: 1-line block ×3, first 2 shown]
	s_getpc_b64 s[4:5]
	s_add_u32 s4, s4, _ZN6thrust23THRUST_200600_302600_NS6detail7complex5ccoshERKNS0_7complexIdEE@rel32@lo+4
	s_addc_u32 s5, s5, _ZN6thrust23THRUST_200600_302600_NS6detail7complex5ccoshERKNS0_7complexIdEE@rel32@hi+12
	s_swappc_b64 s[30:31], s[4:5]
	v_mov_b32_e32 v5, s47
	v_add_co_u32_e32 v4, vcc, s46, v60
	v_addc_co_u32_e32 v5, vcc, v61, v5, vcc
	global_store_dwordx4 v[4:5], v[0:3], off
	s_or_b64 exec, exec, s[56:57]
	s_and_saveexec_b64 s[44:45], s[42:43]
	s_cbranch_execz .LBB216_19
.LBB216_23:                             ;   in Loop: Header=BB216_9 Depth=1
	s_waitcnt vmcnt(0)
	v_xor_b32_e32 v1, 0x80000000, v53
	v_mov_b32_e32 v0, v52
	v_mov_b32_e32 v2, v50
	;; [unrolled: 1-line block ×3, first 2 shown]
	s_getpc_b64 s[4:5]
	s_add_u32 s4, s4, _ZN6thrust23THRUST_200600_302600_NS6detail7complex5ccoshERKNS0_7complexIdEE@rel32@lo+4
	s_addc_u32 s5, s5, _ZN6thrust23THRUST_200600_302600_NS6detail7complex5ccoshERKNS0_7complexIdEE@rel32@hi+12
	s_swappc_b64 s[30:31], s[4:5]
	v_mov_b32_e32 v5, s47
	v_add_co_u32_e32 v4, vcc, s46, v70
	v_addc_co_u32_e32 v5, vcc, v71, v5, vcc
	global_store_dwordx4 v[4:5], v[0:3], off offset:-8
	s_or_b64 exec, exec, s[44:45]
	s_and_saveexec_b64 s[42:43], s[40:41]
	s_cbranch_execz .LBB216_8
.LBB216_24:                             ;   in Loop: Header=BB216_9 Depth=1
	s_waitcnt vmcnt(0)
	v_xor_b32_e32 v1, 0x80000000, v45
	v_mov_b32_e32 v0, v44
	v_mov_b32_e32 v2, v42
	;; [unrolled: 1-line block ×3, first 2 shown]
	s_getpc_b64 s[4:5]
	s_add_u32 s4, s4, _ZN6thrust23THRUST_200600_302600_NS6detail7complex5ccoshERKNS0_7complexIdEE@rel32@lo+4
	s_addc_u32 s5, s5, _ZN6thrust23THRUST_200600_302600_NS6detail7complex5ccoshERKNS0_7complexIdEE@rel32@hi+12
	s_swappc_b64 s[30:31], s[4:5]
	v_mov_b32_e32 v5, s47
	v_add_co_u32_e32 v4, vcc, s46, v66
	v_addc_co_u32_e32 v5, vcc, v67, v5, vcc
	global_store_dwordx4 v[4:5], v[0:3], off offset:-8
	s_branch .LBB216_8
.LBB216_25:
	s_endpgm
	.section	.rodata,"a",@progbits
	.p2align	6, 0x0
	.amdhsa_kernel _ZN2at6native12_GLOBAL__N_125multi_tensor_apply_kernelINS1_18TensorListMetadataILi2EEENS1_14UnaryOpFunctorIN3c107complexIdEELi2ELi1ELi1EEEJNS0_3CosIS8_EEEEEvT_T0_DpT1_
		.amdhsa_group_segment_fixed_size 0
		.amdhsa_private_segment_fixed_size 8
		.amdhsa_kernarg_size 3408
		.amdhsa_user_sgpr_count 8
		.amdhsa_user_sgpr_private_segment_buffer 1
		.amdhsa_user_sgpr_dispatch_ptr 0
		.amdhsa_user_sgpr_queue_ptr 0
		.amdhsa_user_sgpr_kernarg_segment_ptr 1
		.amdhsa_user_sgpr_dispatch_id 0
		.amdhsa_user_sgpr_flat_scratch_init 1
		.amdhsa_user_sgpr_kernarg_preload_length 0
		.amdhsa_user_sgpr_kernarg_preload_offset 0
		.amdhsa_user_sgpr_private_segment_size 0
		.amdhsa_uses_dynamic_stack 0
		.amdhsa_system_sgpr_private_segment_wavefront_offset 1
		.amdhsa_system_sgpr_workgroup_id_x 1
		.amdhsa_system_sgpr_workgroup_id_y 0
		.amdhsa_system_sgpr_workgroup_id_z 0
		.amdhsa_system_sgpr_workgroup_info 0
		.amdhsa_system_vgpr_workitem_id 0
		.amdhsa_next_free_vgpr 72
		.amdhsa_next_free_sgpr 65
		.amdhsa_accum_offset 72
		.amdhsa_reserve_vcc 1
		.amdhsa_reserve_flat_scratch 1
		.amdhsa_float_round_mode_32 0
		.amdhsa_float_round_mode_16_64 0
		.amdhsa_float_denorm_mode_32 3
		.amdhsa_float_denorm_mode_16_64 3
		.amdhsa_dx10_clamp 1
		.amdhsa_ieee_mode 1
		.amdhsa_fp16_overflow 0
		.amdhsa_tg_split 0
		.amdhsa_exception_fp_ieee_invalid_op 0
		.amdhsa_exception_fp_denorm_src 0
		.amdhsa_exception_fp_ieee_div_zero 0
		.amdhsa_exception_fp_ieee_overflow 0
		.amdhsa_exception_fp_ieee_underflow 0
		.amdhsa_exception_fp_ieee_inexact 0
		.amdhsa_exception_int_div_zero 0
	.end_amdhsa_kernel
	.section	.text._ZN2at6native12_GLOBAL__N_125multi_tensor_apply_kernelINS1_18TensorListMetadataILi2EEENS1_14UnaryOpFunctorIN3c107complexIdEELi2ELi1ELi1EEEJNS0_3CosIS8_EEEEEvT_T0_DpT1_,"axG",@progbits,_ZN2at6native12_GLOBAL__N_125multi_tensor_apply_kernelINS1_18TensorListMetadataILi2EEENS1_14UnaryOpFunctorIN3c107complexIdEELi2ELi1ELi1EEEJNS0_3CosIS8_EEEEEvT_T0_DpT1_,comdat
.Lfunc_end216:
	.size	_ZN2at6native12_GLOBAL__N_125multi_tensor_apply_kernelINS1_18TensorListMetadataILi2EEENS1_14UnaryOpFunctorIN3c107complexIdEELi2ELi1ELi1EEEJNS0_3CosIS8_EEEEEvT_T0_DpT1_, .Lfunc_end216-_ZN2at6native12_GLOBAL__N_125multi_tensor_apply_kernelINS1_18TensorListMetadataILi2EEENS1_14UnaryOpFunctorIN3c107complexIdEELi2ELi1ELi1EEEJNS0_3CosIS8_EEEEEvT_T0_DpT1_
                                        ; -- End function
	.section	.AMDGPU.csdata,"",@progbits
; Kernel info:
; codeLenInByte = 1660
; NumSgprs: 71
; NumVgprs: 72
; NumAgprs: 0
; TotalNumVgprs: 72
; ScratchSize: 8
; MemoryBound: 1
; FloatMode: 240
; IeeeMode: 1
; LDSByteSize: 0 bytes/workgroup (compile time only)
; SGPRBlocks: 8
; VGPRBlocks: 8
; NumSGPRsForWavesPerEU: 71
; NumVGPRsForWavesPerEU: 72
; AccumOffset: 72
; Occupancy: 7
; WaveLimiterHint : 0
; COMPUTE_PGM_RSRC2:SCRATCH_EN: 1
; COMPUTE_PGM_RSRC2:USER_SGPR: 8
; COMPUTE_PGM_RSRC2:TRAP_HANDLER: 0
; COMPUTE_PGM_RSRC2:TGID_X_EN: 1
; COMPUTE_PGM_RSRC2:TGID_Y_EN: 0
; COMPUTE_PGM_RSRC2:TGID_Z_EN: 0
; COMPUTE_PGM_RSRC2:TIDIG_COMP_CNT: 0
; COMPUTE_PGM_RSRC3_GFX90A:ACCUM_OFFSET: 17
; COMPUTE_PGM_RSRC3_GFX90A:TG_SPLIT: 0
	.section	.text._ZN2at6native12_GLOBAL__N_125multi_tensor_apply_kernelINS1_18TensorListMetadataILi2EEENS1_14UnaryOpFunctorIN3c107complexIfEELi2ELi1ELi1EEEJNS0_3CosIS8_EEEEEvT_T0_DpT1_,"axG",@progbits,_ZN2at6native12_GLOBAL__N_125multi_tensor_apply_kernelINS1_18TensorListMetadataILi2EEENS1_14UnaryOpFunctorIN3c107complexIfEELi2ELi1ELi1EEEJNS0_3CosIS8_EEEEEvT_T0_DpT1_,comdat
	.globl	_ZN2at6native12_GLOBAL__N_125multi_tensor_apply_kernelINS1_18TensorListMetadataILi2EEENS1_14UnaryOpFunctorIN3c107complexIfEELi2ELi1ELi1EEEJNS0_3CosIS8_EEEEEvT_T0_DpT1_ ; -- Begin function _ZN2at6native12_GLOBAL__N_125multi_tensor_apply_kernelINS1_18TensorListMetadataILi2EEENS1_14UnaryOpFunctorIN3c107complexIfEELi2ELi1ELi1EEEJNS0_3CosIS8_EEEEEvT_T0_DpT1_
	.p2align	8
	.type	_ZN2at6native12_GLOBAL__N_125multi_tensor_apply_kernelINS1_18TensorListMetadataILi2EEENS1_14UnaryOpFunctorIN3c107complexIfEELi2ELi1ELi1EEEJNS0_3CosIS8_EEEEEvT_T0_DpT1_,@function
_ZN2at6native12_GLOBAL__N_125multi_tensor_apply_kernelINS1_18TensorListMetadataILi2EEENS1_14UnaryOpFunctorIN3c107complexIfEELi2ELi1ELi1EEEJNS0_3CosIS8_EEEEEvT_T0_DpT1_: ; @_ZN2at6native12_GLOBAL__N_125multi_tensor_apply_kernelINS1_18TensorListMetadataILi2EEENS1_14UnaryOpFunctorIN3c107complexIfEELi2ELi1ELi1EEEJNS0_3CosIS8_EEEEEvT_T0_DpT1_
; %bb.0:
	v_mov_b32_e32 v22, v0
	v_mov_b32_e32 v0, s8
	global_load_ubyte v0, v0, s[4:5] offset:1536
	s_add_u32 flat_scratch_lo, s6, s9
	s_addc_u32 flat_scratch_hi, s7, 0
	s_add_u32 s0, s0, s9
	s_addc_u32 s1, s1, 0
	s_mov_b64 s[26:27], s[4:5]
	s_add_u32 s4, s26, s8
	s_mul_hi_u32 s6, s8, 3
	s_mul_i32 s8, s8, 3
	s_addc_u32 s9, s27, 0
	s_add_u32 s8, s4, s8
	s_addc_u32 s9, s9, s6
	s_load_dword s8, s[8:9], 0x740
	s_mov_b32 s5, 0
	s_mov_b32 s7, s5
	;; [unrolled: 1-line block ×4, first 2 shown]
	s_waitcnt lgkmcnt(0)
	s_ashr_i32 s9, s8, 31
	s_lshl_b64 s[36:37], s[8:9], 19
	s_waitcnt vmcnt(0)
	v_readfirstlane_b32 s4, v0
	s_lshl_b32 s4, s4, 3
	s_load_dwordx2 s[28:29], s[26:27], s4 offset:0x0
	s_load_dwordx2 s[10:11], s[26:27], s4 offset:0x400
	;; [unrolled: 1-line block ×3, first 2 shown]
	s_waitcnt lgkmcnt(0)
	s_add_u32 s33, s28, s36
	s_addc_u32 s46, s29, s37
	s_add_u32 s47, s34, s36
	s_addc_u32 s48, s35, s37
	s_and_b32 s6, s33, 31
	s_and_b32 s12, s10, 3
	;; [unrolled: 1-line block ×3, first 2 shown]
	s_or_b64 s[6:7], s[6:7], s[12:13]
	s_lshl_b64 s[8:9], s[8:9], 16
	s_or_b64 s[6:7], s[4:5], s[6:7]
	s_sub_u32 s38, s10, s8
	s_subb_u32 s39, s11, s9
	s_cmp_eq_u64 s[6:7], 0
	s_mov_b64 s[6:7], -1
	s_cbranch_scc0 .LBB217_5
; %bb.1:
	v_mov_b32_e32 v33, 0
	v_lshlrev_b32_e32 v32, 2, v22
	v_cmp_gt_i64_e32 vcc, s[38:39], v[32:33]
	s_and_saveexec_b64 s[40:41], vcc
	s_cbranch_execz .LBB217_4
; %bb.2:
	s_load_dword s4, s[26:27], 0xc5c
	v_lshlrev_b32_e32 v34, 5, v22
	s_mov_b64 s[42:43], 0
	s_mov_b64 s[44:45], 0xffff
	v_mov_b32_e32 v23, s5
	s_waitcnt lgkmcnt(0)
	s_and_b32 s4, s4, 0xffff
	v_add_lshl_u32 v32, v22, s4, 2
	s_lshl_b32 s49, s4, 2
	s_lshl_b32 s50, s4, 5
.LBB217_3:                              ; =>This Inner Loop Header: Depth=1
	v_mov_b32_e32 v1, s46
	v_add_co_u32_e32 v0, vcc, s33, v34
	v_addc_co_u32_e32 v1, vcc, 0, v1, vcc
	global_load_dwordx4 v[24:27], v[0:1], off
	global_load_dwordx4 v[28:31], v[0:1], off offset:16
	s_getpc_b64 s[52:53]
	s_add_u32 s52, s52, _ZN6thrust23THRUST_200600_302600_NS6detail7complex6ccoshfERKNS0_7complexIfEE@rel32@lo+4
	s_addc_u32 s53, s53, _ZN6thrust23THRUST_200600_302600_NS6detail7complex6ccoshfERKNS0_7complexIfEE@rel32@hi+12
	s_waitcnt vmcnt(1)
	v_xor_b32_e32 v0, 0x80000000, v25
	v_mov_b32_e32 v1, v24
	s_swappc_b64 s[30:31], s[52:53]
	v_mov_b32_e32 v24, v0
	v_mov_b32_e32 v25, v1
	v_xor_b32_e32 v0, 0x80000000, v27
	v_mov_b32_e32 v1, v26
	s_swappc_b64 s[30:31], s[52:53]
	v_mov_b32_e32 v26, v0
	v_mov_b32_e32 v27, v1
	;; [unrolled: 5-line block ×3, first 2 shown]
	v_xor_b32_e32 v0, 0x80000000, v31
	v_mov_b32_e32 v1, v30
	s_swappc_b64 s[30:31], s[52:53]
	v_cmp_le_i64_e32 vcc, s[38:39], v[32:33]
	v_cmp_lt_u64_e64 s[4:5], s[44:45], v[32:33]
	s_or_b64 s[4:5], vcc, s[4:5]
	v_add_co_u32_e64 v32, s[6:7], s49, v32
	s_add_u32 s33, s33, s50
	v_addc_co_u32_e64 v33, s[6:7], v33, v23, s[6:7]
	s_addc_u32 s46, s46, 0
	v_mov_b32_e32 v30, v0
	v_add_co_u32_e64 v0, s[6:7], s47, v34
	s_add_u32 s47, s47, s50
	v_mov_b32_e32 v31, v1
	v_mov_b32_e32 v1, s48
	s_addc_u32 s48, s48, 0
	s_and_b64 s[4:5], exec, s[4:5]
	v_addc_co_u32_e64 v1, s[6:7], 0, v1, s[6:7]
	s_or_b64 s[42:43], s[4:5], s[42:43]
	global_store_dwordx4 v[0:1], v[24:27], off
	global_store_dwordx4 v[0:1], v[28:31], off offset:16
	s_andn2_b64 exec, exec, s[42:43]
	s_cbranch_execnz .LBB217_3
.LBB217_4:
	s_or_b64 exec, exec, s[40:41]
	s_mov_b64 s[6:7], 0
.LBB217_5:
	s_andn2_b64 vcc, exec, s[6:7]
	s_cbranch_vccnz .LBB217_25
; %bb.6:
	v_cmp_lt_i64_e64 s[4:5], s[38:39], 1
	s_and_b64 vcc, exec, s[4:5]
	s_cbranch_vccnz .LBB217_25
; %bb.7:
	s_load_dword s4, s[26:27], 0xc5c
	v_mov_b32_e32 v0, 0x10000
	v_mov_b32_e32 v1, 0
	v_cmp_lt_u64_e32 vcc, s[38:39], v[0:1]
	v_lshlrev_b32_e32 v0, 3, v22
	s_waitcnt lgkmcnt(0)
	s_and_b32 s33, s4, 0xffff
	s_and_b64 s[4:5], vcc, exec
	v_mov_b32_e32 v4, s29
	v_add_co_u32_e32 v24, vcc, s28, v0
	v_addc_co_u32_e32 v25, vcc, 0, v4, vcc
	v_mov_b32_e32 v5, s35
	v_add_co_u32_e32 v2, vcc, s34, v0
	v_mov_b32_e32 v23, 0
	v_addc_co_u32_e32 v3, vcc, 0, v5, vcc
	v_mov_b32_e32 v1, v23
	v_add_co_u32_e32 v26, vcc, 4, v2
	v_addc_co_u32_e32 v27, vcc, 0, v3, vcc
	v_mad_u64_u32 v[2:3], s[4:5], s33, 24, v[0:1]
	v_add_co_u32_e32 v28, vcc, s28, v2
	v_addc_co_u32_e32 v29, vcc, v4, v3, vcc
	v_add_co_u32_e32 v1, vcc, s34, v2
	v_addc_co_u32_e32 v2, vcc, v3, v5, vcc
	v_add_co_u32_e32 v30, vcc, 4, v1
	s_cselect_b32 s41, s39, 0
	s_cselect_b32 s40, s38, 0x10000
	v_addc_co_u32_e32 v31, vcc, 0, v2, vcc
	s_lshl_b32 s4, s33, 4
	v_add_co_u32_e32 v0, vcc, s4, v0
	v_addc_co_u32_e64 v1, s[4:5], 0, 0, vcc
	v_add_co_u32_e32 v32, vcc, s28, v0
	v_addc_co_u32_e32 v33, vcc, v4, v1, vcc
	v_add_lshl_u32 v2, v22, s33, 3
	v_mov_b32_e32 v3, s35
	v_add_co_u32_e32 v34, vcc, s34, v2
	v_addc_co_u32_e32 v35, vcc, 0, v3, vcc
	v_add_co_u32_e32 v0, vcc, s34, v0
	v_addc_co_u32_e32 v1, vcc, v1, v5, vcc
	v_add_co_u32_e32 v36, vcc, 4, v0
	s_mov_b32 s6, 0
	v_addc_co_u32_e32 v37, vcc, 0, v1, vcc
	s_lshl_b32 s42, s33, 2
	s_mov_b32 s43, s6
	v_add_co_u32_e32 v38, vcc, s28, v2
	s_lshl_b32 s48, s33, 1
	s_mov_b32 s49, s6
	s_mul_i32 s50, s33, 3
	s_mov_b32 s51, s6
	s_lshl_b32 s52, s33, 5
	s_mov_b32 s53, s6
	v_addc_co_u32_e32 v39, vcc, 0, v4, vcc
	v_mov_b32_e32 v46, s6
	s_mov_b64 s[44:45], s[42:43]
	s_branch .LBB217_9
.LBB217_8:                              ;   in Loop: Header=BB217_9 Depth=1
	s_or_b64 exec, exec, s[26:27]
	v_pk_mov_b32 v[0:1], s[38:39], s[38:39] op_sel:[0,1]
	v_cmp_ge_i64_e32 vcc, s[44:45], v[0:1]
	v_mov_b32_e32 v0, 0xffff
	v_mov_b32_e32 v1, 0
	v_cmp_gt_u64_e64 s[4:5], s[44:45], v[0:1]
	s_or_b64 s[4:5], vcc, s[4:5]
	v_mov_b32_e32 v0, s53
	v_add_co_u32_e32 v24, vcc, s52, v24
	v_addc_co_u32_e32 v25, vcc, v25, v0, vcc
	v_mov_b32_e32 v1, s43
	v_add_co_u32_e32 v22, vcc, s42, v22
	v_addc_co_u32_e32 v23, vcc, v23, v1, vcc
	v_add_co_u32_e32 v26, vcc, s52, v26
	v_addc_co_u32_e32 v27, vcc, v27, v0, vcc
	;; [unrolled: 2-line block ×7, first 2 shown]
	v_add_co_u32_e32 v38, vcc, s52, v38
	s_add_u32 s44, s44, s42
	v_addc_co_u32_e32 v39, vcc, v39, v0, vcc
	s_addc_u32 s45, s45, 0
	s_and_b64 vcc, exec, s[4:5]
	s_cbranch_vccnz .LBB217_25
.LBB217_9:                              ; =>This Inner Loop Header: Depth=1
	v_cmp_gt_u64_e32 vcc, s[40:41], v[22:23]
	s_waitcnt vmcnt(0)
	v_mov_b32_e32 v2, 0
	v_mov_b32_e32 v3, 0
	s_and_saveexec_b64 s[6:7], vcc
	s_cbranch_execz .LBB217_11
; %bb.10:                               ;   in Loop: Header=BB217_9 Depth=1
	v_mov_b32_e32 v1, s37
	v_add_co_u32_e64 v0, s[4:5], s36, v24
	v_addc_co_u32_e64 v1, s[4:5], v25, v1, s[4:5]
	global_load_dwordx2 v[2:3], v[0:1], off
.LBB217_11:                             ;   in Loop: Header=BB217_9 Depth=1
	s_or_b64 exec, exec, s[6:7]
	v_add_co_u32_e64 v0, s[4:5], s33, v22
	v_addc_co_u32_e64 v1, s[4:5], v46, v23, s[4:5]
	v_cmp_gt_u64_e64 s[26:27], s[40:41], v[0:1]
	v_mov_b32_e32 v40, 0
	v_mov_b32_e32 v42, 0
	;; [unrolled: 1-line block ×3, first 2 shown]
	s_and_saveexec_b64 s[6:7], s[26:27]
	s_cbranch_execz .LBB217_13
; %bb.12:                               ;   in Loop: Header=BB217_9 Depth=1
	v_mov_b32_e32 v1, s37
	v_add_co_u32_e64 v0, s[4:5], s36, v38
	v_addc_co_u32_e64 v1, s[4:5], v39, v1, s[4:5]
	global_load_dwordx2 v[42:43], v[0:1], off
.LBB217_13:                             ;   in Loop: Header=BB217_9 Depth=1
	s_or_b64 exec, exec, s[6:7]
	v_mov_b32_e32 v1, s49
	v_add_co_u32_e64 v0, s[4:5], s48, v22
	v_addc_co_u32_e64 v1, s[4:5], v1, v23, s[4:5]
	v_cmp_gt_u64_e64 s[28:29], s[40:41], v[0:1]
	v_mov_b32_e32 v41, 0
	s_and_saveexec_b64 s[6:7], s[28:29]
	s_cbranch_execz .LBB217_15
; %bb.14:                               ;   in Loop: Header=BB217_9 Depth=1
	v_mov_b32_e32 v1, s37
	v_add_co_u32_e64 v0, s[4:5], s36, v32
	v_addc_co_u32_e64 v1, s[4:5], v33, v1, s[4:5]
	global_load_dwordx2 v[40:41], v[0:1], off
.LBB217_15:                             ;   in Loop: Header=BB217_9 Depth=1
	s_or_b64 exec, exec, s[6:7]
	v_mov_b32_e32 v1, s51
	v_add_co_u32_e64 v0, s[4:5], s50, v22
	v_addc_co_u32_e64 v1, s[4:5], v1, v23, s[4:5]
	v_cmp_gt_u64_e64 s[34:35], s[40:41], v[0:1]
	v_mov_b32_e32 v44, 0
	v_mov_b32_e32 v45, 0
	s_and_saveexec_b64 s[6:7], s[34:35]
	s_cbranch_execnz .LBB217_20
; %bb.16:                               ;   in Loop: Header=BB217_9 Depth=1
	s_or_b64 exec, exec, s[6:7]
	s_and_saveexec_b64 s[46:47], vcc
	s_cbranch_execnz .LBB217_21
.LBB217_17:                             ;   in Loop: Header=BB217_9 Depth=1
	s_or_b64 exec, exec, s[46:47]
	s_and_saveexec_b64 s[46:47], s[26:27]
	s_cbranch_execnz .LBB217_22
.LBB217_18:                             ;   in Loop: Header=BB217_9 Depth=1
	s_or_b64 exec, exec, s[46:47]
	s_and_saveexec_b64 s[26:27], s[28:29]
	s_cbranch_execnz .LBB217_23
.LBB217_19:                             ;   in Loop: Header=BB217_9 Depth=1
	s_or_b64 exec, exec, s[26:27]
	s_and_saveexec_b64 s[26:27], s[34:35]
	s_cbranch_execz .LBB217_8
	s_branch .LBB217_24
.LBB217_20:                             ;   in Loop: Header=BB217_9 Depth=1
	v_mov_b32_e32 v1, s37
	v_add_co_u32_e64 v0, s[4:5], s36, v28
	v_addc_co_u32_e64 v1, s[4:5], v29, v1, s[4:5]
	global_load_dwordx2 v[44:45], v[0:1], off
	s_or_b64 exec, exec, s[6:7]
	s_and_saveexec_b64 s[46:47], vcc
	s_cbranch_execz .LBB217_17
.LBB217_21:                             ;   in Loop: Header=BB217_9 Depth=1
	s_waitcnt vmcnt(0)
	v_xor_b32_e32 v0, 0x80000000, v3
	v_mov_b32_e32 v1, v2
	s_getpc_b64 s[4:5]
	s_add_u32 s4, s4, _ZN6thrust23THRUST_200600_302600_NS6detail7complex6ccoshfERKNS0_7complexIfEE@rel32@lo+4
	s_addc_u32 s5, s5, _ZN6thrust23THRUST_200600_302600_NS6detail7complex6ccoshfERKNS0_7complexIfEE@rel32@hi+12
	s_swappc_b64 s[30:31], s[4:5]
	v_mov_b32_e32 v3, s37
	v_add_co_u32_e32 v2, vcc, s36, v26
	v_addc_co_u32_e32 v3, vcc, v27, v3, vcc
	global_store_dwordx2 v[2:3], v[0:1], off offset:-4
	s_or_b64 exec, exec, s[46:47]
	s_and_saveexec_b64 s[46:47], s[26:27]
	s_cbranch_execz .LBB217_18
.LBB217_22:                             ;   in Loop: Header=BB217_9 Depth=1
	s_waitcnt vmcnt(0)
	v_xor_b32_e32 v0, 0x80000000, v43
	v_mov_b32_e32 v1, v42
	s_getpc_b64 s[4:5]
	s_add_u32 s4, s4, _ZN6thrust23THRUST_200600_302600_NS6detail7complex6ccoshfERKNS0_7complexIfEE@rel32@lo+4
	s_addc_u32 s5, s5, _ZN6thrust23THRUST_200600_302600_NS6detail7complex6ccoshfERKNS0_7complexIfEE@rel32@hi+12
	s_swappc_b64 s[30:31], s[4:5]
	v_mov_b32_e32 v3, s37
	v_add_co_u32_e32 v2, vcc, s36, v34
	v_addc_co_u32_e32 v3, vcc, v35, v3, vcc
	global_store_dwordx2 v[2:3], v[0:1], off
	s_or_b64 exec, exec, s[46:47]
	s_and_saveexec_b64 s[26:27], s[28:29]
	s_cbranch_execz .LBB217_19
.LBB217_23:                             ;   in Loop: Header=BB217_9 Depth=1
	s_waitcnt vmcnt(0)
	v_xor_b32_e32 v0, 0x80000000, v41
	v_mov_b32_e32 v1, v40
	s_getpc_b64 s[4:5]
	s_add_u32 s4, s4, _ZN6thrust23THRUST_200600_302600_NS6detail7complex6ccoshfERKNS0_7complexIfEE@rel32@lo+4
	s_addc_u32 s5, s5, _ZN6thrust23THRUST_200600_302600_NS6detail7complex6ccoshfERKNS0_7complexIfEE@rel32@hi+12
	s_swappc_b64 s[30:31], s[4:5]
	v_mov_b32_e32 v3, s37
	v_add_co_u32_e32 v2, vcc, s36, v36
	v_addc_co_u32_e32 v3, vcc, v37, v3, vcc
	global_store_dwordx2 v[2:3], v[0:1], off offset:-4
	s_or_b64 exec, exec, s[26:27]
	s_and_saveexec_b64 s[26:27], s[34:35]
	s_cbranch_execz .LBB217_8
.LBB217_24:                             ;   in Loop: Header=BB217_9 Depth=1
	s_waitcnt vmcnt(0)
	v_xor_b32_e32 v0, 0x80000000, v45
	v_mov_b32_e32 v1, v44
	s_getpc_b64 s[4:5]
	s_add_u32 s4, s4, _ZN6thrust23THRUST_200600_302600_NS6detail7complex6ccoshfERKNS0_7complexIfEE@rel32@lo+4
	s_addc_u32 s5, s5, _ZN6thrust23THRUST_200600_302600_NS6detail7complex6ccoshfERKNS0_7complexIfEE@rel32@hi+12
	s_swappc_b64 s[30:31], s[4:5]
	v_mov_b32_e32 v3, s37
	v_add_co_u32_e32 v2, vcc, s36, v30
	v_addc_co_u32_e32 v3, vcc, v31, v3, vcc
	global_store_dwordx2 v[2:3], v[0:1], off offset:-4
	s_branch .LBB217_8
.LBB217_25:
	s_endpgm
	.section	.rodata,"a",@progbits
	.p2align	6, 0x0
	.amdhsa_kernel _ZN2at6native12_GLOBAL__N_125multi_tensor_apply_kernelINS1_18TensorListMetadataILi2EEENS1_14UnaryOpFunctorIN3c107complexIfEELi2ELi1ELi1EEEJNS0_3CosIS8_EEEEEvT_T0_DpT1_
		.amdhsa_group_segment_fixed_size 0
		.amdhsa_private_segment_fixed_size 0
		.amdhsa_kernarg_size 3408
		.amdhsa_user_sgpr_count 8
		.amdhsa_user_sgpr_private_segment_buffer 1
		.amdhsa_user_sgpr_dispatch_ptr 0
		.amdhsa_user_sgpr_queue_ptr 0
		.amdhsa_user_sgpr_kernarg_segment_ptr 1
		.amdhsa_user_sgpr_dispatch_id 0
		.amdhsa_user_sgpr_flat_scratch_init 1
		.amdhsa_user_sgpr_kernarg_preload_length 0
		.amdhsa_user_sgpr_kernarg_preload_offset 0
		.amdhsa_user_sgpr_private_segment_size 0
		.amdhsa_uses_dynamic_stack 0
		.amdhsa_system_sgpr_private_segment_wavefront_offset 0
		.amdhsa_system_sgpr_workgroup_id_x 1
		.amdhsa_system_sgpr_workgroup_id_y 0
		.amdhsa_system_sgpr_workgroup_id_z 0
		.amdhsa_system_sgpr_workgroup_info 0
		.amdhsa_system_vgpr_workitem_id 0
		.amdhsa_next_free_vgpr 47
		.amdhsa_next_free_sgpr 54
		.amdhsa_accum_offset 48
		.amdhsa_reserve_vcc 1
		.amdhsa_reserve_flat_scratch 1
		.amdhsa_float_round_mode_32 0
		.amdhsa_float_round_mode_16_64 0
		.amdhsa_float_denorm_mode_32 3
		.amdhsa_float_denorm_mode_16_64 3
		.amdhsa_dx10_clamp 1
		.amdhsa_ieee_mode 1
		.amdhsa_fp16_overflow 0
		.amdhsa_tg_split 0
		.amdhsa_exception_fp_ieee_invalid_op 0
		.amdhsa_exception_fp_denorm_src 0
		.amdhsa_exception_fp_ieee_div_zero 0
		.amdhsa_exception_fp_ieee_overflow 0
		.amdhsa_exception_fp_ieee_underflow 0
		.amdhsa_exception_fp_ieee_inexact 0
		.amdhsa_exception_int_div_zero 0
	.end_amdhsa_kernel
	.section	.text._ZN2at6native12_GLOBAL__N_125multi_tensor_apply_kernelINS1_18TensorListMetadataILi2EEENS1_14UnaryOpFunctorIN3c107complexIfEELi2ELi1ELi1EEEJNS0_3CosIS8_EEEEEvT_T0_DpT1_,"axG",@progbits,_ZN2at6native12_GLOBAL__N_125multi_tensor_apply_kernelINS1_18TensorListMetadataILi2EEENS1_14UnaryOpFunctorIN3c107complexIfEELi2ELi1ELi1EEEJNS0_3CosIS8_EEEEEvT_T0_DpT1_,comdat
.Lfunc_end217:
	.size	_ZN2at6native12_GLOBAL__N_125multi_tensor_apply_kernelINS1_18TensorListMetadataILi2EEENS1_14UnaryOpFunctorIN3c107complexIfEELi2ELi1ELi1EEEJNS0_3CosIS8_EEEEEvT_T0_DpT1_, .Lfunc_end217-_ZN2at6native12_GLOBAL__N_125multi_tensor_apply_kernelINS1_18TensorListMetadataILi2EEENS1_14UnaryOpFunctorIN3c107complexIfEELi2ELi1ELi1EEEJNS0_3CosIS8_EEEEEvT_T0_DpT1_
                                        ; -- End function
	.section	.AMDGPU.csdata,"",@progbits
; Kernel info:
; codeLenInByte = 1556
; NumSgprs: 60
; NumVgprs: 47
; NumAgprs: 0
; TotalNumVgprs: 47
; ScratchSize: 0
; MemoryBound: 0
; FloatMode: 240
; IeeeMode: 1
; LDSByteSize: 0 bytes/workgroup (compile time only)
; SGPRBlocks: 7
; VGPRBlocks: 5
; NumSGPRsForWavesPerEU: 60
; NumVGPRsForWavesPerEU: 47
; AccumOffset: 48
; Occupancy: 8
; WaveLimiterHint : 0
; COMPUTE_PGM_RSRC2:SCRATCH_EN: 0
; COMPUTE_PGM_RSRC2:USER_SGPR: 8
; COMPUTE_PGM_RSRC2:TRAP_HANDLER: 0
; COMPUTE_PGM_RSRC2:TGID_X_EN: 1
; COMPUTE_PGM_RSRC2:TGID_Y_EN: 0
; COMPUTE_PGM_RSRC2:TGID_Z_EN: 0
; COMPUTE_PGM_RSRC2:TIDIG_COMP_CNT: 0
; COMPUTE_PGM_RSRC3_GFX90A:ACCUM_OFFSET: 11
; COMPUTE_PGM_RSRC3_GFX90A:TG_SPLIT: 0
	.section	.text._ZN2at6native12_GLOBAL__N_125multi_tensor_apply_kernelINS1_18TensorListMetadataILi2EEENS1_14UnaryOpFunctorIN3c104HalfELi2ELi1ELi1EEEJNS0_3CosIfEEEEEvT_T0_DpT1_,"axG",@progbits,_ZN2at6native12_GLOBAL__N_125multi_tensor_apply_kernelINS1_18TensorListMetadataILi2EEENS1_14UnaryOpFunctorIN3c104HalfELi2ELi1ELi1EEEJNS0_3CosIfEEEEEvT_T0_DpT1_,comdat
	.globl	_ZN2at6native12_GLOBAL__N_125multi_tensor_apply_kernelINS1_18TensorListMetadataILi2EEENS1_14UnaryOpFunctorIN3c104HalfELi2ELi1ELi1EEEJNS0_3CosIfEEEEEvT_T0_DpT1_ ; -- Begin function _ZN2at6native12_GLOBAL__N_125multi_tensor_apply_kernelINS1_18TensorListMetadataILi2EEENS1_14UnaryOpFunctorIN3c104HalfELi2ELi1ELi1EEEJNS0_3CosIfEEEEEvT_T0_DpT1_
	.p2align	8
	.type	_ZN2at6native12_GLOBAL__N_125multi_tensor_apply_kernelINS1_18TensorListMetadataILi2EEENS1_14UnaryOpFunctorIN3c104HalfELi2ELi1ELi1EEEJNS0_3CosIfEEEEEvT_T0_DpT1_,@function
_ZN2at6native12_GLOBAL__N_125multi_tensor_apply_kernelINS1_18TensorListMetadataILi2EEENS1_14UnaryOpFunctorIN3c104HalfELi2ELi1ELi1EEEJNS0_3CosIfEEEEEvT_T0_DpT1_: ; @_ZN2at6native12_GLOBAL__N_125multi_tensor_apply_kernelINS1_18TensorListMetadataILi2EEENS1_14UnaryOpFunctorIN3c104HalfELi2ELi1ELi1EEEJNS0_3CosIfEEEEEvT_T0_DpT1_
; %bb.0:
	v_mov_b32_e32 v1, s6
	global_load_ubyte v1, v1, s[4:5] offset:1536
	s_add_u32 s0, s4, s6
	s_mul_hi_u32 s2, s6, 3
	s_mul_i32 s6, s6, 3
	s_addc_u32 s7, s5, 0
	s_add_u32 s6, s0, s6
	s_addc_u32 s7, s7, s2
	s_load_dword s6, s[6:7], 0x740
	s_mov_b32 s13, 0
	s_mov_b32 s3, s13
	;; [unrolled: 1-line block ×3, first 2 shown]
	s_waitcnt lgkmcnt(0)
	s_ashr_i32 s7, s6, 31
	s_lshl_b64 s[14:15], s[6:7], 17
	s_waitcnt vmcnt(0)
	v_readfirstlane_b32 s0, v1
	s_lshl_b32 s0, s0, 3
	s_load_dwordx2 s[10:11], s[4:5], s0 offset:0x0
	s_load_dwordx2 s[16:17], s[4:5], s0 offset:0x400
	;; [unrolled: 1-line block ×3, first 2 shown]
	s_waitcnt lgkmcnt(0)
	s_add_u32 s26, s10, s14
	s_addc_u32 s27, s11, s15
	s_and_b32 s12, s26, 7
	s_add_u32 s28, s8, s14
	s_addc_u32 s29, s9, s15
	s_and_b32 s2, s16, 3
	s_and_b32 s0, s28, 7
	s_or_b64 s[2:3], s[12:13], s[2:3]
	s_or_b64 s[0:1], s[0:1], s[2:3]
	s_lshl_b64 s[2:3], s[6:7], 16
	s_sub_u32 s16, s16, s2
	s_subb_u32 s17, s17, s3
	s_cmp_eq_u64 s[0:1], 0
	s_mov_b64 s[0:1], -1
	s_cbranch_scc0 .LBB218_21
; %bb.1:
	v_mov_b32_e32 v3, 0
	v_lshlrev_b32_e32 v2, 2, v0
	v_cmp_gt_i64_e32 vcc, s[16:17], v[2:3]
	s_and_saveexec_b64 s[18:19], vcc
	s_cbranch_execz .LBB218_20
; %bb.2:
	s_load_dword s0, s[4:5], 0xc5c
	v_lshlrev_b32_e32 v4, 3, v0
	s_mov_b64 s[20:21], 0
	s_brev_b32 s31, 18
	s_mov_b32 s33, 0xfe5163ab
	s_waitcnt lgkmcnt(0)
	s_and_b32 s0, s0, 0xffff
	v_add_lshl_u32 v2, v0, s0, 2
	s_lshl_b32 s12, s0, 2
	s_lshl_b32 s30, s0, 3
	s_mov_b32 s34, 0x3c439041
	s_mov_b32 s35, 0xdb629599
	;; [unrolled: 1-line block ×7, first 2 shown]
	v_mov_b32_e32 v1, 0xbe2aaa9d
	v_mov_b32_e32 v5, 0x3d2aabf7
	;; [unrolled: 1-line block ×3, first 2 shown]
	s_movk_i32 s41, 0x1f8
	s_mov_b64 s[22:23], 0xffff
	v_not_b32_e32 v11, 63
	v_not_b32_e32 v12, 31
	v_mov_b32_e32 v13, 0x7e00
	v_pk_mov_b32 v[6:7], v[2:3], v[2:3] op_sel:[0,1]
	s_branch .LBB218_4
.LBB218_3:                              ;   in Loop: Header=BB218_4 Depth=1
	s_or_b64 exec, exec, s[0:1]
	v_mul_f32_e32 v21, v18, v18
	v_mov_b32_e32 v22, 0x3c0881c4
	v_fmac_f32_e32 v22, 0xb94c1982, v21
	v_fma_f32 v22, v21, v22, v1
	v_mul_f32_e32 v22, v21, v22
	v_fmac_f32_e32 v18, v18, v22
	v_mov_b32_e32 v22, 0xbab64f3b
	v_fmac_f32_e32 v22, 0x37d75334, v21
	v_fma_f32 v22, v21, v22, v5
	v_fma_f32 v22, v21, v22, v10
	v_fma_f32 v21, v21, v22, 1.0
	v_and_b32_e32 v22, 1, v19
	v_cmp_eq_u32_e32 vcc, 0, v22
	v_lshlrev_b32_e32 v19, 30, v19
	v_cndmask_b32_e64 v18, -v18, v21, vcc
	v_and_b32_e32 v19, 0x80000000, v19
	v_xor_b32_e32 v18, v19, v18
	v_mul_f32_e32 v19, v16, v16
	v_mov_b32_e32 v21, 0x3c0881c4
	v_fmac_f32_e32 v21, 0xb94c1982, v19
	v_fma_f32 v21, v19, v21, v1
	v_mul_f32_e32 v21, v19, v21
	v_fmac_f32_e32 v16, v16, v21
	v_mov_b32_e32 v21, 0xbab64f3b
	v_fmac_f32_e32 v21, 0x37d75334, v19
	v_fma_f32 v21, v19, v21, v5
	v_cvt_f16_f32_e32 v18, v18
	v_fma_f32 v21, v19, v21, v10
	v_fma_f32 v19, v19, v21, 1.0
	v_and_b32_e32 v21, 1, v17
	v_cmp_eq_u32_e32 vcc, 0, v21
	v_lshlrev_b32_e32 v17, 30, v17
	v_cndmask_b32_e64 v16, -v16, v19, vcc
	v_and_b32_e32 v17, 0x80000000, v17
	v_cmp_class_f16_e64 vcc, v9, s41
	v_xor_b32_e32 v16, v17, v16
	v_cndmask_b32_e32 v17, v13, v18, vcc
	v_mul_f32_e32 v18, v14, v14
	v_mov_b32_e32 v19, 0x3c0881c4
	v_fmac_f32_e32 v19, 0xb94c1982, v18
	v_fma_f32 v19, v18, v19, v1
	v_mul_f32_e32 v19, v18, v19
	v_fmac_f32_e32 v14, v14, v19
	v_mov_b32_e32 v19, 0xbab64f3b
	v_fmac_f32_e32 v19, 0x37d75334, v18
	v_fma_f32 v19, v18, v19, v5
	v_fma_f32 v19, v18, v19, v10
	v_cmp_class_f16_sdwa s[0:1], v8, s41 src0_sel:WORD_1 src1_sel:DWORD
	v_fma_f32 v18, v18, v19, 1.0
	v_and_b32_e32 v19, 1, v15
	v_cmp_eq_u32_e32 vcc, 0, v19
	v_lshlrev_b32_e32 v15, 30, v15
	v_cndmask_b32_e64 v14, -v14, v18, vcc
	v_and_b32_e32 v15, 0x80000000, v15
	v_xor_b32_e32 v14, v15, v14
	v_mul_f32_e32 v15, v2, v2
	v_mov_b32_e32 v18, 0x3c0881c4
	v_fmac_f32_e32 v18, 0xb94c1982, v15
	v_fma_f32 v18, v15, v18, v1
	v_mul_f32_e32 v18, v15, v18
	v_fmac_f32_e32 v2, v2, v18
	v_mov_b32_e32 v18, 0xbab64f3b
	v_fmac_f32_e32 v18, 0x37d75334, v15
	v_fma_f32 v18, v15, v18, v5
	v_fma_f32 v18, v15, v18, v10
	v_fma_f32 v15, v15, v18, 1.0
	v_and_b32_e32 v18, 1, v20
	v_cmp_eq_u32_e32 vcc, 0, v18
	v_cvt_f16_f32_e32 v16, v16
	v_cvt_f16_f32_e32 v14, v14
	v_cndmask_b32_e64 v2, -v2, v15, vcc
	v_lshlrev_b32_e32 v15, 30, v20
	v_and_b32_e32 v15, 0x80000000, v15
	v_xor_b32_e32 v2, v15, v2
	v_cvt_f16_f32_e32 v2, v2
	v_cmp_class_f16_e64 vcc, v8, s41
	v_cndmask_b32_e64 v16, v13, v16, s[0:1]
	v_cndmask_b32_e32 v14, v13, v14, vcc
	v_cmp_class_f16_sdwa s[0:1], v9, s41 src0_sel:WORD_1 src1_sel:DWORD
	v_mov_b32_e32 v9, s29
	v_add_co_u32_e32 v8, vcc, s28, v4
	v_addc_co_u32_e32 v9, vcc, 0, v9, vcc
	v_cndmask_b32_e64 v2, v13, v2, s[0:1]
	v_cmp_le_i64_e32 vcc, s[16:17], v[6:7]
	v_cmp_lt_u64_e64 s[0:1], s[22:23], v[6:7]
	s_or_b64 s[0:1], vcc, s[0:1]
	s_add_u32 s26, s26, s30
	s_addc_u32 s27, s27, 0
	s_add_u32 s28, s28, s30
	s_addc_u32 s29, s29, 0
	v_pack_b32_f16 v15, v17, v2
	v_mov_b32_e32 v2, s13
	s_and_b64 s[0:1], exec, s[0:1]
	v_add_co_u32_e32 v6, vcc, s12, v6
	v_pack_b32_f16 v14, v14, v16
	s_or_b64 s[20:21], s[0:1], s[20:21]
	v_addc_co_u32_e32 v7, vcc, v7, v2, vcc
	global_store_dwordx2 v[8:9], v[14:15], off
	s_andn2_b64 exec, exec, s[20:21]
	s_cbranch_execz .LBB218_20
.LBB218_4:                              ; =>This Inner Loop Header: Depth=1
	v_mov_b32_e32 v2, s27
	v_add_co_u32_e32 v8, vcc, s26, v4
	v_addc_co_u32_e32 v9, vcc, 0, v2, vcc
	global_load_dwordx2 v[8:9], v[8:9], off
                                        ; implicit-def: $vgpr15
	s_waitcnt vmcnt(0)
	v_cvt_f32_f16_e64 v14, |v8|
	v_cmp_ngt_f32_e32 vcc, s31, v14
	s_and_saveexec_b64 s[0:1], vcc
	s_xor_b64 s[24:25], exec, s[0:1]
	s_cbranch_execz .LBB218_6
; %bb.5:                                ;   in Loop: Header=BB218_4 Depth=1
	v_lshrrev_b32_e32 v2, 23, v14
	v_add_u32_e32 v2, 0xffffff88, v2
	v_cmp_lt_u32_e32 vcc, 63, v2
	v_cndmask_b32_e32 v15, 0, v11, vcc
	v_add_u32_e32 v2, v15, v2
	v_cmp_lt_u32_e64 s[0:1], 31, v2
	v_cndmask_b32_e64 v15, 0, v12, s[0:1]
	v_add_u32_e32 v2, v15, v2
	v_cmp_lt_u32_e64 s[2:3], 31, v2
	v_cndmask_b32_e64 v15, 0, v12, s[2:3]
	v_add_u32_e32 v28, v15, v2
	v_and_b32_e32 v2, 0x7fffff, v14
	v_or_b32_e32 v26, 0x800000, v2
	v_mad_u64_u32 v[14:15], s[6:7], v26, s33, 0
	v_mov_b32_e32 v2, v15
	v_mad_u64_u32 v[16:17], s[6:7], v26, s34, v[2:3]
	v_mov_b32_e32 v2, v17
	v_mad_u64_u32 v[18:19], s[6:7], v26, s35, v[2:3]
	v_mov_b32_e32 v2, v19
	v_mad_u64_u32 v[20:21], s[6:7], v26, s36, v[2:3]
	v_mov_b32_e32 v2, v21
	v_mad_u64_u32 v[22:23], s[6:7], v26, s37, v[2:3]
	v_mov_b32_e32 v2, v23
	v_mad_u64_u32 v[24:25], s[6:7], v26, s38, v[2:3]
	v_mov_b32_e32 v2, v25
	v_mad_u64_u32 v[26:27], s[6:7], v26, s39, v[2:3]
	v_cndmask_b32_e32 v15, v24, v20, vcc
	v_cndmask_b32_e32 v2, v26, v22, vcc
	;; [unrolled: 1-line block ×3, first 2 shown]
	v_cndmask_b32_e64 v17, v2, v15, s[0:1]
	v_cndmask_b32_e64 v2, v19, v2, s[0:1]
	v_cndmask_b32_e32 v19, v22, v18, vcc
	v_cndmask_b32_e64 v15, v15, v19, s[0:1]
	v_cndmask_b32_e32 v16, v20, v16, vcc
	v_cndmask_b32_e64 v2, v2, v17, s[2:3]
	v_cndmask_b32_e64 v17, v17, v15, s[2:3]
	v_sub_u32_e32 v21, 32, v28
	v_cndmask_b32_e64 v19, v19, v16, s[0:1]
	v_alignbit_b32 v22, v2, v17, v21
	v_cmp_eq_u32_e64 s[6:7], 0, v28
	v_cndmask_b32_e64 v15, v15, v19, s[2:3]
	v_cndmask_b32_e32 v14, v18, v14, vcc
	v_cndmask_b32_e64 v2, v22, v2, s[6:7]
	v_alignbit_b32 v20, v17, v15, v21
	v_cndmask_b32_e64 v14, v16, v14, s[0:1]
	v_cndmask_b32_e64 v17, v20, v17, s[6:7]
	v_bfe_u32 v23, v2, 29, 1
	v_cndmask_b32_e64 v14, v19, v14, s[2:3]
	v_alignbit_b32 v20, v2, v17, 30
	v_sub_u32_e32 v24, 0, v23
	v_alignbit_b32 v16, v15, v14, v21
	v_xor_b32_e32 v25, v20, v24
	v_cndmask_b32_e64 v15, v16, v15, s[6:7]
	v_alignbit_b32 v16, v17, v15, 30
	v_ffbh_u32_e32 v17, v25
	v_add_u32_e32 v17, 1, v17
	v_cmp_ne_u32_e32 vcc, v20, v24
	v_cndmask_b32_e32 v17, 33, v17, vcc
	v_alignbit_b32 v14, v15, v14, 30
	v_xor_b32_e32 v16, v16, v24
	v_sub_u32_e32 v18, 32, v17
	v_xor_b32_e32 v14, v14, v24
	v_alignbit_b32 v19, v25, v16, v18
	v_alignbit_b32 v14, v16, v14, v18
	;; [unrolled: 1-line block ×3, first 2 shown]
	v_ffbh_u32_e32 v16, v15
	v_min_u32_e32 v16, 32, v16
	v_lshrrev_b32_e32 v22, 29, v2
	v_sub_u32_e32 v18, 31, v16
	v_alignbit_b32 v14, v15, v14, v18
	v_lshlrev_b32_e32 v15, 31, v22
	v_or_b32_e32 v18, 0x33800000, v15
	v_add_lshl_u32 v16, v16, v17, 23
	v_lshrrev_b32_e32 v14, 9, v14
	v_sub_u32_e32 v16, v18, v16
	v_or_b32_e32 v14, v16, v14
	v_alignbit_b32 v16, v17, v19, 9
	v_or_b32_e32 v15, v16, v15
	v_xor_b32_e32 v15, 1.0, v15
	v_mul_f32_e32 v16, 0x3fc90fda, v15
	v_fma_f32 v17, v15, s40, -v16
	v_fmac_f32_e32 v17, 0x33a22168, v15
	v_fmac_f32_e32 v17, 0x3fc90fda, v14
	v_lshrrev_b32_e32 v2, 30, v2
	v_add_f32_e32 v14, v16, v17
	v_add_u32_e32 v15, v23, v2
.LBB218_6:                              ;   in Loop: Header=BB218_4 Depth=1
	s_andn2_saveexec_b64 s[0:1], s[24:25]
; %bb.7:                                ;   in Loop: Header=BB218_4 Depth=1
	v_mul_f32_e32 v2, 0x3f22f983, v14
	v_rndne_f32_e32 v2, v2
	v_cvt_i32_f32_e32 v15, v2
	v_fmac_f32_e32 v14, 0xbfc90fda, v2
	v_fmac_f32_e32 v14, 0xb3a22168, v2
	;; [unrolled: 1-line block ×3, first 2 shown]
; %bb.8:                                ;   in Loop: Header=BB218_4 Depth=1
	s_or_b64 exec, exec, s[0:1]
	v_cvt_f32_f16_sdwa v16, |v8| dst_sel:DWORD dst_unused:UNUSED_PAD src0_sel:WORD_1
                                        ; implicit-def: $vgpr17
	v_cmp_ngt_f32_e32 vcc, s31, v16
	s_and_saveexec_b64 s[0:1], vcc
	s_xor_b64 s[24:25], exec, s[0:1]
	s_cbranch_execz .LBB218_10
; %bb.9:                                ;   in Loop: Header=BB218_4 Depth=1
	v_lshrrev_b32_e32 v2, 23, v16
	v_add_u32_e32 v2, 0xffffff88, v2
	v_cmp_lt_u32_e32 vcc, 63, v2
	v_cndmask_b32_e32 v17, 0, v11, vcc
	v_add_u32_e32 v2, v17, v2
	v_cmp_lt_u32_e64 s[0:1], 31, v2
	v_cndmask_b32_e64 v17, 0, v12, s[0:1]
	v_add_u32_e32 v2, v17, v2
	v_cmp_lt_u32_e64 s[2:3], 31, v2
	v_cndmask_b32_e64 v17, 0, v12, s[2:3]
	v_add_u32_e32 v30, v17, v2
	v_and_b32_e32 v2, 0x7fffff, v16
	v_or_b32_e32 v28, 0x800000, v2
	v_mad_u64_u32 v[16:17], s[6:7], v28, s33, 0
	v_mov_b32_e32 v2, v17
	v_mad_u64_u32 v[18:19], s[6:7], v28, s34, v[2:3]
	v_mov_b32_e32 v2, v19
	;; [unrolled: 2-line block ×6, first 2 shown]
	v_mad_u64_u32 v[28:29], s[6:7], v28, s39, v[2:3]
	v_cndmask_b32_e32 v17, v26, v22, vcc
	v_cndmask_b32_e32 v2, v28, v24, vcc
	v_cndmask_b32_e32 v21, v29, v26, vcc
	v_cndmask_b32_e64 v19, v2, v17, s[0:1]
	v_cndmask_b32_e64 v2, v21, v2, s[0:1]
	v_cndmask_b32_e32 v21, v24, v20, vcc
	v_cndmask_b32_e64 v17, v17, v21, s[0:1]
	v_cndmask_b32_e32 v18, v22, v18, vcc
	v_cndmask_b32_e64 v2, v2, v19, s[2:3]
	v_cndmask_b32_e64 v19, v19, v17, s[2:3]
	v_sub_u32_e32 v23, 32, v30
	v_cndmask_b32_e64 v21, v21, v18, s[0:1]
	v_alignbit_b32 v24, v2, v19, v23
	v_cmp_eq_u32_e64 s[6:7], 0, v30
	v_cndmask_b32_e64 v17, v17, v21, s[2:3]
	v_cndmask_b32_e32 v16, v20, v16, vcc
	v_cndmask_b32_e64 v2, v24, v2, s[6:7]
	v_alignbit_b32 v22, v19, v17, v23
	v_cndmask_b32_e64 v16, v18, v16, s[0:1]
	v_cndmask_b32_e64 v19, v22, v19, s[6:7]
	v_bfe_u32 v25, v2, 29, 1
	v_cndmask_b32_e64 v16, v21, v16, s[2:3]
	v_alignbit_b32 v22, v2, v19, 30
	v_sub_u32_e32 v26, 0, v25
	v_alignbit_b32 v18, v17, v16, v23
	v_xor_b32_e32 v27, v22, v26
	v_cndmask_b32_e64 v17, v18, v17, s[6:7]
	v_alignbit_b32 v18, v19, v17, 30
	v_ffbh_u32_e32 v19, v27
	v_add_u32_e32 v19, 1, v19
	v_cmp_ne_u32_e32 vcc, v22, v26
	v_cndmask_b32_e32 v19, 33, v19, vcc
	v_alignbit_b32 v16, v17, v16, 30
	v_xor_b32_e32 v18, v18, v26
	v_sub_u32_e32 v20, 32, v19
	v_xor_b32_e32 v16, v16, v26
	v_alignbit_b32 v21, v27, v18, v20
	v_alignbit_b32 v16, v18, v16, v20
	;; [unrolled: 1-line block ×3, first 2 shown]
	v_ffbh_u32_e32 v18, v17
	v_min_u32_e32 v18, 32, v18
	v_lshrrev_b32_e32 v24, 29, v2
	v_sub_u32_e32 v20, 31, v18
	v_alignbit_b32 v16, v17, v16, v20
	v_lshlrev_b32_e32 v17, 31, v24
	v_or_b32_e32 v20, 0x33800000, v17
	v_add_lshl_u32 v18, v18, v19, 23
	v_lshrrev_b32_e32 v16, 9, v16
	v_sub_u32_e32 v18, v20, v18
	v_or_b32_e32 v16, v18, v16
	v_alignbit_b32 v18, v19, v21, 9
	v_or_b32_e32 v17, v18, v17
	v_xor_b32_e32 v17, 1.0, v17
	v_mul_f32_e32 v18, 0x3fc90fda, v17
	v_fma_f32 v19, v17, s40, -v18
	v_fmac_f32_e32 v19, 0x33a22168, v17
	v_fmac_f32_e32 v19, 0x3fc90fda, v16
	v_lshrrev_b32_e32 v2, 30, v2
	v_add_f32_e32 v16, v18, v19
	v_add_u32_e32 v17, v25, v2
.LBB218_10:                             ;   in Loop: Header=BB218_4 Depth=1
	s_andn2_saveexec_b64 s[0:1], s[24:25]
; %bb.11:                               ;   in Loop: Header=BB218_4 Depth=1
	v_mul_f32_e32 v2, 0x3f22f983, v16
	v_rndne_f32_e32 v2, v2
	v_cvt_i32_f32_e32 v17, v2
	v_fmac_f32_e32 v16, 0xbfc90fda, v2
	v_fmac_f32_e32 v16, 0xb3a22168, v2
	;; [unrolled: 1-line block ×3, first 2 shown]
; %bb.12:                               ;   in Loop: Header=BB218_4 Depth=1
	s_or_b64 exec, exec, s[0:1]
	v_cvt_f32_f16_e64 v18, |v9|
                                        ; implicit-def: $vgpr19
	v_cmp_ngt_f32_e32 vcc, s31, v18
	s_and_saveexec_b64 s[0:1], vcc
	s_xor_b64 s[24:25], exec, s[0:1]
	s_cbranch_execz .LBB218_14
; %bb.13:                               ;   in Loop: Header=BB218_4 Depth=1
	v_lshrrev_b32_e32 v2, 23, v18
	v_add_u32_e32 v2, 0xffffff88, v2
	v_cmp_lt_u32_e32 vcc, 63, v2
	v_cndmask_b32_e32 v19, 0, v11, vcc
	v_add_u32_e32 v2, v19, v2
	v_cmp_lt_u32_e64 s[0:1], 31, v2
	v_cndmask_b32_e64 v19, 0, v12, s[0:1]
	v_add_u32_e32 v2, v19, v2
	v_cmp_lt_u32_e64 s[2:3], 31, v2
	v_cndmask_b32_e64 v19, 0, v12, s[2:3]
	v_add_u32_e32 v32, v19, v2
	v_and_b32_e32 v2, 0x7fffff, v18
	v_or_b32_e32 v30, 0x800000, v2
	v_mad_u64_u32 v[18:19], s[6:7], v30, s33, 0
	v_mov_b32_e32 v2, v19
	v_mad_u64_u32 v[20:21], s[6:7], v30, s34, v[2:3]
	v_mov_b32_e32 v2, v21
	;; [unrolled: 2-line block ×6, first 2 shown]
	v_mad_u64_u32 v[30:31], s[6:7], v30, s39, v[2:3]
	v_cndmask_b32_e32 v19, v28, v24, vcc
	v_cndmask_b32_e32 v2, v30, v26, vcc
	;; [unrolled: 1-line block ×3, first 2 shown]
	v_cndmask_b32_e64 v21, v2, v19, s[0:1]
	v_cndmask_b32_e64 v2, v23, v2, s[0:1]
	v_cndmask_b32_e32 v23, v26, v22, vcc
	v_cndmask_b32_e64 v19, v19, v23, s[0:1]
	v_cndmask_b32_e32 v20, v24, v20, vcc
	v_cndmask_b32_e64 v2, v2, v21, s[2:3]
	v_cndmask_b32_e64 v21, v21, v19, s[2:3]
	v_sub_u32_e32 v25, 32, v32
	v_cndmask_b32_e64 v23, v23, v20, s[0:1]
	v_alignbit_b32 v26, v2, v21, v25
	v_cmp_eq_u32_e64 s[6:7], 0, v32
	v_cndmask_b32_e64 v19, v19, v23, s[2:3]
	v_cndmask_b32_e32 v18, v22, v18, vcc
	v_cndmask_b32_e64 v2, v26, v2, s[6:7]
	v_alignbit_b32 v24, v21, v19, v25
	v_cndmask_b32_e64 v18, v20, v18, s[0:1]
	v_cndmask_b32_e64 v21, v24, v21, s[6:7]
	v_bfe_u32 v27, v2, 29, 1
	v_cndmask_b32_e64 v18, v23, v18, s[2:3]
	v_alignbit_b32 v24, v2, v21, 30
	v_sub_u32_e32 v28, 0, v27
	v_alignbit_b32 v20, v19, v18, v25
	v_xor_b32_e32 v29, v24, v28
	v_cndmask_b32_e64 v19, v20, v19, s[6:7]
	v_alignbit_b32 v20, v21, v19, 30
	v_ffbh_u32_e32 v21, v29
	v_add_u32_e32 v21, 1, v21
	v_cmp_ne_u32_e32 vcc, v24, v28
	v_cndmask_b32_e32 v21, 33, v21, vcc
	v_alignbit_b32 v18, v19, v18, 30
	v_xor_b32_e32 v20, v20, v28
	v_sub_u32_e32 v22, 32, v21
	v_xor_b32_e32 v18, v18, v28
	v_alignbit_b32 v23, v29, v20, v22
	v_alignbit_b32 v18, v20, v18, v22
	;; [unrolled: 1-line block ×3, first 2 shown]
	v_ffbh_u32_e32 v20, v19
	v_min_u32_e32 v20, 32, v20
	v_lshrrev_b32_e32 v26, 29, v2
	v_sub_u32_e32 v22, 31, v20
	v_alignbit_b32 v18, v19, v18, v22
	v_lshlrev_b32_e32 v19, 31, v26
	v_or_b32_e32 v22, 0x33800000, v19
	v_add_lshl_u32 v20, v20, v21, 23
	v_lshrrev_b32_e32 v18, 9, v18
	v_sub_u32_e32 v20, v22, v20
	v_or_b32_e32 v18, v20, v18
	v_alignbit_b32 v20, v21, v23, 9
	v_or_b32_e32 v19, v20, v19
	v_xor_b32_e32 v19, 1.0, v19
	v_mul_f32_e32 v20, 0x3fc90fda, v19
	v_fma_f32 v21, v19, s40, -v20
	v_fmac_f32_e32 v21, 0x33a22168, v19
	v_fmac_f32_e32 v21, 0x3fc90fda, v18
	v_lshrrev_b32_e32 v2, 30, v2
	v_add_f32_e32 v18, v20, v21
	v_add_u32_e32 v19, v27, v2
.LBB218_14:                             ;   in Loop: Header=BB218_4 Depth=1
	s_andn2_saveexec_b64 s[0:1], s[24:25]
; %bb.15:                               ;   in Loop: Header=BB218_4 Depth=1
	v_mul_f32_e32 v2, 0x3f22f983, v18
	v_rndne_f32_e32 v2, v2
	v_cvt_i32_f32_e32 v19, v2
	v_fmac_f32_e32 v18, 0xbfc90fda, v2
	v_fmac_f32_e32 v18, 0xb3a22168, v2
	;; [unrolled: 1-line block ×3, first 2 shown]
; %bb.16:                               ;   in Loop: Header=BB218_4 Depth=1
	s_or_b64 exec, exec, s[0:1]
	v_cvt_f32_f16_sdwa v2, |v9| dst_sel:DWORD dst_unused:UNUSED_PAD src0_sel:WORD_1
                                        ; implicit-def: $vgpr20
	v_cmp_ngt_f32_e32 vcc, s31, v2
	s_and_saveexec_b64 s[0:1], vcc
	s_xor_b64 s[24:25], exec, s[0:1]
	s_cbranch_execz .LBB218_18
; %bb.17:                               ;   in Loop: Header=BB218_4 Depth=1
	v_lshrrev_b32_e32 v20, 23, v2
	v_add_u32_e32 v20, 0xffffff88, v20
	v_cmp_lt_u32_e32 vcc, 63, v20
	v_cndmask_b32_e32 v21, 0, v11, vcc
	v_add_u32_e32 v20, v21, v20
	v_cmp_lt_u32_e64 s[0:1], 31, v20
	v_cndmask_b32_e64 v21, 0, v12, s[0:1]
	v_add_u32_e32 v20, v21, v20
	v_cmp_lt_u32_e64 s[2:3], 31, v20
	v_and_b32_e32 v2, 0x7fffff, v2
	v_cndmask_b32_e64 v21, 0, v12, s[2:3]
	v_or_b32_e32 v32, 0x800000, v2
	v_add_u32_e32 v34, v21, v20
	v_mad_u64_u32 v[20:21], s[6:7], v32, s33, 0
	v_mov_b32_e32 v2, v21
	v_mad_u64_u32 v[22:23], s[6:7], v32, s34, v[2:3]
	v_mov_b32_e32 v2, v23
	;; [unrolled: 2-line block ×6, first 2 shown]
	v_mad_u64_u32 v[32:33], s[6:7], v32, s39, v[2:3]
	v_cndmask_b32_e32 v21, v30, v26, vcc
	v_cndmask_b32_e32 v2, v32, v28, vcc
	;; [unrolled: 1-line block ×3, first 2 shown]
	v_cndmask_b32_e64 v23, v2, v21, s[0:1]
	v_cndmask_b32_e64 v2, v25, v2, s[0:1]
	v_cndmask_b32_e32 v25, v28, v24, vcc
	v_cndmask_b32_e64 v21, v21, v25, s[0:1]
	v_cndmask_b32_e64 v2, v2, v23, s[2:3]
	;; [unrolled: 1-line block ×3, first 2 shown]
	v_sub_u32_e32 v27, 32, v34
	v_alignbit_b32 v28, v2, v23, v27
	v_cmp_eq_u32_e64 s[6:7], 0, v34
	v_cndmask_b32_e64 v28, v28, v2, s[6:7]
	v_cndmask_b32_e32 v2, v26, v22, vcc
	v_cndmask_b32_e64 v22, v25, v2, s[0:1]
	v_cndmask_b32_e64 v21, v21, v22, s[2:3]
	v_alignbit_b32 v25, v23, v21, v27
	v_cndmask_b32_e64 v23, v25, v23, s[6:7]
	v_bfe_u32 v29, v28, 29, 1
	v_cndmask_b32_e32 v20, v24, v20, vcc
	v_alignbit_b32 v25, v28, v23, 30
	v_sub_u32_e32 v30, 0, v29
	v_cndmask_b32_e64 v2, v2, v20, s[0:1]
	v_xor_b32_e32 v31, v25, v30
	v_cndmask_b32_e64 v2, v22, v2, s[2:3]
	v_alignbit_b32 v20, v21, v2, v27
	v_ffbh_u32_e32 v22, v31
	v_cndmask_b32_e64 v20, v20, v21, s[6:7]
	v_add_u32_e32 v22, 1, v22
	v_cmp_ne_u32_e32 vcc, v25, v30
	v_alignbit_b32 v21, v23, v20, 30
	v_cndmask_b32_e32 v22, 33, v22, vcc
	v_alignbit_b32 v2, v20, v2, 30
	v_xor_b32_e32 v21, v21, v30
	v_sub_u32_e32 v23, 32, v22
	v_xor_b32_e32 v2, v2, v30
	v_alignbit_b32 v24, v31, v21, v23
	v_alignbit_b32 v2, v21, v2, v23
	;; [unrolled: 1-line block ×3, first 2 shown]
	v_ffbh_u32_e32 v21, v20
	v_min_u32_e32 v21, 32, v21
	v_lshrrev_b32_e32 v26, 29, v28
	v_sub_u32_e32 v23, 31, v21
	v_alignbit_b32 v2, v20, v2, v23
	v_lshlrev_b32_e32 v20, 31, v26
	v_or_b32_e32 v23, 0x33800000, v20
	v_add_lshl_u32 v21, v21, v22, 23
	v_lshrrev_b32_e32 v2, 9, v2
	v_sub_u32_e32 v21, v23, v21
	v_or_b32_e32 v2, v21, v2
	v_alignbit_b32 v21, v22, v24, 9
	v_or_b32_e32 v20, v21, v20
	v_xor_b32_e32 v20, 1.0, v20
	v_mul_f32_e32 v21, 0x3fc90fda, v20
	v_fma_f32 v22, v20, s40, -v21
	v_fmac_f32_e32 v22, 0x33a22168, v20
	v_fmac_f32_e32 v22, 0x3fc90fda, v2
	v_lshrrev_b32_e32 v20, 30, v28
	v_add_f32_e32 v2, v21, v22
	v_add_u32_e32 v20, v29, v20
.LBB218_18:                             ;   in Loop: Header=BB218_4 Depth=1
	s_andn2_saveexec_b64 s[0:1], s[24:25]
	s_cbranch_execz .LBB218_3
; %bb.19:                               ;   in Loop: Header=BB218_4 Depth=1
	v_mul_f32_e32 v20, 0x3f22f983, v2
	v_rndne_f32_e32 v21, v20
	v_cvt_i32_f32_e32 v20, v21
	v_fmac_f32_e32 v2, 0xbfc90fda, v21
	v_fmac_f32_e32 v2, 0xb3a22168, v21
	v_fmac_f32_e32 v2, 0xa7c234c4, v21
	s_branch .LBB218_3
.LBB218_20:
	s_or_b64 exec, exec, s[18:19]
	s_mov_b64 s[0:1], 0
.LBB218_21:
	s_andn2_b64 vcc, exec, s[0:1]
	s_cbranch_vccnz .LBB218_57
; %bb.22:
	v_cmp_lt_i64_e64 s[0:1], s[16:17], 1
	s_and_b64 vcc, exec, s[0:1]
	s_cbranch_vccnz .LBB218_57
; %bb.23:
	s_load_dword s0, s[4:5], 0xc5c
	v_mov_b32_e32 v4, 0x10000
	v_mov_b32_e32 v5, 0
	v_cmp_lt_u64_e32 vcc, s[16:17], v[4:5]
	v_lshlrev_b32_e32 v2, 1, v0
	s_waitcnt lgkmcnt(0)
	s_and_b32 s2, s0, 0xffff
	s_and_b64 s[0:1], vcc, exec
	v_mov_b32_e32 v15, s11
	v_add_co_u32_e32 v4, vcc, s10, v2
	v_addc_co_u32_e32 v1, vcc, 0, v15, vcc
	v_mov_b32_e32 v3, 0
	v_mov_b32_e32 v17, s9
	v_add_co_u32_e32 v6, vcc, s8, v2
	v_addc_co_u32_e32 v5, vcc, 0, v17, vcc
	v_mad_u64_u32 v[10:11], s[0:1], s2, 6, v[2:3]
	v_add_co_u32_e32 v8, vcc, s10, v10
	v_addc_co_u32_e32 v7, vcc, v15, v11, vcc
	v_add_co_u32_e32 v10, vcc, s8, v10
	s_mul_i32 s4, s2, 3
	v_addc_co_u32_e32 v9, vcc, v17, v11, vcc
	s_cselect_b32 s19, s17, 0
	s_cselect_b32 s18, s16, 0x10000
	s_lshl_b32 s25, s2, 2
	v_add_co_u32_e32 v19, vcc, s4, v0
	v_addc_co_u32_e64 v20, s[0:1], 0, 0, vcc
	v_add_co_u32_e32 v2, vcc, s25, v2
	v_addc_co_u32_e64 v13, s[0:1], 0, 0, vcc
	v_add_co_u32_e32 v12, vcc, s10, v2
	v_addc_co_u32_e32 v11, vcc, v15, v13, vcc
	v_add_co_u32_e32 v14, vcc, s8, v2
	s_lshl_b32 s3, s2, 1
	v_addc_co_u32_e32 v13, vcc, v17, v13, vcc
	v_add_co_u32_e32 v21, vcc, s3, v0
	v_addc_co_u32_e64 v22, s[0:1], 0, 0, vcc
	v_add_co_u32_e32 v23, vcc, s2, v0
	v_lshlrev_b32_e32 v2, 1, v23
	v_addc_co_u32_e64 v24, s[0:1], 0, 0, vcc
	v_add_co_u32_e32 v16, vcc, s10, v2
	v_addc_co_u32_e32 v15, vcc, 0, v15, vcc
	v_add_co_u32_e32 v18, vcc, s8, v2
	s_mov_b32 s24, 0
	s_lshl_b32 s26, s2, 3
	v_addc_co_u32_e32 v17, vcc, 0, v17, vcc
	s_mov_b64 s[20:21], 0
	s_brev_b32 s27, 18
	s_mov_b32 s28, 0xfe5163ab
	s_mov_b32 s29, 0x3c439041
	;; [unrolled: 1-line block ×8, first 2 shown]
	v_mov_b32_e32 v25, 0xbe2aaa9d
	v_mov_b32_e32 v26, 0x3d2aabf7
	;; [unrolled: 1-line block ×3, first 2 shown]
	s_movk_i32 s37, 0x1f8
	v_not_b32_e32 v28, 63
	v_not_b32_e32 v29, 31
	v_mov_b32_e32 v30, 0x7e00
	s_branch .LBB218_25
.LBB218_24:                             ;   in Loop: Header=BB218_25 Depth=1
	s_or_b64 exec, exec, s[0:1]
	s_add_u32 s20, s20, s25
	s_addc_u32 s21, s21, 0
	v_pk_mov_b32 v[32:33], s[16:17], s[16:17] op_sel:[0,1]
	v_cmp_ge_i64_e32 vcc, s[20:21], v[32:33]
	v_mov_b32_e32 v32, 0xffff
	v_mov_b32_e32 v33, 0
	v_cmp_gt_u64_e64 s[0:1], s[20:21], v[32:33]
	s_or_b64 s[0:1], vcc, s[0:1]
	v_mov_b32_e32 v2, s24
	v_add_co_u32_e32 v4, vcc, s26, v4
	v_addc_co_u32_e32 v1, vcc, v1, v2, vcc
	v_add_co_u32_e32 v6, vcc, s26, v6
	v_addc_co_u32_e32 v5, vcc, v5, v2, vcc
	;; [unrolled: 2-line block ×8, first 2 shown]
	s_and_b64 vcc, exec, s[0:1]
	s_cbranch_vccnz .LBB218_57
.LBB218_25:                             ; =>This Inner Loop Header: Depth=1
	v_mov_b32_e32 v2, s21
	v_add_co_u32_e32 v32, vcc, s20, v0
	v_addc_co_u32_e32 v33, vcc, 0, v2, vcc
	v_cmp_gt_u64_e64 s[4:5], s[18:19], v[32:33]
	v_mov_b32_e32 v34, 0
	s_and_saveexec_b64 s[0:1], s[4:5]
	s_cbranch_execz .LBB218_27
; %bb.26:                               ;   in Loop: Header=BB218_25 Depth=1
	v_mov_b32_e32 v2, s15
	v_add_co_u32_e32 v32, vcc, s14, v4
	v_addc_co_u32_e32 v33, vcc, v1, v2, vcc
	global_load_ushort v34, v[32:33], off
.LBB218_27:                             ;   in Loop: Header=BB218_25 Depth=1
	s_or_b64 exec, exec, s[0:1]
	v_mov_b32_e32 v2, s21
	v_add_co_u32_e32 v32, vcc, s20, v23
	v_addc_co_u32_e32 v33, vcc, v24, v2, vcc
	v_cmp_gt_u64_e64 s[2:3], s[18:19], v[32:33]
	v_mov_b32_e32 v33, 0
	s_and_saveexec_b64 s[0:1], s[2:3]
	s_cbranch_execz .LBB218_29
; %bb.28:                               ;   in Loop: Header=BB218_25 Depth=1
	v_mov_b32_e32 v2, s15
	v_add_co_u32_e32 v32, vcc, s14, v16
	v_addc_co_u32_e32 v33, vcc, v15, v2, vcc
	global_load_ushort v33, v[32:33], off
.LBB218_29:                             ;   in Loop: Header=BB218_25 Depth=1
	s_or_b64 exec, exec, s[0:1]
	v_mov_b32_e32 v2, s21
	v_add_co_u32_e32 v36, vcc, s20, v21
	v_addc_co_u32_e32 v37, vcc, v22, v2, vcc
	v_cmp_gt_u64_e64 s[0:1], s[18:19], v[36:37]
	v_mov_b32_e32 v31, 0
	v_mov_b32_e32 v32, 0
	s_and_saveexec_b64 s[6:7], s[0:1]
	s_cbranch_execz .LBB218_31
; %bb.30:                               ;   in Loop: Header=BB218_25 Depth=1
	v_mov_b32_e32 v2, s15
	v_add_co_u32_e32 v36, vcc, s14, v12
	v_addc_co_u32_e32 v37, vcc, v11, v2, vcc
	global_load_ushort v32, v[36:37], off
.LBB218_31:                             ;   in Loop: Header=BB218_25 Depth=1
	s_or_b64 exec, exec, s[6:7]
	v_mov_b32_e32 v2, s21
	v_add_co_u32_e32 v36, vcc, s20, v19
	v_addc_co_u32_e32 v37, vcc, v20, v2, vcc
	v_cmp_gt_u64_e32 vcc, s[18:19], v[36:37]
	s_and_saveexec_b64 s[8:9], vcc
	s_cbranch_execz .LBB218_33
; %bb.32:                               ;   in Loop: Header=BB218_25 Depth=1
	v_mov_b32_e32 v2, s15
	v_add_co_u32_e64 v36, s[6:7], s14, v8
	v_addc_co_u32_e64 v37, s[6:7], v7, v2, s[6:7]
	global_load_ushort v31, v[36:37], off
.LBB218_33:                             ;   in Loop: Header=BB218_25 Depth=1
	s_or_b64 exec, exec, s[8:9]
	s_waitcnt vmcnt(0)
	v_cvt_f32_f16_e64 v35, |v34|
                                        ; implicit-def: $vgpr36
	v_cmp_ngt_f32_e64 s[6:7], s27, v35
	s_and_saveexec_b64 s[8:9], s[6:7]
	s_xor_b64 s[22:23], exec, s[8:9]
	s_cbranch_execz .LBB218_35
; %bb.34:                               ;   in Loop: Header=BB218_25 Depth=1
	v_lshrrev_b32_e32 v2, 23, v35
	v_add_u32_e32 v2, 0xffffff88, v2
	v_cmp_lt_u32_e64 s[6:7], 63, v2
	v_cndmask_b32_e64 v36, 0, v28, s[6:7]
	v_add_u32_e32 v2, v36, v2
	v_cmp_lt_u32_e64 s[8:9], 31, v2
	v_cndmask_b32_e64 v36, 0, v29, s[8:9]
	;; [unrolled: 3-line block ×3, first 2 shown]
	v_add_u32_e32 v50, v36, v2
	v_and_b32_e32 v2, 0x7fffff, v35
	v_or_b32_e32 v35, 0x800000, v2
	v_mad_u64_u32 v[36:37], s[12:13], v35, s28, 0
	v_mov_b32_e32 v2, v37
	v_mad_u64_u32 v[38:39], s[12:13], v35, s29, v[2:3]
	v_mov_b32_e32 v2, v39
	;; [unrolled: 2-line block ×6, first 2 shown]
	v_mad_u64_u32 v[48:49], s[12:13], v35, s35, v[2:3]
	v_cndmask_b32_e64 v37, v46, v42, s[6:7]
	v_cndmask_b32_e64 v2, v48, v44, s[6:7]
	;; [unrolled: 1-line block ×10, first 2 shown]
	v_sub_u32_e32 v41, 32, v50
	v_cndmask_b32_e64 v39, v39, v38, s[8:9]
	v_alignbit_b32 v43, v2, v35, v41
	v_cmp_eq_u32_e64 s[12:13], 0, v50
	v_cndmask_b32_e64 v37, v37, v39, s[10:11]
	v_cndmask_b32_e64 v2, v43, v2, s[12:13]
	v_alignbit_b32 v42, v35, v37, v41
	v_cndmask_b32_e64 v36, v40, v36, s[6:7]
	v_cndmask_b32_e64 v35, v42, v35, s[12:13]
	v_bfe_u32 v44, v2, 29, 1
	v_cndmask_b32_e64 v36, v38, v36, s[8:9]
	v_alignbit_b32 v42, v2, v35, 30
	v_sub_u32_e32 v45, 0, v44
	v_cndmask_b32_e64 v36, v39, v36, s[10:11]
	v_xor_b32_e32 v46, v42, v45
	v_alignbit_b32 v38, v37, v36, v41
	v_cndmask_b32_e64 v37, v38, v37, s[12:13]
	v_ffbh_u32_e32 v38, v46
	v_add_u32_e32 v38, 1, v38
	v_cmp_ne_u32_e64 s[6:7], v42, v45
	v_alignbit_b32 v35, v35, v37, 30
	v_cndmask_b32_e64 v38, 33, v38, s[6:7]
	v_alignbit_b32 v36, v37, v36, 30
	v_xor_b32_e32 v35, v35, v45
	v_sub_u32_e32 v39, 32, v38
	v_xor_b32_e32 v36, v36, v45
	v_alignbit_b32 v40, v46, v35, v39
	v_alignbit_b32 v35, v35, v36, v39
	;; [unrolled: 1-line block ×3, first 2 shown]
	v_ffbh_u32_e32 v37, v36
	v_min_u32_e32 v37, 32, v37
	v_lshrrev_b32_e32 v43, 29, v2
	v_sub_u32_e32 v39, 31, v37
	v_alignbit_b32 v35, v36, v35, v39
	v_lshlrev_b32_e32 v36, 31, v43
	v_or_b32_e32 v39, 0x33800000, v36
	v_add_lshl_u32 v37, v37, v38, 23
	v_lshrrev_b32_e32 v35, 9, v35
	v_sub_u32_e32 v37, v39, v37
	v_or_b32_e32 v35, v37, v35
	v_alignbit_b32 v37, v38, v40, 9
	v_or_b32_e32 v36, v37, v36
	v_xor_b32_e32 v36, 1.0, v36
	v_mul_f32_e32 v37, 0x3fc90fda, v36
	v_fma_f32 v38, v36, s36, -v37
	v_fmac_f32_e32 v38, 0x33a22168, v36
	v_fmac_f32_e32 v38, 0x3fc90fda, v35
	v_lshrrev_b32_e32 v2, 30, v2
	v_add_f32_e32 v35, v37, v38
	v_add_u32_e32 v36, v44, v2
.LBB218_35:                             ;   in Loop: Header=BB218_25 Depth=1
	s_andn2_saveexec_b64 s[6:7], s[22:23]
; %bb.36:                               ;   in Loop: Header=BB218_25 Depth=1
	v_mul_f32_e32 v2, 0x3f22f983, v35
	v_rndne_f32_e32 v2, v2
	v_cvt_i32_f32_e32 v36, v2
	v_fmac_f32_e32 v35, 0xbfc90fda, v2
	v_fmac_f32_e32 v35, 0xb3a22168, v2
	;; [unrolled: 1-line block ×3, first 2 shown]
; %bb.37:                               ;   in Loop: Header=BB218_25 Depth=1
	s_or_b64 exec, exec, s[6:7]
	v_cvt_f32_f16_e64 v37, |v33|
                                        ; implicit-def: $vgpr38
	v_cmp_ngt_f32_e64 s[6:7], s27, v37
	s_and_saveexec_b64 s[8:9], s[6:7]
	s_xor_b64 s[22:23], exec, s[8:9]
	s_cbranch_execz .LBB218_39
; %bb.38:                               ;   in Loop: Header=BB218_25 Depth=1
	v_lshrrev_b32_e32 v2, 23, v37
	v_add_u32_e32 v2, 0xffffff88, v2
	v_cmp_lt_u32_e64 s[6:7], 63, v2
	v_cndmask_b32_e64 v38, 0, v28, s[6:7]
	v_add_u32_e32 v2, v38, v2
	v_cmp_lt_u32_e64 s[8:9], 31, v2
	v_cndmask_b32_e64 v38, 0, v29, s[8:9]
	;; [unrolled: 3-line block ×3, first 2 shown]
	v_add_u32_e32 v52, v38, v2
	v_and_b32_e32 v2, 0x7fffff, v37
	v_or_b32_e32 v37, 0x800000, v2
	v_mad_u64_u32 v[38:39], s[12:13], v37, s28, 0
	v_mov_b32_e32 v2, v39
	v_mad_u64_u32 v[40:41], s[12:13], v37, s29, v[2:3]
	v_mov_b32_e32 v2, v41
	;; [unrolled: 2-line block ×6, first 2 shown]
	v_mad_u64_u32 v[50:51], s[12:13], v37, s35, v[2:3]
	v_cndmask_b32_e64 v39, v48, v44, s[6:7]
	v_cndmask_b32_e64 v2, v50, v46, s[6:7]
	;; [unrolled: 1-line block ×10, first 2 shown]
	v_sub_u32_e32 v43, 32, v52
	v_cndmask_b32_e64 v41, v41, v40, s[8:9]
	v_alignbit_b32 v45, v2, v37, v43
	v_cmp_eq_u32_e64 s[12:13], 0, v52
	v_cndmask_b32_e64 v39, v39, v41, s[10:11]
	v_cndmask_b32_e64 v2, v45, v2, s[12:13]
	v_alignbit_b32 v44, v37, v39, v43
	v_cndmask_b32_e64 v38, v42, v38, s[6:7]
	v_cndmask_b32_e64 v37, v44, v37, s[12:13]
	v_bfe_u32 v46, v2, 29, 1
	v_cndmask_b32_e64 v38, v40, v38, s[8:9]
	v_alignbit_b32 v44, v2, v37, 30
	v_sub_u32_e32 v47, 0, v46
	v_cndmask_b32_e64 v38, v41, v38, s[10:11]
	v_xor_b32_e32 v48, v44, v47
	v_alignbit_b32 v40, v39, v38, v43
	v_cndmask_b32_e64 v39, v40, v39, s[12:13]
	v_ffbh_u32_e32 v40, v48
	v_add_u32_e32 v40, 1, v40
	v_cmp_ne_u32_e64 s[6:7], v44, v47
	v_alignbit_b32 v37, v37, v39, 30
	v_cndmask_b32_e64 v40, 33, v40, s[6:7]
	v_alignbit_b32 v38, v39, v38, 30
	v_xor_b32_e32 v37, v37, v47
	v_sub_u32_e32 v41, 32, v40
	v_xor_b32_e32 v38, v38, v47
	v_alignbit_b32 v42, v48, v37, v41
	v_alignbit_b32 v37, v37, v38, v41
	v_alignbit_b32 v38, v42, v37, 9
	v_ffbh_u32_e32 v39, v38
	v_min_u32_e32 v39, 32, v39
	v_lshrrev_b32_e32 v45, 29, v2
	v_sub_u32_e32 v41, 31, v39
	v_alignbit_b32 v37, v38, v37, v41
	v_lshlrev_b32_e32 v38, 31, v45
	v_or_b32_e32 v41, 0x33800000, v38
	v_add_lshl_u32 v39, v39, v40, 23
	v_lshrrev_b32_e32 v37, 9, v37
	v_sub_u32_e32 v39, v41, v39
	v_or_b32_e32 v37, v39, v37
	v_alignbit_b32 v39, v40, v42, 9
	v_or_b32_e32 v38, v39, v38
	v_xor_b32_e32 v38, 1.0, v38
	v_mul_f32_e32 v39, 0x3fc90fda, v38
	v_fma_f32 v40, v38, s36, -v39
	v_fmac_f32_e32 v40, 0x33a22168, v38
	v_fmac_f32_e32 v40, 0x3fc90fda, v37
	v_lshrrev_b32_e32 v2, 30, v2
	v_add_f32_e32 v37, v39, v40
	v_add_u32_e32 v38, v46, v2
.LBB218_39:                             ;   in Loop: Header=BB218_25 Depth=1
	s_andn2_saveexec_b64 s[6:7], s[22:23]
; %bb.40:                               ;   in Loop: Header=BB218_25 Depth=1
	v_mul_f32_e32 v2, 0x3f22f983, v37
	v_rndne_f32_e32 v2, v2
	v_cvt_i32_f32_e32 v38, v2
	v_fmac_f32_e32 v37, 0xbfc90fda, v2
	v_fmac_f32_e32 v37, 0xb3a22168, v2
	;; [unrolled: 1-line block ×3, first 2 shown]
; %bb.41:                               ;   in Loop: Header=BB218_25 Depth=1
	s_or_b64 exec, exec, s[6:7]
	v_cvt_f32_f16_e64 v39, |v32|
                                        ; implicit-def: $vgpr40
	v_cmp_ngt_f32_e64 s[6:7], s27, v39
	s_and_saveexec_b64 s[8:9], s[6:7]
	s_xor_b64 s[22:23], exec, s[8:9]
	s_cbranch_execz .LBB218_43
; %bb.42:                               ;   in Loop: Header=BB218_25 Depth=1
	v_lshrrev_b32_e32 v2, 23, v39
	v_add_u32_e32 v2, 0xffffff88, v2
	v_cmp_lt_u32_e64 s[6:7], 63, v2
	v_cndmask_b32_e64 v40, 0, v28, s[6:7]
	v_add_u32_e32 v2, v40, v2
	v_cmp_lt_u32_e64 s[8:9], 31, v2
	v_cndmask_b32_e64 v40, 0, v29, s[8:9]
	;; [unrolled: 3-line block ×3, first 2 shown]
	v_add_u32_e32 v54, v40, v2
	v_and_b32_e32 v2, 0x7fffff, v39
	v_or_b32_e32 v39, 0x800000, v2
	v_mad_u64_u32 v[40:41], s[12:13], v39, s28, 0
	v_mov_b32_e32 v2, v41
	v_mad_u64_u32 v[42:43], s[12:13], v39, s29, v[2:3]
	v_mov_b32_e32 v2, v43
	;; [unrolled: 2-line block ×6, first 2 shown]
	v_mad_u64_u32 v[52:53], s[12:13], v39, s35, v[2:3]
	v_cndmask_b32_e64 v41, v50, v46, s[6:7]
	v_cndmask_b32_e64 v2, v52, v48, s[6:7]
	;; [unrolled: 1-line block ×10, first 2 shown]
	v_sub_u32_e32 v45, 32, v54
	v_cndmask_b32_e64 v43, v43, v42, s[8:9]
	v_alignbit_b32 v47, v2, v39, v45
	v_cmp_eq_u32_e64 s[12:13], 0, v54
	v_cndmask_b32_e64 v41, v41, v43, s[10:11]
	v_cndmask_b32_e64 v2, v47, v2, s[12:13]
	v_alignbit_b32 v46, v39, v41, v45
	v_cndmask_b32_e64 v40, v44, v40, s[6:7]
	v_cndmask_b32_e64 v39, v46, v39, s[12:13]
	v_bfe_u32 v48, v2, 29, 1
	v_cndmask_b32_e64 v40, v42, v40, s[8:9]
	v_alignbit_b32 v46, v2, v39, 30
	v_sub_u32_e32 v49, 0, v48
	v_cndmask_b32_e64 v40, v43, v40, s[10:11]
	v_xor_b32_e32 v50, v46, v49
	v_alignbit_b32 v42, v41, v40, v45
	v_cndmask_b32_e64 v41, v42, v41, s[12:13]
	v_ffbh_u32_e32 v42, v50
	v_add_u32_e32 v42, 1, v42
	v_cmp_ne_u32_e64 s[6:7], v46, v49
	v_alignbit_b32 v39, v39, v41, 30
	v_cndmask_b32_e64 v42, 33, v42, s[6:7]
	v_alignbit_b32 v40, v41, v40, 30
	v_xor_b32_e32 v39, v39, v49
	v_sub_u32_e32 v43, 32, v42
	v_xor_b32_e32 v40, v40, v49
	v_alignbit_b32 v44, v50, v39, v43
	v_alignbit_b32 v39, v39, v40, v43
	;; [unrolled: 1-line block ×3, first 2 shown]
	v_ffbh_u32_e32 v41, v40
	v_min_u32_e32 v41, 32, v41
	v_lshrrev_b32_e32 v47, 29, v2
	v_sub_u32_e32 v43, 31, v41
	v_alignbit_b32 v39, v40, v39, v43
	v_lshlrev_b32_e32 v40, 31, v47
	v_or_b32_e32 v43, 0x33800000, v40
	v_add_lshl_u32 v41, v41, v42, 23
	v_lshrrev_b32_e32 v39, 9, v39
	v_sub_u32_e32 v41, v43, v41
	v_or_b32_e32 v39, v41, v39
	v_alignbit_b32 v41, v42, v44, 9
	v_or_b32_e32 v40, v41, v40
	v_xor_b32_e32 v40, 1.0, v40
	v_mul_f32_e32 v41, 0x3fc90fda, v40
	v_fma_f32 v42, v40, s36, -v41
	v_fmac_f32_e32 v42, 0x33a22168, v40
	v_fmac_f32_e32 v42, 0x3fc90fda, v39
	v_lshrrev_b32_e32 v2, 30, v2
	v_add_f32_e32 v39, v41, v42
	v_add_u32_e32 v40, v48, v2
.LBB218_43:                             ;   in Loop: Header=BB218_25 Depth=1
	s_andn2_saveexec_b64 s[6:7], s[22:23]
; %bb.44:                               ;   in Loop: Header=BB218_25 Depth=1
	v_mul_f32_e32 v2, 0x3f22f983, v39
	v_rndne_f32_e32 v2, v2
	v_cvt_i32_f32_e32 v40, v2
	v_fmac_f32_e32 v39, 0xbfc90fda, v2
	v_fmac_f32_e32 v39, 0xb3a22168, v2
	;; [unrolled: 1-line block ×3, first 2 shown]
; %bb.45:                               ;   in Loop: Header=BB218_25 Depth=1
	s_or_b64 exec, exec, s[6:7]
	v_cvt_f32_f16_e64 v2, |v31|
                                        ; implicit-def: $vgpr41
	v_cmp_ngt_f32_e64 s[6:7], s27, v2
	s_and_saveexec_b64 s[8:9], s[6:7]
	s_xor_b64 s[22:23], exec, s[8:9]
	s_cbranch_execnz .LBB218_51
; %bb.46:                               ;   in Loop: Header=BB218_25 Depth=1
	s_andn2_saveexec_b64 s[6:7], s[22:23]
	s_cbranch_execnz .LBB218_52
.LBB218_47:                             ;   in Loop: Header=BB218_25 Depth=1
	s_or_b64 exec, exec, s[6:7]
	s_and_saveexec_b64 s[6:7], s[4:5]
	s_xor_b64 s[6:7], exec, s[6:7]
	s_cbranch_execnz .LBB218_53
.LBB218_48:                             ;   in Loop: Header=BB218_25 Depth=1
	s_or_b64 exec, exec, s[6:7]
	s_and_saveexec_b64 s[4:5], s[2:3]
	s_cbranch_execnz .LBB218_54
.LBB218_49:                             ;   in Loop: Header=BB218_25 Depth=1
	s_or_b64 exec, exec, s[4:5]
	s_and_saveexec_b64 s[2:3], s[0:1]
	s_cbranch_execnz .LBB218_55
.LBB218_50:                             ;   in Loop: Header=BB218_25 Depth=1
	s_or_b64 exec, exec, s[2:3]
	s_and_saveexec_b64 s[0:1], vcc
	s_cbranch_execz .LBB218_24
	s_branch .LBB218_56
.LBB218_51:                             ;   in Loop: Header=BB218_25 Depth=1
	v_lshrrev_b32_e32 v41, 23, v2
	v_add_u32_e32 v41, 0xffffff88, v41
	v_cmp_lt_u32_e64 s[6:7], 63, v41
	v_cndmask_b32_e64 v42, 0, v28, s[6:7]
	v_add_u32_e32 v41, v42, v41
	v_cmp_lt_u32_e64 s[8:9], 31, v41
	v_cndmask_b32_e64 v42, 0, v29, s[8:9]
	v_add_u32_e32 v41, v42, v41
	v_cmp_lt_u32_e64 s[10:11], 31, v41
	v_and_b32_e32 v2, 0x7fffff, v2
	v_cndmask_b32_e64 v42, 0, v29, s[10:11]
	v_or_b32_e32 v54, 0x800000, v2
	v_add_u32_e32 v41, v42, v41
	v_mad_u64_u32 v[42:43], s[12:13], v54, s28, 0
	v_mov_b32_e32 v2, v43
	v_mad_u64_u32 v[44:45], s[12:13], v54, s29, v[2:3]
	v_mov_b32_e32 v2, v45
	;; [unrolled: 2-line block ×6, first 2 shown]
	v_mad_u64_u32 v[54:55], s[12:13], v54, s35, v[2:3]
	v_cndmask_b32_e64 v43, v52, v48, s[6:7]
	v_cndmask_b32_e64 v2, v54, v50, s[6:7]
	;; [unrolled: 1-line block ×9, first 2 shown]
	v_sub_u32_e32 v49, 32, v41
	v_alignbit_b32 v50, v2, v45, v49
	v_cmp_eq_u32_e64 s[12:13], 0, v41
	v_cndmask_b32_e64 v41, v50, v2, s[12:13]
	v_cndmask_b32_e64 v2, v48, v44, s[6:7]
	;; [unrolled: 1-line block ×4, first 2 shown]
	v_alignbit_b32 v47, v45, v43, v49
	v_cndmask_b32_e64 v45, v47, v45, s[12:13]
	v_bfe_u32 v50, v41, 29, 1
	v_cndmask_b32_e64 v42, v46, v42, s[6:7]
	v_alignbit_b32 v47, v41, v45, 30
	v_sub_u32_e32 v51, 0, v50
	v_cndmask_b32_e64 v2, v2, v42, s[8:9]
	v_xor_b32_e32 v52, v47, v51
	v_cndmask_b32_e64 v2, v44, v2, s[10:11]
	v_alignbit_b32 v42, v43, v2, v49
	v_ffbh_u32_e32 v44, v52
	v_cndmask_b32_e64 v42, v42, v43, s[12:13]
	v_add_u32_e32 v44, 1, v44
	v_cmp_ne_u32_e64 s[6:7], v47, v51
	v_alignbit_b32 v43, v45, v42, 30
	v_cndmask_b32_e64 v44, 33, v44, s[6:7]
	v_alignbit_b32 v2, v42, v2, 30
	v_xor_b32_e32 v43, v43, v51
	v_sub_u32_e32 v45, 32, v44
	v_xor_b32_e32 v2, v2, v51
	v_alignbit_b32 v46, v52, v43, v45
	v_alignbit_b32 v2, v43, v2, v45
	;; [unrolled: 1-line block ×3, first 2 shown]
	v_ffbh_u32_e32 v43, v42
	v_min_u32_e32 v43, 32, v43
	v_lshrrev_b32_e32 v48, 29, v41
	v_sub_u32_e32 v45, 31, v43
	v_alignbit_b32 v2, v42, v2, v45
	v_lshlrev_b32_e32 v42, 31, v48
	v_or_b32_e32 v45, 0x33800000, v42
	v_add_lshl_u32 v43, v43, v44, 23
	v_lshrrev_b32_e32 v2, 9, v2
	v_sub_u32_e32 v43, v45, v43
	v_or_b32_e32 v2, v43, v2
	v_alignbit_b32 v43, v44, v46, 9
	v_or_b32_e32 v42, v43, v42
	v_xor_b32_e32 v42, 1.0, v42
	v_mul_f32_e32 v43, 0x3fc90fda, v42
	v_fma_f32 v44, v42, s36, -v43
	v_fmac_f32_e32 v44, 0x33a22168, v42
	v_fmac_f32_e32 v44, 0x3fc90fda, v2
	v_lshrrev_b32_e32 v41, 30, v41
	v_add_f32_e32 v2, v43, v44
	v_add_u32_e32 v41, v50, v41
	s_andn2_saveexec_b64 s[6:7], s[22:23]
	s_cbranch_execz .LBB218_47
.LBB218_52:                             ;   in Loop: Header=BB218_25 Depth=1
	v_mul_f32_e32 v41, 0x3f22f983, v2
	v_rndne_f32_e32 v42, v41
	v_cvt_i32_f32_e32 v41, v42
	v_fmac_f32_e32 v2, 0xbfc90fda, v42
	v_fmac_f32_e32 v2, 0xb3a22168, v42
	v_fmac_f32_e32 v2, 0xa7c234c4, v42
	s_or_b64 exec, exec, s[6:7]
	s_and_saveexec_b64 s[6:7], s[4:5]
	s_xor_b64 s[6:7], exec, s[6:7]
	s_cbranch_execz .LBB218_48
.LBB218_53:                             ;   in Loop: Header=BB218_25 Depth=1
	v_mul_f32_e32 v42, v35, v35
	v_mov_b32_e32 v43, 0x3c0881c4
	v_fmac_f32_e32 v43, 0xb94c1982, v42
	v_fma_f32 v43, v42, v43, v25
	v_mul_f32_e32 v43, v42, v43
	v_fmac_f32_e32 v35, v35, v43
	v_mov_b32_e32 v43, 0xbab64f3b
	v_fmac_f32_e32 v43, 0x37d75334, v42
	v_fma_f32 v43, v42, v43, v26
	v_fma_f32 v43, v42, v43, v27
	v_fma_f32 v42, v42, v43, 1.0
	v_and_b32_e32 v43, 1, v36
	v_cmp_eq_u32_e64 s[4:5], 0, v43
	v_lshlrev_b32_e32 v36, 30, v36
	v_cndmask_b32_e64 v35, -v35, v42, s[4:5]
	v_and_b32_e32 v36, 0x80000000, v36
	v_xor_b32_e32 v35, v36, v35
	v_cvt_f16_f32_e32 v35, v35
	v_cmp_class_f16_e64 s[4:5], v34, s37
	v_cndmask_b32_e64 v36, v30, v35, s[4:5]
	v_mov_b32_e32 v35, s15
	v_add_co_u32_e64 v34, s[4:5], s14, v6
	v_addc_co_u32_e64 v35, s[4:5], v5, v35, s[4:5]
	global_store_short v[34:35], v36, off
	s_or_b64 exec, exec, s[6:7]
	s_and_saveexec_b64 s[4:5], s[2:3]
	s_cbranch_execz .LBB218_49
.LBB218_54:                             ;   in Loop: Header=BB218_25 Depth=1
	v_mul_f32_e32 v34, v37, v37
	v_mov_b32_e32 v35, 0x3c0881c4
	v_fmac_f32_e32 v35, 0xb94c1982, v34
	v_fma_f32 v35, v34, v35, v25
	v_mul_f32_e32 v35, v34, v35
	v_fmac_f32_e32 v37, v37, v35
	v_mov_b32_e32 v35, 0xbab64f3b
	v_fmac_f32_e32 v35, 0x37d75334, v34
	v_fma_f32 v35, v34, v35, v26
	v_fma_f32 v35, v34, v35, v27
	v_fma_f32 v34, v34, v35, 1.0
	v_and_b32_e32 v35, 1, v38
	v_cmp_eq_u32_e64 s[2:3], 0, v35
	v_lshlrev_b32_e32 v35, 30, v38
	v_cndmask_b32_e64 v34, -v37, v34, s[2:3]
	v_and_b32_e32 v35, 0x80000000, v35
	v_xor_b32_e32 v34, v35, v34
	v_cvt_f16_f32_e32 v34, v34
	v_cmp_class_f16_e64 s[2:3], v33, s37
	v_mov_b32_e32 v35, s15
	v_cndmask_b32_e64 v33, v30, v34, s[2:3]
	v_add_co_u32_e64 v34, s[2:3], s14, v18
	v_addc_co_u32_e64 v35, s[2:3], v17, v35, s[2:3]
	global_store_short v[34:35], v33, off
	s_or_b64 exec, exec, s[4:5]
	s_and_saveexec_b64 s[2:3], s[0:1]
	s_cbranch_execz .LBB218_50
.LBB218_55:                             ;   in Loop: Header=BB218_25 Depth=1
	v_mul_f32_e32 v33, v39, v39
	v_mov_b32_e32 v34, 0x3c0881c4
	v_fmac_f32_e32 v34, 0xb94c1982, v33
	v_fma_f32 v34, v33, v34, v25
	v_mul_f32_e32 v34, v33, v34
	v_fmac_f32_e32 v39, v39, v34
	v_mov_b32_e32 v34, 0xbab64f3b
	v_fmac_f32_e32 v34, 0x37d75334, v33
	v_fma_f32 v34, v33, v34, v26
	v_fma_f32 v34, v33, v34, v27
	v_fma_f32 v33, v33, v34, 1.0
	v_and_b32_e32 v34, 1, v40
	v_cmp_eq_u32_e64 s[0:1], 0, v34
	v_lshlrev_b32_e32 v34, 30, v40
	v_cndmask_b32_e64 v33, -v39, v33, s[0:1]
	v_and_b32_e32 v34, 0x80000000, v34
	v_xor_b32_e32 v33, v34, v33
	v_cvt_f16_f32_e32 v33, v33
	v_cmp_class_f16_e64 s[0:1], v32, s37
	v_cndmask_b32_e64 v34, v30, v33, s[0:1]
	v_mov_b32_e32 v33, s15
	v_add_co_u32_e64 v32, s[0:1], s14, v14
	v_addc_co_u32_e64 v33, s[0:1], v13, v33, s[0:1]
	global_store_short v[32:33], v34, off
	s_or_b64 exec, exec, s[2:3]
	s_and_saveexec_b64 s[0:1], vcc
	s_cbranch_execz .LBB218_24
.LBB218_56:                             ;   in Loop: Header=BB218_25 Depth=1
	v_mul_f32_e32 v32, v2, v2
	v_mov_b32_e32 v33, 0x3c0881c4
	v_fmac_f32_e32 v33, 0xb94c1982, v32
	v_fma_f32 v33, v32, v33, v25
	v_mul_f32_e32 v33, v32, v33
	v_fmac_f32_e32 v2, v2, v33
	v_mov_b32_e32 v33, 0xbab64f3b
	v_fmac_f32_e32 v33, 0x37d75334, v32
	v_fma_f32 v33, v32, v33, v26
	v_fma_f32 v33, v32, v33, v27
	v_fma_f32 v32, v32, v33, 1.0
	v_and_b32_e32 v33, 1, v41
	v_cmp_eq_u32_e32 vcc, 0, v33
	v_cndmask_b32_e64 v2, -v2, v32, vcc
	v_lshlrev_b32_e32 v32, 30, v41
	v_and_b32_e32 v32, 0x80000000, v32
	v_xor_b32_e32 v2, v32, v2
	v_cvt_f16_f32_e32 v2, v2
	v_cmp_class_f16_e64 vcc, v31, s37
	v_mov_b32_e32 v31, s15
	v_cndmask_b32_e32 v2, v30, v2, vcc
	v_add_co_u32_e32 v32, vcc, s14, v10
	v_addc_co_u32_e32 v33, vcc, v9, v31, vcc
	global_store_short v[32:33], v2, off
	s_branch .LBB218_24
.LBB218_57:
	s_endpgm
	.section	.rodata,"a",@progbits
	.p2align	6, 0x0
	.amdhsa_kernel _ZN2at6native12_GLOBAL__N_125multi_tensor_apply_kernelINS1_18TensorListMetadataILi2EEENS1_14UnaryOpFunctorIN3c104HalfELi2ELi1ELi1EEEJNS0_3CosIfEEEEEvT_T0_DpT1_
		.amdhsa_group_segment_fixed_size 0
		.amdhsa_private_segment_fixed_size 0
		.amdhsa_kernarg_size 3408
		.amdhsa_user_sgpr_count 6
		.amdhsa_user_sgpr_private_segment_buffer 1
		.amdhsa_user_sgpr_dispatch_ptr 0
		.amdhsa_user_sgpr_queue_ptr 0
		.amdhsa_user_sgpr_kernarg_segment_ptr 1
		.amdhsa_user_sgpr_dispatch_id 0
		.amdhsa_user_sgpr_flat_scratch_init 0
		.amdhsa_user_sgpr_kernarg_preload_length 0
		.amdhsa_user_sgpr_kernarg_preload_offset 0
		.amdhsa_user_sgpr_private_segment_size 0
		.amdhsa_uses_dynamic_stack 0
		.amdhsa_system_sgpr_private_segment_wavefront_offset 0
		.amdhsa_system_sgpr_workgroup_id_x 1
		.amdhsa_system_sgpr_workgroup_id_y 0
		.amdhsa_system_sgpr_workgroup_id_z 0
		.amdhsa_system_sgpr_workgroup_info 0
		.amdhsa_system_vgpr_workitem_id 0
		.amdhsa_next_free_vgpr 56
		.amdhsa_next_free_sgpr 42
		.amdhsa_accum_offset 56
		.amdhsa_reserve_vcc 1
		.amdhsa_reserve_flat_scratch 0
		.amdhsa_float_round_mode_32 0
		.amdhsa_float_round_mode_16_64 0
		.amdhsa_float_denorm_mode_32 3
		.amdhsa_float_denorm_mode_16_64 3
		.amdhsa_dx10_clamp 1
		.amdhsa_ieee_mode 1
		.amdhsa_fp16_overflow 0
		.amdhsa_tg_split 0
		.amdhsa_exception_fp_ieee_invalid_op 0
		.amdhsa_exception_fp_denorm_src 0
		.amdhsa_exception_fp_ieee_div_zero 0
		.amdhsa_exception_fp_ieee_overflow 0
		.amdhsa_exception_fp_ieee_underflow 0
		.amdhsa_exception_fp_ieee_inexact 0
		.amdhsa_exception_int_div_zero 0
	.end_amdhsa_kernel
	.section	.text._ZN2at6native12_GLOBAL__N_125multi_tensor_apply_kernelINS1_18TensorListMetadataILi2EEENS1_14UnaryOpFunctorIN3c104HalfELi2ELi1ELi1EEEJNS0_3CosIfEEEEEvT_T0_DpT1_,"axG",@progbits,_ZN2at6native12_GLOBAL__N_125multi_tensor_apply_kernelINS1_18TensorListMetadataILi2EEENS1_14UnaryOpFunctorIN3c104HalfELi2ELi1ELi1EEEJNS0_3CosIfEEEEEvT_T0_DpT1_,comdat
.Lfunc_end218:
	.size	_ZN2at6native12_GLOBAL__N_125multi_tensor_apply_kernelINS1_18TensorListMetadataILi2EEENS1_14UnaryOpFunctorIN3c104HalfELi2ELi1ELi1EEEJNS0_3CosIfEEEEEvT_T0_DpT1_, .Lfunc_end218-_ZN2at6native12_GLOBAL__N_125multi_tensor_apply_kernelINS1_18TensorListMetadataILi2EEENS1_14UnaryOpFunctorIN3c104HalfELi2ELi1ELi1EEEJNS0_3CosIfEEEEEvT_T0_DpT1_
                                        ; -- End function
	.section	.AMDGPU.csdata,"",@progbits
; Kernel info:
; codeLenInByte = 7408
; NumSgprs: 46
; NumVgprs: 56
; NumAgprs: 0
; TotalNumVgprs: 56
; ScratchSize: 0
; MemoryBound: 0
; FloatMode: 240
; IeeeMode: 1
; LDSByteSize: 0 bytes/workgroup (compile time only)
; SGPRBlocks: 5
; VGPRBlocks: 6
; NumSGPRsForWavesPerEU: 46
; NumVGPRsForWavesPerEU: 56
; AccumOffset: 56
; Occupancy: 8
; WaveLimiterHint : 0
; COMPUTE_PGM_RSRC2:SCRATCH_EN: 0
; COMPUTE_PGM_RSRC2:USER_SGPR: 6
; COMPUTE_PGM_RSRC2:TRAP_HANDLER: 0
; COMPUTE_PGM_RSRC2:TGID_X_EN: 1
; COMPUTE_PGM_RSRC2:TGID_Y_EN: 0
; COMPUTE_PGM_RSRC2:TGID_Z_EN: 0
; COMPUTE_PGM_RSRC2:TIDIG_COMP_CNT: 0
; COMPUTE_PGM_RSRC3_GFX90A:ACCUM_OFFSET: 13
; COMPUTE_PGM_RSRC3_GFX90A:TG_SPLIT: 0
	.section	.text._ZN2at6native12_GLOBAL__N_125multi_tensor_apply_kernelINS1_18TensorListMetadataILi2EEENS1_14UnaryOpFunctorIN3c108BFloat16ELi2ELi1ELi1EEEJNS0_3CosIfEEEEEvT_T0_DpT1_,"axG",@progbits,_ZN2at6native12_GLOBAL__N_125multi_tensor_apply_kernelINS1_18TensorListMetadataILi2EEENS1_14UnaryOpFunctorIN3c108BFloat16ELi2ELi1ELi1EEEJNS0_3CosIfEEEEEvT_T0_DpT1_,comdat
	.globl	_ZN2at6native12_GLOBAL__N_125multi_tensor_apply_kernelINS1_18TensorListMetadataILi2EEENS1_14UnaryOpFunctorIN3c108BFloat16ELi2ELi1ELi1EEEJNS0_3CosIfEEEEEvT_T0_DpT1_ ; -- Begin function _ZN2at6native12_GLOBAL__N_125multi_tensor_apply_kernelINS1_18TensorListMetadataILi2EEENS1_14UnaryOpFunctorIN3c108BFloat16ELi2ELi1ELi1EEEJNS0_3CosIfEEEEEvT_T0_DpT1_
	.p2align	8
	.type	_ZN2at6native12_GLOBAL__N_125multi_tensor_apply_kernelINS1_18TensorListMetadataILi2EEENS1_14UnaryOpFunctorIN3c108BFloat16ELi2ELi1ELi1EEEJNS0_3CosIfEEEEEvT_T0_DpT1_,@function
_ZN2at6native12_GLOBAL__N_125multi_tensor_apply_kernelINS1_18TensorListMetadataILi2EEENS1_14UnaryOpFunctorIN3c108BFloat16ELi2ELi1ELi1EEEJNS0_3CosIfEEEEEvT_T0_DpT1_: ; @_ZN2at6native12_GLOBAL__N_125multi_tensor_apply_kernelINS1_18TensorListMetadataILi2EEENS1_14UnaryOpFunctorIN3c108BFloat16ELi2ELi1ELi1EEEJNS0_3CosIfEEEEEvT_T0_DpT1_
; %bb.0:
	v_mov_b32_e32 v1, s6
	global_load_ubyte v1, v1, s[4:5] offset:1536
	s_add_u32 s0, s4, s6
	s_mul_hi_u32 s3, s6, 3
	s_mul_i32 s6, s6, 3
	s_addc_u32 s7, s5, 0
	s_add_u32 s2, s0, s6
	s_addc_u32 s3, s7, s3
	s_mov_b32 s13, 0
	s_mov_b32 s1, s13
	s_waitcnt vmcnt(0)
	v_readfirstlane_b32 s0, v1
	s_lshl_b32 s0, s0, 3
	s_load_dword s6, s[2:3], 0x740
	s_load_dwordx2 s[10:11], s[4:5], s0 offset:0x0
	s_load_dwordx2 s[16:17], s[4:5], s0 offset:0x400
	;; [unrolled: 1-line block ×3, first 2 shown]
	s_mov_b32 s3, s13
	s_waitcnt lgkmcnt(0)
	s_ashr_i32 s7, s6, 31
	s_and_b32 s12, s10, 7
	s_and_b32 s2, s16, 3
	;; [unrolled: 1-line block ×3, first 2 shown]
	s_or_b64 s[2:3], s[12:13], s[2:3]
	s_lshl_b64 s[14:15], s[6:7], 17
	s_or_b64 s[0:1], s[0:1], s[2:3]
	s_lshl_b64 s[2:3], s[6:7], 16
	s_sub_u32 s16, s16, s2
	s_subb_u32 s17, s17, s3
	s_cmp_eq_u64 s[0:1], 0
	s_mov_b64 s[0:1], -1
	s_cbranch_scc0 .LBB219_21
; %bb.1:
	v_mov_b32_e32 v3, 0
	v_lshlrev_b32_e32 v2, 2, v0
	v_cmp_gt_i64_e32 vcc, s[16:17], v[2:3]
	s_and_saveexec_b64 s[18:19], vcc
	s_cbranch_execz .LBB219_20
; %bb.2:
	s_load_dword s0, s[4:5], 0xc5c
	v_lshlrev_b32_e32 v1, 3, v0
	v_mov_b32_e32 v2, s15
	v_add_co_u32_e32 v4, vcc, s14, v1
	s_waitcnt lgkmcnt(0)
	s_and_b32 s0, s0, 0xffff
	v_addc_co_u32_e32 v1, vcc, 0, v2, vcc
	v_add_lshl_u32 v2, v0, s0, 2
	s_lshl_b32 s12, s0, 3
	s_lshl_b32 s26, s0, 2
	s_mov_b32 s27, s13
	s_mov_b64 s[20:21], 0
	v_mov_b32_e32 v5, s11
	s_brev_b32 s28, 18
	s_mov_b32 s29, 0xfe5163ab
	s_mov_b32 s30, 0x3c439041
	;; [unrolled: 1-line block ×10, first 2 shown]
	v_mov_b32_e32 v10, 0xbe2aaa9d
	v_mov_b32_e32 v11, 0x3d2aabf7
	v_mov_b32_e32 v12, 0xbf000004
	s_movk_i32 s40, 0x1f8
	s_movk_i32 s41, 0x7fff
	s_mov_b64 s[22:23], 0xffff
	v_not_b32_e32 v13, 63
	v_not_b32_e32 v14, 31
	v_mov_b32_e32 v15, 0x7fc00000
	v_mov_b32_e32 v16, 0x7fc0
	v_pk_mov_b32 v[6:7], v[2:3], v[2:3] op_sel:[0,1]
	s_branch .LBB219_4
.LBB219_3:                              ;   in Loop: Header=BB219_4 Depth=1
	s_or_b64 exec, exec, s[0:1]
	v_mul_f32_e32 v26, v24, v24
	v_mov_b32_e32 v27, 0x3c0881c4
	v_fmac_f32_e32 v27, 0xb94c1982, v26
	v_fma_f32 v27, v26, v27, v10
	v_mul_f32_e32 v27, v26, v27
	v_fmac_f32_e32 v24, v24, v27
	v_mov_b32_e32 v27, 0xbab64f3b
	v_fmac_f32_e32 v27, 0x37d75334, v26
	v_fma_f32 v27, v26, v27, v11
	v_fma_f32 v27, v26, v27, v12
	v_fma_f32 v26, v26, v27, 1.0
	v_and_b32_e32 v27, 1, v23
	v_cmp_eq_u32_e32 vcc, 0, v27
	v_lshlrev_b32_e32 v23, 30, v23
	v_cndmask_b32_e64 v24, -v24, v26, vcc
	v_and_b32_e32 v23, 0x80000000, v23
	v_xor_b32_e32 v23, v23, v24
	v_cmp_class_f32_e64 vcc, v8, s40
	v_cndmask_b32_e32 v23, v15, v23, vcc
	v_bfe_u32 v8, v23, 16, 1
	v_add3_u32 v8, v23, v8, s41
	v_lshrrev_b32_e32 v24, 16, v8
	v_mul_f32_e32 v8, v22, v22
	v_mov_b32_e32 v26, 0x3c0881c4
	v_fmac_f32_e32 v26, 0xb94c1982, v8
	v_fma_f32 v26, v8, v26, v10
	v_mul_f32_e32 v26, v8, v26
	v_fmac_f32_e32 v22, v22, v26
	v_mov_b32_e32 v26, 0xbab64f3b
	v_fmac_f32_e32 v26, 0x37d75334, v8
	v_fma_f32 v26, v8, v26, v11
	v_fma_f32 v26, v8, v26, v12
	v_fma_f32 v8, v8, v26, 1.0
	v_and_b32_e32 v26, 1, v21
	v_cmp_eq_u32_e32 vcc, 0, v26
	v_lshlrev_b32_e32 v21, 30, v21
	v_cndmask_b32_e64 v8, -v22, v8, vcc
	v_and_b32_e32 v21, 0x80000000, v21
	v_xor_b32_e32 v8, v21, v8
	v_cmp_class_f32_e64 vcc, v20, s40
	v_cndmask_b32_e32 v20, v15, v8, vcc
	v_bfe_u32 v8, v20, 16, 1
	v_add3_u32 v8, v20, v8, s41
	v_and_b32_e32 v21, 0xffff0000, v8
	v_mul_f32_e32 v8, v19, v19
	v_mov_b32_e32 v22, 0x3c0881c4
	v_fmac_f32_e32 v22, 0xb94c1982, v8
	v_fma_f32 v22, v8, v22, v10
	v_mul_f32_e32 v22, v8, v22
	v_fmac_f32_e32 v19, v19, v22
	v_mov_b32_e32 v22, 0xbab64f3b
	v_fmac_f32_e32 v22, 0x37d75334, v8
	v_fma_f32 v22, v8, v22, v11
	v_fma_f32 v22, v8, v22, v12
	v_fma_f32 v8, v8, v22, 1.0
	v_and_b32_e32 v22, 1, v18
	v_cmp_eq_u32_e32 vcc, 0, v22
	v_lshlrev_b32_e32 v18, 30, v18
	v_cndmask_b32_e64 v8, -v19, v8, vcc
	v_and_b32_e32 v18, 0x80000000, v18
	v_xor_b32_e32 v8, v18, v8
	v_cmp_class_f32_e64 vcc, v17, s40
	v_cndmask_b32_e32 v17, v15, v8, vcc
	v_bfe_u32 v8, v17, 16, 1
	v_add3_u32 v8, v17, v8, s41
	v_lshrrev_b32_e32 v18, 16, v8
	v_mul_f32_e32 v8, v25, v25
	v_mov_b32_e32 v19, 0x3c0881c4
	v_fmac_f32_e32 v19, 0xb94c1982, v8
	v_fma_f32 v19, v8, v19, v10
	v_mul_f32_e32 v19, v8, v19
	v_fmac_f32_e32 v25, v25, v19
	v_mov_b32_e32 v19, 0xbab64f3b
	v_fmac_f32_e32 v19, 0x37d75334, v8
	v_fma_f32 v19, v8, v19, v11
	v_fma_f32 v19, v8, v19, v12
	v_fma_f32 v8, v8, v19, 1.0
	v_and_b32_e32 v19, 1, v2
	v_cmp_eq_u32_e32 vcc, 0, v19
	v_lshlrev_b32_e32 v2, 30, v2
	v_cndmask_b32_e64 v8, -v25, v8, vcc
	v_and_b32_e32 v2, 0x80000000, v2
	v_xor_b32_e32 v2, v2, v8
	v_cmp_class_f32_e64 vcc, v9, s40
	v_cndmask_b32_e32 v2, v15, v2, vcc
	v_bfe_u32 v8, v2, 16, 1
	v_add3_u32 v19, v2, v8, s41
	v_mov_b32_e32 v9, s9
	v_add_co_u32_e32 v8, vcc, s8, v4
	v_addc_co_u32_e32 v9, vcc, v9, v1, vcc
	v_and_b32_e32 v19, 0xffff0000, v19
	v_cmp_o_f32_e32 vcc, v2, v2
	v_cndmask_b32_e32 v2, v15, v19, vcc
	v_cmp_o_f32_e32 vcc, v23, v23
	v_cndmask_b32_e32 v19, v16, v24, vcc
	;; [unrolled: 2-line block ×4, first 2 shown]
	v_cmp_le_i64_e32 vcc, s[16:17], v[6:7]
	v_cmp_lt_u64_e64 s[0:1], s[22:23], v[6:7]
	v_or3_b32 v19, 0, v19, v2
	s_or_b64 s[0:1], vcc, s[0:1]
	v_mov_b32_e32 v2, s13
	v_add_co_u32_e32 v4, vcc, s12, v4
	v_addc_co_u32_e32 v1, vcc, v1, v2, vcc
	v_or_b32_e32 v17, v20, v17
	v_mov_b32_e32 v2, s27
	s_and_b64 s[0:1], exec, s[0:1]
	v_add_co_u32_e32 v6, vcc, s26, v6
	v_or3_b32 v18, v17, 0, 0
	s_or_b64 s[20:21], s[0:1], s[20:21]
	v_addc_co_u32_e32 v7, vcc, v7, v2, vcc
	global_store_dwordx2 v[8:9], v[18:19], off
	s_andn2_b64 exec, exec, s[20:21]
	s_cbranch_execz .LBB219_20
.LBB219_4:                              ; =>This Inner Loop Header: Depth=1
	v_add_co_u32_e32 v8, vcc, s10, v4
	v_addc_co_u32_e32 v9, vcc, v5, v1, vcc
	global_load_dwordx2 v[8:9], v[8:9], off
                                        ; implicit-def: $vgpr18
                                        ; implicit-def: $vgpr19
	s_waitcnt vmcnt(0)
	v_lshlrev_b32_e32 v17, 16, v8
	v_cmp_nlt_f32_e64 s[0:1], |v17|, s28
	s_and_saveexec_b64 s[2:3], s[0:1]
	s_xor_b64 s[24:25], exec, s[2:3]
	s_cbranch_execz .LBB219_6
; %bb.5:                                ;   in Loop: Header=BB219_4 Depth=1
	v_and_b32_e32 v2, 0x7fffffff, v17
	v_lshrrev_b32_e32 v18, 23, v2
	v_add_u32_e32 v18, 0xffffff88, v18
	v_cmp_lt_u32_e32 vcc, 63, v18
	v_cndmask_b32_e32 v19, 0, v13, vcc
	v_add_u32_e32 v18, v19, v18
	v_cmp_lt_u32_e64 s[0:1], 31, v18
	v_cndmask_b32_e64 v19, 0, v14, s[0:1]
	v_add_u32_e32 v18, v19, v18
	v_cmp_lt_u32_e64 s[2:3], 31, v18
	v_and_b32_e32 v2, 0x7fffff, v2
	v_cndmask_b32_e64 v19, 0, v14, s[2:3]
	v_or_b32_e32 v30, 0x800000, v2
	v_add_u32_e32 v32, v19, v18
	v_mad_u64_u32 v[18:19], s[6:7], v30, s29, 0
	v_mov_b32_e32 v2, v19
	v_mad_u64_u32 v[20:21], s[6:7], v30, s30, v[2:3]
	v_mov_b32_e32 v2, v21
	;; [unrolled: 2-line block ×6, first 2 shown]
	v_mad_u64_u32 v[30:31], s[6:7], v30, s36, v[2:3]
	v_cndmask_b32_e32 v19, v28, v24, vcc
	v_cndmask_b32_e32 v2, v30, v26, vcc
	;; [unrolled: 1-line block ×3, first 2 shown]
	v_cndmask_b32_e64 v21, v2, v19, s[0:1]
	v_cndmask_b32_e64 v2, v23, v2, s[0:1]
	v_cndmask_b32_e32 v23, v26, v22, vcc
	v_cndmask_b32_e64 v19, v19, v23, s[0:1]
	v_cndmask_b32_e32 v20, v24, v20, vcc
	v_cndmask_b32_e64 v2, v2, v21, s[2:3]
	v_cndmask_b32_e64 v21, v21, v19, s[2:3]
	v_sub_u32_e32 v25, 32, v32
	v_cndmask_b32_e64 v23, v23, v20, s[0:1]
	v_alignbit_b32 v26, v2, v21, v25
	v_cmp_eq_u32_e64 s[6:7], 0, v32
	v_cndmask_b32_e64 v19, v19, v23, s[2:3]
	v_cndmask_b32_e32 v18, v22, v18, vcc
	v_cndmask_b32_e64 v2, v26, v2, s[6:7]
	v_alignbit_b32 v24, v21, v19, v25
	v_cndmask_b32_e64 v18, v20, v18, s[0:1]
	v_cndmask_b32_e64 v21, v24, v21, s[6:7]
	v_bfe_u32 v27, v2, 29, 1
	v_cndmask_b32_e64 v18, v23, v18, s[2:3]
	v_alignbit_b32 v24, v2, v21, 30
	v_sub_u32_e32 v28, 0, v27
	v_alignbit_b32 v20, v19, v18, v25
	v_xor_b32_e32 v29, v24, v28
	v_cndmask_b32_e64 v19, v20, v19, s[6:7]
	v_alignbit_b32 v20, v21, v19, 30
	v_ffbh_u32_e32 v21, v29
	v_add_u32_e32 v21, 1, v21
	v_cmp_ne_u32_e32 vcc, v24, v28
	v_cndmask_b32_e32 v21, 33, v21, vcc
	v_alignbit_b32 v18, v19, v18, 30
	v_xor_b32_e32 v20, v20, v28
	v_sub_u32_e32 v22, 32, v21
	v_xor_b32_e32 v18, v18, v28
	v_alignbit_b32 v23, v29, v20, v22
	v_alignbit_b32 v18, v20, v18, v22
	;; [unrolled: 1-line block ×3, first 2 shown]
	v_ffbh_u32_e32 v20, v19
	v_min_u32_e32 v20, 32, v20
	v_lshrrev_b32_e32 v26, 29, v2
	v_sub_u32_e32 v22, 31, v20
	v_alignbit_b32 v18, v19, v18, v22
	v_lshlrev_b32_e32 v19, 31, v26
	v_or_b32_e32 v22, 0x33800000, v19
	v_add_lshl_u32 v20, v20, v21, 23
	v_lshrrev_b32_e32 v18, 9, v18
	v_sub_u32_e32 v20, v22, v20
	v_or_b32_e32 v18, v20, v18
	v_alignbit_b32 v20, v21, v23, 9
	v_or_b32_e32 v19, v20, v19
	v_xor_b32_e32 v19, 1.0, v19
	v_mul_f32_e32 v20, 0x3fc90fda, v19
	v_fma_f32 v21, v19, s37, -v20
	v_fmac_f32_e32 v21, 0x33a22168, v19
	v_fmac_f32_e32 v21, 0x3fc90fda, v18
	v_lshrrev_b32_e32 v2, 30, v2
	v_add_f32_e32 v19, v20, v21
	v_add_u32_e32 v18, v27, v2
.LBB219_6:                              ;   in Loop: Header=BB219_4 Depth=1
	s_andn2_saveexec_b64 s[0:1], s[24:25]
; %bb.7:                                ;   in Loop: Header=BB219_4 Depth=1
	v_mul_f32_e64 v2, |v17|, s38
	v_rndne_f32_e32 v2, v2
	v_cvt_i32_f32_e32 v18, v2
	v_fma_f32 v19, v2, s39, |v17|
	v_fmac_f32_e32 v19, 0xb3a22168, v2
	v_fmac_f32_e32 v19, 0xa7c234c4, v2
; %bb.8:                                ;   in Loop: Header=BB219_4 Depth=1
	s_or_b64 exec, exec, s[0:1]
	v_and_b32_e32 v20, 0xffff0000, v8
	v_cmp_nlt_f32_e64 s[0:1], |v20|, s28
                                        ; implicit-def: $vgpr21
                                        ; implicit-def: $vgpr22
	s_and_saveexec_b64 s[2:3], s[0:1]
	s_xor_b64 s[24:25], exec, s[2:3]
	s_cbranch_execz .LBB219_10
; %bb.9:                                ;   in Loop: Header=BB219_4 Depth=1
	v_and_b32_e32 v2, 0x7fffffff, v20
	v_lshrrev_b32_e32 v21, 23, v2
	v_add_u32_e32 v21, 0xffffff88, v21
	v_cmp_lt_u32_e32 vcc, 63, v21
	v_cndmask_b32_e32 v22, 0, v13, vcc
	v_add_u32_e32 v21, v22, v21
	v_cmp_lt_u32_e64 s[0:1], 31, v21
	v_cndmask_b32_e64 v22, 0, v14, s[0:1]
	v_add_u32_e32 v21, v22, v21
	v_cmp_lt_u32_e64 s[2:3], 31, v21
	v_and_b32_e32 v2, 0x7fffff, v2
	v_cndmask_b32_e64 v22, 0, v14, s[2:3]
	v_or_b32_e32 v34, 0x800000, v2
	v_add_u32_e32 v21, v22, v21
	v_mad_u64_u32 v[22:23], s[6:7], v34, s29, 0
	v_mov_b32_e32 v2, v23
	v_mad_u64_u32 v[24:25], s[6:7], v34, s30, v[2:3]
	v_mov_b32_e32 v2, v25
	;; [unrolled: 2-line block ×6, first 2 shown]
	v_mad_u64_u32 v[34:35], s[6:7], v34, s36, v[2:3]
	v_cndmask_b32_e32 v23, v32, v28, vcc
	v_cndmask_b32_e32 v2, v34, v30, vcc
	;; [unrolled: 1-line block ×3, first 2 shown]
	v_cndmask_b32_e64 v25, v2, v23, s[0:1]
	v_cndmask_b32_e64 v2, v27, v2, s[0:1]
	v_cndmask_b32_e32 v27, v30, v26, vcc
	v_cndmask_b32_e64 v23, v23, v27, s[0:1]
	v_sub_u32_e32 v29, 32, v21
	v_cmp_eq_u32_e64 s[6:7], 0, v21
	v_cndmask_b32_e32 v21, v28, v24, vcc
	v_cndmask_b32_e64 v2, v2, v25, s[2:3]
	v_cndmask_b32_e64 v25, v25, v23, s[2:3]
	;; [unrolled: 1-line block ×3, first 2 shown]
	v_alignbit_b32 v30, v2, v25, v29
	v_cndmask_b32_e64 v23, v23, v24, s[2:3]
	v_cndmask_b32_e64 v2, v30, v2, s[6:7]
	v_alignbit_b32 v27, v25, v23, v29
	v_cndmask_b32_e64 v25, v27, v25, s[6:7]
	v_bfe_u32 v30, v2, 29, 1
	v_cndmask_b32_e32 v22, v26, v22, vcc
	v_alignbit_b32 v27, v2, v25, 30
	v_sub_u32_e32 v31, 0, v30
	v_cndmask_b32_e64 v21, v21, v22, s[0:1]
	v_xor_b32_e32 v32, v27, v31
	v_cndmask_b32_e64 v21, v24, v21, s[2:3]
	v_alignbit_b32 v22, v23, v21, v29
	v_ffbh_u32_e32 v24, v32
	v_cndmask_b32_e64 v22, v22, v23, s[6:7]
	v_add_u32_e32 v24, 1, v24
	v_cmp_ne_u32_e32 vcc, v27, v31
	v_alignbit_b32 v23, v25, v22, 30
	v_cndmask_b32_e32 v24, 33, v24, vcc
	v_alignbit_b32 v21, v22, v21, 30
	v_xor_b32_e32 v23, v23, v31
	v_sub_u32_e32 v25, 32, v24
	v_xor_b32_e32 v21, v21, v31
	v_alignbit_b32 v26, v32, v23, v25
	v_alignbit_b32 v21, v23, v21, v25
	v_alignbit_b32 v22, v26, v21, 9
	v_ffbh_u32_e32 v23, v22
	v_min_u32_e32 v23, 32, v23
	v_lshrrev_b32_e32 v28, 29, v2
	v_sub_u32_e32 v25, 31, v23
	v_alignbit_b32 v21, v22, v21, v25
	v_lshlrev_b32_e32 v22, 31, v28
	v_or_b32_e32 v25, 0x33800000, v22
	v_add_lshl_u32 v23, v23, v24, 23
	v_lshrrev_b32_e32 v21, 9, v21
	v_sub_u32_e32 v23, v25, v23
	v_or_b32_e32 v21, v23, v21
	v_alignbit_b32 v23, v24, v26, 9
	v_or_b32_e32 v22, v23, v22
	v_xor_b32_e32 v22, 1.0, v22
	v_mul_f32_e32 v23, 0x3fc90fda, v22
	v_fma_f32 v24, v22, s37, -v23
	v_fmac_f32_e32 v24, 0x33a22168, v22
	v_fmac_f32_e32 v24, 0x3fc90fda, v21
	v_lshrrev_b32_e32 v2, 30, v2
	v_add_f32_e32 v22, v23, v24
	v_add_u32_e32 v21, v30, v2
.LBB219_10:                             ;   in Loop: Header=BB219_4 Depth=1
	s_andn2_saveexec_b64 s[0:1], s[24:25]
; %bb.11:                               ;   in Loop: Header=BB219_4 Depth=1
	v_mul_f32_e64 v2, |v20|, s38
	v_rndne_f32_e32 v2, v2
	v_cvt_i32_f32_e32 v21, v2
	v_fma_f32 v22, v2, s39, |v20|
	v_fmac_f32_e32 v22, 0xb3a22168, v2
	v_fmac_f32_e32 v22, 0xa7c234c4, v2
; %bb.12:                               ;   in Loop: Header=BB219_4 Depth=1
	s_or_b64 exec, exec, s[0:1]
	v_alignbit_b32 v2, v9, v8, 16
	v_and_b32_e32 v8, 0xffff0000, v2
	v_cmp_nlt_f32_e64 s[0:1], |v8|, s28
                                        ; implicit-def: $vgpr23
                                        ; implicit-def: $vgpr24
	s_and_saveexec_b64 s[2:3], s[0:1]
	s_xor_b64 s[24:25], exec, s[2:3]
	s_cbranch_execz .LBB219_14
; %bb.13:                               ;   in Loop: Header=BB219_4 Depth=1
	v_and_b32_e32 v2, 0x7fffffff, v8
	v_lshrrev_b32_e32 v23, 23, v2
	v_add_u32_e32 v23, 0xffffff88, v23
	v_cmp_lt_u32_e32 vcc, 63, v23
	v_cndmask_b32_e32 v24, 0, v13, vcc
	v_add_u32_e32 v23, v24, v23
	v_cmp_lt_u32_e64 s[0:1], 31, v23
	v_cndmask_b32_e64 v24, 0, v14, s[0:1]
	v_add_u32_e32 v23, v24, v23
	v_cmp_lt_u32_e64 s[2:3], 31, v23
	v_and_b32_e32 v2, 0x7fffff, v2
	v_cndmask_b32_e64 v24, 0, v14, s[2:3]
	v_or_b32_e32 v36, 0x800000, v2
	v_add_u32_e32 v23, v24, v23
	v_mad_u64_u32 v[24:25], s[6:7], v36, s29, 0
	v_mov_b32_e32 v2, v25
	v_mad_u64_u32 v[26:27], s[6:7], v36, s30, v[2:3]
	v_mov_b32_e32 v2, v27
	;; [unrolled: 2-line block ×6, first 2 shown]
	v_mad_u64_u32 v[36:37], s[6:7], v36, s36, v[2:3]
	v_cndmask_b32_e32 v25, v34, v30, vcc
	v_cndmask_b32_e32 v2, v36, v32, vcc
	;; [unrolled: 1-line block ×3, first 2 shown]
	v_cndmask_b32_e64 v27, v2, v25, s[0:1]
	v_cndmask_b32_e64 v2, v29, v2, s[0:1]
	v_cndmask_b32_e32 v29, v32, v28, vcc
	v_cndmask_b32_e64 v25, v25, v29, s[0:1]
	v_sub_u32_e32 v31, 32, v23
	v_cmp_eq_u32_e64 s[6:7], 0, v23
	v_cndmask_b32_e32 v23, v30, v26, vcc
	v_cndmask_b32_e64 v2, v2, v27, s[2:3]
	v_cndmask_b32_e64 v27, v27, v25, s[2:3]
	;; [unrolled: 1-line block ×3, first 2 shown]
	v_alignbit_b32 v32, v2, v27, v31
	v_cndmask_b32_e64 v25, v25, v26, s[2:3]
	v_cndmask_b32_e64 v2, v32, v2, s[6:7]
	v_alignbit_b32 v29, v27, v25, v31
	v_cndmask_b32_e64 v27, v29, v27, s[6:7]
	v_bfe_u32 v32, v2, 29, 1
	v_cndmask_b32_e32 v24, v28, v24, vcc
	v_alignbit_b32 v29, v2, v27, 30
	v_sub_u32_e32 v33, 0, v32
	v_cndmask_b32_e64 v23, v23, v24, s[0:1]
	v_xor_b32_e32 v34, v29, v33
	v_cndmask_b32_e64 v23, v26, v23, s[2:3]
	v_alignbit_b32 v24, v25, v23, v31
	v_ffbh_u32_e32 v26, v34
	v_cndmask_b32_e64 v24, v24, v25, s[6:7]
	v_add_u32_e32 v26, 1, v26
	v_cmp_ne_u32_e32 vcc, v29, v33
	v_alignbit_b32 v25, v27, v24, 30
	v_cndmask_b32_e32 v26, 33, v26, vcc
	v_alignbit_b32 v23, v24, v23, 30
	v_xor_b32_e32 v25, v25, v33
	v_sub_u32_e32 v27, 32, v26
	v_xor_b32_e32 v23, v23, v33
	v_alignbit_b32 v28, v34, v25, v27
	v_alignbit_b32 v23, v25, v23, v27
	;; [unrolled: 1-line block ×3, first 2 shown]
	v_ffbh_u32_e32 v25, v24
	v_min_u32_e32 v25, 32, v25
	v_lshrrev_b32_e32 v30, 29, v2
	v_sub_u32_e32 v27, 31, v25
	v_alignbit_b32 v23, v24, v23, v27
	v_lshlrev_b32_e32 v24, 31, v30
	v_or_b32_e32 v27, 0x33800000, v24
	v_add_lshl_u32 v25, v25, v26, 23
	v_lshrrev_b32_e32 v23, 9, v23
	v_sub_u32_e32 v25, v27, v25
	v_or_b32_e32 v23, v25, v23
	v_alignbit_b32 v25, v26, v28, 9
	v_or_b32_e32 v24, v25, v24
	v_xor_b32_e32 v24, 1.0, v24
	v_mul_f32_e32 v25, 0x3fc90fda, v24
	v_fma_f32 v26, v24, s37, -v25
	v_fmac_f32_e32 v26, 0x33a22168, v24
	v_fmac_f32_e32 v26, 0x3fc90fda, v23
	v_lshrrev_b32_e32 v2, 30, v2
	v_add_f32_e32 v24, v25, v26
	v_add_u32_e32 v23, v32, v2
.LBB219_14:                             ;   in Loop: Header=BB219_4 Depth=1
	s_andn2_saveexec_b64 s[0:1], s[24:25]
; %bb.15:                               ;   in Loop: Header=BB219_4 Depth=1
	v_mul_f32_e64 v2, |v8|, s38
	v_rndne_f32_e32 v2, v2
	v_cvt_i32_f32_e32 v23, v2
	v_fma_f32 v24, v2, s39, |v8|
	v_fmac_f32_e32 v24, 0xb3a22168, v2
	v_fmac_f32_e32 v24, 0xa7c234c4, v2
; %bb.16:                               ;   in Loop: Header=BB219_4 Depth=1
	s_or_b64 exec, exec, s[0:1]
	v_and_b32_e32 v9, 0xffff0000, v9
	v_cmp_nlt_f32_e64 s[0:1], |v9|, s28
                                        ; implicit-def: $vgpr2
                                        ; implicit-def: $vgpr25
	s_and_saveexec_b64 s[2:3], s[0:1]
	s_xor_b64 s[24:25], exec, s[2:3]
	s_cbranch_execz .LBB219_18
; %bb.17:                               ;   in Loop: Header=BB219_4 Depth=1
	v_and_b32_e32 v2, 0x7fffffff, v9
	v_lshrrev_b32_e32 v25, 23, v2
	v_add_u32_e32 v25, 0xffffff88, v25
	v_cmp_lt_u32_e32 vcc, 63, v25
	v_cndmask_b32_e32 v26, 0, v13, vcc
	v_add_u32_e32 v25, v26, v25
	v_cmp_lt_u32_e64 s[0:1], 31, v25
	v_cndmask_b32_e64 v26, 0, v14, s[0:1]
	v_add_u32_e32 v25, v26, v25
	v_cmp_lt_u32_e64 s[2:3], 31, v25
	v_and_b32_e32 v2, 0x7fffff, v2
	v_cndmask_b32_e64 v26, 0, v14, s[2:3]
	v_or_b32_e32 v38, 0x800000, v2
	v_add_u32_e32 v25, v26, v25
	v_mad_u64_u32 v[26:27], s[6:7], v38, s29, 0
	v_mov_b32_e32 v2, v27
	v_mad_u64_u32 v[28:29], s[6:7], v38, s30, v[2:3]
	v_mov_b32_e32 v2, v29
	;; [unrolled: 2-line block ×6, first 2 shown]
	v_mad_u64_u32 v[38:39], s[6:7], v38, s36, v[2:3]
	v_cndmask_b32_e32 v27, v36, v32, vcc
	v_cndmask_b32_e32 v2, v38, v34, vcc
	;; [unrolled: 1-line block ×3, first 2 shown]
	v_cndmask_b32_e64 v29, v2, v27, s[0:1]
	v_cndmask_b32_e64 v2, v31, v2, s[0:1]
	v_cndmask_b32_e32 v31, v34, v30, vcc
	v_cndmask_b32_e64 v27, v27, v31, s[0:1]
	v_sub_u32_e32 v33, 32, v25
	v_cmp_eq_u32_e64 s[6:7], 0, v25
	v_cndmask_b32_e32 v25, v32, v28, vcc
	v_cndmask_b32_e64 v2, v2, v29, s[2:3]
	v_cndmask_b32_e64 v29, v29, v27, s[2:3]
	;; [unrolled: 1-line block ×3, first 2 shown]
	v_alignbit_b32 v34, v2, v29, v33
	v_cndmask_b32_e64 v27, v27, v28, s[2:3]
	v_cndmask_b32_e64 v2, v34, v2, s[6:7]
	v_alignbit_b32 v31, v29, v27, v33
	v_cndmask_b32_e64 v29, v31, v29, s[6:7]
	v_bfe_u32 v34, v2, 29, 1
	v_cndmask_b32_e32 v26, v30, v26, vcc
	v_alignbit_b32 v31, v2, v29, 30
	v_sub_u32_e32 v35, 0, v34
	v_cndmask_b32_e64 v25, v25, v26, s[0:1]
	v_xor_b32_e32 v36, v31, v35
	v_cndmask_b32_e64 v25, v28, v25, s[2:3]
	v_alignbit_b32 v26, v27, v25, v33
	v_ffbh_u32_e32 v28, v36
	v_cndmask_b32_e64 v26, v26, v27, s[6:7]
	v_add_u32_e32 v28, 1, v28
	v_cmp_ne_u32_e32 vcc, v31, v35
	v_alignbit_b32 v27, v29, v26, 30
	v_cndmask_b32_e32 v28, 33, v28, vcc
	v_alignbit_b32 v25, v26, v25, 30
	v_xor_b32_e32 v27, v27, v35
	v_sub_u32_e32 v29, 32, v28
	v_xor_b32_e32 v25, v25, v35
	v_alignbit_b32 v30, v36, v27, v29
	v_alignbit_b32 v25, v27, v25, v29
	;; [unrolled: 1-line block ×3, first 2 shown]
	v_ffbh_u32_e32 v27, v26
	v_min_u32_e32 v27, 32, v27
	v_lshrrev_b32_e32 v32, 29, v2
	v_sub_u32_e32 v29, 31, v27
	v_alignbit_b32 v25, v26, v25, v29
	v_lshlrev_b32_e32 v26, 31, v32
	v_or_b32_e32 v29, 0x33800000, v26
	v_add_lshl_u32 v27, v27, v28, 23
	v_lshrrev_b32_e32 v25, 9, v25
	v_sub_u32_e32 v27, v29, v27
	v_or_b32_e32 v25, v27, v25
	v_alignbit_b32 v27, v28, v30, 9
	v_or_b32_e32 v26, v27, v26
	v_xor_b32_e32 v26, 1.0, v26
	v_mul_f32_e32 v27, 0x3fc90fda, v26
	v_fma_f32 v28, v26, s37, -v27
	v_fmac_f32_e32 v28, 0x33a22168, v26
	v_fmac_f32_e32 v28, 0x3fc90fda, v25
	v_lshrrev_b32_e32 v2, 30, v2
	v_add_f32_e32 v25, v27, v28
	v_add_u32_e32 v2, v34, v2
.LBB219_18:                             ;   in Loop: Header=BB219_4 Depth=1
	s_andn2_saveexec_b64 s[0:1], s[24:25]
	s_cbranch_execz .LBB219_3
; %bb.19:                               ;   in Loop: Header=BB219_4 Depth=1
	v_mul_f32_e64 v2, |v9|, s38
	v_rndne_f32_e32 v26, v2
	v_cvt_i32_f32_e32 v2, v26
	v_fma_f32 v25, v26, s39, |v9|
	v_fmac_f32_e32 v25, 0xb3a22168, v26
	v_fmac_f32_e32 v25, 0xa7c234c4, v26
	s_branch .LBB219_3
.LBB219_20:
	s_or_b64 exec, exec, s[18:19]
	s_mov_b64 s[0:1], 0
.LBB219_21:
	s_andn2_b64 vcc, exec, s[0:1]
	s_cbranch_vccnz .LBB219_57
; %bb.22:
	v_cmp_lt_i64_e64 s[0:1], s[16:17], 1
	s_and_b64 vcc, exec, s[0:1]
	s_cbranch_vccnz .LBB219_57
; %bb.23:
	s_load_dword s0, s[4:5], 0xc5c
	v_mov_b32_e32 v4, 0x10000
	v_mov_b32_e32 v5, 0
	v_cmp_lt_u64_e32 vcc, s[16:17], v[4:5]
	v_lshlrev_b32_e32 v2, 1, v0
	s_waitcnt lgkmcnt(0)
	s_and_b32 s2, s0, 0xffff
	s_and_b64 s[0:1], vcc, exec
	v_mov_b32_e32 v15, s11
	v_add_co_u32_e32 v4, vcc, s10, v2
	v_addc_co_u32_e32 v1, vcc, 0, v15, vcc
	v_mov_b32_e32 v3, 0
	v_mov_b32_e32 v17, s9
	v_add_co_u32_e32 v6, vcc, s8, v2
	v_addc_co_u32_e32 v5, vcc, 0, v17, vcc
	v_mad_u64_u32 v[10:11], s[0:1], s2, 6, v[2:3]
	v_add_co_u32_e32 v8, vcc, s10, v10
	v_addc_co_u32_e32 v7, vcc, v15, v11, vcc
	v_add_co_u32_e32 v10, vcc, s8, v10
	s_mul_i32 s4, s2, 3
	v_addc_co_u32_e32 v9, vcc, v17, v11, vcc
	s_cselect_b32 s19, s17, 0
	s_cselect_b32 s18, s16, 0x10000
	s_lshl_b32 s25, s2, 2
	v_add_co_u32_e32 v19, vcc, s4, v0
	v_addc_co_u32_e64 v20, s[0:1], 0, 0, vcc
	v_add_co_u32_e32 v2, vcc, s25, v2
	v_addc_co_u32_e64 v13, s[0:1], 0, 0, vcc
	v_add_co_u32_e32 v12, vcc, s10, v2
	v_addc_co_u32_e32 v11, vcc, v15, v13, vcc
	v_add_co_u32_e32 v14, vcc, s8, v2
	s_lshl_b32 s3, s2, 1
	v_addc_co_u32_e32 v13, vcc, v17, v13, vcc
	v_add_co_u32_e32 v21, vcc, s3, v0
	v_addc_co_u32_e64 v22, s[0:1], 0, 0, vcc
	v_add_co_u32_e32 v23, vcc, s2, v0
	v_lshlrev_b32_e32 v2, 1, v23
	v_addc_co_u32_e64 v24, s[0:1], 0, 0, vcc
	v_add_co_u32_e32 v16, vcc, s10, v2
	v_addc_co_u32_e32 v15, vcc, 0, v15, vcc
	v_add_co_u32_e32 v18, vcc, s8, v2
	s_mov_b32 s24, 0
	s_lshl_b32 s26, s2, 3
	v_addc_co_u32_e32 v17, vcc, 0, v17, vcc
	s_mov_b64 s[20:21], 0
	s_brev_b32 s27, 18
	s_mov_b32 s28, 0xfe5163ab
	s_mov_b32 s29, 0x3c439041
	s_mov_b32 s30, 0xdb629599
	s_mov_b32 s31, 0xf534ddc0
	s_mov_b32 s33, 0xfc2757d1
	s_mov_b32 s34, 0x4e441529
	s_mov_b32 s35, 0xa2f9836e
	s_mov_b32 s36, 0x3fc90fda
	s_mov_b32 s37, 0x3f22f983
	s_mov_b32 s38, 0xbfc90fda
	v_mov_b32_e32 v25, 0xbe2aaa9d
	v_mov_b32_e32 v26, 0x3d2aabf7
	;; [unrolled: 1-line block ×3, first 2 shown]
	s_movk_i32 s39, 0x1f8
	s_movk_i32 s40, 0x7fff
	v_not_b32_e32 v28, 63
	v_not_b32_e32 v29, 31
	v_mov_b32_e32 v30, 0x7fc00000
	v_mov_b32_e32 v31, 0x7fc0
	s_branch .LBB219_25
.LBB219_24:                             ;   in Loop: Header=BB219_25 Depth=1
	s_or_b64 exec, exec, s[0:1]
	s_add_u32 s20, s20, s25
	s_addc_u32 s21, s21, 0
	v_pk_mov_b32 v[32:33], s[16:17], s[16:17] op_sel:[0,1]
	v_cmp_ge_i64_e32 vcc, s[20:21], v[32:33]
	v_mov_b32_e32 v32, 0xffff
	v_mov_b32_e32 v33, 0
	v_cmp_gt_u64_e64 s[0:1], s[20:21], v[32:33]
	s_or_b64 s[0:1], vcc, s[0:1]
	v_mov_b32_e32 v2, s24
	v_add_co_u32_e32 v4, vcc, s26, v4
	v_addc_co_u32_e32 v1, vcc, v1, v2, vcc
	v_add_co_u32_e32 v6, vcc, s26, v6
	v_addc_co_u32_e32 v5, vcc, v5, v2, vcc
	;; [unrolled: 2-line block ×8, first 2 shown]
	s_and_b64 vcc, exec, s[0:1]
	s_cbranch_vccnz .LBB219_57
.LBB219_25:                             ; =>This Inner Loop Header: Depth=1
	v_mov_b32_e32 v2, s21
	v_add_co_u32_e32 v32, vcc, s20, v0
	v_addc_co_u32_e32 v33, vcc, 0, v2, vcc
	v_cmp_gt_u64_e64 s[4:5], s[18:19], v[32:33]
	v_mov_b32_e32 v2, 0
	s_and_saveexec_b64 s[0:1], s[4:5]
	s_cbranch_execz .LBB219_27
; %bb.26:                               ;   in Loop: Header=BB219_25 Depth=1
	v_mov_b32_e32 v2, s15
	v_add_co_u32_e32 v32, vcc, s14, v4
	v_addc_co_u32_e32 v33, vcc, v1, v2, vcc
	global_load_ushort v2, v[32:33], off
.LBB219_27:                             ;   in Loop: Header=BB219_25 Depth=1
	s_or_b64 exec, exec, s[0:1]
	v_mov_b32_e32 v33, s21
	v_add_co_u32_e32 v32, vcc, s20, v23
	v_addc_co_u32_e32 v33, vcc, v24, v33, vcc
	v_cmp_gt_u64_e64 s[2:3], s[18:19], v[32:33]
	v_mov_b32_e32 v33, 0
	s_and_saveexec_b64 s[0:1], s[2:3]
	s_cbranch_execz .LBB219_29
; %bb.28:                               ;   in Loop: Header=BB219_25 Depth=1
	v_mov_b32_e32 v33, s15
	v_add_co_u32_e32 v32, vcc, s14, v16
	v_addc_co_u32_e32 v33, vcc, v15, v33, vcc
	global_load_ushort v33, v[32:33], off
.LBB219_29:                             ;   in Loop: Header=BB219_25 Depth=1
	s_or_b64 exec, exec, s[0:1]
	v_mov_b32_e32 v32, s21
	v_add_co_u32_e32 v34, vcc, s20, v21
	v_addc_co_u32_e32 v35, vcc, v22, v32, vcc
	v_cmp_gt_u64_e64 s[0:1], s[18:19], v[34:35]
	v_mov_b32_e32 v36, 0
	v_mov_b32_e32 v37, 0
	s_and_saveexec_b64 s[6:7], s[0:1]
	s_cbranch_execz .LBB219_31
; %bb.30:                               ;   in Loop: Header=BB219_25 Depth=1
	v_mov_b32_e32 v32, s15
	v_add_co_u32_e32 v34, vcc, s14, v12
	v_addc_co_u32_e32 v35, vcc, v11, v32, vcc
	global_load_ushort v37, v[34:35], off
.LBB219_31:                             ;   in Loop: Header=BB219_25 Depth=1
	s_or_b64 exec, exec, s[6:7]
	v_mov_b32_e32 v32, s21
	v_add_co_u32_e32 v34, vcc, s20, v19
	v_addc_co_u32_e32 v35, vcc, v20, v32, vcc
	v_cmp_gt_u64_e32 vcc, s[18:19], v[34:35]
	s_and_saveexec_b64 s[8:9], vcc
	s_cbranch_execz .LBB219_33
; %bb.32:                               ;   in Loop: Header=BB219_25 Depth=1
	v_mov_b32_e32 v32, s15
	v_add_co_u32_e64 v34, s[6:7], s14, v8
	v_addc_co_u32_e64 v35, s[6:7], v7, v32, s[6:7]
	global_load_ushort v36, v[34:35], off
.LBB219_33:                             ;   in Loop: Header=BB219_25 Depth=1
	s_or_b64 exec, exec, s[8:9]
	s_waitcnt vmcnt(0)
	v_lshlrev_b32_e32 v32, 16, v2
	v_cmp_nlt_f32_e64 s[6:7], |v32|, s27
                                        ; implicit-def: $vgpr34
                                        ; implicit-def: $vgpr35
	s_and_saveexec_b64 s[8:9], s[6:7]
	s_xor_b64 s[22:23], exec, s[8:9]
	s_cbranch_execz .LBB219_35
; %bb.34:                               ;   in Loop: Header=BB219_25 Depth=1
	v_and_b32_e32 v2, 0x7fffffff, v32
	v_lshrrev_b32_e32 v34, 23, v2
	v_add_u32_e32 v34, 0xffffff88, v34
	v_cmp_lt_u32_e64 s[6:7], 63, v34
	v_cndmask_b32_e64 v35, 0, v28, s[6:7]
	v_add_u32_e32 v34, v35, v34
	v_cmp_lt_u32_e64 s[8:9], 31, v34
	v_cndmask_b32_e64 v35, 0, v29, s[8:9]
	v_add_u32_e32 v34, v35, v34
	v_cmp_lt_u32_e64 s[10:11], 31, v34
	v_and_b32_e32 v2, 0x7fffff, v2
	v_cndmask_b32_e64 v35, 0, v29, s[10:11]
	v_or_b32_e32 v48, 0x800000, v2
	v_add_u32_e32 v50, v35, v34
	v_mad_u64_u32 v[34:35], s[12:13], v48, s28, 0
	v_mov_b32_e32 v2, v35
	v_mad_u64_u32 v[38:39], s[12:13], v48, s29, v[2:3]
	v_mov_b32_e32 v2, v39
	;; [unrolled: 2-line block ×6, first 2 shown]
	v_mad_u64_u32 v[48:49], s[12:13], v48, s35, v[2:3]
	v_cndmask_b32_e64 v35, v46, v42, s[6:7]
	v_cndmask_b32_e64 v2, v48, v44, s[6:7]
	;; [unrolled: 1-line block ×10, first 2 shown]
	v_sub_u32_e32 v43, 32, v50
	v_cndmask_b32_e64 v41, v41, v38, s[8:9]
	v_alignbit_b32 v44, v2, v39, v43
	v_cmp_eq_u32_e64 s[12:13], 0, v50
	v_cndmask_b32_e64 v35, v35, v41, s[10:11]
	v_cndmask_b32_e64 v34, v40, v34, s[6:7]
	;; [unrolled: 1-line block ×3, first 2 shown]
	v_alignbit_b32 v42, v39, v35, v43
	v_cndmask_b32_e64 v34, v38, v34, s[8:9]
	v_cndmask_b32_e64 v39, v42, v39, s[12:13]
	v_bfe_u32 v45, v2, 29, 1
	v_cndmask_b32_e64 v34, v41, v34, s[10:11]
	v_alignbit_b32 v42, v2, v39, 30
	v_sub_u32_e32 v46, 0, v45
	v_alignbit_b32 v38, v35, v34, v43
	v_xor_b32_e32 v47, v42, v46
	v_cndmask_b32_e64 v35, v38, v35, s[12:13]
	v_alignbit_b32 v38, v39, v35, 30
	v_ffbh_u32_e32 v39, v47
	v_add_u32_e32 v39, 1, v39
	v_cmp_ne_u32_e64 s[6:7], v42, v46
	v_cndmask_b32_e64 v39, 33, v39, s[6:7]
	v_alignbit_b32 v34, v35, v34, 30
	v_xor_b32_e32 v38, v38, v46
	v_sub_u32_e32 v40, 32, v39
	v_xor_b32_e32 v34, v34, v46
	v_alignbit_b32 v41, v47, v38, v40
	v_alignbit_b32 v34, v38, v34, v40
	;; [unrolled: 1-line block ×3, first 2 shown]
	v_ffbh_u32_e32 v38, v35
	v_min_u32_e32 v38, 32, v38
	v_lshrrev_b32_e32 v44, 29, v2
	v_sub_u32_e32 v40, 31, v38
	v_alignbit_b32 v34, v35, v34, v40
	v_lshlrev_b32_e32 v35, 31, v44
	v_or_b32_e32 v40, 0x33800000, v35
	v_add_lshl_u32 v38, v38, v39, 23
	v_lshrrev_b32_e32 v34, 9, v34
	v_sub_u32_e32 v38, v40, v38
	v_or_b32_e32 v34, v38, v34
	v_alignbit_b32 v38, v39, v41, 9
	v_or_b32_e32 v35, v38, v35
	v_xor_b32_e32 v35, 1.0, v35
	v_mul_f32_e32 v38, 0x3fc90fda, v35
	v_fma_f32 v39, v35, s36, -v38
	v_fmac_f32_e32 v39, 0x33a22168, v35
	v_fmac_f32_e32 v39, 0x3fc90fda, v34
	v_lshrrev_b32_e32 v2, 30, v2
	v_add_f32_e32 v35, v38, v39
	v_add_u32_e32 v34, v45, v2
.LBB219_35:                             ;   in Loop: Header=BB219_25 Depth=1
	s_andn2_saveexec_b64 s[6:7], s[22:23]
; %bb.36:                               ;   in Loop: Header=BB219_25 Depth=1
	v_mul_f32_e64 v2, |v32|, s37
	v_rndne_f32_e32 v2, v2
	v_cvt_i32_f32_e32 v34, v2
	v_fma_f32 v35, v2, s38, |v32|
	v_fmac_f32_e32 v35, 0xb3a22168, v2
	v_fmac_f32_e32 v35, 0xa7c234c4, v2
; %bb.37:                               ;   in Loop: Header=BB219_25 Depth=1
	s_or_b64 exec, exec, s[6:7]
	v_lshlrev_b32_e32 v33, 16, v33
	v_cmp_nlt_f32_e64 s[6:7], |v33|, s27
                                        ; implicit-def: $vgpr38
                                        ; implicit-def: $vgpr39
	s_and_saveexec_b64 s[8:9], s[6:7]
	s_xor_b64 s[22:23], exec, s[8:9]
	s_cbranch_execz .LBB219_39
; %bb.38:                               ;   in Loop: Header=BB219_25 Depth=1
	v_and_b32_e32 v2, 0x7fffffff, v33
	v_lshrrev_b32_e32 v38, 23, v2
	v_add_u32_e32 v38, 0xffffff88, v38
	v_cmp_lt_u32_e64 s[6:7], 63, v38
	v_cndmask_b32_e64 v39, 0, v28, s[6:7]
	v_add_u32_e32 v38, v39, v38
	v_cmp_lt_u32_e64 s[8:9], 31, v38
	v_cndmask_b32_e64 v39, 0, v29, s[8:9]
	v_add_u32_e32 v38, v39, v38
	v_cmp_lt_u32_e64 s[10:11], 31, v38
	v_and_b32_e32 v2, 0x7fffff, v2
	v_cndmask_b32_e64 v39, 0, v29, s[10:11]
	v_or_b32_e32 v50, 0x800000, v2
	v_add_u32_e32 v52, v39, v38
	v_mad_u64_u32 v[38:39], s[12:13], v50, s28, 0
	v_mov_b32_e32 v2, v39
	v_mad_u64_u32 v[40:41], s[12:13], v50, s29, v[2:3]
	v_mov_b32_e32 v2, v41
	;; [unrolled: 2-line block ×6, first 2 shown]
	v_mad_u64_u32 v[50:51], s[12:13], v50, s35, v[2:3]
	v_cndmask_b32_e64 v39, v48, v44, s[6:7]
	v_cndmask_b32_e64 v2, v50, v46, s[6:7]
	;; [unrolled: 1-line block ×10, first 2 shown]
	v_sub_u32_e32 v45, 32, v52
	v_cndmask_b32_e64 v43, v43, v40, s[8:9]
	v_alignbit_b32 v46, v2, v41, v45
	v_cmp_eq_u32_e64 s[12:13], 0, v52
	v_cndmask_b32_e64 v39, v39, v43, s[10:11]
	v_cndmask_b32_e64 v38, v42, v38, s[6:7]
	;; [unrolled: 1-line block ×3, first 2 shown]
	v_alignbit_b32 v44, v41, v39, v45
	v_cndmask_b32_e64 v38, v40, v38, s[8:9]
	v_cndmask_b32_e64 v41, v44, v41, s[12:13]
	v_bfe_u32 v47, v2, 29, 1
	v_cndmask_b32_e64 v38, v43, v38, s[10:11]
	v_alignbit_b32 v44, v2, v41, 30
	v_sub_u32_e32 v48, 0, v47
	v_alignbit_b32 v40, v39, v38, v45
	v_xor_b32_e32 v49, v44, v48
	v_cndmask_b32_e64 v39, v40, v39, s[12:13]
	v_alignbit_b32 v40, v41, v39, 30
	v_ffbh_u32_e32 v41, v49
	v_add_u32_e32 v41, 1, v41
	v_cmp_ne_u32_e64 s[6:7], v44, v48
	v_cndmask_b32_e64 v41, 33, v41, s[6:7]
	v_alignbit_b32 v38, v39, v38, 30
	v_xor_b32_e32 v40, v40, v48
	v_sub_u32_e32 v42, 32, v41
	v_xor_b32_e32 v38, v38, v48
	v_alignbit_b32 v43, v49, v40, v42
	v_alignbit_b32 v38, v40, v38, v42
	;; [unrolled: 1-line block ×3, first 2 shown]
	v_ffbh_u32_e32 v40, v39
	v_min_u32_e32 v40, 32, v40
	v_lshrrev_b32_e32 v46, 29, v2
	v_sub_u32_e32 v42, 31, v40
	v_alignbit_b32 v38, v39, v38, v42
	v_lshlrev_b32_e32 v39, 31, v46
	v_or_b32_e32 v42, 0x33800000, v39
	v_add_lshl_u32 v40, v40, v41, 23
	v_lshrrev_b32_e32 v38, 9, v38
	v_sub_u32_e32 v40, v42, v40
	v_or_b32_e32 v38, v40, v38
	v_alignbit_b32 v40, v41, v43, 9
	v_or_b32_e32 v39, v40, v39
	v_xor_b32_e32 v39, 1.0, v39
	v_mul_f32_e32 v40, 0x3fc90fda, v39
	v_fma_f32 v41, v39, s36, -v40
	v_fmac_f32_e32 v41, 0x33a22168, v39
	v_fmac_f32_e32 v41, 0x3fc90fda, v38
	v_lshrrev_b32_e32 v2, 30, v2
	v_add_f32_e32 v39, v40, v41
	v_add_u32_e32 v38, v47, v2
.LBB219_39:                             ;   in Loop: Header=BB219_25 Depth=1
	s_andn2_saveexec_b64 s[6:7], s[22:23]
; %bb.40:                               ;   in Loop: Header=BB219_25 Depth=1
	v_mul_f32_e64 v2, |v33|, s37
	v_rndne_f32_e32 v2, v2
	v_cvt_i32_f32_e32 v38, v2
	v_fma_f32 v39, v2, s38, |v33|
	v_fmac_f32_e32 v39, 0xb3a22168, v2
	v_fmac_f32_e32 v39, 0xa7c234c4, v2
; %bb.41:                               ;   in Loop: Header=BB219_25 Depth=1
	s_or_b64 exec, exec, s[6:7]
	v_lshlrev_b32_e32 v37, 16, v37
	v_cmp_nlt_f32_e64 s[6:7], |v37|, s27
                                        ; implicit-def: $vgpr40
                                        ; implicit-def: $vgpr41
	s_and_saveexec_b64 s[8:9], s[6:7]
	s_xor_b64 s[22:23], exec, s[8:9]
	s_cbranch_execz .LBB219_43
; %bb.42:                               ;   in Loop: Header=BB219_25 Depth=1
	v_and_b32_e32 v2, 0x7fffffff, v37
	v_lshrrev_b32_e32 v40, 23, v2
	v_add_u32_e32 v40, 0xffffff88, v40
	v_cmp_lt_u32_e64 s[6:7], 63, v40
	v_cndmask_b32_e64 v41, 0, v28, s[6:7]
	v_add_u32_e32 v40, v41, v40
	v_cmp_lt_u32_e64 s[8:9], 31, v40
	v_cndmask_b32_e64 v41, 0, v29, s[8:9]
	v_add_u32_e32 v40, v41, v40
	v_cmp_lt_u32_e64 s[10:11], 31, v40
	v_and_b32_e32 v2, 0x7fffff, v2
	v_cndmask_b32_e64 v41, 0, v29, s[10:11]
	v_or_b32_e32 v52, 0x800000, v2
	v_add_u32_e32 v54, v41, v40
	v_mad_u64_u32 v[40:41], s[12:13], v52, s28, 0
	v_mov_b32_e32 v2, v41
	v_mad_u64_u32 v[42:43], s[12:13], v52, s29, v[2:3]
	v_mov_b32_e32 v2, v43
	;; [unrolled: 2-line block ×6, first 2 shown]
	v_mad_u64_u32 v[52:53], s[12:13], v52, s35, v[2:3]
	v_cndmask_b32_e64 v41, v50, v46, s[6:7]
	v_cndmask_b32_e64 v2, v52, v48, s[6:7]
	;; [unrolled: 1-line block ×10, first 2 shown]
	v_sub_u32_e32 v47, 32, v54
	v_cndmask_b32_e64 v45, v45, v42, s[8:9]
	v_alignbit_b32 v48, v2, v43, v47
	v_cmp_eq_u32_e64 s[12:13], 0, v54
	v_cndmask_b32_e64 v41, v41, v45, s[10:11]
	v_cndmask_b32_e64 v40, v44, v40, s[6:7]
	;; [unrolled: 1-line block ×3, first 2 shown]
	v_alignbit_b32 v46, v43, v41, v47
	v_cndmask_b32_e64 v40, v42, v40, s[8:9]
	v_cndmask_b32_e64 v43, v46, v43, s[12:13]
	v_bfe_u32 v49, v2, 29, 1
	v_cndmask_b32_e64 v40, v45, v40, s[10:11]
	v_alignbit_b32 v46, v2, v43, 30
	v_sub_u32_e32 v50, 0, v49
	v_alignbit_b32 v42, v41, v40, v47
	v_xor_b32_e32 v51, v46, v50
	v_cndmask_b32_e64 v41, v42, v41, s[12:13]
	v_alignbit_b32 v42, v43, v41, 30
	v_ffbh_u32_e32 v43, v51
	v_add_u32_e32 v43, 1, v43
	v_cmp_ne_u32_e64 s[6:7], v46, v50
	v_cndmask_b32_e64 v43, 33, v43, s[6:7]
	v_alignbit_b32 v40, v41, v40, 30
	v_xor_b32_e32 v42, v42, v50
	v_sub_u32_e32 v44, 32, v43
	v_xor_b32_e32 v40, v40, v50
	v_alignbit_b32 v45, v51, v42, v44
	v_alignbit_b32 v40, v42, v40, v44
	;; [unrolled: 1-line block ×3, first 2 shown]
	v_ffbh_u32_e32 v42, v41
	v_min_u32_e32 v42, 32, v42
	v_lshrrev_b32_e32 v48, 29, v2
	v_sub_u32_e32 v44, 31, v42
	v_alignbit_b32 v40, v41, v40, v44
	v_lshlrev_b32_e32 v41, 31, v48
	v_or_b32_e32 v44, 0x33800000, v41
	v_add_lshl_u32 v42, v42, v43, 23
	v_lshrrev_b32_e32 v40, 9, v40
	v_sub_u32_e32 v42, v44, v42
	v_or_b32_e32 v40, v42, v40
	v_alignbit_b32 v42, v43, v45, 9
	v_or_b32_e32 v41, v42, v41
	v_xor_b32_e32 v41, 1.0, v41
	v_mul_f32_e32 v42, 0x3fc90fda, v41
	v_fma_f32 v43, v41, s36, -v42
	v_fmac_f32_e32 v43, 0x33a22168, v41
	v_fmac_f32_e32 v43, 0x3fc90fda, v40
	v_lshrrev_b32_e32 v2, 30, v2
	v_add_f32_e32 v41, v42, v43
	v_add_u32_e32 v40, v49, v2
.LBB219_43:                             ;   in Loop: Header=BB219_25 Depth=1
	s_andn2_saveexec_b64 s[6:7], s[22:23]
; %bb.44:                               ;   in Loop: Header=BB219_25 Depth=1
	v_mul_f32_e64 v2, |v37|, s37
	v_rndne_f32_e32 v2, v2
	v_cvt_i32_f32_e32 v40, v2
	v_fma_f32 v41, v2, s38, |v37|
	v_fmac_f32_e32 v41, 0xb3a22168, v2
	v_fmac_f32_e32 v41, 0xa7c234c4, v2
; %bb.45:                               ;   in Loop: Header=BB219_25 Depth=1
	s_or_b64 exec, exec, s[6:7]
	v_lshlrev_b32_e32 v36, 16, v36
	v_cmp_nlt_f32_e64 s[6:7], |v36|, s27
                                        ; implicit-def: $vgpr2
                                        ; implicit-def: $vgpr42
	s_and_saveexec_b64 s[8:9], s[6:7]
	s_xor_b64 s[22:23], exec, s[8:9]
	s_cbranch_execnz .LBB219_51
; %bb.46:                               ;   in Loop: Header=BB219_25 Depth=1
	s_andn2_saveexec_b64 s[6:7], s[22:23]
	s_cbranch_execnz .LBB219_52
.LBB219_47:                             ;   in Loop: Header=BB219_25 Depth=1
	s_or_b64 exec, exec, s[6:7]
	s_and_saveexec_b64 s[6:7], s[4:5]
	s_xor_b64 s[6:7], exec, s[6:7]
	s_cbranch_execnz .LBB219_53
.LBB219_48:                             ;   in Loop: Header=BB219_25 Depth=1
	s_or_b64 exec, exec, s[6:7]
	s_and_saveexec_b64 s[4:5], s[2:3]
	s_cbranch_execnz .LBB219_54
.LBB219_49:                             ;   in Loop: Header=BB219_25 Depth=1
	s_or_b64 exec, exec, s[4:5]
	s_and_saveexec_b64 s[2:3], s[0:1]
	s_cbranch_execnz .LBB219_55
.LBB219_50:                             ;   in Loop: Header=BB219_25 Depth=1
	s_or_b64 exec, exec, s[2:3]
	s_and_saveexec_b64 s[0:1], vcc
	s_cbranch_execz .LBB219_24
	s_branch .LBB219_56
.LBB219_51:                             ;   in Loop: Header=BB219_25 Depth=1
	v_and_b32_e32 v2, 0x7fffffff, v36
	v_lshrrev_b32_e32 v42, 23, v2
	v_add_u32_e32 v42, 0xffffff88, v42
	v_cmp_lt_u32_e64 s[6:7], 63, v42
	v_cndmask_b32_e64 v43, 0, v28, s[6:7]
	v_add_u32_e32 v42, v43, v42
	v_cmp_lt_u32_e64 s[8:9], 31, v42
	v_cndmask_b32_e64 v43, 0, v29, s[8:9]
	v_add_u32_e32 v42, v43, v42
	v_cmp_lt_u32_e64 s[10:11], 31, v42
	v_and_b32_e32 v2, 0x7fffff, v2
	v_cndmask_b32_e64 v43, 0, v29, s[10:11]
	v_or_b32_e32 v54, 0x800000, v2
	v_add_u32_e32 v56, v43, v42
	v_mad_u64_u32 v[42:43], s[12:13], v54, s28, 0
	v_mov_b32_e32 v2, v43
	v_mad_u64_u32 v[44:45], s[12:13], v54, s29, v[2:3]
	v_mov_b32_e32 v2, v45
	;; [unrolled: 2-line block ×6, first 2 shown]
	v_mad_u64_u32 v[54:55], s[12:13], v54, s35, v[2:3]
	v_cndmask_b32_e64 v43, v52, v48, s[6:7]
	v_cndmask_b32_e64 v2, v54, v50, s[6:7]
	;; [unrolled: 1-line block ×10, first 2 shown]
	v_sub_u32_e32 v49, 32, v56
	v_cndmask_b32_e64 v47, v47, v44, s[8:9]
	v_alignbit_b32 v50, v2, v45, v49
	v_cmp_eq_u32_e64 s[12:13], 0, v56
	v_cndmask_b32_e64 v43, v43, v47, s[10:11]
	v_cndmask_b32_e64 v42, v46, v42, s[6:7]
	;; [unrolled: 1-line block ×3, first 2 shown]
	v_alignbit_b32 v48, v45, v43, v49
	v_cndmask_b32_e64 v42, v44, v42, s[8:9]
	v_cndmask_b32_e64 v45, v48, v45, s[12:13]
	v_bfe_u32 v51, v2, 29, 1
	v_cndmask_b32_e64 v42, v47, v42, s[10:11]
	v_alignbit_b32 v48, v2, v45, 30
	v_sub_u32_e32 v52, 0, v51
	v_alignbit_b32 v44, v43, v42, v49
	v_xor_b32_e32 v53, v48, v52
	v_cndmask_b32_e64 v43, v44, v43, s[12:13]
	v_alignbit_b32 v44, v45, v43, 30
	v_ffbh_u32_e32 v45, v53
	v_add_u32_e32 v45, 1, v45
	v_cmp_ne_u32_e64 s[6:7], v48, v52
	v_cndmask_b32_e64 v45, 33, v45, s[6:7]
	v_alignbit_b32 v42, v43, v42, 30
	v_xor_b32_e32 v44, v44, v52
	v_sub_u32_e32 v46, 32, v45
	v_xor_b32_e32 v42, v42, v52
	v_alignbit_b32 v47, v53, v44, v46
	v_alignbit_b32 v42, v44, v42, v46
	;; [unrolled: 1-line block ×3, first 2 shown]
	v_ffbh_u32_e32 v44, v43
	v_min_u32_e32 v44, 32, v44
	v_lshrrev_b32_e32 v50, 29, v2
	v_sub_u32_e32 v46, 31, v44
	v_alignbit_b32 v42, v43, v42, v46
	v_lshlrev_b32_e32 v43, 31, v50
	v_or_b32_e32 v46, 0x33800000, v43
	v_add_lshl_u32 v44, v44, v45, 23
	v_lshrrev_b32_e32 v42, 9, v42
	v_sub_u32_e32 v44, v46, v44
	v_or_b32_e32 v42, v44, v42
	v_alignbit_b32 v44, v45, v47, 9
	v_or_b32_e32 v43, v44, v43
	v_xor_b32_e32 v43, 1.0, v43
	v_mul_f32_e32 v44, 0x3fc90fda, v43
	v_fma_f32 v45, v43, s36, -v44
	v_fmac_f32_e32 v45, 0x33a22168, v43
	v_fmac_f32_e32 v45, 0x3fc90fda, v42
	v_lshrrev_b32_e32 v2, 30, v2
	v_add_f32_e32 v42, v44, v45
	v_add_u32_e32 v2, v51, v2
	s_andn2_saveexec_b64 s[6:7], s[22:23]
	s_cbranch_execz .LBB219_47
.LBB219_52:                             ;   in Loop: Header=BB219_25 Depth=1
	v_mul_f32_e64 v2, |v36|, s37
	v_rndne_f32_e32 v43, v2
	v_cvt_i32_f32_e32 v2, v43
	v_fma_f32 v42, v43, s38, |v36|
	v_fmac_f32_e32 v42, 0xb3a22168, v43
	v_fmac_f32_e32 v42, 0xa7c234c4, v43
	s_or_b64 exec, exec, s[6:7]
	s_and_saveexec_b64 s[6:7], s[4:5]
	s_xor_b64 s[6:7], exec, s[6:7]
	s_cbranch_execz .LBB219_48
.LBB219_53:                             ;   in Loop: Header=BB219_25 Depth=1
	v_mul_f32_e32 v43, v35, v35
	v_mov_b32_e32 v44, 0x3c0881c4
	v_fmac_f32_e32 v44, 0xb94c1982, v43
	v_fma_f32 v44, v43, v44, v25
	v_mul_f32_e32 v44, v43, v44
	v_fmac_f32_e32 v35, v35, v44
	v_mov_b32_e32 v44, 0xbab64f3b
	v_fmac_f32_e32 v44, 0x37d75334, v43
	v_fma_f32 v44, v43, v44, v26
	v_fma_f32 v44, v43, v44, v27
	v_fma_f32 v43, v43, v44, 1.0
	v_and_b32_e32 v44, 1, v34
	v_cmp_eq_u32_e64 s[4:5], 0, v44
	v_lshlrev_b32_e32 v34, 30, v34
	v_cndmask_b32_e64 v35, -v35, v43, s[4:5]
	v_and_b32_e32 v34, 0x80000000, v34
	v_xor_b32_e32 v34, v34, v35
	v_cmp_class_f32_e64 s[4:5], v32, s39
	v_cndmask_b32_e64 v32, v30, v34, s[4:5]
	v_bfe_u32 v34, v32, 16, 1
	v_add3_u32 v34, v32, v34, s40
	v_lshrrev_b32_e32 v34, 16, v34
	v_cmp_o_f32_e64 s[4:5], v32, v32
	v_cndmask_b32_e64 v32, v31, v34, s[4:5]
	v_mov_b32_e32 v35, s15
	v_add_co_u32_e64 v34, s[4:5], s14, v6
	v_addc_co_u32_e64 v35, s[4:5], v5, v35, s[4:5]
	global_store_short v[34:35], v32, off
	s_or_b64 exec, exec, s[6:7]
	s_and_saveexec_b64 s[4:5], s[2:3]
	s_cbranch_execz .LBB219_49
.LBB219_54:                             ;   in Loop: Header=BB219_25 Depth=1
	v_mul_f32_e32 v32, v39, v39
	v_mov_b32_e32 v34, 0x3c0881c4
	v_fmac_f32_e32 v34, 0xb94c1982, v32
	v_fma_f32 v34, v32, v34, v25
	v_mul_f32_e32 v34, v32, v34
	v_fmac_f32_e32 v39, v39, v34
	v_mov_b32_e32 v34, 0xbab64f3b
	v_fmac_f32_e32 v34, 0x37d75334, v32
	v_fma_f32 v34, v32, v34, v26
	v_fma_f32 v34, v32, v34, v27
	v_fma_f32 v32, v32, v34, 1.0
	v_and_b32_e32 v34, 1, v38
	v_cmp_eq_u32_e64 s[2:3], 0, v34
	v_lshlrev_b32_e32 v34, 30, v38
	v_cndmask_b32_e64 v32, -v39, v32, s[2:3]
	v_and_b32_e32 v34, 0x80000000, v34
	v_xor_b32_e32 v32, v34, v32
	v_cmp_class_f32_e64 s[2:3], v33, s39
	v_cndmask_b32_e64 v32, v30, v32, s[2:3]
	v_bfe_u32 v33, v32, 16, 1
	v_add3_u32 v33, v32, v33, s40
	v_lshrrev_b32_e32 v33, 16, v33
	v_cmp_o_f32_e64 s[2:3], v32, v32
	v_cndmask_b32_e64 v34, v31, v33, s[2:3]
	v_mov_b32_e32 v33, s15
	v_add_co_u32_e64 v32, s[2:3], s14, v18
	v_addc_co_u32_e64 v33, s[2:3], v17, v33, s[2:3]
	global_store_short v[32:33], v34, off
	s_or_b64 exec, exec, s[4:5]
	s_and_saveexec_b64 s[2:3], s[0:1]
	s_cbranch_execz .LBB219_50
.LBB219_55:                             ;   in Loop: Header=BB219_25 Depth=1
	v_mul_f32_e32 v32, v41, v41
	v_mov_b32_e32 v33, 0x3c0881c4
	v_fmac_f32_e32 v33, 0xb94c1982, v32
	v_fma_f32 v33, v32, v33, v25
	v_mul_f32_e32 v33, v32, v33
	v_fmac_f32_e32 v41, v41, v33
	v_mov_b32_e32 v33, 0xbab64f3b
	v_fmac_f32_e32 v33, 0x37d75334, v32
	v_fma_f32 v33, v32, v33, v26
	v_fma_f32 v33, v32, v33, v27
	v_fma_f32 v32, v32, v33, 1.0
	v_and_b32_e32 v33, 1, v40
	v_cmp_eq_u32_e64 s[0:1], 0, v33
	v_lshlrev_b32_e32 v33, 30, v40
	v_cndmask_b32_e64 v32, -v41, v32, s[0:1]
	v_and_b32_e32 v33, 0x80000000, v33
	v_xor_b32_e32 v32, v33, v32
	v_cmp_class_f32_e64 s[0:1], v37, s39
	v_cndmask_b32_e64 v32, v30, v32, s[0:1]
	v_bfe_u32 v33, v32, 16, 1
	v_add3_u32 v33, v32, v33, s40
	v_lshrrev_b32_e32 v33, 16, v33
	v_cmp_o_f32_e64 s[0:1], v32, v32
	v_cndmask_b32_e64 v34, v31, v33, s[0:1]
	v_mov_b32_e32 v33, s15
	v_add_co_u32_e64 v32, s[0:1], s14, v14
	v_addc_co_u32_e64 v33, s[0:1], v13, v33, s[0:1]
	global_store_short v[32:33], v34, off
	s_or_b64 exec, exec, s[2:3]
	s_and_saveexec_b64 s[0:1], vcc
	s_cbranch_execz .LBB219_24
.LBB219_56:                             ;   in Loop: Header=BB219_25 Depth=1
	v_mul_f32_e32 v32, v42, v42
	v_mov_b32_e32 v33, 0x3c0881c4
	v_fmac_f32_e32 v33, 0xb94c1982, v32
	v_fma_f32 v33, v32, v33, v25
	v_mul_f32_e32 v33, v32, v33
	v_fmac_f32_e32 v42, v42, v33
	v_mov_b32_e32 v33, 0xbab64f3b
	v_fmac_f32_e32 v33, 0x37d75334, v32
	v_fma_f32 v33, v32, v33, v26
	v_fma_f32 v33, v32, v33, v27
	v_fma_f32 v32, v32, v33, 1.0
	v_and_b32_e32 v33, 1, v2
	v_cmp_eq_u32_e32 vcc, 0, v33
	v_lshlrev_b32_e32 v2, 30, v2
	v_cndmask_b32_e64 v32, -v42, v32, vcc
	v_and_b32_e32 v2, 0x80000000, v2
	v_xor_b32_e32 v2, v2, v32
	v_cmp_class_f32_e64 vcc, v36, s39
	v_cndmask_b32_e32 v2, v30, v2, vcc
	v_bfe_u32 v32, v2, 16, 1
	v_add3_u32 v32, v2, v32, s40
	v_lshrrev_b32_e32 v32, 16, v32
	v_cmp_o_f32_e32 vcc, v2, v2
	v_cndmask_b32_e32 v2, v31, v32, vcc
	v_mov_b32_e32 v33, s15
	v_add_co_u32_e32 v32, vcc, s14, v10
	v_addc_co_u32_e32 v33, vcc, v9, v33, vcc
	global_store_short v[32:33], v2, off
	s_branch .LBB219_24
.LBB219_57:
	s_endpgm
	.section	.rodata,"a",@progbits
	.p2align	6, 0x0
	.amdhsa_kernel _ZN2at6native12_GLOBAL__N_125multi_tensor_apply_kernelINS1_18TensorListMetadataILi2EEENS1_14UnaryOpFunctorIN3c108BFloat16ELi2ELi1ELi1EEEJNS0_3CosIfEEEEEvT_T0_DpT1_
		.amdhsa_group_segment_fixed_size 0
		.amdhsa_private_segment_fixed_size 0
		.amdhsa_kernarg_size 3408
		.amdhsa_user_sgpr_count 6
		.amdhsa_user_sgpr_private_segment_buffer 1
		.amdhsa_user_sgpr_dispatch_ptr 0
		.amdhsa_user_sgpr_queue_ptr 0
		.amdhsa_user_sgpr_kernarg_segment_ptr 1
		.amdhsa_user_sgpr_dispatch_id 0
		.amdhsa_user_sgpr_flat_scratch_init 0
		.amdhsa_user_sgpr_kernarg_preload_length 0
		.amdhsa_user_sgpr_kernarg_preload_offset 0
		.amdhsa_user_sgpr_private_segment_size 0
		.amdhsa_uses_dynamic_stack 0
		.amdhsa_system_sgpr_private_segment_wavefront_offset 0
		.amdhsa_system_sgpr_workgroup_id_x 1
		.amdhsa_system_sgpr_workgroup_id_y 0
		.amdhsa_system_sgpr_workgroup_id_z 0
		.amdhsa_system_sgpr_workgroup_info 0
		.amdhsa_system_vgpr_workitem_id 0
		.amdhsa_next_free_vgpr 57
		.amdhsa_next_free_sgpr 42
		.amdhsa_accum_offset 60
		.amdhsa_reserve_vcc 1
		.amdhsa_reserve_flat_scratch 0
		.amdhsa_float_round_mode_32 0
		.amdhsa_float_round_mode_16_64 0
		.amdhsa_float_denorm_mode_32 3
		.amdhsa_float_denorm_mode_16_64 3
		.amdhsa_dx10_clamp 1
		.amdhsa_ieee_mode 1
		.amdhsa_fp16_overflow 0
		.amdhsa_tg_split 0
		.amdhsa_exception_fp_ieee_invalid_op 0
		.amdhsa_exception_fp_denorm_src 0
		.amdhsa_exception_fp_ieee_div_zero 0
		.amdhsa_exception_fp_ieee_overflow 0
		.amdhsa_exception_fp_ieee_underflow 0
		.amdhsa_exception_fp_ieee_inexact 0
		.amdhsa_exception_int_div_zero 0
	.end_amdhsa_kernel
	.section	.text._ZN2at6native12_GLOBAL__N_125multi_tensor_apply_kernelINS1_18TensorListMetadataILi2EEENS1_14UnaryOpFunctorIN3c108BFloat16ELi2ELi1ELi1EEEJNS0_3CosIfEEEEEvT_T0_DpT1_,"axG",@progbits,_ZN2at6native12_GLOBAL__N_125multi_tensor_apply_kernelINS1_18TensorListMetadataILi2EEENS1_14UnaryOpFunctorIN3c108BFloat16ELi2ELi1ELi1EEEJNS0_3CosIfEEEEEvT_T0_DpT1_,comdat
.Lfunc_end219:
	.size	_ZN2at6native12_GLOBAL__N_125multi_tensor_apply_kernelINS1_18TensorListMetadataILi2EEENS1_14UnaryOpFunctorIN3c108BFloat16ELi2ELi1ELi1EEEJNS0_3CosIfEEEEEvT_T0_DpT1_, .Lfunc_end219-_ZN2at6native12_GLOBAL__N_125multi_tensor_apply_kernelINS1_18TensorListMetadataILi2EEENS1_14UnaryOpFunctorIN3c108BFloat16ELi2ELi1ELi1EEEJNS0_3CosIfEEEEEvT_T0_DpT1_
                                        ; -- End function
	.section	.AMDGPU.csdata,"",@progbits
; Kernel info:
; codeLenInByte = 7744
; NumSgprs: 46
; NumVgprs: 57
; NumAgprs: 0
; TotalNumVgprs: 57
; ScratchSize: 0
; MemoryBound: 0
; FloatMode: 240
; IeeeMode: 1
; LDSByteSize: 0 bytes/workgroup (compile time only)
; SGPRBlocks: 5
; VGPRBlocks: 7
; NumSGPRsForWavesPerEU: 46
; NumVGPRsForWavesPerEU: 57
; AccumOffset: 60
; Occupancy: 8
; WaveLimiterHint : 0
; COMPUTE_PGM_RSRC2:SCRATCH_EN: 0
; COMPUTE_PGM_RSRC2:USER_SGPR: 6
; COMPUTE_PGM_RSRC2:TRAP_HANDLER: 0
; COMPUTE_PGM_RSRC2:TGID_X_EN: 1
; COMPUTE_PGM_RSRC2:TGID_Y_EN: 0
; COMPUTE_PGM_RSRC2:TGID_Z_EN: 0
; COMPUTE_PGM_RSRC2:TIDIG_COMP_CNT: 0
; COMPUTE_PGM_RSRC3_GFX90A:ACCUM_OFFSET: 14
; COMPUTE_PGM_RSRC3_GFX90A:TG_SPLIT: 0
	.section	.text._ZN2at6native12_GLOBAL__N_125multi_tensor_apply_kernelINS1_18TensorListMetadataILi1EEENS1_14UnaryOpFunctorIdLi1ELi1ELi0EEEJNS0_3CosIdEEEEEvT_T0_DpT1_,"axG",@progbits,_ZN2at6native12_GLOBAL__N_125multi_tensor_apply_kernelINS1_18TensorListMetadataILi1EEENS1_14UnaryOpFunctorIdLi1ELi1ELi0EEEJNS0_3CosIdEEEEEvT_T0_DpT1_,comdat
	.globl	_ZN2at6native12_GLOBAL__N_125multi_tensor_apply_kernelINS1_18TensorListMetadataILi1EEENS1_14UnaryOpFunctorIdLi1ELi1ELi0EEEJNS0_3CosIdEEEEEvT_T0_DpT1_ ; -- Begin function _ZN2at6native12_GLOBAL__N_125multi_tensor_apply_kernelINS1_18TensorListMetadataILi1EEENS1_14UnaryOpFunctorIdLi1ELi1ELi0EEEJNS0_3CosIdEEEEEvT_T0_DpT1_
	.p2align	8
	.type	_ZN2at6native12_GLOBAL__N_125multi_tensor_apply_kernelINS1_18TensorListMetadataILi1EEENS1_14UnaryOpFunctorIdLi1ELi1ELi0EEEJNS0_3CosIdEEEEEvT_T0_DpT1_,@function
_ZN2at6native12_GLOBAL__N_125multi_tensor_apply_kernelINS1_18TensorListMetadataILi1EEENS1_14UnaryOpFunctorIdLi1ELi1ELi0EEEJNS0_3CosIdEEEEEvT_T0_DpT1_: ; @_ZN2at6native12_GLOBAL__N_125multi_tensor_apply_kernelINS1_18TensorListMetadataILi1EEENS1_14UnaryOpFunctorIdLi1ELi1ELi0EEEJNS0_3CosIdEEEEEvT_T0_DpT1_
; %bb.0:
	v_mov_b32_e32 v1, s6
	global_load_ubyte v1, v1, s[4:5] offset:1760
	s_add_u32 s0, s4, s6
	s_mul_hi_u32 s1, s6, 3
	s_mul_i32 s6, s6, 3
	s_addc_u32 s2, s5, 0
	s_add_u32 s0, s0, s6
	s_addc_u32 s1, s2, s1
	s_load_dword s0, s[0:1], 0x820
	s_mov_b32 s7, 0
	s_waitcnt vmcnt(0)
	v_readfirstlane_b32 s2, v1
	s_lshl_b32 s1, s2, 3
	s_load_dwordx2 s[2:3], s[4:5], s1 offset:0x370
	s_load_dwordx2 s[14:15], s[4:5], s1 offset:0x0
	s_waitcnt lgkmcnt(0)
	s_ashr_i32 s1, s0, 31
	s_lshl_b64 s[16:17], s[0:1], 19
	s_lshl_b64 s[0:1], s[0:1], 16
	s_and_b32 s6, s14, 31
	s_sub_u32 s12, s2, s0
	s_subb_u32 s13, s3, s1
	s_and_b32 s0, s2, 3
	s_mov_b32 s1, s7
	s_or_b64 s[0:1], s[6:7], s[0:1]
	s_cmp_eq_u64 s[0:1], 0
	s_cbranch_scc1 .LBB220_37
; %bb.1:
	v_cmp_lt_i64_e64 s[0:1], s[12:13], 1
	s_and_b64 vcc, exec, s[0:1]
	s_cbranch_vccnz .LBB220_36
; %bb.2:
	s_load_dword s0, s[4:5], 0xd3c
	v_mov_b32_e32 v4, 0x10000
	v_mov_b32_e32 v5, 0
	v_cmp_lt_u64_e32 vcc, s[12:13], v[4:5]
	v_lshlrev_b32_e32 v1, 3, v0
	s_waitcnt lgkmcnt(0)
	s_and_b32 s2, s0, 0xffff
	s_and_b64 s[0:1], vcc, exec
	s_cselect_b32 s19, s13, 0
	s_cselect_b32 s18, s12, 0x10000
	s_lshl_b32 s3, s2, 1
	s_lshl_b32 s52, s2, 2
	s_add_u32 s6, s14, s16
	s_addc_u32 s7, s15, s17
	v_mov_b32_e32 v3, s7
	v_add_co_u32_e32 v4, vcc, s6, v1
	s_mul_i32 s0, s2, 3
	v_addc_co_u32_e32 v5, vcc, 0, v3, vcc
	v_add_co_u32_e32 v1, vcc, s0, v0
	v_addc_co_u32_e64 v50, s[0:1], 0, 0, vcc
	v_add_co_u32_e32 v51, vcc, s3, v0
	v_addc_co_u32_e64 v52, s[0:1], 0, 0, vcc
	v_add_co_u32_e32 v53, vcc, s2, v0
	v_lshlrev_b32_e32 v3, 3, v53
	s_mov_b32 s33, 0
	v_addc_co_u32_e64 v54, s[0:1], 0, 0, vcc
	v_mov_b32_e32 v7, s7
	v_add_co_u32_e32 v6, vcc, s6, v3
	s_mov_b32 s22, 0
	s_mov_b32 s24, 0
	;; [unrolled: 1-line block ×10, first 2 shown]
	v_mov_b32_e32 v2, 0
	s_lshl_b32 s53, s2, 5
	s_mul_i32 s54, s2, 24
	s_mov_b32 s55, s33
	s_lshl_b32 s56, s2, 4
	s_mov_b32 s57, s33
	v_addc_co_u32_e32 v7, vcc, 0, v7, vcc
	s_mov_b64 s[20:21], 0
	s_mov_b32 s23, 0x41d00000
	s_mov_b32 s25, 0x7b000000
	s_movk_i32 s58, 0xff80
	s_mov_b32 s27, 0x7ff00000
	s_mov_b32 s29, 0x3ff921fb
	;; [unrolled: 1-line block ×11, first 2 shown]
	s_movk_i32 s59, 0x1f8
	v_mov_b32_e32 v55, 0x40100000
	v_mov_b32_e32 v56, 0x3ff00000
	;; [unrolled: 1-line block ×21, first 2 shown]
	s_branch .LBB220_4
.LBB220_3:                              ;   in Loop: Header=BB220_4 Depth=1
	s_or_b64 exec, exec, s[0:1]
	s_add_u32 s20, s20, s52
	s_addc_u32 s21, s21, 0
	v_pk_mov_b32 v[26:27], s[12:13], s[12:13] op_sel:[0,1]
	v_cmp_ge_i64_e32 vcc, s[20:21], v[26:27]
	v_mov_b32_e32 v26, 0xffff
	v_mov_b32_e32 v27, 0
	v_cmp_gt_u64_e64 s[0:1], s[20:21], v[26:27]
	s_or_b64 s[0:1], vcc, s[0:1]
	v_mov_b32_e32 v3, s33
	v_add_co_u32_e32 v4, vcc, s53, v4
	v_addc_co_u32_e32 v5, vcc, v5, v3, vcc
	v_add_co_u32_e32 v6, vcc, s53, v6
	v_addc_co_u32_e32 v7, vcc, v7, v3, vcc
	s_and_b64 vcc, exec, s[0:1]
	s_cbranch_vccnz .LBB220_36
.LBB220_4:                              ; =>This Inner Loop Header: Depth=1
	v_mov_b32_e32 v3, s21
	v_add_co_u32_e32 v26, vcc, s20, v0
	v_addc_co_u32_e32 v27, vcc, 0, v3, vcc
	v_pk_mov_b32 v[30:31], 0, 0
	v_cmp_gt_u64_e64 s[6:7], s[18:19], v[26:27]
	v_pk_mov_b32 v[32:33], v[30:31], v[30:31] op_sel:[0,1]
	s_and_saveexec_b64 s[0:1], s[6:7]
	s_cbranch_execz .LBB220_6
; %bb.5:                                ;   in Loop: Header=BB220_4 Depth=1
	global_load_dwordx2 v[32:33], v[4:5], off
.LBB220_6:                              ;   in Loop: Header=BB220_4 Depth=1
	s_or_b64 exec, exec, s[0:1]
	v_mov_b32_e32 v3, s21
	v_add_co_u32_e32 v26, vcc, s20, v53
	v_addc_co_u32_e32 v27, vcc, v54, v3, vcc
	v_cmp_gt_u64_e64 s[2:3], s[18:19], v[26:27]
	s_and_saveexec_b64 s[0:1], s[2:3]
	s_cbranch_execz .LBB220_8
; %bb.7:                                ;   in Loop: Header=BB220_4 Depth=1
	global_load_dwordx2 v[30:31], v[6:7], off
.LBB220_8:                              ;   in Loop: Header=BB220_4 Depth=1
	s_or_b64 exec, exec, s[0:1]
	v_mov_b32_e32 v3, s21
	v_add_co_u32_e32 v26, vcc, s20, v51
	v_addc_co_u32_e32 v27, vcc, v52, v3, vcc
	v_cmp_gt_u64_e64 s[0:1], s[18:19], v[26:27]
	v_pk_mov_b32 v[26:27], 0, 0
	v_pk_mov_b32 v[28:29], v[26:27], v[26:27] op_sel:[0,1]
	s_and_saveexec_b64 s[8:9], s[0:1]
	s_cbranch_execz .LBB220_10
; %bb.9:                                ;   in Loop: Header=BB220_4 Depth=1
	v_mov_b32_e32 v3, s57
	v_add_co_u32_e32 v28, vcc, s56, v4
	v_addc_co_u32_e32 v29, vcc, v5, v3, vcc
	global_load_dwordx2 v[28:29], v[28:29], off
.LBB220_10:                             ;   in Loop: Header=BB220_4 Depth=1
	s_or_b64 exec, exec, s[8:9]
	v_mov_b32_e32 v3, s21
	v_add_co_u32_e32 v34, vcc, s20, v1
	v_addc_co_u32_e32 v35, vcc, v50, v3, vcc
	v_cmp_gt_u64_e32 vcc, s[18:19], v[34:35]
	s_and_saveexec_b64 s[10:11], vcc
	s_cbranch_execz .LBB220_12
; %bb.11:                               ;   in Loop: Header=BB220_4 Depth=1
	v_mov_b32_e32 v3, s55
	v_add_co_u32_e64 v26, s[8:9], s54, v4
	v_addc_co_u32_e64 v27, s[8:9], v5, v3, s[8:9]
	global_load_dwordx2 v[26:27], v[26:27], off
.LBB220_12:                             ;   in Loop: Header=BB220_4 Depth=1
	s_or_b64 exec, exec, s[10:11]
	s_waitcnt vmcnt(0)
	v_cmp_nlt_f64_e64 s[8:9], |v[32:33]|, s[22:23]
                                        ; implicit-def: $vgpr58
                                        ; implicit-def: $vgpr34_vgpr35
                                        ; implicit-def: $vgpr36_vgpr37
	s_and_saveexec_b64 s[10:11], s[8:9]
	s_xor_b64 s[50:51], exec, s[10:11]
	s_cbranch_execz .LBB220_14
; %bb.13:                               ;   in Loop: Header=BB220_4 Depth=1
	v_and_b32_e32 v3, 0x7fffffff, v33
	v_ldexp_f64 v[38:39], |v[32:33]|, s58
	v_cmp_ge_f64_e64 s[8:9], |v[32:33]|, s[24:25]
	v_trig_preop_f64 v[34:35], |v[32:33]|, 0
	v_cndmask_b32_e64 v39, v3, v39, s[8:9]
	v_cndmask_b32_e64 v38, v32, v38, s[8:9]
	v_trig_preop_f64 v[36:37], |v[32:33]|, 1
	v_mul_f64 v[42:43], v[34:35], v[38:39]
	v_mul_f64 v[40:41], v[36:37], v[38:39]
	v_fma_f64 v[34:35], v[34:35], v[38:39], -v[42:43]
	v_add_f64 v[44:45], v[40:41], v[34:35]
	v_add_f64 v[46:47], v[42:43], v[44:45]
	v_ldexp_f64 v[48:49], v[46:47], -2
	v_fract_f64_e32 v[58:59], v[48:49]
	v_cmp_neq_f64_e64 s[8:9], |v[48:49]|, s[26:27]
	v_cndmask_b32_e64 v49, 0, v59, s[8:9]
	v_cndmask_b32_e64 v48, 0, v58, s[8:9]
	v_add_f64 v[58:59], v[44:45], -v[40:41]
	v_add_f64 v[34:35], v[34:35], -v[58:59]
	v_add_f64 v[58:59], v[44:45], -v[58:59]
	v_add_f64 v[58:59], v[40:41], -v[58:59]
	v_fma_f64 v[36:37], v[36:37], v[38:39], -v[40:41]
	v_trig_preop_f64 v[40:41], |v[32:33]|, 2
	v_add_f64 v[34:35], v[34:35], v[58:59]
	v_mul_f64 v[58:59], v[40:41], v[38:39]
	v_add_f64 v[60:61], v[58:59], v[36:37]
	v_add_f64 v[62:63], v[60:61], v[34:35]
	v_add_f64 v[42:43], v[46:47], -v[42:43]
	v_add_f64 v[46:47], v[62:63], -v[60:61]
	;; [unrolled: 1-line block ×5, first 2 shown]
	v_add_f64 v[34:35], v[34:35], v[46:47]
	v_add_f64 v[46:47], v[60:61], -v[58:59]
	v_add_f64 v[36:37], v[36:37], -v[46:47]
	;; [unrolled: 1-line block ×4, first 2 shown]
	v_add_f64 v[36:37], v[36:37], v[46:47]
	v_add_f64 v[42:43], v[44:45], -v[42:43]
	v_add_f64 v[34:35], v[36:37], v[34:35]
	v_fma_f64 v[36:37], v[40:41], v[38:39], -v[58:59]
	v_add_f64 v[44:45], v[42:43], v[62:63]
	v_add_f64 v[34:35], v[36:37], v[34:35]
	v_ldexp_f64 v[36:37], v[48:49], 2
	v_add_f64 v[38:39], v[44:45], v[36:37]
	v_cmp_gt_f64_e64 s[8:9], 0, v[38:39]
	v_cndmask_b32_e64 v3, 0, v55, s[8:9]
	v_add_f64 v[36:37], v[36:37], v[2:3]
	v_add_f64 v[38:39], v[44:45], v[36:37]
	v_cvt_i32_f64_e32 v3, v[38:39]
	v_cvt_f64_i32_e32 v[38:39], v3
	v_add_f64 v[36:37], v[36:37], -v[38:39]
	v_add_f64 v[42:43], v[44:45], -v[42:43]
	v_add_f64 v[38:39], v[44:45], v[36:37]
	v_add_f64 v[42:43], v[62:63], -v[42:43]
	v_add_f64 v[36:37], v[38:39], -v[36:37]
	v_cmp_le_f64_e64 s[8:9], 0.5, v[38:39]
	v_add_f64 v[34:35], v[42:43], v[34:35]
	v_add_f64 v[36:37], v[44:45], -v[36:37]
	v_addc_co_u32_e64 v58, s[10:11], 0, v3, s[8:9]
	v_cndmask_b32_e64 v3, 0, v56, s[8:9]
	v_add_f64 v[34:35], v[34:35], v[36:37]
	v_add_f64 v[36:37], v[38:39], -v[2:3]
	v_add_f64 v[38:39], v[36:37], v[34:35]
	v_add_f64 v[36:37], v[38:39], -v[36:37]
	s_mov_b32 s28, s30
	v_add_f64 v[34:35], v[34:35], -v[36:37]
	v_mul_f64 v[36:37], v[38:39], s[28:29]
	v_fma_f64 v[40:41], v[38:39], s[28:29], -v[36:37]
	s_mov_b32 s37, s35
	v_fmac_f64_e32 v[40:41], s[36:37], v[38:39]
	v_fmac_f64_e32 v[40:41], s[28:29], v[34:35]
	v_add_f64 v[34:35], v[36:37], v[40:41]
	v_add_f64 v[36:37], v[34:35], -v[36:37]
	v_add_f64 v[36:37], v[40:41], -v[36:37]
.LBB220_14:                             ;   in Loop: Header=BB220_4 Depth=1
	s_andn2_saveexec_b64 s[8:9], s[50:51]
	s_cbranch_execz .LBB220_16
; %bb.15:                               ;   in Loop: Header=BB220_4 Depth=1
	v_mul_f64 v[34:35], |v[32:33]|, s[38:39]
	v_rndne_f64_e32 v[38:39], v[34:35]
	v_fma_f64 v[34:35], v[38:39], s[30:31], |v[32:33]|
	v_mul_f64 v[40:41], v[38:39], s[40:41]
	v_add_f64 v[44:45], v[34:35], v[40:41]
	v_fma_f64 v[36:37], s[40:41], v[38:39], v[34:35]
	s_mov_b32 s34, s40
	v_add_f64 v[34:35], v[34:35], -v[44:45]
	v_fma_f64 v[42:43], s[34:35], v[38:39], v[40:41]
	v_add_f64 v[34:35], v[34:35], v[40:41]
	v_add_f64 v[40:41], v[44:45], -v[36:37]
	v_add_f64 v[34:35], v[40:41], v[34:35]
	v_add_f64 v[40:41], v[34:35], -v[42:43]
	v_fmac_f64_e32 v[40:41], s[42:43], v[38:39]
	v_add_f64 v[34:35], v[36:37], v[40:41]
	v_add_f64 v[36:37], v[34:35], -v[36:37]
	v_add_f64 v[36:37], v[40:41], -v[36:37]
	v_cvt_i32_f64_e32 v58, v[38:39]
.LBB220_16:                             ;   in Loop: Header=BB220_4 Depth=1
	s_or_b64 exec, exec, s[8:9]
	v_cmp_nlt_f64_e64 s[8:9], |v[30:31]|, s[22:23]
                                        ; implicit-def: $vgpr59
                                        ; implicit-def: $vgpr38_vgpr39
                                        ; implicit-def: $vgpr40_vgpr41
	s_and_saveexec_b64 s[10:11], s[8:9]
	s_xor_b64 s[50:51], exec, s[10:11]
	s_cbranch_execz .LBB220_18
; %bb.17:                               ;   in Loop: Header=BB220_4 Depth=1
	v_and_b32_e32 v3, 0x7fffffff, v31
	v_ldexp_f64 v[42:43], |v[30:31]|, s58
	v_cmp_ge_f64_e64 s[8:9], |v[30:31]|, s[24:25]
	v_trig_preop_f64 v[38:39], |v[30:31]|, 0
	v_cndmask_b32_e64 v43, v3, v43, s[8:9]
	v_cndmask_b32_e64 v42, v30, v42, s[8:9]
	v_trig_preop_f64 v[40:41], |v[30:31]|, 1
	v_mul_f64 v[46:47], v[38:39], v[42:43]
	v_mul_f64 v[44:45], v[40:41], v[42:43]
	v_fma_f64 v[38:39], v[38:39], v[42:43], -v[46:47]
	v_add_f64 v[48:49], v[44:45], v[38:39]
	v_add_f64 v[60:61], v[46:47], v[48:49]
	v_ldexp_f64 v[62:63], v[60:61], -2
	v_fract_f64_e32 v[64:65], v[62:63]
	v_cmp_neq_f64_e64 s[8:9], |v[62:63]|, s[26:27]
	v_cndmask_b32_e64 v63, 0, v65, s[8:9]
	v_cndmask_b32_e64 v62, 0, v64, s[8:9]
	v_add_f64 v[64:65], v[48:49], -v[44:45]
	v_add_f64 v[38:39], v[38:39], -v[64:65]
	;; [unrolled: 1-line block ×4, first 2 shown]
	v_fma_f64 v[40:41], v[40:41], v[42:43], -v[44:45]
	v_trig_preop_f64 v[44:45], |v[30:31]|, 2
	v_add_f64 v[38:39], v[38:39], v[64:65]
	v_mul_f64 v[64:65], v[44:45], v[42:43]
	v_add_f64 v[66:67], v[64:65], v[40:41]
	v_add_f64 v[68:69], v[66:67], v[38:39]
	v_add_f64 v[46:47], v[60:61], -v[46:47]
	v_add_f64 v[60:61], v[68:69], -v[66:67]
	;; [unrolled: 1-line block ×5, first 2 shown]
	v_add_f64 v[38:39], v[38:39], v[60:61]
	v_add_f64 v[60:61], v[66:67], -v[64:65]
	v_add_f64 v[40:41], v[40:41], -v[60:61]
	;; [unrolled: 1-line block ×4, first 2 shown]
	v_add_f64 v[40:41], v[40:41], v[60:61]
	v_add_f64 v[46:47], v[48:49], -v[46:47]
	v_add_f64 v[38:39], v[40:41], v[38:39]
	v_fma_f64 v[40:41], v[44:45], v[42:43], -v[64:65]
	v_add_f64 v[48:49], v[46:47], v[68:69]
	v_add_f64 v[38:39], v[40:41], v[38:39]
	v_ldexp_f64 v[40:41], v[62:63], 2
	v_add_f64 v[42:43], v[48:49], v[40:41]
	v_cmp_gt_f64_e64 s[8:9], 0, v[42:43]
	v_cndmask_b32_e64 v3, 0, v55, s[8:9]
	v_add_f64 v[40:41], v[40:41], v[2:3]
	v_add_f64 v[42:43], v[48:49], v[40:41]
	v_cvt_i32_f64_e32 v3, v[42:43]
	v_cvt_f64_i32_e32 v[42:43], v3
	v_add_f64 v[40:41], v[40:41], -v[42:43]
	v_add_f64 v[46:47], v[48:49], -v[46:47]
	v_add_f64 v[42:43], v[48:49], v[40:41]
	v_add_f64 v[46:47], v[68:69], -v[46:47]
	v_add_f64 v[40:41], v[42:43], -v[40:41]
	v_cmp_le_f64_e64 s[8:9], 0.5, v[42:43]
	v_add_f64 v[38:39], v[46:47], v[38:39]
	v_add_f64 v[40:41], v[48:49], -v[40:41]
	v_addc_co_u32_e64 v59, s[10:11], 0, v3, s[8:9]
	v_cndmask_b32_e64 v3, 0, v56, s[8:9]
	v_add_f64 v[38:39], v[38:39], v[40:41]
	v_add_f64 v[40:41], v[42:43], -v[2:3]
	v_add_f64 v[42:43], v[40:41], v[38:39]
	v_add_f64 v[40:41], v[42:43], -v[40:41]
	s_mov_b32 s28, s30
	v_add_f64 v[38:39], v[38:39], -v[40:41]
	v_mul_f64 v[40:41], v[42:43], s[28:29]
	v_fma_f64 v[44:45], v[42:43], s[28:29], -v[40:41]
	s_mov_b32 s37, s35
	v_fmac_f64_e32 v[44:45], s[36:37], v[42:43]
	v_fmac_f64_e32 v[44:45], s[28:29], v[38:39]
	v_add_f64 v[38:39], v[40:41], v[44:45]
	v_add_f64 v[40:41], v[38:39], -v[40:41]
	v_add_f64 v[40:41], v[44:45], -v[40:41]
.LBB220_18:                             ;   in Loop: Header=BB220_4 Depth=1
	s_andn2_saveexec_b64 s[8:9], s[50:51]
	s_cbranch_execz .LBB220_20
; %bb.19:                               ;   in Loop: Header=BB220_4 Depth=1
	v_mul_f64 v[38:39], |v[30:31]|, s[38:39]
	v_rndne_f64_e32 v[42:43], v[38:39]
	v_fma_f64 v[38:39], v[42:43], s[30:31], |v[30:31]|
	v_mul_f64 v[44:45], v[42:43], s[40:41]
	v_add_f64 v[48:49], v[38:39], v[44:45]
	v_fma_f64 v[40:41], s[40:41], v[42:43], v[38:39]
	s_mov_b32 s34, s40
	v_add_f64 v[38:39], v[38:39], -v[48:49]
	v_fma_f64 v[46:47], s[34:35], v[42:43], v[44:45]
	v_add_f64 v[38:39], v[38:39], v[44:45]
	v_add_f64 v[44:45], v[48:49], -v[40:41]
	v_add_f64 v[38:39], v[44:45], v[38:39]
	v_add_f64 v[44:45], v[38:39], -v[46:47]
	v_fmac_f64_e32 v[44:45], s[42:43], v[42:43]
	v_add_f64 v[38:39], v[40:41], v[44:45]
	v_add_f64 v[40:41], v[38:39], -v[40:41]
	v_add_f64 v[40:41], v[44:45], -v[40:41]
	v_cvt_i32_f64_e32 v59, v[42:43]
.LBB220_20:                             ;   in Loop: Header=BB220_4 Depth=1
	s_or_b64 exec, exec, s[8:9]
	v_cmp_nlt_f64_e64 s[8:9], |v[28:29]|, s[22:23]
                                        ; implicit-def: $vgpr60
                                        ; implicit-def: $vgpr42_vgpr43
                                        ; implicit-def: $vgpr44_vgpr45
	s_and_saveexec_b64 s[10:11], s[8:9]
	s_xor_b64 s[50:51], exec, s[10:11]
	s_cbranch_execz .LBB220_22
; %bb.21:                               ;   in Loop: Header=BB220_4 Depth=1
	v_and_b32_e32 v3, 0x7fffffff, v29
	v_ldexp_f64 v[46:47], |v[28:29]|, s58
	v_cmp_ge_f64_e64 s[8:9], |v[28:29]|, s[24:25]
	v_trig_preop_f64 v[42:43], |v[28:29]|, 0
	v_cndmask_b32_e64 v47, v3, v47, s[8:9]
	v_cndmask_b32_e64 v46, v28, v46, s[8:9]
	v_trig_preop_f64 v[44:45], |v[28:29]|, 1
	v_mul_f64 v[60:61], v[42:43], v[46:47]
	v_mul_f64 v[48:49], v[44:45], v[46:47]
	v_fma_f64 v[42:43], v[42:43], v[46:47], -v[60:61]
	v_add_f64 v[62:63], v[48:49], v[42:43]
	v_add_f64 v[64:65], v[60:61], v[62:63]
	v_ldexp_f64 v[66:67], v[64:65], -2
	v_fract_f64_e32 v[68:69], v[66:67]
	v_cmp_neq_f64_e64 s[8:9], |v[66:67]|, s[26:27]
	v_cndmask_b32_e64 v67, 0, v69, s[8:9]
	v_cndmask_b32_e64 v66, 0, v68, s[8:9]
	v_add_f64 v[68:69], v[62:63], -v[48:49]
	v_add_f64 v[42:43], v[42:43], -v[68:69]
	;; [unrolled: 1-line block ×4, first 2 shown]
	v_fma_f64 v[44:45], v[44:45], v[46:47], -v[48:49]
	v_trig_preop_f64 v[48:49], |v[28:29]|, 2
	v_add_f64 v[42:43], v[42:43], v[68:69]
	v_mul_f64 v[68:69], v[48:49], v[46:47]
	v_add_f64 v[70:71], v[68:69], v[44:45]
	v_add_f64 v[72:73], v[70:71], v[42:43]
	v_add_f64 v[60:61], v[64:65], -v[60:61]
	v_add_f64 v[64:65], v[72:73], -v[70:71]
	;; [unrolled: 1-line block ×5, first 2 shown]
	v_add_f64 v[42:43], v[42:43], v[64:65]
	v_add_f64 v[64:65], v[70:71], -v[68:69]
	v_add_f64 v[44:45], v[44:45], -v[64:65]
	v_add_f64 v[64:65], v[70:71], -v[64:65]
	v_add_f64 v[64:65], v[68:69], -v[64:65]
	v_add_f64 v[44:45], v[44:45], v[64:65]
	v_add_f64 v[60:61], v[62:63], -v[60:61]
	v_add_f64 v[42:43], v[44:45], v[42:43]
	v_fma_f64 v[44:45], v[48:49], v[46:47], -v[68:69]
	v_add_f64 v[62:63], v[60:61], v[72:73]
	v_add_f64 v[42:43], v[44:45], v[42:43]
	v_ldexp_f64 v[44:45], v[66:67], 2
	v_add_f64 v[46:47], v[62:63], v[44:45]
	v_cmp_gt_f64_e64 s[8:9], 0, v[46:47]
	v_cndmask_b32_e64 v3, 0, v55, s[8:9]
	v_add_f64 v[44:45], v[44:45], v[2:3]
	v_add_f64 v[46:47], v[62:63], v[44:45]
	v_cvt_i32_f64_e32 v3, v[46:47]
	v_cvt_f64_i32_e32 v[46:47], v3
	v_add_f64 v[44:45], v[44:45], -v[46:47]
	v_add_f64 v[60:61], v[62:63], -v[60:61]
	v_add_f64 v[46:47], v[62:63], v[44:45]
	v_add_f64 v[60:61], v[72:73], -v[60:61]
	v_add_f64 v[44:45], v[46:47], -v[44:45]
	v_cmp_le_f64_e64 s[8:9], 0.5, v[46:47]
	v_add_f64 v[42:43], v[60:61], v[42:43]
	v_add_f64 v[44:45], v[62:63], -v[44:45]
	v_addc_co_u32_e64 v60, s[10:11], 0, v3, s[8:9]
	v_cndmask_b32_e64 v3, 0, v56, s[8:9]
	v_add_f64 v[42:43], v[42:43], v[44:45]
	v_add_f64 v[44:45], v[46:47], -v[2:3]
	v_add_f64 v[46:47], v[44:45], v[42:43]
	v_add_f64 v[44:45], v[46:47], -v[44:45]
	s_mov_b32 s28, s30
	v_add_f64 v[42:43], v[42:43], -v[44:45]
	v_mul_f64 v[44:45], v[46:47], s[28:29]
	v_fma_f64 v[48:49], v[46:47], s[28:29], -v[44:45]
	s_mov_b32 s37, s35
	v_fmac_f64_e32 v[48:49], s[36:37], v[46:47]
	v_fmac_f64_e32 v[48:49], s[28:29], v[42:43]
	v_add_f64 v[42:43], v[44:45], v[48:49]
	v_add_f64 v[44:45], v[42:43], -v[44:45]
	v_add_f64 v[44:45], v[48:49], -v[44:45]
.LBB220_22:                             ;   in Loop: Header=BB220_4 Depth=1
	s_andn2_saveexec_b64 s[8:9], s[50:51]
	s_cbranch_execz .LBB220_24
; %bb.23:                               ;   in Loop: Header=BB220_4 Depth=1
	v_mul_f64 v[42:43], |v[28:29]|, s[38:39]
	v_rndne_f64_e32 v[46:47], v[42:43]
	v_fma_f64 v[42:43], v[46:47], s[30:31], |v[28:29]|
	v_mul_f64 v[48:49], v[46:47], s[40:41]
	v_add_f64 v[62:63], v[42:43], v[48:49]
	v_fma_f64 v[44:45], s[40:41], v[46:47], v[42:43]
	s_mov_b32 s34, s40
	v_add_f64 v[42:43], v[42:43], -v[62:63]
	v_fma_f64 v[60:61], s[34:35], v[46:47], v[48:49]
	v_add_f64 v[42:43], v[42:43], v[48:49]
	v_add_f64 v[48:49], v[62:63], -v[44:45]
	v_add_f64 v[42:43], v[48:49], v[42:43]
	v_add_f64 v[48:49], v[42:43], -v[60:61]
	v_fmac_f64_e32 v[48:49], s[42:43], v[46:47]
	v_add_f64 v[42:43], v[44:45], v[48:49]
	v_add_f64 v[44:45], v[42:43], -v[44:45]
	v_add_f64 v[44:45], v[48:49], -v[44:45]
	v_cvt_i32_f64_e32 v60, v[46:47]
.LBB220_24:                             ;   in Loop: Header=BB220_4 Depth=1
	s_or_b64 exec, exec, s[8:9]
	v_cmp_nlt_f64_e64 s[8:9], |v[26:27]|, s[22:23]
                                        ; implicit-def: $vgpr61
                                        ; implicit-def: $vgpr46_vgpr47
                                        ; implicit-def: $vgpr48_vgpr49
	s_and_saveexec_b64 s[10:11], s[8:9]
	s_xor_b64 s[50:51], exec, s[10:11]
	s_cbranch_execnz .LBB220_30
; %bb.25:                               ;   in Loop: Header=BB220_4 Depth=1
	s_andn2_saveexec_b64 s[8:9], s[50:51]
	s_cbranch_execnz .LBB220_31
.LBB220_26:                             ;   in Loop: Header=BB220_4 Depth=1
	s_or_b64 exec, exec, s[8:9]
	s_and_saveexec_b64 s[8:9], s[6:7]
	s_xor_b64 s[8:9], exec, s[8:9]
	s_cbranch_execnz .LBB220_32
.LBB220_27:                             ;   in Loop: Header=BB220_4 Depth=1
	s_or_b64 exec, exec, s[8:9]
	s_and_saveexec_b64 s[6:7], s[2:3]
	s_cbranch_execnz .LBB220_33
.LBB220_28:                             ;   in Loop: Header=BB220_4 Depth=1
	s_or_b64 exec, exec, s[6:7]
	s_and_saveexec_b64 s[2:3], s[0:1]
	s_cbranch_execnz .LBB220_34
.LBB220_29:                             ;   in Loop: Header=BB220_4 Depth=1
	s_or_b64 exec, exec, s[2:3]
	s_and_saveexec_b64 s[0:1], vcc
	s_cbranch_execz .LBB220_3
	s_branch .LBB220_35
.LBB220_30:                             ;   in Loop: Header=BB220_4 Depth=1
	v_and_b32_e32 v3, 0x7fffffff, v27
	v_ldexp_f64 v[62:63], |v[26:27]|, s58
	v_cmp_ge_f64_e64 s[8:9], |v[26:27]|, s[24:25]
	v_trig_preop_f64 v[46:47], |v[26:27]|, 0
	v_cndmask_b32_e64 v63, v3, v63, s[8:9]
	v_cndmask_b32_e64 v62, v26, v62, s[8:9]
	v_trig_preop_f64 v[48:49], |v[26:27]|, 1
	v_mul_f64 v[66:67], v[46:47], v[62:63]
	v_mul_f64 v[64:65], v[48:49], v[62:63]
	v_fma_f64 v[46:47], v[46:47], v[62:63], -v[66:67]
	v_add_f64 v[68:69], v[64:65], v[46:47]
	v_add_f64 v[70:71], v[66:67], v[68:69]
	v_ldexp_f64 v[72:73], v[70:71], -2
	v_fract_f64_e32 v[74:75], v[72:73]
	v_cmp_neq_f64_e64 s[8:9], |v[72:73]|, s[26:27]
	v_cndmask_b32_e64 v73, 0, v75, s[8:9]
	v_cndmask_b32_e64 v72, 0, v74, s[8:9]
	v_add_f64 v[74:75], v[68:69], -v[64:65]
	v_add_f64 v[46:47], v[46:47], -v[74:75]
	v_add_f64 v[74:75], v[68:69], -v[74:75]
	v_add_f64 v[74:75], v[64:65], -v[74:75]
	v_fma_f64 v[48:49], v[48:49], v[62:63], -v[64:65]
	v_trig_preop_f64 v[64:65], |v[26:27]|, 2
	v_add_f64 v[46:47], v[46:47], v[74:75]
	v_mul_f64 v[74:75], v[64:65], v[62:63]
	v_add_f64 v[76:77], v[74:75], v[48:49]
	v_add_f64 v[78:79], v[76:77], v[46:47]
	v_add_f64 v[66:67], v[70:71], -v[66:67]
	v_add_f64 v[70:71], v[78:79], -v[76:77]
	;; [unrolled: 1-line block ×5, first 2 shown]
	v_add_f64 v[46:47], v[46:47], v[70:71]
	v_add_f64 v[70:71], v[76:77], -v[74:75]
	v_add_f64 v[48:49], v[48:49], -v[70:71]
	v_add_f64 v[70:71], v[76:77], -v[70:71]
	v_add_f64 v[70:71], v[74:75], -v[70:71]
	v_add_f64 v[48:49], v[48:49], v[70:71]
	v_add_f64 v[66:67], v[68:69], -v[66:67]
	v_add_f64 v[46:47], v[48:49], v[46:47]
	v_fma_f64 v[48:49], v[64:65], v[62:63], -v[74:75]
	v_add_f64 v[68:69], v[66:67], v[78:79]
	v_add_f64 v[46:47], v[48:49], v[46:47]
	v_ldexp_f64 v[48:49], v[72:73], 2
	v_add_f64 v[62:63], v[68:69], v[48:49]
	v_cmp_gt_f64_e64 s[8:9], 0, v[62:63]
	v_cndmask_b32_e64 v3, 0, v55, s[8:9]
	v_add_f64 v[48:49], v[48:49], v[2:3]
	v_add_f64 v[62:63], v[68:69], v[48:49]
	v_cvt_i32_f64_e32 v3, v[62:63]
	v_cvt_f64_i32_e32 v[62:63], v3
	v_add_f64 v[48:49], v[48:49], -v[62:63]
	v_add_f64 v[66:67], v[68:69], -v[66:67]
	v_add_f64 v[62:63], v[68:69], v[48:49]
	v_add_f64 v[66:67], v[78:79], -v[66:67]
	v_add_f64 v[48:49], v[62:63], -v[48:49]
	v_cmp_le_f64_e64 s[8:9], 0.5, v[62:63]
	v_add_f64 v[46:47], v[66:67], v[46:47]
	v_add_f64 v[48:49], v[68:69], -v[48:49]
	v_addc_co_u32_e64 v61, s[10:11], 0, v3, s[8:9]
	v_cndmask_b32_e64 v3, 0, v56, s[8:9]
	v_add_f64 v[46:47], v[46:47], v[48:49]
	v_add_f64 v[48:49], v[62:63], -v[2:3]
	v_add_f64 v[62:63], v[48:49], v[46:47]
	v_add_f64 v[48:49], v[62:63], -v[48:49]
	s_mov_b32 s28, s30
	v_add_f64 v[46:47], v[46:47], -v[48:49]
	v_mul_f64 v[48:49], v[62:63], s[28:29]
	v_fma_f64 v[64:65], v[62:63], s[28:29], -v[48:49]
	s_mov_b32 s37, s35
	v_fmac_f64_e32 v[64:65], s[36:37], v[62:63]
	v_fmac_f64_e32 v[64:65], s[28:29], v[46:47]
	v_add_f64 v[46:47], v[48:49], v[64:65]
	v_add_f64 v[48:49], v[46:47], -v[48:49]
	v_add_f64 v[48:49], v[64:65], -v[48:49]
	s_andn2_saveexec_b64 s[8:9], s[50:51]
	s_cbranch_execz .LBB220_26
.LBB220_31:                             ;   in Loop: Header=BB220_4 Depth=1
	v_mul_f64 v[46:47], |v[26:27]|, s[38:39]
	v_rndne_f64_e32 v[62:63], v[46:47]
	v_fma_f64 v[46:47], v[62:63], s[30:31], |v[26:27]|
	v_mul_f64 v[64:65], v[62:63], s[40:41]
	v_add_f64 v[68:69], v[46:47], v[64:65]
	v_fma_f64 v[48:49], s[40:41], v[62:63], v[46:47]
	s_mov_b32 s34, s40
	v_add_f64 v[46:47], v[46:47], -v[68:69]
	v_fma_f64 v[66:67], s[34:35], v[62:63], v[64:65]
	v_add_f64 v[46:47], v[46:47], v[64:65]
	v_add_f64 v[64:65], v[68:69], -v[48:49]
	v_add_f64 v[46:47], v[64:65], v[46:47]
	v_add_f64 v[64:65], v[46:47], -v[66:67]
	v_fmac_f64_e32 v[64:65], s[42:43], v[62:63]
	v_add_f64 v[46:47], v[48:49], v[64:65]
	v_add_f64 v[48:49], v[46:47], -v[48:49]
	v_add_f64 v[48:49], v[64:65], -v[48:49]
	v_cvt_i32_f64_e32 v61, v[62:63]
	s_or_b64 exec, exec, s[8:9]
	s_and_saveexec_b64 s[8:9], s[6:7]
	s_xor_b64 s[8:9], exec, s[8:9]
	s_cbranch_execz .LBB220_27
.LBB220_32:                             ;   in Loop: Header=BB220_4 Depth=1
	v_mul_f64 v[62:63], v[34:35], v[34:35]
	v_pk_mov_b32 v[70:71], v[8:9], v[8:9] op_sel:[0,1]
	v_mul_f64 v[64:65], v[62:63], 0.5
	v_fmac_f64_e32 v[70:71], s[44:45], v[62:63]
	v_pk_mov_b32 v[72:73], v[10:11], v[10:11] op_sel:[0,1]
	v_add_f64 v[66:67], -v[64:65], 1.0
	v_fmac_f64_e32 v[72:73], v[62:63], v[70:71]
	v_pk_mov_b32 v[70:71], v[12:13], v[12:13] op_sel:[0,1]
	v_add_f64 v[68:69], -v[66:67], 1.0
	v_fmac_f64_e32 v[70:71], v[62:63], v[72:73]
	v_pk_mov_b32 v[72:73], v[14:15], v[14:15] op_sel:[0,1]
	v_add_f64 v[64:65], v[68:69], -v[64:65]
	v_fmac_f64_e32 v[72:73], v[62:63], v[70:71]
	v_pk_mov_b32 v[70:71], v[16:17], v[16:17] op_sel:[0,1]
	v_mul_f64 v[68:69], v[62:63], v[62:63]
	v_fmac_f64_e32 v[70:71], v[62:63], v[72:73]
	v_fma_f64 v[64:65], v[34:35], -v[36:37], v[64:65]
	v_fmac_f64_e32 v[64:65], v[68:69], v[70:71]
	v_add_f64 v[64:65], v[66:67], v[64:65]
	v_pk_mov_b32 v[66:67], v[18:19], v[18:19] op_sel:[0,1]
	v_fmac_f64_e32 v[66:67], s[48:49], v[62:63]
	v_pk_mov_b32 v[68:69], v[20:21], v[20:21] op_sel:[0,1]
	v_fmac_f64_e32 v[68:69], v[62:63], v[66:67]
	;; [unrolled: 2-line block ×4, first 2 shown]
	v_mul_f64 v[66:67], v[34:35], -v[62:63]
	v_mul_f64 v[70:71], v[36:37], 0.5
	v_fmac_f64_e32 v[70:71], v[66:67], v[68:69]
	v_fma_f64 v[36:37], v[62:63], v[70:71], -v[36:37]
	v_fmac_f64_e32 v[36:37], s[46:47], v[66:67]
	v_add_f64 v[34:35], v[34:35], -v[36:37]
	v_xor_b32_e32 v3, 0x80000000, v35
	v_and_b32_e32 v35, 1, v58
	v_cmp_eq_u32_e64 s[6:7], 0, v35
	v_lshlrev_b32_e32 v35, 30, v58
	v_cndmask_b32_e64 v3, v3, v65, s[6:7]
	v_and_b32_e32 v35, 0x80000000, v35
	v_cndmask_b32_e64 v34, v34, v64, s[6:7]
	v_xor_b32_e32 v3, v3, v35
	v_cmp_class_f64_e64 s[6:7], v[32:33], s59
	v_cndmask_b32_e64 v32, 0, v34, s[6:7]
	v_cndmask_b32_e64 v33, v57, v3, s[6:7]
	global_store_dwordx2 v[4:5], v[32:33], off
	s_or_b64 exec, exec, s[8:9]
	s_and_saveexec_b64 s[6:7], s[2:3]
	s_cbranch_execz .LBB220_28
.LBB220_33:                             ;   in Loop: Header=BB220_4 Depth=1
	v_mul_f64 v[32:33], v[38:39], v[38:39]
	v_pk_mov_b32 v[64:65], v[8:9], v[8:9] op_sel:[0,1]
	v_mul_f64 v[34:35], v[32:33], 0.5
	v_fmac_f64_e32 v[64:65], s[44:45], v[32:33]
	v_pk_mov_b32 v[66:67], v[10:11], v[10:11] op_sel:[0,1]
	v_add_f64 v[36:37], -v[34:35], 1.0
	v_fmac_f64_e32 v[66:67], v[32:33], v[64:65]
	v_pk_mov_b32 v[64:65], v[12:13], v[12:13] op_sel:[0,1]
	v_add_f64 v[62:63], -v[36:37], 1.0
	v_fmac_f64_e32 v[64:65], v[32:33], v[66:67]
	v_pk_mov_b32 v[66:67], v[14:15], v[14:15] op_sel:[0,1]
	v_add_f64 v[34:35], v[62:63], -v[34:35]
	v_fmac_f64_e32 v[66:67], v[32:33], v[64:65]
	v_pk_mov_b32 v[64:65], v[16:17], v[16:17] op_sel:[0,1]
	v_mul_f64 v[62:63], v[32:33], v[32:33]
	v_fmac_f64_e32 v[64:65], v[32:33], v[66:67]
	v_fma_f64 v[34:35], v[38:39], -v[40:41], v[34:35]
	v_fmac_f64_e32 v[34:35], v[62:63], v[64:65]
	v_add_f64 v[34:35], v[36:37], v[34:35]
	v_pk_mov_b32 v[36:37], v[18:19], v[18:19] op_sel:[0,1]
	v_fmac_f64_e32 v[36:37], s[48:49], v[32:33]
	v_pk_mov_b32 v[62:63], v[20:21], v[20:21] op_sel:[0,1]
	v_fmac_f64_e32 v[62:63], v[32:33], v[36:37]
	;; [unrolled: 2-line block ×4, first 2 shown]
	v_mul_f64 v[36:37], v[38:39], -v[32:33]
	v_mul_f64 v[64:65], v[40:41], 0.5
	v_fmac_f64_e32 v[64:65], v[36:37], v[62:63]
	v_fma_f64 v[32:33], v[32:33], v[64:65], -v[40:41]
	v_fmac_f64_e32 v[32:33], s[46:47], v[36:37]
	v_add_f64 v[32:33], v[38:39], -v[32:33]
	v_xor_b32_e32 v3, 0x80000000, v33
	v_and_b32_e32 v33, 1, v59
	v_cmp_eq_u32_e64 s[2:3], 0, v33
	v_lshlrev_b32_e32 v33, 30, v59
	v_cndmask_b32_e64 v3, v3, v35, s[2:3]
	v_and_b32_e32 v33, 0x80000000, v33
	v_cndmask_b32_e64 v32, v32, v34, s[2:3]
	v_xor_b32_e32 v3, v3, v33
	v_cmp_class_f64_e64 s[2:3], v[30:31], s59
	v_cndmask_b32_e64 v30, 0, v32, s[2:3]
	v_cndmask_b32_e64 v31, v57, v3, s[2:3]
	global_store_dwordx2 v[6:7], v[30:31], off
	s_or_b64 exec, exec, s[6:7]
	s_and_saveexec_b64 s[2:3], s[0:1]
	s_cbranch_execz .LBB220_29
.LBB220_34:                             ;   in Loop: Header=BB220_4 Depth=1
	v_mul_f64 v[30:31], v[42:43], v[42:43]
	v_pk_mov_b32 v[38:39], v[8:9], v[8:9] op_sel:[0,1]
	v_mul_f64 v[32:33], v[30:31], 0.5
	v_fmac_f64_e32 v[38:39], s[44:45], v[30:31]
	v_pk_mov_b32 v[40:41], v[10:11], v[10:11] op_sel:[0,1]
	v_add_f64 v[34:35], -v[32:33], 1.0
	v_fmac_f64_e32 v[40:41], v[30:31], v[38:39]
	v_pk_mov_b32 v[38:39], v[12:13], v[12:13] op_sel:[0,1]
	v_add_f64 v[36:37], -v[34:35], 1.0
	v_fmac_f64_e32 v[38:39], v[30:31], v[40:41]
	v_pk_mov_b32 v[40:41], v[14:15], v[14:15] op_sel:[0,1]
	v_add_f64 v[32:33], v[36:37], -v[32:33]
	v_fmac_f64_e32 v[40:41], v[30:31], v[38:39]
	v_pk_mov_b32 v[38:39], v[16:17], v[16:17] op_sel:[0,1]
	v_mul_f64 v[36:37], v[30:31], v[30:31]
	v_fmac_f64_e32 v[38:39], v[30:31], v[40:41]
	v_fma_f64 v[32:33], v[42:43], -v[44:45], v[32:33]
	v_fmac_f64_e32 v[32:33], v[36:37], v[38:39]
	v_add_f64 v[32:33], v[34:35], v[32:33]
	v_pk_mov_b32 v[34:35], v[18:19], v[18:19] op_sel:[0,1]
	v_fmac_f64_e32 v[34:35], s[48:49], v[30:31]
	v_pk_mov_b32 v[36:37], v[20:21], v[20:21] op_sel:[0,1]
	v_fmac_f64_e32 v[36:37], v[30:31], v[34:35]
	;; [unrolled: 2-line block ×4, first 2 shown]
	v_mul_f64 v[34:35], v[42:43], -v[30:31]
	v_mul_f64 v[38:39], v[44:45], 0.5
	v_fmac_f64_e32 v[38:39], v[34:35], v[36:37]
	v_fma_f64 v[30:31], v[30:31], v[38:39], -v[44:45]
	v_fmac_f64_e32 v[30:31], s[46:47], v[34:35]
	v_add_f64 v[30:31], v[42:43], -v[30:31]
	v_xor_b32_e32 v3, 0x80000000, v31
	v_and_b32_e32 v31, 1, v60
	v_cmp_eq_u32_e64 s[0:1], 0, v31
	v_lshlrev_b32_e32 v31, 30, v60
	v_cndmask_b32_e64 v3, v3, v33, s[0:1]
	v_and_b32_e32 v31, 0x80000000, v31
	v_cndmask_b32_e64 v30, v30, v32, s[0:1]
	v_xor_b32_e32 v3, v3, v31
	v_cmp_class_f64_e64 s[0:1], v[28:29], s59
	v_cndmask_b32_e64 v28, 0, v30, s[0:1]
	v_cndmask_b32_e64 v29, v57, v3, s[0:1]
	v_mov_b32_e32 v3, s57
	v_add_co_u32_e64 v30, s[0:1], s56, v4
	v_addc_co_u32_e64 v31, s[0:1], v5, v3, s[0:1]
	global_store_dwordx2 v[30:31], v[28:29], off
	s_or_b64 exec, exec, s[2:3]
	s_and_saveexec_b64 s[0:1], vcc
	s_cbranch_execz .LBB220_3
.LBB220_35:                             ;   in Loop: Header=BB220_4 Depth=1
	v_mul_f64 v[28:29], v[46:47], v[46:47]
	v_pk_mov_b32 v[36:37], v[8:9], v[8:9] op_sel:[0,1]
	v_mul_f64 v[30:31], v[28:29], 0.5
	v_fmac_f64_e32 v[36:37], s[44:45], v[28:29]
	v_pk_mov_b32 v[38:39], v[10:11], v[10:11] op_sel:[0,1]
	v_add_f64 v[32:33], -v[30:31], 1.0
	v_fmac_f64_e32 v[38:39], v[28:29], v[36:37]
	v_pk_mov_b32 v[36:37], v[12:13], v[12:13] op_sel:[0,1]
	v_add_f64 v[34:35], -v[32:33], 1.0
	v_fmac_f64_e32 v[36:37], v[28:29], v[38:39]
	v_pk_mov_b32 v[38:39], v[14:15], v[14:15] op_sel:[0,1]
	v_add_f64 v[30:31], v[34:35], -v[30:31]
	v_fmac_f64_e32 v[38:39], v[28:29], v[36:37]
	v_pk_mov_b32 v[36:37], v[16:17], v[16:17] op_sel:[0,1]
	v_mul_f64 v[34:35], v[28:29], v[28:29]
	v_fmac_f64_e32 v[36:37], v[28:29], v[38:39]
	v_fma_f64 v[30:31], v[46:47], -v[48:49], v[30:31]
	v_fmac_f64_e32 v[30:31], v[34:35], v[36:37]
	v_add_f64 v[30:31], v[32:33], v[30:31]
	v_pk_mov_b32 v[32:33], v[18:19], v[18:19] op_sel:[0,1]
	v_fmac_f64_e32 v[32:33], s[48:49], v[28:29]
	v_pk_mov_b32 v[34:35], v[20:21], v[20:21] op_sel:[0,1]
	v_fmac_f64_e32 v[34:35], v[28:29], v[32:33]
	;; [unrolled: 2-line block ×4, first 2 shown]
	v_mul_f64 v[32:33], v[46:47], -v[28:29]
	v_mul_f64 v[36:37], v[48:49], 0.5
	v_fmac_f64_e32 v[36:37], v[32:33], v[34:35]
	v_fma_f64 v[28:29], v[28:29], v[36:37], -v[48:49]
	v_fmac_f64_e32 v[28:29], s[46:47], v[32:33]
	v_add_f64 v[28:29], v[46:47], -v[28:29]
	v_xor_b32_e32 v3, 0x80000000, v29
	v_and_b32_e32 v29, 1, v61
	v_cmp_eq_u32_e32 vcc, 0, v29
	v_lshlrev_b32_e32 v29, 30, v61
	v_cndmask_b32_e32 v3, v3, v31, vcc
	v_and_b32_e32 v29, 0x80000000, v29
	v_cndmask_b32_e32 v28, v28, v30, vcc
	v_xor_b32_e32 v3, v3, v29
	v_cmp_class_f64_e64 vcc, v[26:27], s59
	v_cndmask_b32_e32 v26, 0, v28, vcc
	v_cndmask_b32_e32 v27, v57, v3, vcc
	v_mov_b32_e32 v3, s55
	v_add_co_u32_e32 v28, vcc, s54, v4
	v_addc_co_u32_e32 v29, vcc, v5, v3, vcc
	global_store_dwordx2 v[28:29], v[26:27], off
	s_branch .LBB220_3
.LBB220_36:
	s_cbranch_execz .LBB220_38
	s_branch .LBB220_57
.LBB220_37:
.LBB220_38:
	v_mov_b32_e32 v8, 0
	v_lshlrev_b32_e32 v2, 2, v0
	v_mov_b32_e32 v3, v8
	s_mov_b32 s33, 0
	v_cmp_gt_i64_e32 vcc, s[12:13], v[2:3]
	s_and_saveexec_b64 s[0:1], vcc
	s_cbranch_execz .LBB220_57
; %bb.39:
	s_load_dword s0, s[4:5], 0xd3c
	v_lshlrev_b32_e32 v1, 5, v0
	s_mov_b32 s4, 0
	s_mov_b32 s6, 0
	;; [unrolled: 1-line block ×3, first 2 shown]
	s_waitcnt lgkmcnt(0)
	s_and_b32 s0, s0, 0xffff
	s_lshl_b32 s56, s0, 2
	s_add_u32 s1, s14, s16
	s_addc_u32 s2, s15, s17
	v_add_lshl_u32 v10, v0, s0, 2
	v_mov_b32_e32 v0, s2
	v_add_co_u32_e32 v1, vcc, s1, v1
	v_addc_co_u32_e32 v0, vcc, 0, v0, vcc
	v_add_co_u32_e32 v12, vcc, 16, v1
	s_mov_b32 s14, 0x54442d18
	s_mov_b32 s20, 0x6dc9c883
	;; [unrolled: 1-line block ×16, first 2 shown]
	v_mov_b32_e32 v11, v8
	v_addc_co_u32_e32 v13, vcc, 0, v0, vcc
	s_lshl_b32 s57, s0, 5
	s_mov_b32 s58, s33
	s_mov_b64 s[2:3], 0
	s_mov_b32 s5, 0x41d00000
	s_mov_b32 s7, 0x7b000000
	s_movk_i32 s59, 0xff80
	s_mov_b32 s9, 0x7ff00000
	s_mov_b32 s11, 0x3ff921fb
	;; [unrolled: 1-line block ×20, first 2 shown]
	s_movk_i32 s60, 0x1f8
	s_mov_b64 s[52:53], 0xffff
	v_mov_b32_e32 v30, 0x40100000
	v_mov_b32_e32 v31, 0x3ff00000
	;; [unrolled: 1-line block ×3, first 2 shown]
	s_branch .LBB220_41
.LBB220_40:                             ;   in Loop: Header=BB220_41 Depth=1
	s_or_b64 exec, exec, s[0:1]
	v_mul_f64 v[38:39], v[22:23], v[22:23]
	v_pk_mov_b32 v[46:47], s[26:27], s[26:27] op_sel:[0,1]
	v_mul_f64 v[40:41], v[38:39], 0.5
	v_fma_f64 v[48:49], s[28:29], v[38:39], v[46:47]
	v_add_f64 v[42:43], -v[40:41], 1.0
	v_fma_f64 v[48:49], v[38:39], v[48:49], s[30:31]
	v_add_f64 v[44:45], -v[42:43], 1.0
	v_fma_f64 v[48:49], v[38:39], v[48:49], s[34:35]
	v_add_f64 v[40:41], v[44:45], -v[40:41]
	v_fma_f64 v[48:49], v[38:39], v[48:49], s[36:37]
	v_mul_f64 v[44:45], v[38:39], v[38:39]
	v_fma_f64 v[48:49], v[38:39], v[48:49], s[38:39]
	v_fma_f64 v[40:41], v[22:23], -v[24:25], v[40:41]
	v_fmac_f64_e32 v[40:41], v[44:45], v[48:49]
	v_add_f64 v[40:41], v[42:43], v[40:41]
	v_pk_mov_b32 v[42:43], s[42:43], s[42:43] op_sel:[0,1]
	v_fma_f64 v[44:45], s[44:45], v[38:39], v[42:43]
	v_fma_f64 v[44:45], v[38:39], v[44:45], s[46:47]
	v_fma_f64 v[44:45], v[38:39], v[44:45], s[48:49]
	v_fma_f64 v[44:45], v[38:39], v[44:45], s[50:51]
	v_mul_f64 v[48:49], v[22:23], -v[38:39]
	v_mul_f64 v[50:51], v[24:25], 0.5
	v_fmac_f64_e32 v[50:51], v[48:49], v[44:45]
	v_fma_f64 v[24:25], v[38:39], v[50:51], -v[24:25]
	v_fmac_f64_e32 v[24:25], s[40:41], v[48:49]
	v_add_f64 v[22:23], v[22:23], -v[24:25]
	v_xor_b32_e32 v9, 0x80000000, v23
	v_and_b32_e32 v23, 1, v35
	v_cmp_eq_u32_e32 vcc, 0, v23
	v_lshlrev_b32_e32 v23, 30, v35
	v_cndmask_b32_e32 v22, v22, v40, vcc
	v_cndmask_b32_e32 v9, v9, v41, vcc
	v_and_b32_e32 v23, 0x80000000, v23
	v_cmp_class_f64_e64 vcc, v[0:1], s60
	v_xor_b32_e32 v9, v9, v23
	v_cndmask_b32_e32 v0, 0, v22, vcc
	v_mul_f64 v[22:23], v[18:19], v[18:19]
	v_mul_f64 v[24:25], v[22:23], 0.5
	v_fma_f64 v[44:45], s[28:29], v[22:23], v[46:47]
	v_add_f64 v[38:39], -v[24:25], 1.0
	v_fma_f64 v[44:45], v[22:23], v[44:45], s[30:31]
	v_add_f64 v[40:41], -v[38:39], 1.0
	v_fma_f64 v[44:45], v[22:23], v[44:45], s[34:35]
	v_add_f64 v[24:25], v[40:41], -v[24:25]
	v_fma_f64 v[44:45], v[22:23], v[44:45], s[36:37]
	v_mul_f64 v[40:41], v[22:23], v[22:23]
	v_fma_f64 v[44:45], v[22:23], v[44:45], s[38:39]
	v_fma_f64 v[24:25], v[18:19], -v[20:21], v[24:25]
	v_fmac_f64_e32 v[24:25], v[40:41], v[44:45]
	v_add_f64 v[24:25], v[38:39], v[24:25]
	v_fma_f64 v[38:39], s[44:45], v[22:23], v[42:43]
	v_fma_f64 v[38:39], v[22:23], v[38:39], s[46:47]
	v_fma_f64 v[38:39], v[22:23], v[38:39], s[48:49]
	v_fma_f64 v[38:39], v[22:23], v[38:39], s[50:51]
	v_mul_f64 v[40:41], v[18:19], -v[22:23]
	v_mul_f64 v[44:45], v[20:21], 0.5
	v_fmac_f64_e32 v[44:45], v[40:41], v[38:39]
	v_fma_f64 v[20:21], v[22:23], v[44:45], -v[20:21]
	v_fmac_f64_e32 v[20:21], s[40:41], v[40:41]
	v_add_f64 v[18:19], v[18:19], -v[20:21]
	v_cndmask_b32_e32 v1, v32, v9, vcc
	v_xor_b32_e32 v9, 0x80000000, v19
	v_and_b32_e32 v19, 1, v34
	v_cmp_eq_u32_e32 vcc, 0, v19
	v_lshlrev_b32_e32 v19, 30, v34
	v_cndmask_b32_e32 v18, v18, v24, vcc
	v_cndmask_b32_e32 v9, v9, v25, vcc
	v_and_b32_e32 v19, 0x80000000, v19
	v_cmp_class_f64_e64 vcc, v[6:7], s60
	v_xor_b32_e32 v9, v9, v19
	v_cndmask_b32_e32 v6, 0, v18, vcc
	v_mul_f64 v[18:19], v[14:15], v[14:15]
	v_mul_f64 v[20:21], v[18:19], 0.5
	v_fma_f64 v[34:35], s[28:29], v[18:19], v[46:47]
	v_add_f64 v[22:23], -v[20:21], 1.0
	v_fma_f64 v[34:35], v[18:19], v[34:35], s[30:31]
	v_add_f64 v[24:25], -v[22:23], 1.0
	v_fma_f64 v[34:35], v[18:19], v[34:35], s[34:35]
	v_add_f64 v[20:21], v[24:25], -v[20:21]
	v_fma_f64 v[34:35], v[18:19], v[34:35], s[36:37]
	v_mul_f64 v[24:25], v[18:19], v[18:19]
	v_fma_f64 v[34:35], v[18:19], v[34:35], s[38:39]
	v_fma_f64 v[20:21], v[14:15], -v[16:17], v[20:21]
	v_fmac_f64_e32 v[20:21], v[24:25], v[34:35]
	v_add_f64 v[20:21], v[22:23], v[20:21]
	v_fma_f64 v[22:23], s[44:45], v[18:19], v[42:43]
	v_fma_f64 v[22:23], v[18:19], v[22:23], s[46:47]
	v_fma_f64 v[22:23], v[18:19], v[22:23], s[48:49]
	v_fma_f64 v[22:23], v[18:19], v[22:23], s[50:51]
	v_mul_f64 v[24:25], v[14:15], -v[18:19]
	v_mul_f64 v[34:35], v[16:17], 0.5
	v_fmac_f64_e32 v[34:35], v[24:25], v[22:23]
	v_fma_f64 v[16:17], v[18:19], v[34:35], -v[16:17]
	v_fmac_f64_e32 v[16:17], s[40:41], v[24:25]
	v_add_f64 v[14:15], v[14:15], -v[16:17]
	v_cndmask_b32_e32 v7, v32, v9, vcc
	;; [unrolled: 35-line block ×3, first 2 shown]
	v_xor_b32_e32 v9, 0x80000000, v15
	v_and_b32_e32 v15, 1, v36
	v_cmp_eq_u32_e32 vcc, 0, v15
	v_lshlrev_b32_e32 v15, 30, v36
	v_cndmask_b32_e32 v9, v9, v17, vcc
	v_and_b32_e32 v15, 0x80000000, v15
	v_cndmask_b32_e32 v14, v14, v16, vcc
	v_xor_b32_e32 v9, v9, v15
	v_cmp_class_f64_e64 vcc, v[2:3], s60
	v_cndmask_b32_e32 v2, 0, v14, vcc
	v_cndmask_b32_e32 v3, v32, v9, vcc
	v_cmp_le_i64_e32 vcc, s[12:13], v[10:11]
	v_cmp_lt_u64_e64 s[0:1], s[52:53], v[10:11]
	global_store_dwordx4 v[12:13], v[4:7], off offset:-16
	global_store_dwordx4 v[12:13], v[0:3], off
	s_or_b64 s[0:1], vcc, s[0:1]
	v_mov_b32_e32 v0, s33
	v_add_co_u32_e32 v10, vcc, s56, v10
	v_addc_co_u32_e32 v11, vcc, v11, v0, vcc
	v_mov_b32_e32 v0, s58
	s_and_b64 s[0:1], exec, s[0:1]
	v_add_co_u32_e32 v12, vcc, s57, v12
	s_or_b64 s[2:3], s[0:1], s[2:3]
	v_addc_co_u32_e32 v13, vcc, v13, v0, vcc
	s_andn2_b64 exec, exec, s[2:3]
	s_cbranch_execz .LBB220_57
.LBB220_41:                             ; =>This Inner Loop Header: Depth=1
	global_load_dwordx4 v[4:7], v[12:13], off offset:-16
	global_load_dwordx4 v[0:3], v[12:13], off
                                        ; implicit-def: $vgpr33
                                        ; implicit-def: $vgpr14_vgpr15
                                        ; implicit-def: $vgpr16_vgpr17
	s_waitcnt vmcnt(1)
	v_cmp_nlt_f64_e64 s[0:1], |v[4:5]|, s[4:5]
	s_and_saveexec_b64 s[54:55], s[0:1]
	s_xor_b64 s[54:55], exec, s[54:55]
	s_cbranch_execz .LBB220_43
; %bb.42:                               ;   in Loop: Header=BB220_41 Depth=1
	v_and_b32_e32 v9, 0x7fffffff, v5
	v_ldexp_f64 v[18:19], |v[4:5]|, s59
	v_cmp_ge_f64_e64 vcc, |v[4:5]|, s[6:7]
	v_trig_preop_f64 v[14:15], |v[4:5]|, 0
	v_cndmask_b32_e32 v19, v9, v19, vcc
	v_cndmask_b32_e32 v18, v4, v18, vcc
	v_trig_preop_f64 v[16:17], |v[4:5]|, 1
	v_mul_f64 v[22:23], v[14:15], v[18:19]
	v_mul_f64 v[20:21], v[16:17], v[18:19]
	v_fma_f64 v[14:15], v[14:15], v[18:19], -v[22:23]
	v_add_f64 v[24:25], v[20:21], v[14:15]
	v_add_f64 v[26:27], v[22:23], v[24:25]
	v_ldexp_f64 v[28:29], v[26:27], -2
	v_fract_f64_e32 v[34:35], v[28:29]
	v_cmp_neq_f64_e64 vcc, |v[28:29]|, s[8:9]
	v_cndmask_b32_e32 v29, 0, v35, vcc
	v_cndmask_b32_e32 v28, 0, v34, vcc
	v_add_f64 v[34:35], v[24:25], -v[20:21]
	v_add_f64 v[14:15], v[14:15], -v[34:35]
	;; [unrolled: 1-line block ×4, first 2 shown]
	v_fma_f64 v[16:17], v[16:17], v[18:19], -v[20:21]
	v_trig_preop_f64 v[20:21], |v[4:5]|, 2
	v_add_f64 v[14:15], v[14:15], v[34:35]
	v_mul_f64 v[34:35], v[20:21], v[18:19]
	v_add_f64 v[36:37], v[34:35], v[16:17]
	v_add_f64 v[38:39], v[36:37], v[14:15]
	v_add_f64 v[22:23], v[26:27], -v[22:23]
	v_add_f64 v[26:27], v[38:39], -v[36:37]
	v_add_f64 v[14:15], v[14:15], -v[26:27]
	v_add_f64 v[26:27], v[38:39], -v[26:27]
	v_add_f64 v[26:27], v[36:37], -v[26:27]
	v_add_f64 v[14:15], v[14:15], v[26:27]
	v_add_f64 v[26:27], v[36:37], -v[34:35]
	v_add_f64 v[16:17], v[16:17], -v[26:27]
	;; [unrolled: 1-line block ×4, first 2 shown]
	v_add_f64 v[16:17], v[16:17], v[26:27]
	v_add_f64 v[22:23], v[24:25], -v[22:23]
	v_add_f64 v[14:15], v[16:17], v[14:15]
	v_fma_f64 v[16:17], v[20:21], v[18:19], -v[34:35]
	v_add_f64 v[24:25], v[22:23], v[38:39]
	v_add_f64 v[14:15], v[16:17], v[14:15]
	v_ldexp_f64 v[16:17], v[28:29], 2
	v_add_f64 v[18:19], v[24:25], v[16:17]
	v_cmp_gt_f64_e32 vcc, 0, v[18:19]
	v_cndmask_b32_e32 v9, 0, v30, vcc
	v_add_f64 v[16:17], v[16:17], v[8:9]
	v_add_f64 v[18:19], v[24:25], v[16:17]
	v_cvt_i32_f64_e32 v9, v[18:19]
	v_cvt_f64_i32_e32 v[18:19], v9
	v_add_f64 v[16:17], v[16:17], -v[18:19]
	v_add_f64 v[22:23], v[24:25], -v[22:23]
	v_add_f64 v[18:19], v[24:25], v[16:17]
	v_add_f64 v[22:23], v[38:39], -v[22:23]
	v_add_f64 v[16:17], v[18:19], -v[16:17]
	v_cmp_le_f64_e32 vcc, 0.5, v[18:19]
	v_add_f64 v[14:15], v[22:23], v[14:15]
	v_add_f64 v[16:17], v[24:25], -v[16:17]
	v_addc_co_u32_e64 v33, s[0:1], 0, v9, vcc
	v_cndmask_b32_e32 v9, 0, v31, vcc
	v_add_f64 v[14:15], v[14:15], v[16:17]
	v_add_f64 v[16:17], v[18:19], -v[8:9]
	v_add_f64 v[18:19], v[16:17], v[14:15]
	v_add_f64 v[16:17], v[18:19], -v[16:17]
	s_mov_b32 s10, s14
	v_add_f64 v[14:15], v[14:15], -v[16:17]
	v_mul_f64 v[16:17], v[18:19], s[10:11]
	v_fma_f64 v[20:21], v[18:19], s[10:11], -v[16:17]
	s_mov_b32 s19, s17
	v_fmac_f64_e32 v[20:21], s[18:19], v[18:19]
	v_fmac_f64_e32 v[20:21], s[10:11], v[14:15]
	v_add_f64 v[14:15], v[16:17], v[20:21]
	v_add_f64 v[16:17], v[14:15], -v[16:17]
	v_add_f64 v[16:17], v[20:21], -v[16:17]
.LBB220_43:                             ;   in Loop: Header=BB220_41 Depth=1
	s_andn2_saveexec_b64 s[0:1], s[54:55]
	s_cbranch_execz .LBB220_45
; %bb.44:                               ;   in Loop: Header=BB220_41 Depth=1
	v_mul_f64 v[14:15], |v[4:5]|, s[20:21]
	v_rndne_f64_e32 v[18:19], v[14:15]
	v_fma_f64 v[14:15], v[18:19], s[14:15], |v[4:5]|
	v_mul_f64 v[20:21], v[18:19], s[22:23]
	v_add_f64 v[24:25], v[14:15], v[20:21]
	v_fma_f64 v[16:17], s[22:23], v[18:19], v[14:15]
	s_mov_b32 s16, s22
	v_add_f64 v[14:15], v[14:15], -v[24:25]
	v_fma_f64 v[22:23], s[16:17], v[18:19], v[20:21]
	v_add_f64 v[14:15], v[14:15], v[20:21]
	v_add_f64 v[20:21], v[24:25], -v[16:17]
	v_add_f64 v[14:15], v[20:21], v[14:15]
	v_add_f64 v[20:21], v[14:15], -v[22:23]
	v_fmac_f64_e32 v[20:21], s[24:25], v[18:19]
	v_add_f64 v[14:15], v[16:17], v[20:21]
	v_add_f64 v[16:17], v[14:15], -v[16:17]
	v_add_f64 v[16:17], v[20:21], -v[16:17]
	v_cvt_i32_f64_e32 v33, v[18:19]
.LBB220_45:                             ;   in Loop: Header=BB220_41 Depth=1
	s_or_b64 exec, exec, s[0:1]
	v_cmp_nlt_f64_e64 s[0:1], |v[6:7]|, s[4:5]
                                        ; implicit-def: $vgpr34
                                        ; implicit-def: $vgpr18_vgpr19
                                        ; implicit-def: $vgpr20_vgpr21
	s_and_saveexec_b64 s[54:55], s[0:1]
	s_xor_b64 s[54:55], exec, s[54:55]
	s_cbranch_execz .LBB220_47
; %bb.46:                               ;   in Loop: Header=BB220_41 Depth=1
	v_and_b32_e32 v9, 0x7fffffff, v7
	v_ldexp_f64 v[22:23], |v[6:7]|, s59
	v_cmp_ge_f64_e64 vcc, |v[6:7]|, s[6:7]
	v_trig_preop_f64 v[18:19], |v[6:7]|, 0
	v_cndmask_b32_e32 v23, v9, v23, vcc
	v_cndmask_b32_e32 v22, v6, v22, vcc
	v_trig_preop_f64 v[20:21], |v[6:7]|, 1
	v_mul_f64 v[26:27], v[18:19], v[22:23]
	v_mul_f64 v[24:25], v[20:21], v[22:23]
	v_fma_f64 v[18:19], v[18:19], v[22:23], -v[26:27]
	v_add_f64 v[28:29], v[24:25], v[18:19]
	v_add_f64 v[34:35], v[26:27], v[28:29]
	v_ldexp_f64 v[36:37], v[34:35], -2
	v_fract_f64_e32 v[38:39], v[36:37]
	v_cmp_neq_f64_e64 vcc, |v[36:37]|, s[8:9]
	v_cndmask_b32_e32 v37, 0, v39, vcc
	v_cndmask_b32_e32 v36, 0, v38, vcc
	v_add_f64 v[38:39], v[28:29], -v[24:25]
	v_add_f64 v[18:19], v[18:19], -v[38:39]
	;; [unrolled: 1-line block ×4, first 2 shown]
	v_fma_f64 v[20:21], v[20:21], v[22:23], -v[24:25]
	v_trig_preop_f64 v[24:25], |v[6:7]|, 2
	v_add_f64 v[18:19], v[18:19], v[38:39]
	v_mul_f64 v[38:39], v[24:25], v[22:23]
	v_add_f64 v[40:41], v[38:39], v[20:21]
	v_add_f64 v[42:43], v[40:41], v[18:19]
	v_add_f64 v[26:27], v[34:35], -v[26:27]
	v_add_f64 v[34:35], v[42:43], -v[40:41]
	;; [unrolled: 1-line block ×5, first 2 shown]
	v_add_f64 v[18:19], v[18:19], v[34:35]
	v_add_f64 v[34:35], v[40:41], -v[38:39]
	v_add_f64 v[20:21], v[20:21], -v[34:35]
	;; [unrolled: 1-line block ×4, first 2 shown]
	v_add_f64 v[20:21], v[20:21], v[34:35]
	v_add_f64 v[26:27], v[28:29], -v[26:27]
	v_add_f64 v[18:19], v[20:21], v[18:19]
	v_fma_f64 v[20:21], v[24:25], v[22:23], -v[38:39]
	v_add_f64 v[28:29], v[26:27], v[42:43]
	v_add_f64 v[18:19], v[20:21], v[18:19]
	v_ldexp_f64 v[20:21], v[36:37], 2
	v_add_f64 v[22:23], v[28:29], v[20:21]
	v_cmp_gt_f64_e32 vcc, 0, v[22:23]
	v_cndmask_b32_e32 v9, 0, v30, vcc
	v_add_f64 v[20:21], v[20:21], v[8:9]
	v_add_f64 v[22:23], v[28:29], v[20:21]
	v_cvt_i32_f64_e32 v9, v[22:23]
	v_cvt_f64_i32_e32 v[22:23], v9
	v_add_f64 v[20:21], v[20:21], -v[22:23]
	v_add_f64 v[26:27], v[28:29], -v[26:27]
	v_add_f64 v[22:23], v[28:29], v[20:21]
	v_add_f64 v[26:27], v[42:43], -v[26:27]
	v_add_f64 v[20:21], v[22:23], -v[20:21]
	v_cmp_le_f64_e32 vcc, 0.5, v[22:23]
	v_add_f64 v[18:19], v[26:27], v[18:19]
	v_add_f64 v[20:21], v[28:29], -v[20:21]
	v_addc_co_u32_e64 v34, s[0:1], 0, v9, vcc
	v_cndmask_b32_e32 v9, 0, v31, vcc
	v_add_f64 v[18:19], v[18:19], v[20:21]
	v_add_f64 v[20:21], v[22:23], -v[8:9]
	v_add_f64 v[22:23], v[20:21], v[18:19]
	v_add_f64 v[20:21], v[22:23], -v[20:21]
	s_mov_b32 s10, s14
	v_add_f64 v[18:19], v[18:19], -v[20:21]
	v_mul_f64 v[20:21], v[22:23], s[10:11]
	v_fma_f64 v[24:25], v[22:23], s[10:11], -v[20:21]
	s_mov_b32 s19, s17
	v_fmac_f64_e32 v[24:25], s[18:19], v[22:23]
	v_fmac_f64_e32 v[24:25], s[10:11], v[18:19]
	v_add_f64 v[18:19], v[20:21], v[24:25]
	v_add_f64 v[20:21], v[18:19], -v[20:21]
	v_add_f64 v[20:21], v[24:25], -v[20:21]
.LBB220_47:                             ;   in Loop: Header=BB220_41 Depth=1
	s_andn2_saveexec_b64 s[0:1], s[54:55]
	s_cbranch_execz .LBB220_49
; %bb.48:                               ;   in Loop: Header=BB220_41 Depth=1
	v_mul_f64 v[18:19], |v[6:7]|, s[20:21]
	v_rndne_f64_e32 v[22:23], v[18:19]
	v_fma_f64 v[18:19], v[22:23], s[14:15], |v[6:7]|
	v_mul_f64 v[24:25], v[22:23], s[22:23]
	v_add_f64 v[28:29], v[18:19], v[24:25]
	v_fma_f64 v[20:21], s[22:23], v[22:23], v[18:19]
	s_mov_b32 s16, s22
	v_add_f64 v[18:19], v[18:19], -v[28:29]
	v_fma_f64 v[26:27], s[16:17], v[22:23], v[24:25]
	v_add_f64 v[18:19], v[18:19], v[24:25]
	v_add_f64 v[24:25], v[28:29], -v[20:21]
	v_add_f64 v[18:19], v[24:25], v[18:19]
	v_add_f64 v[24:25], v[18:19], -v[26:27]
	v_fmac_f64_e32 v[24:25], s[24:25], v[22:23]
	v_add_f64 v[18:19], v[20:21], v[24:25]
	v_add_f64 v[20:21], v[18:19], -v[20:21]
	v_add_f64 v[20:21], v[24:25], -v[20:21]
	v_cvt_i32_f64_e32 v34, v[22:23]
.LBB220_49:                             ;   in Loop: Header=BB220_41 Depth=1
	s_or_b64 exec, exec, s[0:1]
	s_waitcnt vmcnt(0)
	v_cmp_nlt_f64_e64 s[0:1], |v[0:1]|, s[4:5]
                                        ; implicit-def: $vgpr35
                                        ; implicit-def: $vgpr22_vgpr23
                                        ; implicit-def: $vgpr24_vgpr25
	s_and_saveexec_b64 s[54:55], s[0:1]
	s_xor_b64 s[54:55], exec, s[54:55]
	s_cbranch_execz .LBB220_51
; %bb.50:                               ;   in Loop: Header=BB220_41 Depth=1
	v_and_b32_e32 v9, 0x7fffffff, v1
	v_ldexp_f64 v[26:27], |v[0:1]|, s59
	v_cmp_ge_f64_e64 vcc, |v[0:1]|, s[6:7]
	v_trig_preop_f64 v[22:23], |v[0:1]|, 0
	v_cndmask_b32_e32 v27, v9, v27, vcc
	v_cndmask_b32_e32 v26, v0, v26, vcc
	v_trig_preop_f64 v[24:25], |v[0:1]|, 1
	v_mul_f64 v[36:37], v[22:23], v[26:27]
	v_mul_f64 v[28:29], v[24:25], v[26:27]
	v_fma_f64 v[22:23], v[22:23], v[26:27], -v[36:37]
	v_add_f64 v[38:39], v[28:29], v[22:23]
	v_add_f64 v[40:41], v[36:37], v[38:39]
	v_ldexp_f64 v[42:43], v[40:41], -2
	v_fract_f64_e32 v[44:45], v[42:43]
	v_cmp_neq_f64_e64 vcc, |v[42:43]|, s[8:9]
	v_cndmask_b32_e32 v43, 0, v45, vcc
	v_cndmask_b32_e32 v42, 0, v44, vcc
	v_add_f64 v[44:45], v[38:39], -v[28:29]
	v_add_f64 v[22:23], v[22:23], -v[44:45]
	v_add_f64 v[44:45], v[38:39], -v[44:45]
	v_add_f64 v[44:45], v[28:29], -v[44:45]
	v_fma_f64 v[24:25], v[24:25], v[26:27], -v[28:29]
	v_trig_preop_f64 v[28:29], |v[0:1]|, 2
	v_add_f64 v[22:23], v[22:23], v[44:45]
	v_mul_f64 v[44:45], v[28:29], v[26:27]
	v_add_f64 v[46:47], v[44:45], v[24:25]
	v_add_f64 v[48:49], v[46:47], v[22:23]
	v_add_f64 v[36:37], v[40:41], -v[36:37]
	v_add_f64 v[40:41], v[48:49], -v[46:47]
	;; [unrolled: 1-line block ×5, first 2 shown]
	v_add_f64 v[22:23], v[22:23], v[40:41]
	v_add_f64 v[40:41], v[46:47], -v[44:45]
	v_add_f64 v[24:25], v[24:25], -v[40:41]
	;; [unrolled: 1-line block ×4, first 2 shown]
	v_add_f64 v[24:25], v[24:25], v[40:41]
	v_add_f64 v[36:37], v[38:39], -v[36:37]
	v_add_f64 v[22:23], v[24:25], v[22:23]
	v_fma_f64 v[24:25], v[28:29], v[26:27], -v[44:45]
	v_add_f64 v[38:39], v[36:37], v[48:49]
	v_add_f64 v[22:23], v[24:25], v[22:23]
	v_ldexp_f64 v[24:25], v[42:43], 2
	v_add_f64 v[26:27], v[38:39], v[24:25]
	v_cmp_gt_f64_e32 vcc, 0, v[26:27]
	v_cndmask_b32_e32 v9, 0, v30, vcc
	v_add_f64 v[24:25], v[24:25], v[8:9]
	v_add_f64 v[26:27], v[38:39], v[24:25]
	v_cvt_i32_f64_e32 v9, v[26:27]
	v_cvt_f64_i32_e32 v[26:27], v9
	v_add_f64 v[24:25], v[24:25], -v[26:27]
	v_add_f64 v[36:37], v[38:39], -v[36:37]
	v_add_f64 v[26:27], v[38:39], v[24:25]
	v_add_f64 v[36:37], v[48:49], -v[36:37]
	v_add_f64 v[24:25], v[26:27], -v[24:25]
	v_cmp_le_f64_e32 vcc, 0.5, v[26:27]
	v_add_f64 v[22:23], v[36:37], v[22:23]
	v_add_f64 v[24:25], v[38:39], -v[24:25]
	v_addc_co_u32_e64 v35, s[0:1], 0, v9, vcc
	v_cndmask_b32_e32 v9, 0, v31, vcc
	v_add_f64 v[22:23], v[22:23], v[24:25]
	v_add_f64 v[24:25], v[26:27], -v[8:9]
	v_add_f64 v[26:27], v[24:25], v[22:23]
	v_add_f64 v[24:25], v[26:27], -v[24:25]
	s_mov_b32 s10, s14
	v_add_f64 v[22:23], v[22:23], -v[24:25]
	v_mul_f64 v[24:25], v[26:27], s[10:11]
	v_fma_f64 v[28:29], v[26:27], s[10:11], -v[24:25]
	s_mov_b32 s19, s17
	v_fmac_f64_e32 v[28:29], s[18:19], v[26:27]
	v_fmac_f64_e32 v[28:29], s[10:11], v[22:23]
	v_add_f64 v[22:23], v[24:25], v[28:29]
	v_add_f64 v[24:25], v[22:23], -v[24:25]
	v_add_f64 v[24:25], v[28:29], -v[24:25]
.LBB220_51:                             ;   in Loop: Header=BB220_41 Depth=1
	s_andn2_saveexec_b64 s[0:1], s[54:55]
	s_cbranch_execz .LBB220_53
; %bb.52:                               ;   in Loop: Header=BB220_41 Depth=1
	v_mul_f64 v[22:23], |v[0:1]|, s[20:21]
	v_rndne_f64_e32 v[26:27], v[22:23]
	v_fma_f64 v[22:23], v[26:27], s[14:15], |v[0:1]|
	v_mul_f64 v[28:29], v[26:27], s[22:23]
	v_add_f64 v[38:39], v[22:23], v[28:29]
	v_fma_f64 v[24:25], s[22:23], v[26:27], v[22:23]
	s_mov_b32 s16, s22
	v_add_f64 v[22:23], v[22:23], -v[38:39]
	v_fma_f64 v[36:37], s[16:17], v[26:27], v[28:29]
	v_add_f64 v[22:23], v[22:23], v[28:29]
	v_add_f64 v[28:29], v[38:39], -v[24:25]
	v_add_f64 v[22:23], v[28:29], v[22:23]
	v_add_f64 v[28:29], v[22:23], -v[36:37]
	v_fmac_f64_e32 v[28:29], s[24:25], v[26:27]
	v_add_f64 v[22:23], v[24:25], v[28:29]
	v_add_f64 v[24:25], v[22:23], -v[24:25]
	v_add_f64 v[24:25], v[28:29], -v[24:25]
	v_cvt_i32_f64_e32 v35, v[26:27]
.LBB220_53:                             ;   in Loop: Header=BB220_41 Depth=1
	s_or_b64 exec, exec, s[0:1]
	v_cmp_nlt_f64_e64 s[0:1], |v[2:3]|, s[4:5]
                                        ; implicit-def: $vgpr36
                                        ; implicit-def: $vgpr26_vgpr27
                                        ; implicit-def: $vgpr28_vgpr29
	s_and_saveexec_b64 s[54:55], s[0:1]
	s_xor_b64 s[54:55], exec, s[54:55]
	s_cbranch_execz .LBB220_55
; %bb.54:                               ;   in Loop: Header=BB220_41 Depth=1
	v_and_b32_e32 v9, 0x7fffffff, v3
	v_ldexp_f64 v[36:37], |v[2:3]|, s59
	v_cmp_ge_f64_e64 vcc, |v[2:3]|, s[6:7]
	v_trig_preop_f64 v[26:27], |v[2:3]|, 0
	v_cndmask_b32_e32 v37, v9, v37, vcc
	v_cndmask_b32_e32 v36, v2, v36, vcc
	v_trig_preop_f64 v[28:29], |v[2:3]|, 1
	v_mul_f64 v[40:41], v[26:27], v[36:37]
	v_mul_f64 v[38:39], v[28:29], v[36:37]
	v_fma_f64 v[26:27], v[26:27], v[36:37], -v[40:41]
	v_add_f64 v[42:43], v[38:39], v[26:27]
	v_add_f64 v[44:45], v[40:41], v[42:43]
	v_ldexp_f64 v[46:47], v[44:45], -2
	v_fract_f64_e32 v[48:49], v[46:47]
	v_cmp_neq_f64_e64 vcc, |v[46:47]|, s[8:9]
	v_cndmask_b32_e32 v47, 0, v49, vcc
	v_cndmask_b32_e32 v46, 0, v48, vcc
	v_add_f64 v[48:49], v[42:43], -v[38:39]
	v_add_f64 v[26:27], v[26:27], -v[48:49]
	;; [unrolled: 1-line block ×4, first 2 shown]
	v_fma_f64 v[28:29], v[28:29], v[36:37], -v[38:39]
	v_trig_preop_f64 v[38:39], |v[2:3]|, 2
	v_add_f64 v[26:27], v[26:27], v[48:49]
	v_mul_f64 v[48:49], v[38:39], v[36:37]
	v_add_f64 v[50:51], v[48:49], v[28:29]
	v_add_f64 v[52:53], v[50:51], v[26:27]
	v_add_f64 v[40:41], v[44:45], -v[40:41]
	v_add_f64 v[44:45], v[52:53], -v[50:51]
	;; [unrolled: 1-line block ×5, first 2 shown]
	v_add_f64 v[26:27], v[26:27], v[44:45]
	v_add_f64 v[44:45], v[50:51], -v[48:49]
	v_add_f64 v[28:29], v[28:29], -v[44:45]
	;; [unrolled: 1-line block ×4, first 2 shown]
	v_add_f64 v[28:29], v[28:29], v[44:45]
	v_add_f64 v[40:41], v[42:43], -v[40:41]
	v_add_f64 v[26:27], v[28:29], v[26:27]
	v_fma_f64 v[28:29], v[38:39], v[36:37], -v[48:49]
	v_add_f64 v[42:43], v[40:41], v[52:53]
	v_add_f64 v[26:27], v[28:29], v[26:27]
	v_ldexp_f64 v[28:29], v[46:47], 2
	v_add_f64 v[36:37], v[42:43], v[28:29]
	v_cmp_gt_f64_e32 vcc, 0, v[36:37]
	v_cndmask_b32_e32 v9, 0, v30, vcc
	v_add_f64 v[28:29], v[28:29], v[8:9]
	v_add_f64 v[36:37], v[42:43], v[28:29]
	v_cvt_i32_f64_e32 v9, v[36:37]
	v_cvt_f64_i32_e32 v[36:37], v9
	v_add_f64 v[28:29], v[28:29], -v[36:37]
	v_add_f64 v[40:41], v[42:43], -v[40:41]
	v_add_f64 v[38:39], v[42:43], v[28:29]
	v_add_f64 v[40:41], v[52:53], -v[40:41]
	v_add_f64 v[28:29], v[38:39], -v[28:29]
	v_cmp_le_f64_e32 vcc, 0.5, v[38:39]
	v_add_f64 v[26:27], v[40:41], v[26:27]
	v_add_f64 v[28:29], v[42:43], -v[28:29]
	v_addc_co_u32_e64 v36, s[0:1], 0, v9, vcc
	v_cndmask_b32_e32 v9, 0, v31, vcc
	v_add_f64 v[26:27], v[26:27], v[28:29]
	v_add_f64 v[28:29], v[38:39], -v[8:9]
	v_add_f64 v[38:39], v[28:29], v[26:27]
	v_add_f64 v[28:29], v[38:39], -v[28:29]
	s_mov_b32 s10, s14
	v_add_f64 v[26:27], v[26:27], -v[28:29]
	v_mul_f64 v[28:29], v[38:39], s[10:11]
	v_fma_f64 v[40:41], v[38:39], s[10:11], -v[28:29]
	s_mov_b32 s19, s17
	v_fmac_f64_e32 v[40:41], s[18:19], v[38:39]
	v_fmac_f64_e32 v[40:41], s[10:11], v[26:27]
	v_add_f64 v[26:27], v[28:29], v[40:41]
	v_add_f64 v[28:29], v[26:27], -v[28:29]
	v_add_f64 v[28:29], v[40:41], -v[28:29]
.LBB220_55:                             ;   in Loop: Header=BB220_41 Depth=1
	s_andn2_saveexec_b64 s[0:1], s[54:55]
	s_cbranch_execz .LBB220_40
; %bb.56:                               ;   in Loop: Header=BB220_41 Depth=1
	v_mul_f64 v[26:27], |v[2:3]|, s[20:21]
	v_rndne_f64_e32 v[36:37], v[26:27]
	v_fma_f64 v[26:27], v[36:37], s[14:15], |v[2:3]|
	v_mul_f64 v[38:39], v[36:37], s[22:23]
	v_add_f64 v[42:43], v[26:27], v[38:39]
	v_fma_f64 v[28:29], s[22:23], v[36:37], v[26:27]
	s_mov_b32 s16, s22
	v_add_f64 v[26:27], v[26:27], -v[42:43]
	v_fma_f64 v[40:41], s[16:17], v[36:37], v[38:39]
	v_add_f64 v[26:27], v[26:27], v[38:39]
	v_add_f64 v[38:39], v[42:43], -v[28:29]
	v_add_f64 v[26:27], v[38:39], v[26:27]
	v_add_f64 v[38:39], v[26:27], -v[40:41]
	v_fmac_f64_e32 v[38:39], s[24:25], v[36:37]
	v_add_f64 v[26:27], v[28:29], v[38:39]
	v_add_f64 v[28:29], v[26:27], -v[28:29]
	v_add_f64 v[28:29], v[38:39], -v[28:29]
	v_cvt_i32_f64_e32 v36, v[36:37]
	s_branch .LBB220_40
.LBB220_57:
	s_endpgm
	.section	.rodata,"a",@progbits
	.p2align	6, 0x0
	.amdhsa_kernel _ZN2at6native12_GLOBAL__N_125multi_tensor_apply_kernelINS1_18TensorListMetadataILi1EEENS1_14UnaryOpFunctorIdLi1ELi1ELi0EEEJNS0_3CosIdEEEEEvT_T0_DpT1_
		.amdhsa_group_segment_fixed_size 0
		.amdhsa_private_segment_fixed_size 0
		.amdhsa_kernarg_size 3632
		.amdhsa_user_sgpr_count 6
		.amdhsa_user_sgpr_private_segment_buffer 1
		.amdhsa_user_sgpr_dispatch_ptr 0
		.amdhsa_user_sgpr_queue_ptr 0
		.amdhsa_user_sgpr_kernarg_segment_ptr 1
		.amdhsa_user_sgpr_dispatch_id 0
		.amdhsa_user_sgpr_flat_scratch_init 0
		.amdhsa_user_sgpr_kernarg_preload_length 0
		.amdhsa_user_sgpr_kernarg_preload_offset 0
		.amdhsa_user_sgpr_private_segment_size 0
		.amdhsa_uses_dynamic_stack 0
		.amdhsa_system_sgpr_private_segment_wavefront_offset 0
		.amdhsa_system_sgpr_workgroup_id_x 1
		.amdhsa_system_sgpr_workgroup_id_y 0
		.amdhsa_system_sgpr_workgroup_id_z 0
		.amdhsa_system_sgpr_workgroup_info 0
		.amdhsa_system_vgpr_workitem_id 0
		.amdhsa_next_free_vgpr 80
		.amdhsa_next_free_sgpr 61
		.amdhsa_accum_offset 80
		.amdhsa_reserve_vcc 1
		.amdhsa_reserve_flat_scratch 0
		.amdhsa_float_round_mode_32 0
		.amdhsa_float_round_mode_16_64 0
		.amdhsa_float_denorm_mode_32 3
		.amdhsa_float_denorm_mode_16_64 3
		.amdhsa_dx10_clamp 1
		.amdhsa_ieee_mode 1
		.amdhsa_fp16_overflow 0
		.amdhsa_tg_split 0
		.amdhsa_exception_fp_ieee_invalid_op 0
		.amdhsa_exception_fp_denorm_src 0
		.amdhsa_exception_fp_ieee_div_zero 0
		.amdhsa_exception_fp_ieee_overflow 0
		.amdhsa_exception_fp_ieee_underflow 0
		.amdhsa_exception_fp_ieee_inexact 0
		.amdhsa_exception_int_div_zero 0
	.end_amdhsa_kernel
	.section	.text._ZN2at6native12_GLOBAL__N_125multi_tensor_apply_kernelINS1_18TensorListMetadataILi1EEENS1_14UnaryOpFunctorIdLi1ELi1ELi0EEEJNS0_3CosIdEEEEEvT_T0_DpT1_,"axG",@progbits,_ZN2at6native12_GLOBAL__N_125multi_tensor_apply_kernelINS1_18TensorListMetadataILi1EEENS1_14UnaryOpFunctorIdLi1ELi1ELi0EEEJNS0_3CosIdEEEEEvT_T0_DpT1_,comdat
.Lfunc_end220:
	.size	_ZN2at6native12_GLOBAL__N_125multi_tensor_apply_kernelINS1_18TensorListMetadataILi1EEENS1_14UnaryOpFunctorIdLi1ELi1ELi0EEEJNS0_3CosIdEEEEEvT_T0_DpT1_, .Lfunc_end220-_ZN2at6native12_GLOBAL__N_125multi_tensor_apply_kernelINS1_18TensorListMetadataILi1EEENS1_14UnaryOpFunctorIdLi1ELi1ELi0EEEJNS0_3CosIdEEEEEvT_T0_DpT1_
                                        ; -- End function
	.section	.AMDGPU.csdata,"",@progbits
; Kernel info:
; codeLenInByte = 9560
; NumSgprs: 65
; NumVgprs: 80
; NumAgprs: 0
; TotalNumVgprs: 80
; ScratchSize: 0
; MemoryBound: 1
; FloatMode: 240
; IeeeMode: 1
; LDSByteSize: 0 bytes/workgroup (compile time only)
; SGPRBlocks: 8
; VGPRBlocks: 9
; NumSGPRsForWavesPerEU: 65
; NumVGPRsForWavesPerEU: 80
; AccumOffset: 80
; Occupancy: 6
; WaveLimiterHint : 0
; COMPUTE_PGM_RSRC2:SCRATCH_EN: 0
; COMPUTE_PGM_RSRC2:USER_SGPR: 6
; COMPUTE_PGM_RSRC2:TRAP_HANDLER: 0
; COMPUTE_PGM_RSRC2:TGID_X_EN: 1
; COMPUTE_PGM_RSRC2:TGID_Y_EN: 0
; COMPUTE_PGM_RSRC2:TGID_Z_EN: 0
; COMPUTE_PGM_RSRC2:TIDIG_COMP_CNT: 0
; COMPUTE_PGM_RSRC3_GFX90A:ACCUM_OFFSET: 19
; COMPUTE_PGM_RSRC3_GFX90A:TG_SPLIT: 0
	.section	.text._ZN2at6native12_GLOBAL__N_125multi_tensor_apply_kernelINS1_18TensorListMetadataILi1EEENS1_14UnaryOpFunctorIfLi1ELi1ELi0EEEJNS0_3CosIfEEEEEvT_T0_DpT1_,"axG",@progbits,_ZN2at6native12_GLOBAL__N_125multi_tensor_apply_kernelINS1_18TensorListMetadataILi1EEENS1_14UnaryOpFunctorIfLi1ELi1ELi0EEEJNS0_3CosIfEEEEEvT_T0_DpT1_,comdat
	.globl	_ZN2at6native12_GLOBAL__N_125multi_tensor_apply_kernelINS1_18TensorListMetadataILi1EEENS1_14UnaryOpFunctorIfLi1ELi1ELi0EEEJNS0_3CosIfEEEEEvT_T0_DpT1_ ; -- Begin function _ZN2at6native12_GLOBAL__N_125multi_tensor_apply_kernelINS1_18TensorListMetadataILi1EEENS1_14UnaryOpFunctorIfLi1ELi1ELi0EEEJNS0_3CosIfEEEEEvT_T0_DpT1_
	.p2align	8
	.type	_ZN2at6native12_GLOBAL__N_125multi_tensor_apply_kernelINS1_18TensorListMetadataILi1EEENS1_14UnaryOpFunctorIfLi1ELi1ELi0EEEJNS0_3CosIfEEEEEvT_T0_DpT1_,@function
_ZN2at6native12_GLOBAL__N_125multi_tensor_apply_kernelINS1_18TensorListMetadataILi1EEENS1_14UnaryOpFunctorIfLi1ELi1ELi0EEEJNS0_3CosIfEEEEEvT_T0_DpT1_: ; @_ZN2at6native12_GLOBAL__N_125multi_tensor_apply_kernelINS1_18TensorListMetadataILi1EEENS1_14UnaryOpFunctorIfLi1ELi1ELi0EEEJNS0_3CosIfEEEEEvT_T0_DpT1_
; %bb.0:
	v_mov_b32_e32 v1, s6
	global_load_ubyte v1, v1, s[4:5] offset:1760
	s_add_u32 s0, s4, s6
	s_mul_hi_u32 s1, s6, 3
	s_mul_i32 s6, s6, 3
	s_addc_u32 s2, s5, 0
	s_add_u32 s0, s0, s6
	s_addc_u32 s1, s2, s1
	s_load_dword s0, s[0:1], 0x820
	s_mov_b32 s7, 0
	s_waitcnt vmcnt(0)
	v_readfirstlane_b32 s2, v1
	s_lshl_b32 s1, s2, 3
	s_load_dwordx2 s[2:3], s[4:5], s1 offset:0x370
	s_load_dwordx2 s[18:19], s[4:5], s1 offset:0x0
	s_waitcnt lgkmcnt(0)
	s_ashr_i32 s1, s0, 31
	s_lshl_b64 s[20:21], s[0:1], 18
	s_lshl_b64 s[0:1], s[0:1], 16
	s_and_b32 s6, s18, 15
	s_sub_u32 s16, s2, s0
	s_subb_u32 s17, s3, s1
	s_and_b32 s0, s2, 3
	s_mov_b32 s1, s7
	s_or_b64 s[0:1], s[6:7], s[0:1]
	s_cmp_eq_u64 s[0:1], 0
	s_cbranch_scc1 .LBB221_37
; %bb.1:
	v_cmp_lt_i64_e64 s[0:1], s[16:17], 1
	s_and_b64 vcc, exec, s[0:1]
	s_cbranch_vccnz .LBB221_36
; %bb.2:
	s_load_dword s0, s[4:5], 0xd3c
	v_mov_b32_e32 v4, 0x10000
	v_mov_b32_e32 v5, 0
	v_cmp_lt_u64_e32 vcc, s[16:17], v[4:5]
	v_lshlrev_b32_e32 v1, 2, v0
	s_waitcnt lgkmcnt(0)
	s_and_b32 s2, s0, 0xffff
	s_and_b64 s[0:1], vcc, exec
	s_cselect_b32 s23, s17, 0
	s_cselect_b32 s22, s16, 0x10000
	s_lshl_b32 s3, s2, 1
	s_lshl_b32 s29, s2, 2
	s_add_u32 s6, s18, s20
	s_addc_u32 s7, s19, s21
	v_mov_b32_e32 v2, s7
	v_add_co_u32_e32 v4, vcc, s6, v1
	s_mul_i32 s0, s2, 3
	v_addc_co_u32_e32 v5, vcc, 0, v2, vcc
	v_add_co_u32_e32 v1, vcc, s0, v0
	v_addc_co_u32_e64 v8, s[0:1], 0, 0, vcc
	v_add_co_u32_e32 v9, vcc, s3, v0
	v_addc_co_u32_e64 v10, s[0:1], 0, 0, vcc
	v_add_co_u32_e32 v11, vcc, s2, v0
	v_lshlrev_b32_e32 v2, 2, v11
	s_mov_b32 s28, 0
	v_addc_co_u32_e64 v12, s[0:1], 0, 0, vcc
	v_mov_b32_e32 v7, s7
	v_add_co_u32_e32 v6, vcc, s6, v2
	v_mov_b32_e32 v3, 0
	s_lshl_b32 s30, s2, 4
	s_mul_i32 s31, s2, 12
	s_mov_b32 s33, s28
	s_lshl_b32 s34, s2, 3
	s_mov_b32 s35, s28
	v_addc_co_u32_e32 v7, vcc, 0, v7, vcc
	s_mov_b64 s[24:25], 0
	s_brev_b32 s36, 18
	s_mov_b32 s37, 0xfe5163ab
	s_mov_b32 s38, 0x3c439041
	;; [unrolled: 1-line block ×10, first 2 shown]
	v_mov_b32_e32 v13, 0xbe2aaa9d
	v_mov_b32_e32 v14, 0x3d2aabf7
	;; [unrolled: 1-line block ×3, first 2 shown]
	s_movk_i32 s47, 0x1f8
	v_not_b32_e32 v16, 63
	v_not_b32_e32 v17, 31
	v_mov_b32_e32 v18, 0x7fc00000
	s_branch .LBB221_4
.LBB221_3:                              ;   in Loop: Header=BB221_4 Depth=1
	s_or_b64 exec, exec, s[0:1]
	s_add_u32 s24, s24, s29
	s_addc_u32 s25, s25, 0
	v_pk_mov_b32 v[20:21], s[16:17], s[16:17] op_sel:[0,1]
	v_cmp_ge_i64_e32 vcc, s[24:25], v[20:21]
	v_mov_b32_e32 v20, 0xffff
	v_mov_b32_e32 v21, 0
	v_cmp_gt_u64_e64 s[0:1], s[24:25], v[20:21]
	s_or_b64 s[0:1], vcc, s[0:1]
	v_mov_b32_e32 v2, s28
	v_add_co_u32_e32 v4, vcc, s30, v4
	v_addc_co_u32_e32 v5, vcc, v5, v2, vcc
	v_add_co_u32_e32 v6, vcc, s30, v6
	v_addc_co_u32_e32 v7, vcc, v7, v2, vcc
	s_and_b64 vcc, exec, s[0:1]
	s_cbranch_vccnz .LBB221_36
.LBB221_4:                              ; =>This Inner Loop Header: Depth=1
	v_mov_b32_e32 v2, s25
	v_add_co_u32_e32 v20, vcc, s24, v0
	v_addc_co_u32_e32 v21, vcc, 0, v2, vcc
	v_cmp_gt_u64_e64 s[6:7], s[22:23], v[20:21]
	v_mov_b32_e32 v22, 0
	s_and_saveexec_b64 s[0:1], s[6:7]
	s_cbranch_execz .LBB221_6
; %bb.5:                                ;   in Loop: Header=BB221_4 Depth=1
	global_load_dword v22, v[4:5], off
.LBB221_6:                              ;   in Loop: Header=BB221_4 Depth=1
	s_or_b64 exec, exec, s[0:1]
	v_mov_b32_e32 v2, s25
	v_add_co_u32_e32 v20, vcc, s24, v11
	v_addc_co_u32_e32 v21, vcc, v12, v2, vcc
	v_cmp_gt_u64_e64 s[2:3], s[22:23], v[20:21]
	v_mov_b32_e32 v21, 0
	s_and_saveexec_b64 s[0:1], s[2:3]
	s_cbranch_execz .LBB221_8
; %bb.7:                                ;   in Loop: Header=BB221_4 Depth=1
	global_load_dword v21, v[6:7], off
.LBB221_8:                              ;   in Loop: Header=BB221_4 Depth=1
	s_or_b64 exec, exec, s[0:1]
	v_mov_b32_e32 v2, s25
	v_add_co_u32_e32 v24, vcc, s24, v9
	v_addc_co_u32_e32 v25, vcc, v10, v2, vcc
	v_cmp_gt_u64_e64 s[0:1], s[22:23], v[24:25]
	v_mov_b32_e32 v19, 0
	v_mov_b32_e32 v20, 0
	s_and_saveexec_b64 s[8:9], s[0:1]
	s_cbranch_execz .LBB221_10
; %bb.9:                                ;   in Loop: Header=BB221_4 Depth=1
	v_mov_b32_e32 v2, s35
	v_add_co_u32_e32 v24, vcc, s34, v4
	v_addc_co_u32_e32 v25, vcc, v5, v2, vcc
	global_load_dword v20, v[24:25], off
.LBB221_10:                             ;   in Loop: Header=BB221_4 Depth=1
	s_or_b64 exec, exec, s[8:9]
	v_mov_b32_e32 v2, s25
	v_add_co_u32_e32 v24, vcc, s24, v1
	v_addc_co_u32_e32 v25, vcc, v8, v2, vcc
	v_cmp_gt_u64_e32 vcc, s[22:23], v[24:25]
	s_and_saveexec_b64 s[10:11], vcc
	s_cbranch_execz .LBB221_12
; %bb.11:                               ;   in Loop: Header=BB221_4 Depth=1
	v_mov_b32_e32 v2, s33
	v_add_co_u32_e64 v24, s[8:9], s31, v4
	v_addc_co_u32_e64 v25, s[8:9], v5, v2, s[8:9]
	global_load_dword v19, v[24:25], off
.LBB221_12:                             ;   in Loop: Header=BB221_4 Depth=1
	s_or_b64 exec, exec, s[10:11]
	s_waitcnt vmcnt(0)
	v_cmp_nlt_f32_e64 s[8:9], |v22|, s36
                                        ; implicit-def: $vgpr23
                                        ; implicit-def: $vgpr24
	s_and_saveexec_b64 s[10:11], s[8:9]
	s_xor_b64 s[26:27], exec, s[10:11]
	s_cbranch_execz .LBB221_14
; %bb.13:                               ;   in Loop: Header=BB221_4 Depth=1
	v_and_b32_e32 v2, 0x7fffffff, v22
	v_lshrrev_b32_e32 v23, 23, v2
	v_add_u32_e32 v23, 0xffffff88, v23
	v_cmp_lt_u32_e64 s[8:9], 63, v23
	v_cndmask_b32_e64 v24, 0, v16, s[8:9]
	v_add_u32_e32 v23, v24, v23
	v_cmp_lt_u32_e64 s[10:11], 31, v23
	v_cndmask_b32_e64 v24, 0, v17, s[10:11]
	v_add_u32_e32 v23, v24, v23
	v_cmp_lt_u32_e64 s[12:13], 31, v23
	v_and_b32_e32 v2, 0x7fffff, v2
	v_cndmask_b32_e64 v24, 0, v17, s[12:13]
	v_or_b32_e32 v36, 0x800000, v2
	v_add_u32_e32 v23, v24, v23
	v_mad_u64_u32 v[24:25], s[14:15], v36, s37, 0
	v_mov_b32_e32 v2, v25
	v_mad_u64_u32 v[26:27], s[14:15], v36, s38, v[2:3]
	v_mov_b32_e32 v2, v27
	;; [unrolled: 2-line block ×6, first 2 shown]
	v_mad_u64_u32 v[36:37], s[14:15], v36, s43, v[2:3]
	v_cndmask_b32_e64 v25, v34, v30, s[8:9]
	v_cndmask_b32_e64 v2, v36, v32, s[8:9]
	;; [unrolled: 1-line block ×7, first 2 shown]
	v_sub_u32_e32 v31, 32, v23
	v_cmp_eq_u32_e64 s[14:15], 0, v23
	v_cndmask_b32_e64 v23, v30, v26, s[8:9]
	v_cndmask_b32_e64 v2, v2, v27, s[12:13]
	;; [unrolled: 1-line block ×4, first 2 shown]
	v_alignbit_b32 v32, v2, v27, v31
	v_cndmask_b32_e64 v25, v25, v26, s[12:13]
	v_cndmask_b32_e64 v2, v32, v2, s[14:15]
	v_alignbit_b32 v29, v27, v25, v31
	v_cndmask_b32_e64 v27, v29, v27, s[14:15]
	v_bfe_u32 v32, v2, 29, 1
	v_cndmask_b32_e64 v24, v28, v24, s[8:9]
	v_alignbit_b32 v29, v2, v27, 30
	v_sub_u32_e32 v33, 0, v32
	v_cndmask_b32_e64 v23, v23, v24, s[10:11]
	v_xor_b32_e32 v34, v29, v33
	v_cndmask_b32_e64 v23, v26, v23, s[12:13]
	v_alignbit_b32 v24, v25, v23, v31
	v_ffbh_u32_e32 v26, v34
	v_cndmask_b32_e64 v24, v24, v25, s[14:15]
	v_add_u32_e32 v26, 1, v26
	v_cmp_ne_u32_e64 s[8:9], v29, v33
	v_alignbit_b32 v25, v27, v24, 30
	v_cndmask_b32_e64 v26, 33, v26, s[8:9]
	v_alignbit_b32 v23, v24, v23, 30
	v_xor_b32_e32 v25, v25, v33
	v_sub_u32_e32 v27, 32, v26
	v_xor_b32_e32 v23, v23, v33
	v_alignbit_b32 v28, v34, v25, v27
	v_alignbit_b32 v23, v25, v23, v27
	;; [unrolled: 1-line block ×3, first 2 shown]
	v_ffbh_u32_e32 v25, v24
	v_min_u32_e32 v25, 32, v25
	v_lshrrev_b32_e32 v30, 29, v2
	v_sub_u32_e32 v27, 31, v25
	v_alignbit_b32 v23, v24, v23, v27
	v_lshlrev_b32_e32 v24, 31, v30
	v_or_b32_e32 v27, 0x33800000, v24
	v_add_lshl_u32 v25, v25, v26, 23
	v_lshrrev_b32_e32 v23, 9, v23
	v_sub_u32_e32 v25, v27, v25
	v_or_b32_e32 v23, v25, v23
	v_alignbit_b32 v25, v26, v28, 9
	v_or_b32_e32 v24, v25, v24
	v_xor_b32_e32 v24, 1.0, v24
	v_mul_f32_e32 v25, 0x3fc90fda, v24
	v_fma_f32 v26, v24, s44, -v25
	v_fmac_f32_e32 v26, 0x33a22168, v24
	v_fmac_f32_e32 v26, 0x3fc90fda, v23
	v_lshrrev_b32_e32 v2, 30, v2
	v_add_f32_e32 v24, v25, v26
	v_add_u32_e32 v23, v32, v2
.LBB221_14:                             ;   in Loop: Header=BB221_4 Depth=1
	s_andn2_saveexec_b64 s[8:9], s[26:27]
; %bb.15:                               ;   in Loop: Header=BB221_4 Depth=1
	v_mul_f32_e64 v2, |v22|, s45
	v_rndne_f32_e32 v2, v2
	v_cvt_i32_f32_e32 v23, v2
	v_fma_f32 v24, v2, s46, |v22|
	v_fmac_f32_e32 v24, 0xb3a22168, v2
	v_fmac_f32_e32 v24, 0xa7c234c4, v2
; %bb.16:                               ;   in Loop: Header=BB221_4 Depth=1
	s_or_b64 exec, exec, s[8:9]
	v_cmp_nlt_f32_e64 s[8:9], |v21|, s36
                                        ; implicit-def: $vgpr25
                                        ; implicit-def: $vgpr26
	s_and_saveexec_b64 s[10:11], s[8:9]
	s_xor_b64 s[26:27], exec, s[10:11]
	s_cbranch_execz .LBB221_18
; %bb.17:                               ;   in Loop: Header=BB221_4 Depth=1
	v_and_b32_e32 v2, 0x7fffffff, v21
	v_lshrrev_b32_e32 v25, 23, v2
	v_add_u32_e32 v25, 0xffffff88, v25
	v_cmp_lt_u32_e64 s[8:9], 63, v25
	v_cndmask_b32_e64 v26, 0, v16, s[8:9]
	v_add_u32_e32 v25, v26, v25
	v_cmp_lt_u32_e64 s[10:11], 31, v25
	v_cndmask_b32_e64 v26, 0, v17, s[10:11]
	v_add_u32_e32 v25, v26, v25
	v_cmp_lt_u32_e64 s[12:13], 31, v25
	v_and_b32_e32 v2, 0x7fffff, v2
	v_cndmask_b32_e64 v26, 0, v17, s[12:13]
	v_or_b32_e32 v38, 0x800000, v2
	v_add_u32_e32 v25, v26, v25
	v_mad_u64_u32 v[26:27], s[14:15], v38, s37, 0
	v_mov_b32_e32 v2, v27
	v_mad_u64_u32 v[28:29], s[14:15], v38, s38, v[2:3]
	v_mov_b32_e32 v2, v29
	;; [unrolled: 2-line block ×6, first 2 shown]
	v_mad_u64_u32 v[38:39], s[14:15], v38, s43, v[2:3]
	v_cndmask_b32_e64 v27, v36, v32, s[8:9]
	v_cndmask_b32_e64 v2, v38, v34, s[8:9]
	;; [unrolled: 1-line block ×7, first 2 shown]
	v_sub_u32_e32 v33, 32, v25
	v_cmp_eq_u32_e64 s[14:15], 0, v25
	v_cndmask_b32_e64 v25, v32, v28, s[8:9]
	v_cndmask_b32_e64 v2, v2, v29, s[12:13]
	;; [unrolled: 1-line block ×4, first 2 shown]
	v_alignbit_b32 v34, v2, v29, v33
	v_cndmask_b32_e64 v27, v27, v28, s[12:13]
	v_cndmask_b32_e64 v2, v34, v2, s[14:15]
	v_alignbit_b32 v31, v29, v27, v33
	v_cndmask_b32_e64 v29, v31, v29, s[14:15]
	v_bfe_u32 v34, v2, 29, 1
	v_cndmask_b32_e64 v26, v30, v26, s[8:9]
	v_alignbit_b32 v31, v2, v29, 30
	v_sub_u32_e32 v35, 0, v34
	v_cndmask_b32_e64 v25, v25, v26, s[10:11]
	v_xor_b32_e32 v36, v31, v35
	v_cndmask_b32_e64 v25, v28, v25, s[12:13]
	v_alignbit_b32 v26, v27, v25, v33
	v_ffbh_u32_e32 v28, v36
	v_cndmask_b32_e64 v26, v26, v27, s[14:15]
	v_add_u32_e32 v28, 1, v28
	v_cmp_ne_u32_e64 s[8:9], v31, v35
	v_alignbit_b32 v27, v29, v26, 30
	v_cndmask_b32_e64 v28, 33, v28, s[8:9]
	v_alignbit_b32 v25, v26, v25, 30
	v_xor_b32_e32 v27, v27, v35
	v_sub_u32_e32 v29, 32, v28
	v_xor_b32_e32 v25, v25, v35
	v_alignbit_b32 v30, v36, v27, v29
	v_alignbit_b32 v25, v27, v25, v29
	;; [unrolled: 1-line block ×3, first 2 shown]
	v_ffbh_u32_e32 v27, v26
	v_min_u32_e32 v27, 32, v27
	v_lshrrev_b32_e32 v32, 29, v2
	v_sub_u32_e32 v29, 31, v27
	v_alignbit_b32 v25, v26, v25, v29
	v_lshlrev_b32_e32 v26, 31, v32
	v_or_b32_e32 v29, 0x33800000, v26
	v_add_lshl_u32 v27, v27, v28, 23
	v_lshrrev_b32_e32 v25, 9, v25
	v_sub_u32_e32 v27, v29, v27
	v_or_b32_e32 v25, v27, v25
	v_alignbit_b32 v27, v28, v30, 9
	v_or_b32_e32 v26, v27, v26
	v_xor_b32_e32 v26, 1.0, v26
	v_mul_f32_e32 v27, 0x3fc90fda, v26
	v_fma_f32 v28, v26, s44, -v27
	v_fmac_f32_e32 v28, 0x33a22168, v26
	v_fmac_f32_e32 v28, 0x3fc90fda, v25
	v_lshrrev_b32_e32 v2, 30, v2
	v_add_f32_e32 v26, v27, v28
	v_add_u32_e32 v25, v34, v2
.LBB221_18:                             ;   in Loop: Header=BB221_4 Depth=1
	s_andn2_saveexec_b64 s[8:9], s[26:27]
; %bb.19:                               ;   in Loop: Header=BB221_4 Depth=1
	v_mul_f32_e64 v2, |v21|, s45
	v_rndne_f32_e32 v2, v2
	v_cvt_i32_f32_e32 v25, v2
	v_fma_f32 v26, v2, s46, |v21|
	v_fmac_f32_e32 v26, 0xb3a22168, v2
	v_fmac_f32_e32 v26, 0xa7c234c4, v2
; %bb.20:                               ;   in Loop: Header=BB221_4 Depth=1
	s_or_b64 exec, exec, s[8:9]
	v_cmp_nlt_f32_e64 s[8:9], |v20|, s36
                                        ; implicit-def: $vgpr27
                                        ; implicit-def: $vgpr28
	s_and_saveexec_b64 s[10:11], s[8:9]
	s_xor_b64 s[26:27], exec, s[10:11]
	s_cbranch_execz .LBB221_22
; %bb.21:                               ;   in Loop: Header=BB221_4 Depth=1
	v_and_b32_e32 v2, 0x7fffffff, v20
	v_lshrrev_b32_e32 v27, 23, v2
	v_add_u32_e32 v27, 0xffffff88, v27
	v_cmp_lt_u32_e64 s[8:9], 63, v27
	v_cndmask_b32_e64 v28, 0, v16, s[8:9]
	v_add_u32_e32 v27, v28, v27
	v_cmp_lt_u32_e64 s[10:11], 31, v27
	v_cndmask_b32_e64 v28, 0, v17, s[10:11]
	v_add_u32_e32 v27, v28, v27
	v_cmp_lt_u32_e64 s[12:13], 31, v27
	v_and_b32_e32 v2, 0x7fffff, v2
	v_cndmask_b32_e64 v28, 0, v17, s[12:13]
	v_or_b32_e32 v40, 0x800000, v2
	v_add_u32_e32 v27, v28, v27
	v_mad_u64_u32 v[28:29], s[14:15], v40, s37, 0
	v_mov_b32_e32 v2, v29
	v_mad_u64_u32 v[30:31], s[14:15], v40, s38, v[2:3]
	v_mov_b32_e32 v2, v31
	;; [unrolled: 2-line block ×6, first 2 shown]
	v_mad_u64_u32 v[40:41], s[14:15], v40, s43, v[2:3]
	v_cndmask_b32_e64 v29, v38, v34, s[8:9]
	v_cndmask_b32_e64 v2, v40, v36, s[8:9]
	;; [unrolled: 1-line block ×7, first 2 shown]
	v_sub_u32_e32 v35, 32, v27
	v_cmp_eq_u32_e64 s[14:15], 0, v27
	v_cndmask_b32_e64 v27, v34, v30, s[8:9]
	v_cndmask_b32_e64 v2, v2, v31, s[12:13]
	;; [unrolled: 1-line block ×4, first 2 shown]
	v_alignbit_b32 v36, v2, v31, v35
	v_cndmask_b32_e64 v29, v29, v30, s[12:13]
	v_cndmask_b32_e64 v2, v36, v2, s[14:15]
	v_alignbit_b32 v33, v31, v29, v35
	v_cndmask_b32_e64 v31, v33, v31, s[14:15]
	v_bfe_u32 v36, v2, 29, 1
	v_cndmask_b32_e64 v28, v32, v28, s[8:9]
	v_alignbit_b32 v33, v2, v31, 30
	v_sub_u32_e32 v37, 0, v36
	v_cndmask_b32_e64 v27, v27, v28, s[10:11]
	v_xor_b32_e32 v38, v33, v37
	v_cndmask_b32_e64 v27, v30, v27, s[12:13]
	v_alignbit_b32 v28, v29, v27, v35
	v_ffbh_u32_e32 v30, v38
	v_cndmask_b32_e64 v28, v28, v29, s[14:15]
	v_add_u32_e32 v30, 1, v30
	v_cmp_ne_u32_e64 s[8:9], v33, v37
	v_alignbit_b32 v29, v31, v28, 30
	v_cndmask_b32_e64 v30, 33, v30, s[8:9]
	v_alignbit_b32 v27, v28, v27, 30
	v_xor_b32_e32 v29, v29, v37
	v_sub_u32_e32 v31, 32, v30
	v_xor_b32_e32 v27, v27, v37
	v_alignbit_b32 v32, v38, v29, v31
	v_alignbit_b32 v27, v29, v27, v31
	;; [unrolled: 1-line block ×3, first 2 shown]
	v_ffbh_u32_e32 v29, v28
	v_min_u32_e32 v29, 32, v29
	v_lshrrev_b32_e32 v34, 29, v2
	v_sub_u32_e32 v31, 31, v29
	v_alignbit_b32 v27, v28, v27, v31
	v_lshlrev_b32_e32 v28, 31, v34
	v_or_b32_e32 v31, 0x33800000, v28
	v_add_lshl_u32 v29, v29, v30, 23
	v_lshrrev_b32_e32 v27, 9, v27
	v_sub_u32_e32 v29, v31, v29
	v_or_b32_e32 v27, v29, v27
	v_alignbit_b32 v29, v30, v32, 9
	v_or_b32_e32 v28, v29, v28
	v_xor_b32_e32 v28, 1.0, v28
	v_mul_f32_e32 v29, 0x3fc90fda, v28
	v_fma_f32 v30, v28, s44, -v29
	v_fmac_f32_e32 v30, 0x33a22168, v28
	v_fmac_f32_e32 v30, 0x3fc90fda, v27
	v_lshrrev_b32_e32 v2, 30, v2
	v_add_f32_e32 v28, v29, v30
	v_add_u32_e32 v27, v36, v2
.LBB221_22:                             ;   in Loop: Header=BB221_4 Depth=1
	s_andn2_saveexec_b64 s[8:9], s[26:27]
; %bb.23:                               ;   in Loop: Header=BB221_4 Depth=1
	v_mul_f32_e64 v2, |v20|, s45
	v_rndne_f32_e32 v2, v2
	v_cvt_i32_f32_e32 v27, v2
	v_fma_f32 v28, v2, s46, |v20|
	v_fmac_f32_e32 v28, 0xb3a22168, v2
	v_fmac_f32_e32 v28, 0xa7c234c4, v2
; %bb.24:                               ;   in Loop: Header=BB221_4 Depth=1
	s_or_b64 exec, exec, s[8:9]
	v_cmp_nlt_f32_e64 s[8:9], |v19|, s36
                                        ; implicit-def: $vgpr2
                                        ; implicit-def: $vgpr29
	s_and_saveexec_b64 s[10:11], s[8:9]
	s_xor_b64 s[26:27], exec, s[10:11]
	s_cbranch_execnz .LBB221_30
; %bb.25:                               ;   in Loop: Header=BB221_4 Depth=1
	s_andn2_saveexec_b64 s[8:9], s[26:27]
	s_cbranch_execnz .LBB221_31
.LBB221_26:                             ;   in Loop: Header=BB221_4 Depth=1
	s_or_b64 exec, exec, s[8:9]
	s_and_saveexec_b64 s[8:9], s[6:7]
	s_xor_b64 s[8:9], exec, s[8:9]
	s_cbranch_execnz .LBB221_32
.LBB221_27:                             ;   in Loop: Header=BB221_4 Depth=1
	s_or_b64 exec, exec, s[8:9]
	s_and_saveexec_b64 s[6:7], s[2:3]
	s_cbranch_execnz .LBB221_33
.LBB221_28:                             ;   in Loop: Header=BB221_4 Depth=1
	s_or_b64 exec, exec, s[6:7]
	s_and_saveexec_b64 s[2:3], s[0:1]
	s_cbranch_execnz .LBB221_34
.LBB221_29:                             ;   in Loop: Header=BB221_4 Depth=1
	s_or_b64 exec, exec, s[2:3]
	s_and_saveexec_b64 s[0:1], vcc
	s_cbranch_execz .LBB221_3
	s_branch .LBB221_35
.LBB221_30:                             ;   in Loop: Header=BB221_4 Depth=1
	v_and_b32_e32 v2, 0x7fffffff, v19
	v_lshrrev_b32_e32 v29, 23, v2
	v_add_u32_e32 v29, 0xffffff88, v29
	v_cmp_lt_u32_e64 s[8:9], 63, v29
	v_cndmask_b32_e64 v30, 0, v16, s[8:9]
	v_add_u32_e32 v29, v30, v29
	v_cmp_lt_u32_e64 s[10:11], 31, v29
	v_cndmask_b32_e64 v30, 0, v17, s[10:11]
	v_add_u32_e32 v29, v30, v29
	v_cmp_lt_u32_e64 s[12:13], 31, v29
	v_and_b32_e32 v2, 0x7fffff, v2
	v_cndmask_b32_e64 v30, 0, v17, s[12:13]
	v_or_b32_e32 v42, 0x800000, v2
	v_add_u32_e32 v29, v30, v29
	v_mad_u64_u32 v[30:31], s[14:15], v42, s37, 0
	v_mov_b32_e32 v2, v31
	v_mad_u64_u32 v[32:33], s[14:15], v42, s38, v[2:3]
	v_mov_b32_e32 v2, v33
	v_mad_u64_u32 v[34:35], s[14:15], v42, s39, v[2:3]
	v_mov_b32_e32 v2, v35
	v_mad_u64_u32 v[36:37], s[14:15], v42, s40, v[2:3]
	v_mov_b32_e32 v2, v37
	v_mad_u64_u32 v[38:39], s[14:15], v42, s41, v[2:3]
	v_mov_b32_e32 v2, v39
	v_mad_u64_u32 v[40:41], s[14:15], v42, s42, v[2:3]
	v_mov_b32_e32 v2, v41
	v_mad_u64_u32 v[42:43], s[14:15], v42, s43, v[2:3]
	v_cndmask_b32_e64 v31, v40, v36, s[8:9]
	v_cndmask_b32_e64 v2, v42, v38, s[8:9]
	;; [unrolled: 1-line block ×7, first 2 shown]
	v_sub_u32_e32 v37, 32, v29
	v_cmp_eq_u32_e64 s[14:15], 0, v29
	v_cndmask_b32_e64 v29, v36, v32, s[8:9]
	v_cndmask_b32_e64 v2, v2, v33, s[12:13]
	;; [unrolled: 1-line block ×4, first 2 shown]
	v_alignbit_b32 v38, v2, v33, v37
	v_cndmask_b32_e64 v31, v31, v32, s[12:13]
	v_cndmask_b32_e64 v2, v38, v2, s[14:15]
	v_alignbit_b32 v35, v33, v31, v37
	v_cndmask_b32_e64 v33, v35, v33, s[14:15]
	v_bfe_u32 v38, v2, 29, 1
	v_cndmask_b32_e64 v30, v34, v30, s[8:9]
	v_alignbit_b32 v35, v2, v33, 30
	v_sub_u32_e32 v39, 0, v38
	v_cndmask_b32_e64 v29, v29, v30, s[10:11]
	v_xor_b32_e32 v40, v35, v39
	v_cndmask_b32_e64 v29, v32, v29, s[12:13]
	v_alignbit_b32 v30, v31, v29, v37
	v_ffbh_u32_e32 v32, v40
	v_cndmask_b32_e64 v30, v30, v31, s[14:15]
	v_add_u32_e32 v32, 1, v32
	v_cmp_ne_u32_e64 s[8:9], v35, v39
	v_alignbit_b32 v31, v33, v30, 30
	v_cndmask_b32_e64 v32, 33, v32, s[8:9]
	v_alignbit_b32 v29, v30, v29, 30
	v_xor_b32_e32 v31, v31, v39
	v_sub_u32_e32 v33, 32, v32
	v_xor_b32_e32 v29, v29, v39
	v_alignbit_b32 v34, v40, v31, v33
	v_alignbit_b32 v29, v31, v29, v33
	;; [unrolled: 1-line block ×3, first 2 shown]
	v_ffbh_u32_e32 v31, v30
	v_min_u32_e32 v31, 32, v31
	v_lshrrev_b32_e32 v36, 29, v2
	v_sub_u32_e32 v33, 31, v31
	v_alignbit_b32 v29, v30, v29, v33
	v_lshlrev_b32_e32 v30, 31, v36
	v_or_b32_e32 v33, 0x33800000, v30
	v_add_lshl_u32 v31, v31, v32, 23
	v_lshrrev_b32_e32 v29, 9, v29
	v_sub_u32_e32 v31, v33, v31
	v_or_b32_e32 v29, v31, v29
	v_alignbit_b32 v31, v32, v34, 9
	v_or_b32_e32 v30, v31, v30
	v_xor_b32_e32 v30, 1.0, v30
	v_mul_f32_e32 v31, 0x3fc90fda, v30
	v_fma_f32 v32, v30, s44, -v31
	v_fmac_f32_e32 v32, 0x33a22168, v30
	v_fmac_f32_e32 v32, 0x3fc90fda, v29
	v_lshrrev_b32_e32 v2, 30, v2
	v_add_f32_e32 v29, v31, v32
	v_add_u32_e32 v2, v38, v2
	s_andn2_saveexec_b64 s[8:9], s[26:27]
	s_cbranch_execz .LBB221_26
.LBB221_31:                             ;   in Loop: Header=BB221_4 Depth=1
	v_mul_f32_e64 v2, |v19|, s45
	v_rndne_f32_e32 v30, v2
	v_cvt_i32_f32_e32 v2, v30
	v_fma_f32 v29, v30, s46, |v19|
	v_fmac_f32_e32 v29, 0xb3a22168, v30
	v_fmac_f32_e32 v29, 0xa7c234c4, v30
	s_or_b64 exec, exec, s[8:9]
	s_and_saveexec_b64 s[8:9], s[6:7]
	s_xor_b64 s[8:9], exec, s[8:9]
	s_cbranch_execz .LBB221_27
.LBB221_32:                             ;   in Loop: Header=BB221_4 Depth=1
	v_mul_f32_e32 v30, v24, v24
	v_mov_b32_e32 v31, 0x3c0881c4
	v_fmac_f32_e32 v31, 0xb94c1982, v30
	v_fma_f32 v31, v30, v31, v13
	v_mul_f32_e32 v31, v30, v31
	v_fmac_f32_e32 v24, v24, v31
	v_mov_b32_e32 v31, 0xbab64f3b
	v_fmac_f32_e32 v31, 0x37d75334, v30
	v_fma_f32 v31, v30, v31, v14
	v_fma_f32 v31, v30, v31, v15
	v_fma_f32 v30, v30, v31, 1.0
	v_and_b32_e32 v31, 1, v23
	v_cmp_eq_u32_e64 s[6:7], 0, v31
	v_lshlrev_b32_e32 v23, 30, v23
	v_cndmask_b32_e64 v24, -v24, v30, s[6:7]
	v_and_b32_e32 v23, 0x80000000, v23
	v_xor_b32_e32 v23, v23, v24
	v_cmp_class_f32_e64 s[6:7], v22, s47
	v_cndmask_b32_e64 v22, v18, v23, s[6:7]
	global_store_dword v[4:5], v22, off
	s_or_b64 exec, exec, s[8:9]
	s_and_saveexec_b64 s[6:7], s[2:3]
	s_cbranch_execz .LBB221_28
.LBB221_33:                             ;   in Loop: Header=BB221_4 Depth=1
	v_mul_f32_e32 v22, v26, v26
	v_mov_b32_e32 v23, 0x3c0881c4
	v_fmac_f32_e32 v23, 0xb94c1982, v22
	v_fma_f32 v23, v22, v23, v13
	v_mul_f32_e32 v23, v22, v23
	v_fmac_f32_e32 v26, v26, v23
	v_mov_b32_e32 v23, 0xbab64f3b
	v_fmac_f32_e32 v23, 0x37d75334, v22
	v_fma_f32 v23, v22, v23, v14
	v_fma_f32 v23, v22, v23, v15
	v_fma_f32 v22, v22, v23, 1.0
	v_and_b32_e32 v23, 1, v25
	v_cmp_eq_u32_e64 s[2:3], 0, v23
	v_lshlrev_b32_e32 v23, 30, v25
	v_cndmask_b32_e64 v22, -v26, v22, s[2:3]
	v_and_b32_e32 v23, 0x80000000, v23
	v_xor_b32_e32 v22, v23, v22
	v_cmp_class_f32_e64 s[2:3], v21, s47
	v_cndmask_b32_e64 v21, v18, v22, s[2:3]
	global_store_dword v[6:7], v21, off
	s_or_b64 exec, exec, s[6:7]
	s_and_saveexec_b64 s[2:3], s[0:1]
	s_cbranch_execz .LBB221_29
.LBB221_34:                             ;   in Loop: Header=BB221_4 Depth=1
	v_mul_f32_e32 v21, v28, v28
	v_mov_b32_e32 v22, 0x3c0881c4
	v_fmac_f32_e32 v22, 0xb94c1982, v21
	v_fma_f32 v22, v21, v22, v13
	v_mul_f32_e32 v22, v21, v22
	v_fmac_f32_e32 v28, v28, v22
	v_mov_b32_e32 v22, 0xbab64f3b
	v_fmac_f32_e32 v22, 0x37d75334, v21
	v_fma_f32 v22, v21, v22, v14
	v_fma_f32 v22, v21, v22, v15
	v_fma_f32 v21, v21, v22, 1.0
	v_and_b32_e32 v22, 1, v27
	v_cmp_eq_u32_e64 s[0:1], 0, v22
	v_lshlrev_b32_e32 v22, 30, v27
	v_cndmask_b32_e64 v21, -v28, v21, s[0:1]
	v_and_b32_e32 v22, 0x80000000, v22
	v_xor_b32_e32 v21, v22, v21
	v_cmp_class_f32_e64 s[0:1], v20, s47
	v_cndmask_b32_e64 v22, v18, v21, s[0:1]
	v_mov_b32_e32 v21, s35
	v_add_co_u32_e64 v20, s[0:1], s34, v4
	v_addc_co_u32_e64 v21, s[0:1], v5, v21, s[0:1]
	global_store_dword v[20:21], v22, off
	s_or_b64 exec, exec, s[2:3]
	s_and_saveexec_b64 s[0:1], vcc
	s_cbranch_execz .LBB221_3
.LBB221_35:                             ;   in Loop: Header=BB221_4 Depth=1
	v_mul_f32_e32 v20, v29, v29
	v_mov_b32_e32 v21, 0x3c0881c4
	v_fmac_f32_e32 v21, 0xb94c1982, v20
	v_fma_f32 v21, v20, v21, v13
	v_mul_f32_e32 v21, v20, v21
	v_fmac_f32_e32 v29, v29, v21
	v_mov_b32_e32 v21, 0xbab64f3b
	v_fmac_f32_e32 v21, 0x37d75334, v20
	v_fma_f32 v21, v20, v21, v14
	v_fma_f32 v21, v20, v21, v15
	v_fma_f32 v20, v20, v21, 1.0
	v_and_b32_e32 v21, 1, v2
	v_cmp_eq_u32_e32 vcc, 0, v21
	v_lshlrev_b32_e32 v2, 30, v2
	v_cndmask_b32_e64 v20, -v29, v20, vcc
	v_and_b32_e32 v2, 0x80000000, v2
	v_xor_b32_e32 v2, v2, v20
	v_cmp_class_f32_e64 vcc, v19, s47
	v_cndmask_b32_e32 v2, v18, v2, vcc
	v_mov_b32_e32 v19, s33
	v_add_co_u32_e32 v20, vcc, s31, v4
	v_addc_co_u32_e32 v21, vcc, v5, v19, vcc
	global_store_dword v[20:21], v2, off
	s_branch .LBB221_3
.LBB221_36:
	s_cbranch_execz .LBB221_38
	s_branch .LBB221_57
.LBB221_37:
.LBB221_38:
	v_mov_b32_e32 v5, 0
	v_lshlrev_b32_e32 v4, 2, v0
	s_mov_b32 s12, 0
	v_cmp_gt_i64_e32 vcc, s[16:17], v[4:5]
	s_and_saveexec_b64 s[0:1], vcc
	s_cbranch_execz .LBB221_57
; %bb.39:
	s_load_dword s0, s[4:5], 0xd3c
	v_lshlrev_b32_e32 v1, 4, v0
	s_mov_b32 s15, s12
	s_mov_b64 s[6:7], 0
	s_mov_b32 s22, 0xf534ddc0
	s_waitcnt lgkmcnt(0)
	s_and_b32 s0, s0, 0xffff
	s_lshl_b32 s13, s0, 2
	s_add_u32 s1, s18, s20
	s_addc_u32 s2, s19, s21
	v_add_lshl_u32 v4, v0, s0, 2
	v_mov_b32_e32 v0, s2
	v_add_co_u32_e32 v1, vcc, s1, v1
	v_addc_co_u32_e32 v0, vcc, 0, v0, vcc
	v_add_co_u32_e32 v6, vcc, 8, v1
	v_addc_co_u32_e32 v7, vcc, 0, v0, vcc
	s_lshl_b32 s14, s0, 4
	s_brev_b32 s18, 18
	s_mov_b32 s19, 0xfe5163ab
	s_mov_b32 s20, 0x3c439041
	;; [unrolled: 1-line block ×9, first 2 shown]
	v_mov_b32_e32 v10, 0xbe2aaa9d
	v_mov_b32_e32 v11, 0x3d2aabf7
	;; [unrolled: 1-line block ×3, first 2 shown]
	s_movk_i32 s29, 0x1f8
	s_mov_b64 s[8:9], 0xffff
	v_not_b32_e32 v13, 63
	v_not_b32_e32 v14, 31
	v_mov_b32_e32 v15, 0x7fc00000
	v_pk_mov_b32 v[8:9], v[4:5], v[4:5] op_sel:[0,1]
	s_branch .LBB221_41
.LBB221_40:                             ;   in Loop: Header=BB221_41 Depth=1
	s_or_b64 exec, exec, s[0:1]
	v_mul_f32_e32 v23, v21, v21
	v_mov_b32_e32 v24, 0x3c0881c4
	v_fmac_f32_e32 v24, 0xb94c1982, v23
	v_fma_f32 v24, v23, v24, v10
	v_mul_f32_e32 v24, v23, v24
	v_fmac_f32_e32 v21, v21, v24
	v_mov_b32_e32 v24, 0xbab64f3b
	v_fmac_f32_e32 v24, 0x37d75334, v23
	v_fma_f32 v24, v23, v24, v11
	v_fma_f32 v24, v23, v24, v12
	v_fma_f32 v23, v23, v24, 1.0
	v_and_b32_e32 v24, 1, v20
	v_cmp_eq_u32_e32 vcc, 0, v24
	v_lshlrev_b32_e32 v20, 30, v20
	v_cndmask_b32_e64 v21, -v21, v23, vcc
	v_and_b32_e32 v20, 0x80000000, v20
	v_xor_b32_e32 v20, v20, v21
	v_cmp_class_f32_e64 vcc, v2, s29
	v_cndmask_b32_e32 v2, v15, v20, vcc
	v_mul_f32_e32 v20, v19, v19
	v_mov_b32_e32 v21, 0x3c0881c4
	v_fmac_f32_e32 v21, 0xb94c1982, v20
	v_fma_f32 v21, v20, v21, v10
	v_mul_f32_e32 v21, v20, v21
	v_fmac_f32_e32 v19, v19, v21
	v_mov_b32_e32 v21, 0xbab64f3b
	v_fmac_f32_e32 v21, 0x37d75334, v20
	v_fma_f32 v21, v20, v21, v11
	v_fma_f32 v21, v20, v21, v12
	v_fma_f32 v20, v20, v21, 1.0
	v_and_b32_e32 v21, 1, v18
	v_cmp_eq_u32_e32 vcc, 0, v21
	v_lshlrev_b32_e32 v18, 30, v18
	v_cndmask_b32_e64 v19, -v19, v20, vcc
	v_and_b32_e32 v18, 0x80000000, v18
	v_xor_b32_e32 v18, v18, v19
	v_cmp_class_f32_e64 vcc, v1, s29
	v_cndmask_b32_e32 v1, v15, v18, vcc
	;; [unrolled: 19-line block ×4, first 2 shown]
	v_cmp_le_i64_e32 vcc, s[16:17], v[8:9]
	v_cmp_lt_u64_e64 s[0:1], s[8:9], v[8:9]
	global_store_dwordx4 v[6:7], v[0:3], off offset:-8
	s_or_b64 s[0:1], vcc, s[0:1]
	v_mov_b32_e32 v0, s12
	v_add_co_u32_e32 v8, vcc, s13, v8
	v_addc_co_u32_e32 v9, vcc, v9, v0, vcc
	v_mov_b32_e32 v0, s15
	s_and_b64 s[0:1], exec, s[0:1]
	v_add_co_u32_e32 v6, vcc, s14, v6
	s_or_b64 s[6:7], s[0:1], s[6:7]
	v_addc_co_u32_e32 v7, vcc, v7, v0, vcc
	s_andn2_b64 exec, exec, s[6:7]
	s_cbranch_execz .LBB221_57
.LBB221_41:                             ; =>This Inner Loop Header: Depth=1
	global_load_dwordx4 v[0:3], v[6:7], off offset:-8
                                        ; implicit-def: $vgpr16
                                        ; implicit-def: $vgpr17
	s_waitcnt vmcnt(0)
	v_cmp_nlt_f32_e64 s[0:1], |v0|, s18
	s_and_saveexec_b64 s[2:3], s[0:1]
	s_xor_b64 s[10:11], exec, s[2:3]
	s_cbranch_execz .LBB221_43
; %bb.42:                               ;   in Loop: Header=BB221_41 Depth=1
	v_and_b32_e32 v4, 0x7fffffff, v0
	v_lshrrev_b32_e32 v16, 23, v4
	v_add_u32_e32 v16, 0xffffff88, v16
	v_cmp_lt_u32_e32 vcc, 63, v16
	v_cndmask_b32_e32 v17, 0, v13, vcc
	v_add_u32_e32 v16, v17, v16
	v_cmp_lt_u32_e64 s[0:1], 31, v16
	v_cndmask_b32_e64 v17, 0, v14, s[0:1]
	v_add_u32_e32 v16, v17, v16
	v_cmp_lt_u32_e64 s[2:3], 31, v16
	v_and_b32_e32 v4, 0x7fffff, v4
	v_cndmask_b32_e64 v17, 0, v14, s[2:3]
	v_or_b32_e32 v28, 0x800000, v4
	v_add_u32_e32 v30, v17, v16
	v_mad_u64_u32 v[16:17], s[4:5], v28, s19, 0
	v_mov_b32_e32 v4, v17
	v_mad_u64_u32 v[18:19], s[4:5], v28, s20, v[4:5]
	v_mov_b32_e32 v4, v19
	;; [unrolled: 2-line block ×6, first 2 shown]
	v_mad_u64_u32 v[28:29], s[4:5], v28, s25, v[4:5]
	v_cndmask_b32_e32 v17, v26, v22, vcc
	v_cndmask_b32_e32 v4, v28, v24, vcc
	;; [unrolled: 1-line block ×3, first 2 shown]
	v_cndmask_b32_e64 v19, v4, v17, s[0:1]
	v_cndmask_b32_e64 v4, v21, v4, s[0:1]
	v_cndmask_b32_e32 v21, v24, v20, vcc
	v_cndmask_b32_e64 v17, v17, v21, s[0:1]
	v_cndmask_b32_e32 v18, v22, v18, vcc
	v_cndmask_b32_e64 v4, v4, v19, s[2:3]
	v_cndmask_b32_e64 v19, v19, v17, s[2:3]
	v_sub_u32_e32 v23, 32, v30
	v_cndmask_b32_e64 v21, v21, v18, s[0:1]
	v_alignbit_b32 v24, v4, v19, v23
	v_cmp_eq_u32_e64 s[4:5], 0, v30
	v_cndmask_b32_e64 v17, v17, v21, s[2:3]
	v_cndmask_b32_e32 v16, v20, v16, vcc
	v_cndmask_b32_e64 v4, v24, v4, s[4:5]
	v_alignbit_b32 v22, v19, v17, v23
	v_cndmask_b32_e64 v16, v18, v16, s[0:1]
	v_cndmask_b32_e64 v19, v22, v19, s[4:5]
	v_bfe_u32 v25, v4, 29, 1
	v_cndmask_b32_e64 v16, v21, v16, s[2:3]
	v_alignbit_b32 v22, v4, v19, 30
	v_sub_u32_e32 v26, 0, v25
	v_alignbit_b32 v18, v17, v16, v23
	v_xor_b32_e32 v27, v22, v26
	v_cndmask_b32_e64 v17, v18, v17, s[4:5]
	v_alignbit_b32 v18, v19, v17, 30
	v_ffbh_u32_e32 v19, v27
	v_add_u32_e32 v19, 1, v19
	v_cmp_ne_u32_e32 vcc, v22, v26
	v_cndmask_b32_e32 v19, 33, v19, vcc
	v_alignbit_b32 v16, v17, v16, 30
	v_xor_b32_e32 v18, v18, v26
	v_sub_u32_e32 v20, 32, v19
	v_xor_b32_e32 v16, v16, v26
	v_alignbit_b32 v21, v27, v18, v20
	v_alignbit_b32 v16, v18, v16, v20
	;; [unrolled: 1-line block ×3, first 2 shown]
	v_ffbh_u32_e32 v18, v17
	v_min_u32_e32 v18, 32, v18
	v_lshrrev_b32_e32 v24, 29, v4
	v_sub_u32_e32 v20, 31, v18
	v_alignbit_b32 v16, v17, v16, v20
	v_lshlrev_b32_e32 v17, 31, v24
	v_or_b32_e32 v20, 0x33800000, v17
	v_add_lshl_u32 v18, v18, v19, 23
	v_lshrrev_b32_e32 v16, 9, v16
	v_sub_u32_e32 v18, v20, v18
	v_or_b32_e32 v16, v18, v16
	v_alignbit_b32 v18, v19, v21, 9
	v_or_b32_e32 v17, v18, v17
	v_xor_b32_e32 v17, 1.0, v17
	v_mul_f32_e32 v18, 0x3fc90fda, v17
	v_fma_f32 v19, v17, s26, -v18
	v_fmac_f32_e32 v19, 0x33a22168, v17
	v_fmac_f32_e32 v19, 0x3fc90fda, v16
	v_lshrrev_b32_e32 v4, 30, v4
	v_add_f32_e32 v17, v18, v19
	v_add_u32_e32 v16, v25, v4
.LBB221_43:                             ;   in Loop: Header=BB221_41 Depth=1
	s_andn2_saveexec_b64 s[0:1], s[10:11]
; %bb.44:                               ;   in Loop: Header=BB221_41 Depth=1
	v_mul_f32_e64 v4, |v0|, s27
	v_rndne_f32_e32 v4, v4
	v_cvt_i32_f32_e32 v16, v4
	v_fma_f32 v17, v4, s28, |v0|
	v_fmac_f32_e32 v17, 0xb3a22168, v4
	v_fmac_f32_e32 v17, 0xa7c234c4, v4
; %bb.45:                               ;   in Loop: Header=BB221_41 Depth=1
	s_or_b64 exec, exec, s[0:1]
	v_cmp_nlt_f32_e64 s[0:1], |v1|, s18
                                        ; implicit-def: $vgpr18
                                        ; implicit-def: $vgpr19
	s_and_saveexec_b64 s[2:3], s[0:1]
	s_xor_b64 s[10:11], exec, s[2:3]
	s_cbranch_execz .LBB221_47
; %bb.46:                               ;   in Loop: Header=BB221_41 Depth=1
	v_and_b32_e32 v4, 0x7fffffff, v1
	v_lshrrev_b32_e32 v18, 23, v4
	v_add_u32_e32 v18, 0xffffff88, v18
	v_cmp_lt_u32_e32 vcc, 63, v18
	v_cndmask_b32_e32 v19, 0, v13, vcc
	v_add_u32_e32 v18, v19, v18
	v_cmp_lt_u32_e64 s[0:1], 31, v18
	v_cndmask_b32_e64 v19, 0, v14, s[0:1]
	v_add_u32_e32 v18, v19, v18
	v_cmp_lt_u32_e64 s[2:3], 31, v18
	v_and_b32_e32 v4, 0x7fffff, v4
	v_cndmask_b32_e64 v19, 0, v14, s[2:3]
	v_or_b32_e32 v30, 0x800000, v4
	v_add_u32_e32 v32, v19, v18
	v_mad_u64_u32 v[18:19], s[4:5], v30, s19, 0
	v_mov_b32_e32 v4, v19
	v_mad_u64_u32 v[20:21], s[4:5], v30, s20, v[4:5]
	v_mov_b32_e32 v4, v21
	v_mad_u64_u32 v[22:23], s[4:5], v30, s21, v[4:5]
	v_mov_b32_e32 v4, v23
	v_mad_u64_u32 v[24:25], s[4:5], v30, s22, v[4:5]
	v_mov_b32_e32 v4, v25
	v_mad_u64_u32 v[26:27], s[4:5], v30, s23, v[4:5]
	v_mov_b32_e32 v4, v27
	v_mad_u64_u32 v[28:29], s[4:5], v30, s24, v[4:5]
	v_mov_b32_e32 v4, v29
	v_mad_u64_u32 v[30:31], s[4:5], v30, s25, v[4:5]
	v_cndmask_b32_e32 v19, v28, v24, vcc
	v_cndmask_b32_e32 v4, v30, v26, vcc
	v_cndmask_b32_e32 v23, v31, v28, vcc
	v_cndmask_b32_e64 v21, v4, v19, s[0:1]
	v_cndmask_b32_e64 v4, v23, v4, s[0:1]
	v_cndmask_b32_e32 v23, v26, v22, vcc
	v_cndmask_b32_e64 v19, v19, v23, s[0:1]
	v_cndmask_b32_e32 v20, v24, v20, vcc
	v_cndmask_b32_e64 v4, v4, v21, s[2:3]
	v_cndmask_b32_e64 v21, v21, v19, s[2:3]
	v_sub_u32_e32 v25, 32, v32
	v_cndmask_b32_e64 v23, v23, v20, s[0:1]
	v_alignbit_b32 v26, v4, v21, v25
	v_cmp_eq_u32_e64 s[4:5], 0, v32
	v_cndmask_b32_e64 v19, v19, v23, s[2:3]
	v_cndmask_b32_e32 v18, v22, v18, vcc
	v_cndmask_b32_e64 v4, v26, v4, s[4:5]
	v_alignbit_b32 v24, v21, v19, v25
	v_cndmask_b32_e64 v18, v20, v18, s[0:1]
	v_cndmask_b32_e64 v21, v24, v21, s[4:5]
	v_bfe_u32 v27, v4, 29, 1
	v_cndmask_b32_e64 v18, v23, v18, s[2:3]
	v_alignbit_b32 v24, v4, v21, 30
	v_sub_u32_e32 v28, 0, v27
	v_alignbit_b32 v20, v19, v18, v25
	v_xor_b32_e32 v29, v24, v28
	v_cndmask_b32_e64 v19, v20, v19, s[4:5]
	v_alignbit_b32 v20, v21, v19, 30
	v_ffbh_u32_e32 v21, v29
	v_add_u32_e32 v21, 1, v21
	v_cmp_ne_u32_e32 vcc, v24, v28
	v_cndmask_b32_e32 v21, 33, v21, vcc
	v_alignbit_b32 v18, v19, v18, 30
	v_xor_b32_e32 v20, v20, v28
	v_sub_u32_e32 v22, 32, v21
	v_xor_b32_e32 v18, v18, v28
	v_alignbit_b32 v23, v29, v20, v22
	v_alignbit_b32 v18, v20, v18, v22
	;; [unrolled: 1-line block ×3, first 2 shown]
	v_ffbh_u32_e32 v20, v19
	v_min_u32_e32 v20, 32, v20
	v_lshrrev_b32_e32 v26, 29, v4
	v_sub_u32_e32 v22, 31, v20
	v_alignbit_b32 v18, v19, v18, v22
	v_lshlrev_b32_e32 v19, 31, v26
	v_or_b32_e32 v22, 0x33800000, v19
	v_add_lshl_u32 v20, v20, v21, 23
	v_lshrrev_b32_e32 v18, 9, v18
	v_sub_u32_e32 v20, v22, v20
	v_or_b32_e32 v18, v20, v18
	v_alignbit_b32 v20, v21, v23, 9
	v_or_b32_e32 v19, v20, v19
	v_xor_b32_e32 v19, 1.0, v19
	v_mul_f32_e32 v20, 0x3fc90fda, v19
	v_fma_f32 v21, v19, s26, -v20
	v_fmac_f32_e32 v21, 0x33a22168, v19
	v_fmac_f32_e32 v21, 0x3fc90fda, v18
	v_lshrrev_b32_e32 v4, 30, v4
	v_add_f32_e32 v19, v20, v21
	v_add_u32_e32 v18, v27, v4
.LBB221_47:                             ;   in Loop: Header=BB221_41 Depth=1
	s_andn2_saveexec_b64 s[0:1], s[10:11]
; %bb.48:                               ;   in Loop: Header=BB221_41 Depth=1
	v_mul_f32_e64 v4, |v1|, s27
	v_rndne_f32_e32 v4, v4
	v_cvt_i32_f32_e32 v18, v4
	v_fma_f32 v19, v4, s28, |v1|
	v_fmac_f32_e32 v19, 0xb3a22168, v4
	v_fmac_f32_e32 v19, 0xa7c234c4, v4
; %bb.49:                               ;   in Loop: Header=BB221_41 Depth=1
	s_or_b64 exec, exec, s[0:1]
	v_cmp_nlt_f32_e64 s[0:1], |v2|, s18
                                        ; implicit-def: $vgpr20
                                        ; implicit-def: $vgpr21
	s_and_saveexec_b64 s[2:3], s[0:1]
	s_xor_b64 s[10:11], exec, s[2:3]
	s_cbranch_execz .LBB221_51
; %bb.50:                               ;   in Loop: Header=BB221_41 Depth=1
	v_and_b32_e32 v4, 0x7fffffff, v2
	v_lshrrev_b32_e32 v20, 23, v4
	v_add_u32_e32 v20, 0xffffff88, v20
	v_cmp_lt_u32_e32 vcc, 63, v20
	v_cndmask_b32_e32 v21, 0, v13, vcc
	v_add_u32_e32 v20, v21, v20
	v_cmp_lt_u32_e64 s[0:1], 31, v20
	v_cndmask_b32_e64 v21, 0, v14, s[0:1]
	v_add_u32_e32 v20, v21, v20
	v_cmp_lt_u32_e64 s[2:3], 31, v20
	v_and_b32_e32 v4, 0x7fffff, v4
	v_cndmask_b32_e64 v21, 0, v14, s[2:3]
	v_or_b32_e32 v32, 0x800000, v4
	v_add_u32_e32 v34, v21, v20
	v_mad_u64_u32 v[20:21], s[4:5], v32, s19, 0
	v_mov_b32_e32 v4, v21
	v_mad_u64_u32 v[22:23], s[4:5], v32, s20, v[4:5]
	v_mov_b32_e32 v4, v23
	;; [unrolled: 2-line block ×6, first 2 shown]
	v_mad_u64_u32 v[32:33], s[4:5], v32, s25, v[4:5]
	v_cndmask_b32_e32 v21, v30, v26, vcc
	v_cndmask_b32_e32 v4, v32, v28, vcc
	;; [unrolled: 1-line block ×3, first 2 shown]
	v_cndmask_b32_e64 v23, v4, v21, s[0:1]
	v_cndmask_b32_e64 v4, v25, v4, s[0:1]
	v_cndmask_b32_e32 v25, v28, v24, vcc
	v_cndmask_b32_e64 v21, v21, v25, s[0:1]
	v_cndmask_b32_e32 v22, v26, v22, vcc
	v_cndmask_b32_e64 v4, v4, v23, s[2:3]
	v_cndmask_b32_e64 v23, v23, v21, s[2:3]
	v_sub_u32_e32 v27, 32, v34
	v_cndmask_b32_e64 v25, v25, v22, s[0:1]
	v_alignbit_b32 v28, v4, v23, v27
	v_cmp_eq_u32_e64 s[4:5], 0, v34
	v_cndmask_b32_e64 v21, v21, v25, s[2:3]
	v_cndmask_b32_e32 v20, v24, v20, vcc
	v_cndmask_b32_e64 v4, v28, v4, s[4:5]
	v_alignbit_b32 v26, v23, v21, v27
	v_cndmask_b32_e64 v20, v22, v20, s[0:1]
	v_cndmask_b32_e64 v23, v26, v23, s[4:5]
	v_bfe_u32 v29, v4, 29, 1
	v_cndmask_b32_e64 v20, v25, v20, s[2:3]
	v_alignbit_b32 v26, v4, v23, 30
	v_sub_u32_e32 v30, 0, v29
	v_alignbit_b32 v22, v21, v20, v27
	v_xor_b32_e32 v31, v26, v30
	v_cndmask_b32_e64 v21, v22, v21, s[4:5]
	v_alignbit_b32 v22, v23, v21, 30
	v_ffbh_u32_e32 v23, v31
	v_add_u32_e32 v23, 1, v23
	v_cmp_ne_u32_e32 vcc, v26, v30
	v_cndmask_b32_e32 v23, 33, v23, vcc
	v_alignbit_b32 v20, v21, v20, 30
	v_xor_b32_e32 v22, v22, v30
	v_sub_u32_e32 v24, 32, v23
	v_xor_b32_e32 v20, v20, v30
	v_alignbit_b32 v25, v31, v22, v24
	v_alignbit_b32 v20, v22, v20, v24
	;; [unrolled: 1-line block ×3, first 2 shown]
	v_ffbh_u32_e32 v22, v21
	v_min_u32_e32 v22, 32, v22
	v_lshrrev_b32_e32 v28, 29, v4
	v_sub_u32_e32 v24, 31, v22
	v_alignbit_b32 v20, v21, v20, v24
	v_lshlrev_b32_e32 v21, 31, v28
	v_or_b32_e32 v24, 0x33800000, v21
	v_add_lshl_u32 v22, v22, v23, 23
	v_lshrrev_b32_e32 v20, 9, v20
	v_sub_u32_e32 v22, v24, v22
	v_or_b32_e32 v20, v22, v20
	v_alignbit_b32 v22, v23, v25, 9
	v_or_b32_e32 v21, v22, v21
	v_xor_b32_e32 v21, 1.0, v21
	v_mul_f32_e32 v22, 0x3fc90fda, v21
	v_fma_f32 v23, v21, s26, -v22
	v_fmac_f32_e32 v23, 0x33a22168, v21
	v_fmac_f32_e32 v23, 0x3fc90fda, v20
	v_lshrrev_b32_e32 v4, 30, v4
	v_add_f32_e32 v21, v22, v23
	v_add_u32_e32 v20, v29, v4
.LBB221_51:                             ;   in Loop: Header=BB221_41 Depth=1
	s_andn2_saveexec_b64 s[0:1], s[10:11]
; %bb.52:                               ;   in Loop: Header=BB221_41 Depth=1
	v_mul_f32_e64 v4, |v2|, s27
	v_rndne_f32_e32 v4, v4
	v_cvt_i32_f32_e32 v20, v4
	v_fma_f32 v21, v4, s28, |v2|
	v_fmac_f32_e32 v21, 0xb3a22168, v4
	v_fmac_f32_e32 v21, 0xa7c234c4, v4
; %bb.53:                               ;   in Loop: Header=BB221_41 Depth=1
	s_or_b64 exec, exec, s[0:1]
	v_cmp_nlt_f32_e64 s[0:1], |v3|, s18
                                        ; implicit-def: $vgpr4
                                        ; implicit-def: $vgpr22
	s_and_saveexec_b64 s[2:3], s[0:1]
	s_xor_b64 s[10:11], exec, s[2:3]
	s_cbranch_execz .LBB221_55
; %bb.54:                               ;   in Loop: Header=BB221_41 Depth=1
	v_and_b32_e32 v4, 0x7fffffff, v3
	v_lshrrev_b32_e32 v22, 23, v4
	v_add_u32_e32 v22, 0xffffff88, v22
	v_cmp_lt_u32_e32 vcc, 63, v22
	v_cndmask_b32_e32 v23, 0, v13, vcc
	v_add_u32_e32 v22, v23, v22
	v_cmp_lt_u32_e64 s[0:1], 31, v22
	v_cndmask_b32_e64 v23, 0, v14, s[0:1]
	v_add_u32_e32 v22, v23, v22
	v_cmp_lt_u32_e64 s[2:3], 31, v22
	v_and_b32_e32 v4, 0x7fffff, v4
	v_cndmask_b32_e64 v23, 0, v14, s[2:3]
	v_or_b32_e32 v34, 0x800000, v4
	v_add_u32_e32 v36, v23, v22
	v_mad_u64_u32 v[22:23], s[4:5], v34, s19, 0
	v_mov_b32_e32 v4, v23
	v_mad_u64_u32 v[24:25], s[4:5], v34, s20, v[4:5]
	v_mov_b32_e32 v4, v25
	;; [unrolled: 2-line block ×6, first 2 shown]
	v_mad_u64_u32 v[34:35], s[4:5], v34, s25, v[4:5]
	v_cndmask_b32_e32 v23, v32, v28, vcc
	v_cndmask_b32_e32 v4, v34, v30, vcc
	;; [unrolled: 1-line block ×3, first 2 shown]
	v_cndmask_b32_e64 v25, v4, v23, s[0:1]
	v_cndmask_b32_e64 v4, v27, v4, s[0:1]
	v_cndmask_b32_e32 v27, v30, v26, vcc
	v_cndmask_b32_e64 v23, v23, v27, s[0:1]
	v_cndmask_b32_e32 v24, v28, v24, vcc
	v_cndmask_b32_e64 v4, v4, v25, s[2:3]
	v_cndmask_b32_e64 v25, v25, v23, s[2:3]
	v_sub_u32_e32 v29, 32, v36
	v_cndmask_b32_e64 v27, v27, v24, s[0:1]
	v_alignbit_b32 v30, v4, v25, v29
	v_cmp_eq_u32_e64 s[4:5], 0, v36
	v_cndmask_b32_e64 v23, v23, v27, s[2:3]
	v_cndmask_b32_e32 v22, v26, v22, vcc
	v_cndmask_b32_e64 v4, v30, v4, s[4:5]
	v_alignbit_b32 v28, v25, v23, v29
	v_cndmask_b32_e64 v22, v24, v22, s[0:1]
	v_cndmask_b32_e64 v25, v28, v25, s[4:5]
	v_bfe_u32 v31, v4, 29, 1
	v_cndmask_b32_e64 v22, v27, v22, s[2:3]
	v_alignbit_b32 v28, v4, v25, 30
	v_sub_u32_e32 v32, 0, v31
	v_alignbit_b32 v24, v23, v22, v29
	v_xor_b32_e32 v33, v28, v32
	v_cndmask_b32_e64 v23, v24, v23, s[4:5]
	v_alignbit_b32 v24, v25, v23, 30
	v_ffbh_u32_e32 v25, v33
	v_add_u32_e32 v25, 1, v25
	v_cmp_ne_u32_e32 vcc, v28, v32
	v_cndmask_b32_e32 v25, 33, v25, vcc
	v_alignbit_b32 v22, v23, v22, 30
	v_xor_b32_e32 v24, v24, v32
	v_sub_u32_e32 v26, 32, v25
	v_xor_b32_e32 v22, v22, v32
	v_alignbit_b32 v27, v33, v24, v26
	v_alignbit_b32 v22, v24, v22, v26
	;; [unrolled: 1-line block ×3, first 2 shown]
	v_ffbh_u32_e32 v24, v23
	v_min_u32_e32 v24, 32, v24
	v_lshrrev_b32_e32 v30, 29, v4
	v_sub_u32_e32 v26, 31, v24
	v_alignbit_b32 v22, v23, v22, v26
	v_lshlrev_b32_e32 v23, 31, v30
	v_or_b32_e32 v26, 0x33800000, v23
	v_add_lshl_u32 v24, v24, v25, 23
	v_lshrrev_b32_e32 v22, 9, v22
	v_sub_u32_e32 v24, v26, v24
	v_or_b32_e32 v22, v24, v22
	v_alignbit_b32 v24, v25, v27, 9
	v_or_b32_e32 v23, v24, v23
	v_xor_b32_e32 v23, 1.0, v23
	v_mul_f32_e32 v24, 0x3fc90fda, v23
	v_fma_f32 v25, v23, s26, -v24
	v_fmac_f32_e32 v25, 0x33a22168, v23
	v_fmac_f32_e32 v25, 0x3fc90fda, v22
	v_lshrrev_b32_e32 v4, 30, v4
	v_add_f32_e32 v22, v24, v25
	v_add_u32_e32 v4, v31, v4
.LBB221_55:                             ;   in Loop: Header=BB221_41 Depth=1
	s_andn2_saveexec_b64 s[0:1], s[10:11]
	s_cbranch_execz .LBB221_40
; %bb.56:                               ;   in Loop: Header=BB221_41 Depth=1
	v_mul_f32_e64 v4, |v3|, s27
	v_rndne_f32_e32 v23, v4
	v_cvt_i32_f32_e32 v4, v23
	v_fma_f32 v22, v23, s28, |v3|
	v_fmac_f32_e32 v22, 0xb3a22168, v23
	v_fmac_f32_e32 v22, 0xa7c234c4, v23
	s_branch .LBB221_40
.LBB221_57:
	s_endpgm
	.section	.rodata,"a",@progbits
	.p2align	6, 0x0
	.amdhsa_kernel _ZN2at6native12_GLOBAL__N_125multi_tensor_apply_kernelINS1_18TensorListMetadataILi1EEENS1_14UnaryOpFunctorIfLi1ELi1ELi0EEEJNS0_3CosIfEEEEEvT_T0_DpT1_
		.amdhsa_group_segment_fixed_size 0
		.amdhsa_private_segment_fixed_size 0
		.amdhsa_kernarg_size 3632
		.amdhsa_user_sgpr_count 6
		.amdhsa_user_sgpr_private_segment_buffer 1
		.amdhsa_user_sgpr_dispatch_ptr 0
		.amdhsa_user_sgpr_queue_ptr 0
		.amdhsa_user_sgpr_kernarg_segment_ptr 1
		.amdhsa_user_sgpr_dispatch_id 0
		.amdhsa_user_sgpr_flat_scratch_init 0
		.amdhsa_user_sgpr_kernarg_preload_length 0
		.amdhsa_user_sgpr_kernarg_preload_offset 0
		.amdhsa_user_sgpr_private_segment_size 0
		.amdhsa_uses_dynamic_stack 0
		.amdhsa_system_sgpr_private_segment_wavefront_offset 0
		.amdhsa_system_sgpr_workgroup_id_x 1
		.amdhsa_system_sgpr_workgroup_id_y 0
		.amdhsa_system_sgpr_workgroup_id_z 0
		.amdhsa_system_sgpr_workgroup_info 0
		.amdhsa_system_vgpr_workitem_id 0
		.amdhsa_next_free_vgpr 44
		.amdhsa_next_free_sgpr 48
		.amdhsa_accum_offset 44
		.amdhsa_reserve_vcc 1
		.amdhsa_reserve_flat_scratch 0
		.amdhsa_float_round_mode_32 0
		.amdhsa_float_round_mode_16_64 0
		.amdhsa_float_denorm_mode_32 3
		.amdhsa_float_denorm_mode_16_64 3
		.amdhsa_dx10_clamp 1
		.amdhsa_ieee_mode 1
		.amdhsa_fp16_overflow 0
		.amdhsa_tg_split 0
		.amdhsa_exception_fp_ieee_invalid_op 0
		.amdhsa_exception_fp_denorm_src 0
		.amdhsa_exception_fp_ieee_div_zero 0
		.amdhsa_exception_fp_ieee_overflow 0
		.amdhsa_exception_fp_ieee_underflow 0
		.amdhsa_exception_fp_ieee_inexact 0
		.amdhsa_exception_int_div_zero 0
	.end_amdhsa_kernel
	.section	.text._ZN2at6native12_GLOBAL__N_125multi_tensor_apply_kernelINS1_18TensorListMetadataILi1EEENS1_14UnaryOpFunctorIfLi1ELi1ELi0EEEJNS0_3CosIfEEEEEvT_T0_DpT1_,"axG",@progbits,_ZN2at6native12_GLOBAL__N_125multi_tensor_apply_kernelINS1_18TensorListMetadataILi1EEENS1_14UnaryOpFunctorIfLi1ELi1ELi0EEEJNS0_3CosIfEEEEEvT_T0_DpT1_,comdat
.Lfunc_end221:
	.size	_ZN2at6native12_GLOBAL__N_125multi_tensor_apply_kernelINS1_18TensorListMetadataILi1EEENS1_14UnaryOpFunctorIfLi1ELi1ELi0EEEJNS0_3CosIfEEEEEvT_T0_DpT1_, .Lfunc_end221-_ZN2at6native12_GLOBAL__N_125multi_tensor_apply_kernelINS1_18TensorListMetadataILi1EEENS1_14UnaryOpFunctorIfLi1ELi1ELi0EEEJNS0_3CosIfEEEEEvT_T0_DpT1_
                                        ; -- End function
	.section	.AMDGPU.csdata,"",@progbits
; Kernel info:
; codeLenInByte = 7200
; NumSgprs: 52
; NumVgprs: 44
; NumAgprs: 0
; TotalNumVgprs: 44
; ScratchSize: 0
; MemoryBound: 0
; FloatMode: 240
; IeeeMode: 1
; LDSByteSize: 0 bytes/workgroup (compile time only)
; SGPRBlocks: 6
; VGPRBlocks: 5
; NumSGPRsForWavesPerEU: 52
; NumVGPRsForWavesPerEU: 44
; AccumOffset: 44
; Occupancy: 8
; WaveLimiterHint : 0
; COMPUTE_PGM_RSRC2:SCRATCH_EN: 0
; COMPUTE_PGM_RSRC2:USER_SGPR: 6
; COMPUTE_PGM_RSRC2:TRAP_HANDLER: 0
; COMPUTE_PGM_RSRC2:TGID_X_EN: 1
; COMPUTE_PGM_RSRC2:TGID_Y_EN: 0
; COMPUTE_PGM_RSRC2:TGID_Z_EN: 0
; COMPUTE_PGM_RSRC2:TIDIG_COMP_CNT: 0
; COMPUTE_PGM_RSRC3_GFX90A:ACCUM_OFFSET: 10
; COMPUTE_PGM_RSRC3_GFX90A:TG_SPLIT: 0
	.section	.text._ZN2at6native12_GLOBAL__N_125multi_tensor_apply_kernelINS1_18TensorListMetadataILi1EEENS1_14UnaryOpFunctorIN3c107complexIdEELi1ELi1ELi0EEEJNS0_3CosIS8_EEEEEvT_T0_DpT1_,"axG",@progbits,_ZN2at6native12_GLOBAL__N_125multi_tensor_apply_kernelINS1_18TensorListMetadataILi1EEENS1_14UnaryOpFunctorIN3c107complexIdEELi1ELi1ELi0EEEJNS0_3CosIS8_EEEEEvT_T0_DpT1_,comdat
	.globl	_ZN2at6native12_GLOBAL__N_125multi_tensor_apply_kernelINS1_18TensorListMetadataILi1EEENS1_14UnaryOpFunctorIN3c107complexIdEELi1ELi1ELi0EEEJNS0_3CosIS8_EEEEEvT_T0_DpT1_ ; -- Begin function _ZN2at6native12_GLOBAL__N_125multi_tensor_apply_kernelINS1_18TensorListMetadataILi1EEENS1_14UnaryOpFunctorIN3c107complexIdEELi1ELi1ELi0EEEJNS0_3CosIS8_EEEEEvT_T0_DpT1_
	.p2align	8
	.type	_ZN2at6native12_GLOBAL__N_125multi_tensor_apply_kernelINS1_18TensorListMetadataILi1EEENS1_14UnaryOpFunctorIN3c107complexIdEELi1ELi1ELi0EEEJNS0_3CosIS8_EEEEEvT_T0_DpT1_,@function
_ZN2at6native12_GLOBAL__N_125multi_tensor_apply_kernelINS1_18TensorListMetadataILi1EEENS1_14UnaryOpFunctorIN3c107complexIdEELi1ELi1ELi0EEEJNS0_3CosIS8_EEEEEvT_T0_DpT1_: ; @_ZN2at6native12_GLOBAL__N_125multi_tensor_apply_kernelINS1_18TensorListMetadataILi1EEENS1_14UnaryOpFunctorIN3c107complexIdEELi1ELi1ELi0EEEJNS0_3CosIS8_EEEEEvT_T0_DpT1_
; %bb.0:
	v_mov_b32_e32 v54, v0
	v_mov_b32_e32 v0, s8
	global_load_ubyte v0, v0, s[4:5] offset:1760
	s_add_u32 flat_scratch_lo, s6, s9
	s_addc_u32 flat_scratch_hi, s7, 0
	s_add_u32 s0, s0, s9
	s_addc_u32 s1, s1, 0
	s_mov_b64 s[40:41], s[4:5]
	s_add_u32 s4, s40, s8
	s_mul_hi_u32 s5, s8, 3
	s_mul_i32 s8, s8, 3
	s_addc_u32 s6, s41, 0
	s_add_u32 s4, s4, s8
	s_addc_u32 s5, s6, s5
	s_load_dword s4, s[4:5], 0x820
	s_mov_b32 s9, 0
	s_mov_b32 s32, 0
	s_waitcnt vmcnt(0)
	v_readfirstlane_b32 s5, v0
	s_lshl_b32 s5, s5, 3
	s_load_dwordx2 s[50:51], s[40:41], s5 offset:0x0
	s_load_dwordx2 s[6:7], s[40:41], s5 offset:0x370
	s_waitcnt lgkmcnt(0)
	s_ashr_i32 s5, s4, 31
	s_lshl_b64 s[52:53], s[4:5], 20
	s_add_u32 s33, s50, s52
	s_addc_u32 s60, s51, s53
	s_lshl_b64 s[4:5], s[4:5], 16
	s_and_b32 s8, s33, 63
	s_sub_u32 s48, s6, s4
	s_subb_u32 s49, s7, s5
	s_and_b32 s4, s6, 3
	s_mov_b32 s5, s9
	s_or_b64 s[4:5], s[8:9], s[4:5]
	s_cmp_eq_u64 s[4:5], 0
	s_cbranch_scc1 .LBB222_21
; %bb.1:
	v_cmp_lt_i64_e64 s[4:5], s[48:49], 1
	s_and_b64 vcc, exec, s[4:5]
	s_cbranch_vccnz .LBB222_20
; %bb.2:
	s_load_dword s4, s[40:41], 0xd3c
	v_mov_b32_e32 v0, 0x10000
	v_mov_b32_e32 v1, 0
	v_cmp_lt_u64_e32 vcc, s[48:49], v[0:1]
	v_mov_b32_e32 v57, 0
	s_waitcnt lgkmcnt(0)
	s_and_b32 s6, s4, 0xffff
	s_and_b64 s[4:5], vcc, exec
	s_mul_i32 s8, s6, 3
	v_lshlrev_b32_e32 v56, 4, v54
	v_add_co_u32_e32 v41, vcc, s6, v54
	v_addc_co_u32_e64 v61, s[4:5], 0, 0, vcc
	v_mad_u64_u32 v[58:59], s[4:5], s6, 48, v[56:57]
	v_add_co_u32_e32 v57, vcc, s8, v54
	v_addc_co_u32_e64 v63, s[4:5], 0, 0, vcc
	s_cselect_b32 s55, s49, 0
	s_cselect_b32 s54, s48, 0x10000
	s_lshl_b32 s4, s6, 5
	s_lshl_b32 s7, s6, 1
	v_add_co_u32_e32 v0, vcc, s4, v56
	v_addc_co_u32_e64 v55, s[4:5], 0, 0, vcc
	v_add_co_u32_e32 v64, vcc, s7, v54
	s_lshl_b32 s61, s6, 2
	s_lshl_b32 s62, s6, 6
	v_or_b32_e32 v58, 8, v58
	v_lshlrev_b32_e32 v60, 4, v41
	v_or_b32_e32 v62, 8, v0
	v_addc_co_u32_e64 v65, s[4:5], 0, 0, vcc
	s_mov_b64 s[56:57], 0
	s_branch .LBB222_4
.LBB222_3:                              ;   in Loop: Header=BB222_4 Depth=1
	s_or_b64 exec, exec, s[44:45]
	s_add_u32 s56, s56, s61
	s_addc_u32 s57, s57, 0
	v_pk_mov_b32 v[0:1], s[48:49], s[48:49] op_sel:[0,1]
	v_cmp_lt_i64_e32 vcc, s[56:57], v[0:1]
	v_mov_b32_e32 v0, 0x10000
	v_mov_b32_e32 v1, 0
	v_cmp_lt_u64_e64 s[4:5], s[56:57], v[0:1]
	s_and_b64 s[4:5], vcc, s[4:5]
	s_add_u32 s33, s33, s62
	s_addc_u32 s60, s60, 0
	s_and_b64 vcc, exec, s[4:5]
	s_cbranch_vccz .LBB222_20
.LBB222_4:                              ; =>This Inner Loop Header: Depth=1
	v_mov_b32_e32 v1, s57
	v_add_co_u32_e32 v0, vcc, s56, v54
	v_addc_co_u32_e32 v1, vcc, 0, v1, vcc
	s_waitcnt vmcnt(0)
	v_pk_mov_b32 v[48:49], 0, 0
	v_cmp_gt_u64_e32 vcc, s[54:55], v[0:1]
	v_pk_mov_b32 v[4:5], v[48:49], v[48:49] op_sel:[0,1]
	v_pk_mov_b32 v[2:3], v[48:49], v[48:49] op_sel:[0,1]
	s_and_saveexec_b64 s[6:7], vcc
	s_cbranch_execz .LBB222_6
; %bb.5:                                ;   in Loop: Header=BB222_4 Depth=1
	v_mov_b32_e32 v1, s60
	v_add_co_u32_e64 v0, s[4:5], s33, v56
	v_addc_co_u32_e64 v1, s[4:5], 0, v1, s[4:5]
	global_load_dwordx4 v[2:5], v[0:1], off
.LBB222_6:                              ;   in Loop: Header=BB222_4 Depth=1
	s_or_b64 exec, exec, s[6:7]
	v_mov_b32_e32 v1, s57
	v_add_co_u32_e64 v0, s[4:5], s56, v41
	v_addc_co_u32_e64 v1, s[4:5], v61, v1, s[4:5]
	v_cmp_gt_u64_e64 s[46:47], s[54:55], v[0:1]
	v_pk_mov_b32 v[46:47], v[48:49], v[48:49] op_sel:[0,1]
	s_and_saveexec_b64 s[6:7], s[46:47]
	s_cbranch_execz .LBB222_8
; %bb.7:                                ;   in Loop: Header=BB222_4 Depth=1
	v_mov_b32_e32 v1, s60
	v_add_co_u32_e64 v0, s[4:5], s33, v60
	v_addc_co_u32_e64 v1, s[4:5], 0, v1, s[4:5]
	global_load_dwordx4 v[46:49], v[0:1], off
.LBB222_8:                              ;   in Loop: Header=BB222_4 Depth=1
	s_or_b64 exec, exec, s[6:7]
	v_mov_b32_e32 v1, s57
	v_add_co_u32_e64 v0, s[4:5], s56, v64
	v_addc_co_u32_e64 v1, s[4:5], v65, v1, s[4:5]
	v_pk_mov_b32 v[44:45], 0, 0
	v_cmp_gt_u64_e64 s[44:45], s[54:55], v[0:1]
	v_pk_mov_b32 v[52:53], v[44:45], v[44:45] op_sel:[0,1]
	v_pk_mov_b32 v[50:51], v[44:45], v[44:45] op_sel:[0,1]
	s_and_saveexec_b64 s[6:7], s[44:45]
	s_cbranch_execz .LBB222_10
; %bb.9:                                ;   in Loop: Header=BB222_4 Depth=1
	v_mov_b32_e32 v1, s60
	v_add_co_u32_e64 v0, s[4:5], s33, v62
	v_addc_co_u32_e64 v1, s[4:5], v1, v55, s[4:5]
	global_load_dwordx4 v[50:53], v[0:1], off offset:-8
.LBB222_10:                             ;   in Loop: Header=BB222_4 Depth=1
	s_or_b64 exec, exec, s[6:7]
	v_mov_b32_e32 v1, s57
	v_add_co_u32_e64 v0, s[4:5], s56, v57
	v_addc_co_u32_e64 v1, s[4:5], v63, v1, s[4:5]
	v_cmp_gt_u64_e64 s[42:43], s[54:55], v[0:1]
	v_pk_mov_b32 v[42:43], v[44:45], v[44:45] op_sel:[0,1]
	s_and_saveexec_b64 s[6:7], s[42:43]
	s_cbranch_execnz .LBB222_15
; %bb.11:                               ;   in Loop: Header=BB222_4 Depth=1
	s_or_b64 exec, exec, s[6:7]
	s_and_saveexec_b64 s[58:59], vcc
	s_cbranch_execnz .LBB222_16
.LBB222_12:                             ;   in Loop: Header=BB222_4 Depth=1
	s_or_b64 exec, exec, s[58:59]
	s_and_saveexec_b64 s[58:59], s[46:47]
	s_cbranch_execnz .LBB222_17
.LBB222_13:                             ;   in Loop: Header=BB222_4 Depth=1
	s_or_b64 exec, exec, s[58:59]
	s_and_saveexec_b64 s[46:47], s[44:45]
	s_cbranch_execnz .LBB222_18
.LBB222_14:                             ;   in Loop: Header=BB222_4 Depth=1
	s_or_b64 exec, exec, s[46:47]
	s_and_saveexec_b64 s[44:45], s[42:43]
	s_cbranch_execz .LBB222_3
	s_branch .LBB222_19
.LBB222_15:                             ;   in Loop: Header=BB222_4 Depth=1
	v_mov_b32_e32 v1, s60
	v_add_co_u32_e64 v0, s[4:5], s33, v58
	v_addc_co_u32_e64 v1, s[4:5], v1, v59, s[4:5]
	global_load_dwordx4 v[42:45], v[0:1], off offset:-8
	s_or_b64 exec, exec, s[6:7]
	s_and_saveexec_b64 s[58:59], vcc
	s_cbranch_execz .LBB222_12
.LBB222_16:                             ;   in Loop: Header=BB222_4 Depth=1
	s_waitcnt vmcnt(0)
	v_xor_b32_e32 v1, 0x80000000, v5
	v_mov_b32_e32 v0, v4
	s_getpc_b64 s[4:5]
	s_add_u32 s4, s4, _ZN6thrust23THRUST_200600_302600_NS6detail7complex5ccoshERKNS0_7complexIdEE@rel32@lo+4
	s_addc_u32 s5, s5, _ZN6thrust23THRUST_200600_302600_NS6detail7complex5ccoshERKNS0_7complexIdEE@rel32@hi+12
	s_swappc_b64 s[30:31], s[4:5]
	v_mov_b32_e32 v5, s60
	v_add_co_u32_e32 v4, vcc, s33, v56
	v_addc_co_u32_e32 v5, vcc, 0, v5, vcc
	global_store_dwordx4 v[4:5], v[0:3], off
	s_or_b64 exec, exec, s[58:59]
	s_and_saveexec_b64 s[58:59], s[46:47]
	s_cbranch_execz .LBB222_13
.LBB222_17:                             ;   in Loop: Header=BB222_4 Depth=1
	s_waitcnt vmcnt(0)
	v_xor_b32_e32 v1, 0x80000000, v49
	v_mov_b32_e32 v0, v48
	v_mov_b32_e32 v2, v46
	;; [unrolled: 1-line block ×3, first 2 shown]
	s_getpc_b64 s[4:5]
	s_add_u32 s4, s4, _ZN6thrust23THRUST_200600_302600_NS6detail7complex5ccoshERKNS0_7complexIdEE@rel32@lo+4
	s_addc_u32 s5, s5, _ZN6thrust23THRUST_200600_302600_NS6detail7complex5ccoshERKNS0_7complexIdEE@rel32@hi+12
	s_swappc_b64 s[30:31], s[4:5]
	v_mov_b32_e32 v5, s60
	v_add_co_u32_e32 v4, vcc, s33, v60
	v_addc_co_u32_e32 v5, vcc, 0, v5, vcc
	global_store_dwordx4 v[4:5], v[0:3], off
	s_or_b64 exec, exec, s[58:59]
	s_and_saveexec_b64 s[46:47], s[44:45]
	s_cbranch_execz .LBB222_14
.LBB222_18:                             ;   in Loop: Header=BB222_4 Depth=1
	s_waitcnt vmcnt(0)
	v_xor_b32_e32 v1, 0x80000000, v53
	v_mov_b32_e32 v0, v52
	v_mov_b32_e32 v2, v50
	;; [unrolled: 1-line block ×3, first 2 shown]
	s_getpc_b64 s[4:5]
	s_add_u32 s4, s4, _ZN6thrust23THRUST_200600_302600_NS6detail7complex5ccoshERKNS0_7complexIdEE@rel32@lo+4
	s_addc_u32 s5, s5, _ZN6thrust23THRUST_200600_302600_NS6detail7complex5ccoshERKNS0_7complexIdEE@rel32@hi+12
	s_swappc_b64 s[30:31], s[4:5]
	v_mov_b32_e32 v5, s60
	v_add_co_u32_e32 v4, vcc, s33, v62
	v_addc_co_u32_e32 v5, vcc, v5, v55, vcc
	global_store_dwordx4 v[4:5], v[0:3], off offset:-8
	s_or_b64 exec, exec, s[46:47]
	s_and_saveexec_b64 s[44:45], s[42:43]
	s_cbranch_execz .LBB222_3
.LBB222_19:                             ;   in Loop: Header=BB222_4 Depth=1
	s_waitcnt vmcnt(0)
	v_xor_b32_e32 v1, 0x80000000, v45
	v_mov_b32_e32 v0, v44
	v_mov_b32_e32 v2, v42
	;; [unrolled: 1-line block ×3, first 2 shown]
	s_getpc_b64 s[4:5]
	s_add_u32 s4, s4, _ZN6thrust23THRUST_200600_302600_NS6detail7complex5ccoshERKNS0_7complexIdEE@rel32@lo+4
	s_addc_u32 s5, s5, _ZN6thrust23THRUST_200600_302600_NS6detail7complex5ccoshERKNS0_7complexIdEE@rel32@hi+12
	s_swappc_b64 s[30:31], s[4:5]
	v_mov_b32_e32 v5, s60
	v_add_co_u32_e32 v4, vcc, s33, v58
	v_addc_co_u32_e32 v5, vcc, v5, v59, vcc
	global_store_dwordx4 v[4:5], v[0:3], off offset:-8
	s_branch .LBB222_3
.LBB222_20:
	s_cbranch_execz .LBB222_22
	s_branch .LBB222_25
.LBB222_21:
.LBB222_22:
	v_mov_b32_e32 v59, 0
	v_lshlrev_b32_e32 v58, 2, v54
	s_mov_b32 s4, 0
	v_cmp_gt_i64_e32 vcc, s[48:49], v[58:59]
	s_and_saveexec_b64 s[6:7], vcc
	s_cbranch_execz .LBB222_25
; %bb.23:
	s_load_dword s5, s[40:41], 0xd3c
	v_lshlrev_b32_e32 v0, 6, v54
	s_mov_b64 s[40:41], 0
	s_mov_b64 s[42:43], 0xffff
	v_mov_b32_e32 v41, s4
	s_waitcnt lgkmcnt(0)
	s_and_b32 s5, s5, 0xffff
	s_lshl_b32 s33, s5, 2
	s_add_u32 s6, s50, s52
	s_addc_u32 s7, s51, s53
	v_mov_b32_e32 v1, s7
	v_add_co_u32_e32 v60, vcc, s6, v0
	v_add_lshl_u32 v58, v54, s5, 2
	v_addc_co_u32_e32 v61, vcc, 0, v1, vcc
	s_lshl_b32 s44, s5, 6
	v_mov_b32_e32 v62, s4
.LBB222_24:                             ; =>This Inner Loop Header: Depth=1
	global_load_dwordx4 v[2:5], v[60:61], off
	global_load_dwordx4 v[42:45], v[60:61], off offset:16
	global_load_dwordx4 v[46:49], v[60:61], off offset:48
	;; [unrolled: 1-line block ×3, first 2 shown]
	s_getpc_b64 s[46:47]
	s_add_u32 s46, s46, _ZN6thrust23THRUST_200600_302600_NS6detail7complex5ccoshERKNS0_7complexIdEE@rel32@lo+4
	s_addc_u32 s47, s47, _ZN6thrust23THRUST_200600_302600_NS6detail7complex5ccoshERKNS0_7complexIdEE@rel32@hi+12
	s_waitcnt vmcnt(3)
	v_xor_b32_e32 v1, 0x80000000, v5
	v_mov_b32_e32 v0, v4
	s_swappc_b64 s[30:31], s[46:47]
	v_mov_b32_e32 v54, v0
	v_mov_b32_e32 v55, v1
	v_mov_b32_e32 v56, v2
	v_mov_b32_e32 v57, v3
	v_xor_b32_e32 v1, 0x80000000, v45
	v_mov_b32_e32 v0, v44
	v_mov_b32_e32 v2, v42
	v_mov_b32_e32 v3, v43
	s_swappc_b64 s[30:31], s[46:47]
	v_mov_b32_e32 v42, v0
	v_mov_b32_e32 v43, v1
	v_mov_b32_e32 v44, v2
	v_mov_b32_e32 v45, v3
	v_xor_b32_e32 v1, 0x80000000, v53
	v_mov_b32_e32 v0, v52
	v_mov_b32_e32 v2, v50
	v_mov_b32_e32 v3, v51
	s_swappc_b64 s[30:31], s[46:47]
	v_mov_b32_e32 v50, v0
	v_mov_b32_e32 v51, v1
	v_mov_b32_e32 v52, v2
	v_mov_b32_e32 v53, v3
	v_xor_b32_e32 v1, 0x80000000, v49
	v_mov_b32_e32 v0, v48
	v_mov_b32_e32 v2, v46
	v_mov_b32_e32 v3, v47
	s_swappc_b64 s[30:31], s[46:47]
	v_cmp_le_i64_e32 vcc, s[48:49], v[58:59]
	v_cmp_lt_u64_e64 s[4:5], s[42:43], v[58:59]
	s_or_b64 s[4:5], vcc, s[4:5]
	global_store_dwordx4 v[60:61], v[54:57], off
	global_store_dwordx4 v[60:61], v[42:45], off offset:16
	global_store_dwordx4 v[60:61], v[50:53], off offset:32
	v_add_co_u32_e64 v58, s[6:7], s33, v58
	global_store_dwordx4 v[60:61], v[0:3], off offset:48
	v_add_co_u32_e32 v60, vcc, s44, v60
	s_and_b64 s[4:5], exec, s[4:5]
	v_addc_co_u32_e64 v59, s[6:7], v59, v41, s[6:7]
	s_or_b64 s[40:41], s[4:5], s[40:41]
	v_addc_co_u32_e32 v61, vcc, v61, v62, vcc
	s_andn2_b64 exec, exec, s[40:41]
	s_cbranch_execnz .LBB222_24
.LBB222_25:
	s_endpgm
	.section	.rodata,"a",@progbits
	.p2align	6, 0x0
	.amdhsa_kernel _ZN2at6native12_GLOBAL__N_125multi_tensor_apply_kernelINS1_18TensorListMetadataILi1EEENS1_14UnaryOpFunctorIN3c107complexIdEELi1ELi1ELi0EEEJNS0_3CosIS8_EEEEEvT_T0_DpT1_
		.amdhsa_group_segment_fixed_size 0
		.amdhsa_private_segment_fixed_size 8
		.amdhsa_kernarg_size 3632
		.amdhsa_user_sgpr_count 8
		.amdhsa_user_sgpr_private_segment_buffer 1
		.amdhsa_user_sgpr_dispatch_ptr 0
		.amdhsa_user_sgpr_queue_ptr 0
		.amdhsa_user_sgpr_kernarg_segment_ptr 1
		.amdhsa_user_sgpr_dispatch_id 0
		.amdhsa_user_sgpr_flat_scratch_init 1
		.amdhsa_user_sgpr_kernarg_preload_length 0
		.amdhsa_user_sgpr_kernarg_preload_offset 0
		.amdhsa_user_sgpr_private_segment_size 0
		.amdhsa_uses_dynamic_stack 0
		.amdhsa_system_sgpr_private_segment_wavefront_offset 1
		.amdhsa_system_sgpr_workgroup_id_x 1
		.amdhsa_system_sgpr_workgroup_id_y 0
		.amdhsa_system_sgpr_workgroup_id_z 0
		.amdhsa_system_sgpr_workgroup_info 0
		.amdhsa_system_vgpr_workitem_id 0
		.amdhsa_next_free_vgpr 66
		.amdhsa_next_free_sgpr 63
		.amdhsa_accum_offset 68
		.amdhsa_reserve_vcc 1
		.amdhsa_reserve_flat_scratch 1
		.amdhsa_float_round_mode_32 0
		.amdhsa_float_round_mode_16_64 0
		.amdhsa_float_denorm_mode_32 3
		.amdhsa_float_denorm_mode_16_64 3
		.amdhsa_dx10_clamp 1
		.amdhsa_ieee_mode 1
		.amdhsa_fp16_overflow 0
		.amdhsa_tg_split 0
		.amdhsa_exception_fp_ieee_invalid_op 0
		.amdhsa_exception_fp_denorm_src 0
		.amdhsa_exception_fp_ieee_div_zero 0
		.amdhsa_exception_fp_ieee_overflow 0
		.amdhsa_exception_fp_ieee_underflow 0
		.amdhsa_exception_fp_ieee_inexact 0
		.amdhsa_exception_int_div_zero 0
	.end_amdhsa_kernel
	.section	.text._ZN2at6native12_GLOBAL__N_125multi_tensor_apply_kernelINS1_18TensorListMetadataILi1EEENS1_14UnaryOpFunctorIN3c107complexIdEELi1ELi1ELi0EEEJNS0_3CosIS8_EEEEEvT_T0_DpT1_,"axG",@progbits,_ZN2at6native12_GLOBAL__N_125multi_tensor_apply_kernelINS1_18TensorListMetadataILi1EEENS1_14UnaryOpFunctorIN3c107complexIdEELi1ELi1ELi0EEEJNS0_3CosIS8_EEEEEvT_T0_DpT1_,comdat
.Lfunc_end222:
	.size	_ZN2at6native12_GLOBAL__N_125multi_tensor_apply_kernelINS1_18TensorListMetadataILi1EEENS1_14UnaryOpFunctorIN3c107complexIdEELi1ELi1ELi0EEEJNS0_3CosIS8_EEEEEvT_T0_DpT1_, .Lfunc_end222-_ZN2at6native12_GLOBAL__N_125multi_tensor_apply_kernelINS1_18TensorListMetadataILi1EEENS1_14UnaryOpFunctorIN3c107complexIdEELi1ELi1ELi0EEEJNS0_3CosIS8_EEEEEvT_T0_DpT1_
                                        ; -- End function
	.section	.AMDGPU.csdata,"",@progbits
; Kernel info:
; codeLenInByte = 1484
; NumSgprs: 69
; NumVgprs: 66
; NumAgprs: 0
; TotalNumVgprs: 66
; ScratchSize: 8
; MemoryBound: 1
; FloatMode: 240
; IeeeMode: 1
; LDSByteSize: 0 bytes/workgroup (compile time only)
; SGPRBlocks: 8
; VGPRBlocks: 8
; NumSGPRsForWavesPerEU: 69
; NumVGPRsForWavesPerEU: 66
; AccumOffset: 68
; Occupancy: 7
; WaveLimiterHint : 0
; COMPUTE_PGM_RSRC2:SCRATCH_EN: 1
; COMPUTE_PGM_RSRC2:USER_SGPR: 8
; COMPUTE_PGM_RSRC2:TRAP_HANDLER: 0
; COMPUTE_PGM_RSRC2:TGID_X_EN: 1
; COMPUTE_PGM_RSRC2:TGID_Y_EN: 0
; COMPUTE_PGM_RSRC2:TGID_Z_EN: 0
; COMPUTE_PGM_RSRC2:TIDIG_COMP_CNT: 0
; COMPUTE_PGM_RSRC3_GFX90A:ACCUM_OFFSET: 16
; COMPUTE_PGM_RSRC3_GFX90A:TG_SPLIT: 0
	.section	.text._ZN2at6native12_GLOBAL__N_125multi_tensor_apply_kernelINS1_18TensorListMetadataILi1EEENS1_14UnaryOpFunctorIN3c107complexIfEELi1ELi1ELi0EEEJNS0_3CosIS8_EEEEEvT_T0_DpT1_,"axG",@progbits,_ZN2at6native12_GLOBAL__N_125multi_tensor_apply_kernelINS1_18TensorListMetadataILi1EEENS1_14UnaryOpFunctorIN3c107complexIfEELi1ELi1ELi0EEEJNS0_3CosIS8_EEEEEvT_T0_DpT1_,comdat
	.globl	_ZN2at6native12_GLOBAL__N_125multi_tensor_apply_kernelINS1_18TensorListMetadataILi1EEENS1_14UnaryOpFunctorIN3c107complexIfEELi1ELi1ELi0EEEJNS0_3CosIS8_EEEEEvT_T0_DpT1_ ; -- Begin function _ZN2at6native12_GLOBAL__N_125multi_tensor_apply_kernelINS1_18TensorListMetadataILi1EEENS1_14UnaryOpFunctorIN3c107complexIfEELi1ELi1ELi0EEEJNS0_3CosIS8_EEEEEvT_T0_DpT1_
	.p2align	8
	.type	_ZN2at6native12_GLOBAL__N_125multi_tensor_apply_kernelINS1_18TensorListMetadataILi1EEENS1_14UnaryOpFunctorIN3c107complexIfEELi1ELi1ELi0EEEJNS0_3CosIS8_EEEEEvT_T0_DpT1_,@function
_ZN2at6native12_GLOBAL__N_125multi_tensor_apply_kernelINS1_18TensorListMetadataILi1EEENS1_14UnaryOpFunctorIN3c107complexIfEELi1ELi1ELi0EEEJNS0_3CosIS8_EEEEEvT_T0_DpT1_: ; @_ZN2at6native12_GLOBAL__N_125multi_tensor_apply_kernelINS1_18TensorListMetadataILi1EEENS1_14UnaryOpFunctorIN3c107complexIfEELi1ELi1ELi0EEEJNS0_3CosIS8_EEEEEvT_T0_DpT1_
; %bb.0:
	v_mov_b32_e32 v22, v0
	v_mov_b32_e32 v0, s8
	global_load_ubyte v0, v0, s[4:5] offset:1760
	s_add_u32 flat_scratch_lo, s6, s9
	s_addc_u32 flat_scratch_hi, s7, 0
	s_add_u32 s0, s0, s9
	s_addc_u32 s1, s1, 0
	s_mov_b64 s[26:27], s[4:5]
	s_add_u32 s4, s26, s8
	s_mul_hi_u32 s5, s8, 3
	s_mul_i32 s8, s8, 3
	s_addc_u32 s6, s27, 0
	s_add_u32 s4, s4, s8
	s_addc_u32 s5, s6, s5
	s_load_dword s4, s[4:5], 0x820
	s_mov_b32 s9, 0
	s_mov_b32 s32, 0
	s_waitcnt vmcnt(0)
	v_readfirstlane_b32 s5, v0
	s_lshl_b32 s5, s5, 3
	s_load_dwordx2 s[40:41], s[26:27], s5 offset:0x0
	s_load_dwordx2 s[6:7], s[26:27], s5 offset:0x370
	s_waitcnt lgkmcnt(0)
	s_ashr_i32 s5, s4, 31
	s_lshl_b64 s[42:43], s[4:5], 19
	s_add_u32 s33, s40, s42
	s_addc_u32 s50, s41, s43
	s_lshl_b64 s[4:5], s[4:5], 16
	s_and_b32 s8, s33, 31
	s_sub_u32 s38, s6, s4
	s_subb_u32 s39, s7, s5
	s_and_b32 s4, s6, 3
	s_mov_b32 s5, s9
	s_or_b64 s[4:5], s[8:9], s[4:5]
	s_cmp_eq_u64 s[4:5], 0
	s_cbranch_scc1 .LBB223_21
; %bb.1:
	v_cmp_lt_i64_e64 s[4:5], s[38:39], 1
	s_and_b64 vcc, exec, s[4:5]
	s_cbranch_vccnz .LBB223_20
; %bb.2:
	s_load_dword s4, s[26:27], 0xd3c
	v_mov_b32_e32 v0, 0x10000
	v_mov_b32_e32 v1, 0
	v_cmp_lt_u64_e32 vcc, s[38:39], v[0:1]
	v_mov_b32_e32 v25, 0
	s_waitcnt lgkmcnt(0)
	s_and_b32 s6, s4, 0xffff
	s_mul_i32 s8, s6, 3
	s_and_b64 s[4:5], vcc, exec
	v_lshlrev_b32_e32 v24, 3, v22
	v_add_co_u32_e32 v23, vcc, s8, v22
	v_mad_u64_u32 v[26:27], s[4:5], s6, 24, v[24:25]
	v_addc_co_u32_e64 v25, s[4:5], 0, 0, vcc
	s_cselect_b32 s45, s39, 0
	s_cselect_b32 s44, s38, 0x10000
	s_lshl_b32 s4, s6, 4
	s_lshl_b32 s7, s6, 1
	v_add_co_u32_e32 v29, vcc, s4, v24
	v_addc_co_u32_e64 v38, s[4:5], 0, 0, vcc
	v_add_co_u32_e32 v39, vcc, s7, v22
	v_addc_co_u32_e64 v40, s[4:5], 0, 0, vcc
	v_add_co_u32_e32 v41, vcc, s6, v22
	s_lshl_b32 s51, s6, 2
	s_lshl_b32 s52, s6, 5
	v_addc_co_u32_e64 v42, s[4:5], 0, 0, vcc
	v_lshlrev_b32_e32 v28, 3, v41
	s_mov_b64 s[46:47], 0
	v_pk_mov_b32 v[30:31], s[38:39], s[38:39] op_sel:[0,1]
	s_branch .LBB223_4
.LBB223_3:                              ;   in Loop: Header=BB223_4 Depth=1
	s_or_b64 exec, exec, s[28:29]
	s_add_u32 s46, s46, s51
	v_mov_b32_e32 v0, 0x10000
	s_addc_u32 s47, s47, 0
	v_mov_b32_e32 v1, 0
	v_cmp_lt_i64_e32 vcc, s[46:47], v[30:31]
	v_cmp_lt_u64_e64 s[4:5], s[46:47], v[0:1]
	s_and_b64 s[4:5], vcc, s[4:5]
	s_add_u32 s33, s33, s52
	s_addc_u32 s50, s50, 0
	s_and_b64 vcc, exec, s[4:5]
	s_cbranch_vccz .LBB223_20
.LBB223_4:                              ; =>This Inner Loop Header: Depth=1
	v_mov_b32_e32 v1, s47
	v_add_co_u32_e32 v0, vcc, s46, v22
	v_addc_co_u32_e32 v1, vcc, 0, v1, vcc
	v_cmp_gt_u64_e32 vcc, s[44:45], v[0:1]
	s_waitcnt vmcnt(0)
	v_mov_b32_e32 v2, 0
	v_mov_b32_e32 v3, 0
	s_and_saveexec_b64 s[6:7], vcc
	s_cbranch_execz .LBB223_6
; %bb.5:                                ;   in Loop: Header=BB223_4 Depth=1
	v_mov_b32_e32 v1, s50
	v_add_co_u32_e64 v0, s[4:5], s33, v24
	v_addc_co_u32_e64 v1, s[4:5], 0, v1, s[4:5]
	global_load_dwordx2 v[2:3], v[0:1], off
.LBB223_6:                              ;   in Loop: Header=BB223_4 Depth=1
	s_or_b64 exec, exec, s[6:7]
	v_mov_b32_e32 v1, s47
	v_add_co_u32_e64 v0, s[4:5], s46, v41
	v_addc_co_u32_e64 v1, s[4:5], v42, v1, s[4:5]
	v_cmp_gt_u64_e64 s[28:29], s[44:45], v[0:1]
	v_mov_b32_e32 v32, 0
	v_mov_b32_e32 v34, 0
	;; [unrolled: 1-line block ×3, first 2 shown]
	s_and_saveexec_b64 s[6:7], s[28:29]
	s_cbranch_execz .LBB223_8
; %bb.7:                                ;   in Loop: Header=BB223_4 Depth=1
	v_mov_b32_e32 v1, s50
	v_add_co_u32_e64 v0, s[4:5], s33, v28
	v_addc_co_u32_e64 v1, s[4:5], 0, v1, s[4:5]
	global_load_dwordx2 v[34:35], v[0:1], off
.LBB223_8:                              ;   in Loop: Header=BB223_4 Depth=1
	s_or_b64 exec, exec, s[6:7]
	v_mov_b32_e32 v1, s47
	v_add_co_u32_e64 v0, s[4:5], s46, v39
	v_addc_co_u32_e64 v1, s[4:5], v40, v1, s[4:5]
	v_cmp_gt_u64_e64 s[34:35], s[44:45], v[0:1]
	v_mov_b32_e32 v33, 0
	s_and_saveexec_b64 s[6:7], s[34:35]
	s_cbranch_execz .LBB223_10
; %bb.9:                                ;   in Loop: Header=BB223_4 Depth=1
	v_mov_b32_e32 v1, s50
	v_add_co_u32_e64 v0, s[4:5], s33, v29
	v_addc_co_u32_e64 v1, s[4:5], v1, v38, s[4:5]
	global_load_dwordx2 v[32:33], v[0:1], off
.LBB223_10:                             ;   in Loop: Header=BB223_4 Depth=1
	s_or_b64 exec, exec, s[6:7]
	v_mov_b32_e32 v1, s47
	v_add_co_u32_e64 v0, s[4:5], s46, v23
	v_addc_co_u32_e64 v1, s[4:5], v25, v1, s[4:5]
	v_cmp_gt_u64_e64 s[36:37], s[44:45], v[0:1]
	v_mov_b32_e32 v36, 0
	v_mov_b32_e32 v37, 0
	s_and_saveexec_b64 s[6:7], s[36:37]
	s_cbranch_execnz .LBB223_15
; %bb.11:                               ;   in Loop: Header=BB223_4 Depth=1
	s_or_b64 exec, exec, s[6:7]
	s_and_saveexec_b64 s[48:49], vcc
	s_cbranch_execnz .LBB223_16
.LBB223_12:                             ;   in Loop: Header=BB223_4 Depth=1
	s_or_b64 exec, exec, s[48:49]
	s_and_saveexec_b64 s[48:49], s[28:29]
	s_cbranch_execnz .LBB223_17
.LBB223_13:                             ;   in Loop: Header=BB223_4 Depth=1
	s_or_b64 exec, exec, s[48:49]
	s_and_saveexec_b64 s[28:29], s[34:35]
	s_cbranch_execnz .LBB223_18
.LBB223_14:                             ;   in Loop: Header=BB223_4 Depth=1
	s_or_b64 exec, exec, s[28:29]
	s_and_saveexec_b64 s[28:29], s[36:37]
	s_cbranch_execz .LBB223_3
	s_branch .LBB223_19
.LBB223_15:                             ;   in Loop: Header=BB223_4 Depth=1
	v_mov_b32_e32 v1, s50
	v_add_co_u32_e64 v0, s[4:5], s33, v26
	v_addc_co_u32_e64 v1, s[4:5], v1, v27, s[4:5]
	global_load_dwordx2 v[36:37], v[0:1], off
	s_or_b64 exec, exec, s[6:7]
	s_and_saveexec_b64 s[48:49], vcc
	s_cbranch_execz .LBB223_12
.LBB223_16:                             ;   in Loop: Header=BB223_4 Depth=1
	s_waitcnt vmcnt(0)
	v_xor_b32_e32 v0, 0x80000000, v3
	v_mov_b32_e32 v1, v2
	s_getpc_b64 s[4:5]
	s_add_u32 s4, s4, _ZN6thrust23THRUST_200600_302600_NS6detail7complex6ccoshfERKNS0_7complexIfEE@rel32@lo+4
	s_addc_u32 s5, s5, _ZN6thrust23THRUST_200600_302600_NS6detail7complex6ccoshfERKNS0_7complexIfEE@rel32@hi+12
	s_swappc_b64 s[30:31], s[4:5]
	v_mov_b32_e32 v3, s50
	v_add_co_u32_e32 v2, vcc, s33, v24
	v_addc_co_u32_e32 v3, vcc, 0, v3, vcc
	global_store_dwordx2 v[2:3], v[0:1], off
	s_or_b64 exec, exec, s[48:49]
	s_and_saveexec_b64 s[48:49], s[28:29]
	s_cbranch_execz .LBB223_13
.LBB223_17:                             ;   in Loop: Header=BB223_4 Depth=1
	s_waitcnt vmcnt(0)
	v_xor_b32_e32 v0, 0x80000000, v35
	v_mov_b32_e32 v1, v34
	s_getpc_b64 s[4:5]
	s_add_u32 s4, s4, _ZN6thrust23THRUST_200600_302600_NS6detail7complex6ccoshfERKNS0_7complexIfEE@rel32@lo+4
	s_addc_u32 s5, s5, _ZN6thrust23THRUST_200600_302600_NS6detail7complex6ccoshfERKNS0_7complexIfEE@rel32@hi+12
	s_swappc_b64 s[30:31], s[4:5]
	v_mov_b32_e32 v3, s50
	v_add_co_u32_e32 v2, vcc, s33, v28
	v_addc_co_u32_e32 v3, vcc, 0, v3, vcc
	global_store_dwordx2 v[2:3], v[0:1], off
	s_or_b64 exec, exec, s[48:49]
	s_and_saveexec_b64 s[28:29], s[34:35]
	s_cbranch_execz .LBB223_14
.LBB223_18:                             ;   in Loop: Header=BB223_4 Depth=1
	s_waitcnt vmcnt(0)
	v_xor_b32_e32 v0, 0x80000000, v33
	v_mov_b32_e32 v1, v32
	s_getpc_b64 s[4:5]
	s_add_u32 s4, s4, _ZN6thrust23THRUST_200600_302600_NS6detail7complex6ccoshfERKNS0_7complexIfEE@rel32@lo+4
	s_addc_u32 s5, s5, _ZN6thrust23THRUST_200600_302600_NS6detail7complex6ccoshfERKNS0_7complexIfEE@rel32@hi+12
	s_swappc_b64 s[30:31], s[4:5]
	v_mov_b32_e32 v3, s50
	v_add_co_u32_e32 v2, vcc, s33, v29
	v_addc_co_u32_e32 v3, vcc, v3, v38, vcc
	global_store_dwordx2 v[2:3], v[0:1], off
	s_or_b64 exec, exec, s[28:29]
	s_and_saveexec_b64 s[28:29], s[36:37]
	s_cbranch_execz .LBB223_3
.LBB223_19:                             ;   in Loop: Header=BB223_4 Depth=1
	s_waitcnt vmcnt(0)
	v_xor_b32_e32 v0, 0x80000000, v37
	v_mov_b32_e32 v1, v36
	s_getpc_b64 s[4:5]
	s_add_u32 s4, s4, _ZN6thrust23THRUST_200600_302600_NS6detail7complex6ccoshfERKNS0_7complexIfEE@rel32@lo+4
	s_addc_u32 s5, s5, _ZN6thrust23THRUST_200600_302600_NS6detail7complex6ccoshfERKNS0_7complexIfEE@rel32@hi+12
	s_swappc_b64 s[30:31], s[4:5]
	v_mov_b32_e32 v3, s50
	v_add_co_u32_e32 v2, vcc, s33, v26
	v_addc_co_u32_e32 v3, vcc, v3, v27, vcc
	global_store_dwordx2 v[2:3], v[0:1], off
	s_branch .LBB223_3
.LBB223_20:
	s_cbranch_execz .LBB223_22
	s_branch .LBB223_25
.LBB223_21:
.LBB223_22:
	v_mov_b32_e32 v31, 0
	v_lshlrev_b32_e32 v30, 2, v22
	s_mov_b32 s4, 0
	v_cmp_gt_i64_e32 vcc, s[38:39], v[30:31]
	s_and_saveexec_b64 s[6:7], vcc
	s_cbranch_execz .LBB223_25
; %bb.23:
	s_load_dword s5, s[26:27], 0xd3c
	v_lshlrev_b32_e32 v0, 5, v22
	s_mov_b64 s[26:27], 0
	s_mov_b64 s[28:29], 0xffff
	s_waitcnt vmcnt(0)
	v_mov_b32_e32 v34, s4
	s_waitcnt lgkmcnt(0)
	s_and_b32 s5, s5, 0xffff
	s_lshl_b32 s33, s5, 2
	s_add_u32 s6, s40, s42
	s_addc_u32 s7, s41, s43
	v_mov_b32_e32 v1, s7
	v_add_co_u32_e32 v32, vcc, s6, v0
	v_add_lshl_u32 v30, v22, s5, 2
	v_addc_co_u32_e32 v33, vcc, 0, v1, vcc
	s_lshl_b32 s34, s5, 5
	v_mov_b32_e32 v35, s4
.LBB223_24:                             ; =>This Inner Loop Header: Depth=1
	global_load_dwordx4 v[22:25], v[32:33], off
	global_load_dwordx4 v[26:29], v[32:33], off offset:16
	s_getpc_b64 s[36:37]
	s_add_u32 s36, s36, _ZN6thrust23THRUST_200600_302600_NS6detail7complex6ccoshfERKNS0_7complexIfEE@rel32@lo+4
	s_addc_u32 s37, s37, _ZN6thrust23THRUST_200600_302600_NS6detail7complex6ccoshfERKNS0_7complexIfEE@rel32@hi+12
	s_waitcnt vmcnt(1)
	v_xor_b32_e32 v0, 0x80000000, v23
	v_mov_b32_e32 v1, v22
	s_swappc_b64 s[30:31], s[36:37]
	v_mov_b32_e32 v22, v0
	v_mov_b32_e32 v23, v1
	v_xor_b32_e32 v0, 0x80000000, v25
	v_mov_b32_e32 v1, v24
	s_swappc_b64 s[30:31], s[36:37]
	v_mov_b32_e32 v24, v0
	v_mov_b32_e32 v25, v1
	;; [unrolled: 5-line block ×3, first 2 shown]
	v_xor_b32_e32 v0, 0x80000000, v29
	v_mov_b32_e32 v1, v28
	s_swappc_b64 s[30:31], s[36:37]
	v_cmp_le_i64_e32 vcc, s[38:39], v[30:31]
	v_cmp_lt_u64_e64 s[4:5], s[28:29], v[30:31]
	v_mov_b32_e32 v28, v0
	v_mov_b32_e32 v29, v1
	s_or_b64 s[4:5], vcc, s[4:5]
	global_store_dwordx4 v[32:33], v[22:25], off
	v_add_co_u32_e64 v30, s[6:7], s33, v30
	global_store_dwordx4 v[32:33], v[26:29], off offset:16
	v_add_co_u32_e32 v32, vcc, s34, v32
	s_and_b64 s[4:5], exec, s[4:5]
	v_addc_co_u32_e64 v31, s[6:7], v31, v34, s[6:7]
	s_or_b64 s[26:27], s[4:5], s[26:27]
	v_addc_co_u32_e32 v33, vcc, v33, v35, vcc
	s_andn2_b64 exec, exec, s[26:27]
	s_cbranch_execnz .LBB223_24
.LBB223_25:
	s_endpgm
	.section	.rodata,"a",@progbits
	.p2align	6, 0x0
	.amdhsa_kernel _ZN2at6native12_GLOBAL__N_125multi_tensor_apply_kernelINS1_18TensorListMetadataILi1EEENS1_14UnaryOpFunctorIN3c107complexIfEELi1ELi1ELi0EEEJNS0_3CosIS8_EEEEEvT_T0_DpT1_
		.amdhsa_group_segment_fixed_size 0
		.amdhsa_private_segment_fixed_size 0
		.amdhsa_kernarg_size 3632
		.amdhsa_user_sgpr_count 8
		.amdhsa_user_sgpr_private_segment_buffer 1
		.amdhsa_user_sgpr_dispatch_ptr 0
		.amdhsa_user_sgpr_queue_ptr 0
		.amdhsa_user_sgpr_kernarg_segment_ptr 1
		.amdhsa_user_sgpr_dispatch_id 0
		.amdhsa_user_sgpr_flat_scratch_init 1
		.amdhsa_user_sgpr_kernarg_preload_length 0
		.amdhsa_user_sgpr_kernarg_preload_offset 0
		.amdhsa_user_sgpr_private_segment_size 0
		.amdhsa_uses_dynamic_stack 0
		.amdhsa_system_sgpr_private_segment_wavefront_offset 0
		.amdhsa_system_sgpr_workgroup_id_x 1
		.amdhsa_system_sgpr_workgroup_id_y 0
		.amdhsa_system_sgpr_workgroup_id_z 0
		.amdhsa_system_sgpr_workgroup_info 0
		.amdhsa_system_vgpr_workitem_id 0
		.amdhsa_next_free_vgpr 43
		.amdhsa_next_free_sgpr 53
		.amdhsa_accum_offset 44
		.amdhsa_reserve_vcc 1
		.amdhsa_reserve_flat_scratch 1
		.amdhsa_float_round_mode_32 0
		.amdhsa_float_round_mode_16_64 0
		.amdhsa_float_denorm_mode_32 3
		.amdhsa_float_denorm_mode_16_64 3
		.amdhsa_dx10_clamp 1
		.amdhsa_ieee_mode 1
		.amdhsa_fp16_overflow 0
		.amdhsa_tg_split 0
		.amdhsa_exception_fp_ieee_invalid_op 0
		.amdhsa_exception_fp_denorm_src 0
		.amdhsa_exception_fp_ieee_div_zero 0
		.amdhsa_exception_fp_ieee_overflow 0
		.amdhsa_exception_fp_ieee_underflow 0
		.amdhsa_exception_fp_ieee_inexact 0
		.amdhsa_exception_int_div_zero 0
	.end_amdhsa_kernel
	.section	.text._ZN2at6native12_GLOBAL__N_125multi_tensor_apply_kernelINS1_18TensorListMetadataILi1EEENS1_14UnaryOpFunctorIN3c107complexIfEELi1ELi1ELi0EEEJNS0_3CosIS8_EEEEEvT_T0_DpT1_,"axG",@progbits,_ZN2at6native12_GLOBAL__N_125multi_tensor_apply_kernelINS1_18TensorListMetadataILi1EEENS1_14UnaryOpFunctorIN3c107complexIfEELi1ELi1ELi0EEEJNS0_3CosIS8_EEEEEvT_T0_DpT1_,comdat
.Lfunc_end223:
	.size	_ZN2at6native12_GLOBAL__N_125multi_tensor_apply_kernelINS1_18TensorListMetadataILi1EEENS1_14UnaryOpFunctorIN3c107complexIfEELi1ELi1ELi0EEEJNS0_3CosIS8_EEEEEvT_T0_DpT1_, .Lfunc_end223-_ZN2at6native12_GLOBAL__N_125multi_tensor_apply_kernelINS1_18TensorListMetadataILi1EEENS1_14UnaryOpFunctorIN3c107complexIfEELi1ELi1ELi0EEEJNS0_3CosIS8_EEEEEvT_T0_DpT1_
                                        ; -- End function
	.section	.AMDGPU.csdata,"",@progbits
; Kernel info:
; codeLenInByte = 1352
; NumSgprs: 59
; NumVgprs: 43
; NumAgprs: 0
; TotalNumVgprs: 43
; ScratchSize: 0
; MemoryBound: 0
; FloatMode: 240
; IeeeMode: 1
; LDSByteSize: 0 bytes/workgroup (compile time only)
; SGPRBlocks: 7
; VGPRBlocks: 5
; NumSGPRsForWavesPerEU: 59
; NumVGPRsForWavesPerEU: 43
; AccumOffset: 44
; Occupancy: 8
; WaveLimiterHint : 0
; COMPUTE_PGM_RSRC2:SCRATCH_EN: 0
; COMPUTE_PGM_RSRC2:USER_SGPR: 8
; COMPUTE_PGM_RSRC2:TRAP_HANDLER: 0
; COMPUTE_PGM_RSRC2:TGID_X_EN: 1
; COMPUTE_PGM_RSRC2:TGID_Y_EN: 0
; COMPUTE_PGM_RSRC2:TGID_Z_EN: 0
; COMPUTE_PGM_RSRC2:TIDIG_COMP_CNT: 0
; COMPUTE_PGM_RSRC3_GFX90A:ACCUM_OFFSET: 10
; COMPUTE_PGM_RSRC3_GFX90A:TG_SPLIT: 0
	.section	.text._ZN2at6native12_GLOBAL__N_125multi_tensor_apply_kernelINS1_18TensorListMetadataILi1EEENS1_14UnaryOpFunctorIN3c104HalfELi1ELi1ELi0EEEJNS0_3CosIfEEEEEvT_T0_DpT1_,"axG",@progbits,_ZN2at6native12_GLOBAL__N_125multi_tensor_apply_kernelINS1_18TensorListMetadataILi1EEENS1_14UnaryOpFunctorIN3c104HalfELi1ELi1ELi0EEEJNS0_3CosIfEEEEEvT_T0_DpT1_,comdat
	.globl	_ZN2at6native12_GLOBAL__N_125multi_tensor_apply_kernelINS1_18TensorListMetadataILi1EEENS1_14UnaryOpFunctorIN3c104HalfELi1ELi1ELi0EEEJNS0_3CosIfEEEEEvT_T0_DpT1_ ; -- Begin function _ZN2at6native12_GLOBAL__N_125multi_tensor_apply_kernelINS1_18TensorListMetadataILi1EEENS1_14UnaryOpFunctorIN3c104HalfELi1ELi1ELi0EEEJNS0_3CosIfEEEEEvT_T0_DpT1_
	.p2align	8
	.type	_ZN2at6native12_GLOBAL__N_125multi_tensor_apply_kernelINS1_18TensorListMetadataILi1EEENS1_14UnaryOpFunctorIN3c104HalfELi1ELi1ELi0EEEJNS0_3CosIfEEEEEvT_T0_DpT1_,@function
_ZN2at6native12_GLOBAL__N_125multi_tensor_apply_kernelINS1_18TensorListMetadataILi1EEENS1_14UnaryOpFunctorIN3c104HalfELi1ELi1ELi0EEEJNS0_3CosIfEEEEEvT_T0_DpT1_: ; @_ZN2at6native12_GLOBAL__N_125multi_tensor_apply_kernelINS1_18TensorListMetadataILi1EEENS1_14UnaryOpFunctorIN3c104HalfELi1ELi1ELi0EEEJNS0_3CosIfEEEEEvT_T0_DpT1_
; %bb.0:
	v_mov_b32_e32 v1, s6
	global_load_ubyte v1, v1, s[4:5] offset:1760
	s_add_u32 s0, s4, s6
	s_mul_hi_u32 s1, s6, 3
	s_mul_i32 s6, s6, 3
	s_addc_u32 s2, s5, 0
	s_add_u32 s0, s0, s6
	s_addc_u32 s1, s2, s1
	s_load_dword s0, s[0:1], 0x820
	s_mov_b32 s7, 0
	s_waitcnt vmcnt(0)
	v_readfirstlane_b32 s2, v1
	s_lshl_b32 s1, s2, 3
	s_load_dwordx2 s[2:3], s[4:5], s1 offset:0x370
	s_load_dwordx2 s[18:19], s[4:5], s1 offset:0x0
	s_waitcnt lgkmcnt(0)
	s_ashr_i32 s1, s0, 31
	s_lshl_b64 s[20:21], s[0:1], 17
	s_lshl_b64 s[0:1], s[0:1], 16
	s_and_b32 s6, s18, 7
	s_sub_u32 s16, s2, s0
	s_subb_u32 s17, s3, s1
	s_and_b32 s0, s2, 3
	s_mov_b32 s1, s7
	s_or_b64 s[0:1], s[6:7], s[0:1]
	s_cmp_eq_u64 s[0:1], 0
	s_cbranch_scc1 .LBB224_37
; %bb.1:
	v_cmp_lt_i64_e64 s[0:1], s[16:17], 1
	s_and_b64 vcc, exec, s[0:1]
	s_cbranch_vccnz .LBB224_36
; %bb.2:
	s_load_dword s0, s[4:5], 0xd3c
	v_mov_b32_e32 v4, 0x10000
	v_mov_b32_e32 v5, 0
	v_cmp_lt_u64_e32 vcc, s[16:17], v[4:5]
	v_lshlrev_b32_e32 v1, 1, v0
	s_waitcnt lgkmcnt(0)
	s_and_b32 s2, s0, 0xffff
	s_and_b64 s[0:1], vcc, exec
	s_cselect_b32 s23, s17, 0
	s_cselect_b32 s22, s16, 0x10000
	s_lshl_b32 s3, s2, 1
	s_lshl_b32 s29, s2, 2
	s_add_u32 s6, s18, s20
	s_addc_u32 s7, s19, s21
	v_mov_b32_e32 v2, s7
	v_add_co_u32_e32 v4, vcc, s6, v1
	s_mul_i32 s0, s2, 3
	v_addc_co_u32_e32 v5, vcc, 0, v2, vcc
	v_add_co_u32_e32 v1, vcc, s0, v0
	v_addc_co_u32_e64 v8, s[0:1], 0, 0, vcc
	v_add_co_u32_e32 v9, vcc, s3, v0
	v_addc_co_u32_e64 v10, s[0:1], 0, 0, vcc
	v_add_co_u32_e32 v11, vcc, s2, v0
	v_lshlrev_b32_e32 v2, 1, v11
	s_mov_b32 s28, 0
	v_addc_co_u32_e64 v12, s[0:1], 0, 0, vcc
	v_mov_b32_e32 v7, s7
	v_add_co_u32_e32 v6, vcc, s6, v2
	v_mov_b32_e32 v3, 0
	s_lshl_b32 s30, s2, 3
	s_mov_b32 s31, s28
	s_mul_i32 s33, s2, 6
	s_mov_b32 s34, s28
	v_addc_co_u32_e32 v7, vcc, 0, v7, vcc
	s_mov_b64 s[24:25], 0
	s_brev_b32 s35, 18
	s_mov_b32 s36, 0xfe5163ab
	s_mov_b32 s37, 0x3c439041
	;; [unrolled: 1-line block ×8, first 2 shown]
	v_mov_b32_e32 v13, 0xbe2aaa9d
	v_mov_b32_e32 v14, 0x3d2aabf7
	;; [unrolled: 1-line block ×3, first 2 shown]
	s_movk_i32 s44, 0x1f8
	v_not_b32_e32 v16, 63
	v_not_b32_e32 v17, 31
	v_mov_b32_e32 v18, 0x7e00
	s_branch .LBB224_4
.LBB224_3:                              ;   in Loop: Header=BB224_4 Depth=1
	s_or_b64 exec, exec, s[0:1]
	s_add_u32 s24, s24, s29
	s_addc_u32 s25, s25, 0
	v_pk_mov_b32 v[20:21], s[16:17], s[16:17] op_sel:[0,1]
	v_cmp_ge_i64_e32 vcc, s[24:25], v[20:21]
	v_mov_b32_e32 v20, 0xffff
	v_mov_b32_e32 v21, 0
	v_cmp_gt_u64_e64 s[0:1], s[24:25], v[20:21]
	s_or_b64 s[0:1], vcc, s[0:1]
	v_mov_b32_e32 v2, s31
	v_add_co_u32_e32 v4, vcc, s30, v4
	v_addc_co_u32_e32 v5, vcc, v5, v2, vcc
	v_add_co_u32_e32 v6, vcc, s30, v6
	v_addc_co_u32_e32 v7, vcc, v7, v2, vcc
	s_and_b64 vcc, exec, s[0:1]
	s_cbranch_vccnz .LBB224_36
.LBB224_4:                              ; =>This Inner Loop Header: Depth=1
	v_mov_b32_e32 v2, s25
	v_add_co_u32_e32 v20, vcc, s24, v0
	v_addc_co_u32_e32 v21, vcc, 0, v2, vcc
	v_cmp_gt_u64_e64 s[6:7], s[22:23], v[20:21]
	v_mov_b32_e32 v22, 0
	s_and_saveexec_b64 s[0:1], s[6:7]
	s_cbranch_execz .LBB224_6
; %bb.5:                                ;   in Loop: Header=BB224_4 Depth=1
	global_load_ushort v22, v[4:5], off
.LBB224_6:                              ;   in Loop: Header=BB224_4 Depth=1
	s_or_b64 exec, exec, s[0:1]
	v_mov_b32_e32 v2, s25
	v_add_co_u32_e32 v20, vcc, s24, v11
	v_addc_co_u32_e32 v21, vcc, v12, v2, vcc
	v_cmp_gt_u64_e64 s[2:3], s[22:23], v[20:21]
	v_mov_b32_e32 v21, 0
	s_and_saveexec_b64 s[0:1], s[2:3]
	s_cbranch_execz .LBB224_8
; %bb.7:                                ;   in Loop: Header=BB224_4 Depth=1
	global_load_ushort v21, v[6:7], off
.LBB224_8:                              ;   in Loop: Header=BB224_4 Depth=1
	s_or_b64 exec, exec, s[0:1]
	v_mov_b32_e32 v2, s25
	v_add_co_u32_e32 v24, vcc, s24, v9
	v_addc_co_u32_e32 v25, vcc, v10, v2, vcc
	v_cmp_gt_u64_e64 s[0:1], s[22:23], v[24:25]
	v_mov_b32_e32 v19, 0
	v_mov_b32_e32 v20, 0
	s_and_saveexec_b64 s[8:9], s[0:1]
	s_cbranch_execz .LBB224_10
; %bb.9:                                ;   in Loop: Header=BB224_4 Depth=1
	v_mov_b32_e32 v2, s28
	v_add_co_u32_e32 v24, vcc, s29, v4
	v_addc_co_u32_e32 v25, vcc, v5, v2, vcc
	global_load_ushort v20, v[24:25], off
.LBB224_10:                             ;   in Loop: Header=BB224_4 Depth=1
	s_or_b64 exec, exec, s[8:9]
	v_mov_b32_e32 v2, s25
	v_add_co_u32_e32 v24, vcc, s24, v1
	v_addc_co_u32_e32 v25, vcc, v8, v2, vcc
	v_cmp_gt_u64_e32 vcc, s[22:23], v[24:25]
	s_and_saveexec_b64 s[10:11], vcc
	s_cbranch_execz .LBB224_12
; %bb.11:                               ;   in Loop: Header=BB224_4 Depth=1
	v_mov_b32_e32 v2, s34
	v_add_co_u32_e64 v24, s[8:9], s33, v4
	v_addc_co_u32_e64 v25, s[8:9], v5, v2, s[8:9]
	global_load_ushort v19, v[24:25], off
.LBB224_12:                             ;   in Loop: Header=BB224_4 Depth=1
	s_or_b64 exec, exec, s[10:11]
	s_waitcnt vmcnt(0)
	v_cvt_f32_f16_e64 v23, |v22|
                                        ; implicit-def: $vgpr24
	v_cmp_ngt_f32_e64 s[8:9], s35, v23
	s_and_saveexec_b64 s[10:11], s[8:9]
	s_xor_b64 s[26:27], exec, s[10:11]
	s_cbranch_execz .LBB224_14
; %bb.13:                               ;   in Loop: Header=BB224_4 Depth=1
	v_lshrrev_b32_e32 v2, 23, v23
	v_add_u32_e32 v2, 0xffffff88, v2
	v_cmp_lt_u32_e64 s[8:9], 63, v2
	v_cndmask_b32_e64 v24, 0, v16, s[8:9]
	v_add_u32_e32 v2, v24, v2
	v_cmp_lt_u32_e64 s[10:11], 31, v2
	v_cndmask_b32_e64 v24, 0, v17, s[10:11]
	;; [unrolled: 3-line block ×3, first 2 shown]
	v_add_u32_e32 v38, v24, v2
	v_and_b32_e32 v2, 0x7fffff, v23
	v_or_b32_e32 v23, 0x800000, v2
	v_mad_u64_u32 v[24:25], s[14:15], v23, s36, 0
	v_mov_b32_e32 v2, v25
	v_mad_u64_u32 v[26:27], s[14:15], v23, s37, v[2:3]
	v_mov_b32_e32 v2, v27
	;; [unrolled: 2-line block ×6, first 2 shown]
	v_mad_u64_u32 v[36:37], s[14:15], v23, s42, v[2:3]
	v_cndmask_b32_e64 v25, v34, v30, s[8:9]
	v_cndmask_b32_e64 v2, v36, v32, s[8:9]
	;; [unrolled: 1-line block ×10, first 2 shown]
	v_sub_u32_e32 v29, 32, v38
	v_cndmask_b32_e64 v27, v27, v26, s[10:11]
	v_alignbit_b32 v31, v2, v23, v29
	v_cmp_eq_u32_e64 s[14:15], 0, v38
	v_cndmask_b32_e64 v25, v25, v27, s[12:13]
	v_cndmask_b32_e64 v2, v31, v2, s[14:15]
	v_alignbit_b32 v30, v23, v25, v29
	v_cndmask_b32_e64 v24, v28, v24, s[8:9]
	v_cndmask_b32_e64 v23, v30, v23, s[14:15]
	v_bfe_u32 v32, v2, 29, 1
	v_cndmask_b32_e64 v24, v26, v24, s[10:11]
	v_alignbit_b32 v30, v2, v23, 30
	v_sub_u32_e32 v33, 0, v32
	v_cndmask_b32_e64 v24, v27, v24, s[12:13]
	v_xor_b32_e32 v34, v30, v33
	v_alignbit_b32 v26, v25, v24, v29
	v_cndmask_b32_e64 v25, v26, v25, s[14:15]
	v_ffbh_u32_e32 v26, v34
	v_add_u32_e32 v26, 1, v26
	v_cmp_ne_u32_e64 s[8:9], v30, v33
	v_alignbit_b32 v23, v23, v25, 30
	v_cndmask_b32_e64 v26, 33, v26, s[8:9]
	v_alignbit_b32 v24, v25, v24, 30
	v_xor_b32_e32 v23, v23, v33
	v_sub_u32_e32 v27, 32, v26
	v_xor_b32_e32 v24, v24, v33
	v_alignbit_b32 v28, v34, v23, v27
	v_alignbit_b32 v23, v23, v24, v27
	v_alignbit_b32 v24, v28, v23, 9
	v_ffbh_u32_e32 v25, v24
	v_min_u32_e32 v25, 32, v25
	v_lshrrev_b32_e32 v31, 29, v2
	v_sub_u32_e32 v27, 31, v25
	v_alignbit_b32 v23, v24, v23, v27
	v_lshlrev_b32_e32 v24, 31, v31
	v_or_b32_e32 v27, 0x33800000, v24
	v_add_lshl_u32 v25, v25, v26, 23
	v_lshrrev_b32_e32 v23, 9, v23
	v_sub_u32_e32 v25, v27, v25
	v_or_b32_e32 v23, v25, v23
	v_alignbit_b32 v25, v26, v28, 9
	v_or_b32_e32 v24, v25, v24
	v_xor_b32_e32 v24, 1.0, v24
	v_mul_f32_e32 v25, 0x3fc90fda, v24
	v_fma_f32 v26, v24, s43, -v25
	v_fmac_f32_e32 v26, 0x33a22168, v24
	v_fmac_f32_e32 v26, 0x3fc90fda, v23
	v_lshrrev_b32_e32 v2, 30, v2
	v_add_f32_e32 v23, v25, v26
	v_add_u32_e32 v24, v32, v2
.LBB224_14:                             ;   in Loop: Header=BB224_4 Depth=1
	s_andn2_saveexec_b64 s[8:9], s[26:27]
; %bb.15:                               ;   in Loop: Header=BB224_4 Depth=1
	v_mul_f32_e32 v2, 0x3f22f983, v23
	v_rndne_f32_e32 v2, v2
	v_cvt_i32_f32_e32 v24, v2
	v_fmac_f32_e32 v23, 0xbfc90fda, v2
	v_fmac_f32_e32 v23, 0xb3a22168, v2
	v_fmac_f32_e32 v23, 0xa7c234c4, v2
; %bb.16:                               ;   in Loop: Header=BB224_4 Depth=1
	s_or_b64 exec, exec, s[8:9]
	v_cvt_f32_f16_e64 v25, |v21|
                                        ; implicit-def: $vgpr26
	v_cmp_ngt_f32_e64 s[8:9], s35, v25
	s_and_saveexec_b64 s[10:11], s[8:9]
	s_xor_b64 s[26:27], exec, s[10:11]
	s_cbranch_execz .LBB224_18
; %bb.17:                               ;   in Loop: Header=BB224_4 Depth=1
	v_lshrrev_b32_e32 v2, 23, v25
	v_add_u32_e32 v2, 0xffffff88, v2
	v_cmp_lt_u32_e64 s[8:9], 63, v2
	v_cndmask_b32_e64 v26, 0, v16, s[8:9]
	v_add_u32_e32 v2, v26, v2
	v_cmp_lt_u32_e64 s[10:11], 31, v2
	v_cndmask_b32_e64 v26, 0, v17, s[10:11]
	v_add_u32_e32 v2, v26, v2
	v_cmp_lt_u32_e64 s[12:13], 31, v2
	v_cndmask_b32_e64 v26, 0, v17, s[12:13]
	v_add_u32_e32 v40, v26, v2
	v_and_b32_e32 v2, 0x7fffff, v25
	v_or_b32_e32 v25, 0x800000, v2
	v_mad_u64_u32 v[26:27], s[14:15], v25, s36, 0
	v_mov_b32_e32 v2, v27
	v_mad_u64_u32 v[28:29], s[14:15], v25, s37, v[2:3]
	v_mov_b32_e32 v2, v29
	;; [unrolled: 2-line block ×6, first 2 shown]
	v_mad_u64_u32 v[38:39], s[14:15], v25, s42, v[2:3]
	v_cndmask_b32_e64 v27, v36, v32, s[8:9]
	v_cndmask_b32_e64 v2, v38, v34, s[8:9]
	;; [unrolled: 1-line block ×10, first 2 shown]
	v_sub_u32_e32 v31, 32, v40
	v_cndmask_b32_e64 v29, v29, v28, s[10:11]
	v_alignbit_b32 v33, v2, v25, v31
	v_cmp_eq_u32_e64 s[14:15], 0, v40
	v_cndmask_b32_e64 v27, v27, v29, s[12:13]
	v_cndmask_b32_e64 v2, v33, v2, s[14:15]
	v_alignbit_b32 v32, v25, v27, v31
	v_cndmask_b32_e64 v26, v30, v26, s[8:9]
	v_cndmask_b32_e64 v25, v32, v25, s[14:15]
	v_bfe_u32 v34, v2, 29, 1
	v_cndmask_b32_e64 v26, v28, v26, s[10:11]
	v_alignbit_b32 v32, v2, v25, 30
	v_sub_u32_e32 v35, 0, v34
	v_cndmask_b32_e64 v26, v29, v26, s[12:13]
	v_xor_b32_e32 v36, v32, v35
	v_alignbit_b32 v28, v27, v26, v31
	v_cndmask_b32_e64 v27, v28, v27, s[14:15]
	v_ffbh_u32_e32 v28, v36
	v_add_u32_e32 v28, 1, v28
	v_cmp_ne_u32_e64 s[8:9], v32, v35
	v_alignbit_b32 v25, v25, v27, 30
	v_cndmask_b32_e64 v28, 33, v28, s[8:9]
	v_alignbit_b32 v26, v27, v26, 30
	v_xor_b32_e32 v25, v25, v35
	v_sub_u32_e32 v29, 32, v28
	v_xor_b32_e32 v26, v26, v35
	v_alignbit_b32 v30, v36, v25, v29
	v_alignbit_b32 v25, v25, v26, v29
	;; [unrolled: 1-line block ×3, first 2 shown]
	v_ffbh_u32_e32 v27, v26
	v_min_u32_e32 v27, 32, v27
	v_lshrrev_b32_e32 v33, 29, v2
	v_sub_u32_e32 v29, 31, v27
	v_alignbit_b32 v25, v26, v25, v29
	v_lshlrev_b32_e32 v26, 31, v33
	v_or_b32_e32 v29, 0x33800000, v26
	v_add_lshl_u32 v27, v27, v28, 23
	v_lshrrev_b32_e32 v25, 9, v25
	v_sub_u32_e32 v27, v29, v27
	v_or_b32_e32 v25, v27, v25
	v_alignbit_b32 v27, v28, v30, 9
	v_or_b32_e32 v26, v27, v26
	v_xor_b32_e32 v26, 1.0, v26
	v_mul_f32_e32 v27, 0x3fc90fda, v26
	v_fma_f32 v28, v26, s43, -v27
	v_fmac_f32_e32 v28, 0x33a22168, v26
	v_fmac_f32_e32 v28, 0x3fc90fda, v25
	v_lshrrev_b32_e32 v2, 30, v2
	v_add_f32_e32 v25, v27, v28
	v_add_u32_e32 v26, v34, v2
.LBB224_18:                             ;   in Loop: Header=BB224_4 Depth=1
	s_andn2_saveexec_b64 s[8:9], s[26:27]
; %bb.19:                               ;   in Loop: Header=BB224_4 Depth=1
	v_mul_f32_e32 v2, 0x3f22f983, v25
	v_rndne_f32_e32 v2, v2
	v_cvt_i32_f32_e32 v26, v2
	v_fmac_f32_e32 v25, 0xbfc90fda, v2
	v_fmac_f32_e32 v25, 0xb3a22168, v2
	;; [unrolled: 1-line block ×3, first 2 shown]
; %bb.20:                               ;   in Loop: Header=BB224_4 Depth=1
	s_or_b64 exec, exec, s[8:9]
	v_cvt_f32_f16_e64 v27, |v20|
                                        ; implicit-def: $vgpr28
	v_cmp_ngt_f32_e64 s[8:9], s35, v27
	s_and_saveexec_b64 s[10:11], s[8:9]
	s_xor_b64 s[26:27], exec, s[10:11]
	s_cbranch_execz .LBB224_22
; %bb.21:                               ;   in Loop: Header=BB224_4 Depth=1
	v_lshrrev_b32_e32 v2, 23, v27
	v_add_u32_e32 v2, 0xffffff88, v2
	v_cmp_lt_u32_e64 s[8:9], 63, v2
	v_cndmask_b32_e64 v28, 0, v16, s[8:9]
	v_add_u32_e32 v2, v28, v2
	v_cmp_lt_u32_e64 s[10:11], 31, v2
	v_cndmask_b32_e64 v28, 0, v17, s[10:11]
	v_add_u32_e32 v2, v28, v2
	v_cmp_lt_u32_e64 s[12:13], 31, v2
	v_cndmask_b32_e64 v28, 0, v17, s[12:13]
	v_add_u32_e32 v42, v28, v2
	v_and_b32_e32 v2, 0x7fffff, v27
	v_or_b32_e32 v27, 0x800000, v2
	v_mad_u64_u32 v[28:29], s[14:15], v27, s36, 0
	v_mov_b32_e32 v2, v29
	v_mad_u64_u32 v[30:31], s[14:15], v27, s37, v[2:3]
	v_mov_b32_e32 v2, v31
	;; [unrolled: 2-line block ×6, first 2 shown]
	v_mad_u64_u32 v[40:41], s[14:15], v27, s42, v[2:3]
	v_cndmask_b32_e64 v29, v38, v34, s[8:9]
	v_cndmask_b32_e64 v2, v40, v36, s[8:9]
	;; [unrolled: 1-line block ×10, first 2 shown]
	v_sub_u32_e32 v33, 32, v42
	v_cndmask_b32_e64 v31, v31, v30, s[10:11]
	v_alignbit_b32 v35, v2, v27, v33
	v_cmp_eq_u32_e64 s[14:15], 0, v42
	v_cndmask_b32_e64 v29, v29, v31, s[12:13]
	v_cndmask_b32_e64 v2, v35, v2, s[14:15]
	v_alignbit_b32 v34, v27, v29, v33
	v_cndmask_b32_e64 v28, v32, v28, s[8:9]
	v_cndmask_b32_e64 v27, v34, v27, s[14:15]
	v_bfe_u32 v36, v2, 29, 1
	v_cndmask_b32_e64 v28, v30, v28, s[10:11]
	v_alignbit_b32 v34, v2, v27, 30
	v_sub_u32_e32 v37, 0, v36
	v_cndmask_b32_e64 v28, v31, v28, s[12:13]
	v_xor_b32_e32 v38, v34, v37
	v_alignbit_b32 v30, v29, v28, v33
	v_cndmask_b32_e64 v29, v30, v29, s[14:15]
	v_ffbh_u32_e32 v30, v38
	v_add_u32_e32 v30, 1, v30
	v_cmp_ne_u32_e64 s[8:9], v34, v37
	v_alignbit_b32 v27, v27, v29, 30
	v_cndmask_b32_e64 v30, 33, v30, s[8:9]
	v_alignbit_b32 v28, v29, v28, 30
	v_xor_b32_e32 v27, v27, v37
	v_sub_u32_e32 v31, 32, v30
	v_xor_b32_e32 v28, v28, v37
	v_alignbit_b32 v32, v38, v27, v31
	v_alignbit_b32 v27, v27, v28, v31
	;; [unrolled: 1-line block ×3, first 2 shown]
	v_ffbh_u32_e32 v29, v28
	v_min_u32_e32 v29, 32, v29
	v_lshrrev_b32_e32 v35, 29, v2
	v_sub_u32_e32 v31, 31, v29
	v_alignbit_b32 v27, v28, v27, v31
	v_lshlrev_b32_e32 v28, 31, v35
	v_or_b32_e32 v31, 0x33800000, v28
	v_add_lshl_u32 v29, v29, v30, 23
	v_lshrrev_b32_e32 v27, 9, v27
	v_sub_u32_e32 v29, v31, v29
	v_or_b32_e32 v27, v29, v27
	v_alignbit_b32 v29, v30, v32, 9
	v_or_b32_e32 v28, v29, v28
	v_xor_b32_e32 v28, 1.0, v28
	v_mul_f32_e32 v29, 0x3fc90fda, v28
	v_fma_f32 v30, v28, s43, -v29
	v_fmac_f32_e32 v30, 0x33a22168, v28
	v_fmac_f32_e32 v30, 0x3fc90fda, v27
	v_lshrrev_b32_e32 v2, 30, v2
	v_add_f32_e32 v27, v29, v30
	v_add_u32_e32 v28, v36, v2
.LBB224_22:                             ;   in Loop: Header=BB224_4 Depth=1
	s_andn2_saveexec_b64 s[8:9], s[26:27]
; %bb.23:                               ;   in Loop: Header=BB224_4 Depth=1
	v_mul_f32_e32 v2, 0x3f22f983, v27
	v_rndne_f32_e32 v2, v2
	v_cvt_i32_f32_e32 v28, v2
	v_fmac_f32_e32 v27, 0xbfc90fda, v2
	v_fmac_f32_e32 v27, 0xb3a22168, v2
	;; [unrolled: 1-line block ×3, first 2 shown]
; %bb.24:                               ;   in Loop: Header=BB224_4 Depth=1
	s_or_b64 exec, exec, s[8:9]
	v_cvt_f32_f16_e64 v2, |v19|
                                        ; implicit-def: $vgpr29
	v_cmp_ngt_f32_e64 s[8:9], s35, v2
	s_and_saveexec_b64 s[10:11], s[8:9]
	s_xor_b64 s[26:27], exec, s[10:11]
	s_cbranch_execnz .LBB224_30
; %bb.25:                               ;   in Loop: Header=BB224_4 Depth=1
	s_andn2_saveexec_b64 s[8:9], s[26:27]
	s_cbranch_execnz .LBB224_31
.LBB224_26:                             ;   in Loop: Header=BB224_4 Depth=1
	s_or_b64 exec, exec, s[8:9]
	s_and_saveexec_b64 s[8:9], s[6:7]
	s_xor_b64 s[8:9], exec, s[8:9]
	s_cbranch_execnz .LBB224_32
.LBB224_27:                             ;   in Loop: Header=BB224_4 Depth=1
	s_or_b64 exec, exec, s[8:9]
	s_and_saveexec_b64 s[6:7], s[2:3]
	s_cbranch_execnz .LBB224_33
.LBB224_28:                             ;   in Loop: Header=BB224_4 Depth=1
	s_or_b64 exec, exec, s[6:7]
	s_and_saveexec_b64 s[2:3], s[0:1]
	s_cbranch_execnz .LBB224_34
.LBB224_29:                             ;   in Loop: Header=BB224_4 Depth=1
	s_or_b64 exec, exec, s[2:3]
	s_and_saveexec_b64 s[0:1], vcc
	s_cbranch_execz .LBB224_3
	s_branch .LBB224_35
.LBB224_30:                             ;   in Loop: Header=BB224_4 Depth=1
	v_lshrrev_b32_e32 v29, 23, v2
	v_add_u32_e32 v29, 0xffffff88, v29
	v_cmp_lt_u32_e64 s[8:9], 63, v29
	v_cndmask_b32_e64 v30, 0, v16, s[8:9]
	v_add_u32_e32 v29, v30, v29
	v_cmp_lt_u32_e64 s[10:11], 31, v29
	v_cndmask_b32_e64 v30, 0, v17, s[10:11]
	v_add_u32_e32 v29, v30, v29
	v_cmp_lt_u32_e64 s[12:13], 31, v29
	v_and_b32_e32 v2, 0x7fffff, v2
	v_cndmask_b32_e64 v30, 0, v17, s[12:13]
	v_or_b32_e32 v42, 0x800000, v2
	v_add_u32_e32 v29, v30, v29
	v_mad_u64_u32 v[30:31], s[14:15], v42, s36, 0
	v_mov_b32_e32 v2, v31
	v_mad_u64_u32 v[32:33], s[14:15], v42, s37, v[2:3]
	v_mov_b32_e32 v2, v33
	;; [unrolled: 2-line block ×6, first 2 shown]
	v_mad_u64_u32 v[42:43], s[14:15], v42, s42, v[2:3]
	v_cndmask_b32_e64 v31, v40, v36, s[8:9]
	v_cndmask_b32_e64 v2, v42, v38, s[8:9]
	;; [unrolled: 1-line block ×9, first 2 shown]
	v_sub_u32_e32 v37, 32, v29
	v_alignbit_b32 v38, v2, v33, v37
	v_cmp_eq_u32_e64 s[14:15], 0, v29
	v_cndmask_b32_e64 v29, v38, v2, s[14:15]
	v_cndmask_b32_e64 v2, v36, v32, s[8:9]
	;; [unrolled: 1-line block ×4, first 2 shown]
	v_alignbit_b32 v35, v33, v31, v37
	v_cndmask_b32_e64 v33, v35, v33, s[14:15]
	v_bfe_u32 v38, v29, 29, 1
	v_cndmask_b32_e64 v30, v34, v30, s[8:9]
	v_alignbit_b32 v35, v29, v33, 30
	v_sub_u32_e32 v39, 0, v38
	v_cndmask_b32_e64 v2, v2, v30, s[10:11]
	v_xor_b32_e32 v40, v35, v39
	v_cndmask_b32_e64 v2, v32, v2, s[12:13]
	v_alignbit_b32 v30, v31, v2, v37
	v_ffbh_u32_e32 v32, v40
	v_cndmask_b32_e64 v30, v30, v31, s[14:15]
	v_add_u32_e32 v32, 1, v32
	v_cmp_ne_u32_e64 s[8:9], v35, v39
	v_alignbit_b32 v31, v33, v30, 30
	v_cndmask_b32_e64 v32, 33, v32, s[8:9]
	v_alignbit_b32 v2, v30, v2, 30
	v_xor_b32_e32 v31, v31, v39
	v_sub_u32_e32 v33, 32, v32
	v_xor_b32_e32 v2, v2, v39
	v_alignbit_b32 v34, v40, v31, v33
	v_alignbit_b32 v2, v31, v2, v33
	;; [unrolled: 1-line block ×3, first 2 shown]
	v_ffbh_u32_e32 v31, v30
	v_min_u32_e32 v31, 32, v31
	v_lshrrev_b32_e32 v36, 29, v29
	v_sub_u32_e32 v33, 31, v31
	v_alignbit_b32 v2, v30, v2, v33
	v_lshlrev_b32_e32 v30, 31, v36
	v_or_b32_e32 v33, 0x33800000, v30
	v_add_lshl_u32 v31, v31, v32, 23
	v_lshrrev_b32_e32 v2, 9, v2
	v_sub_u32_e32 v31, v33, v31
	v_or_b32_e32 v2, v31, v2
	v_alignbit_b32 v31, v32, v34, 9
	v_or_b32_e32 v30, v31, v30
	v_xor_b32_e32 v30, 1.0, v30
	v_mul_f32_e32 v31, 0x3fc90fda, v30
	v_fma_f32 v32, v30, s43, -v31
	v_fmac_f32_e32 v32, 0x33a22168, v30
	v_fmac_f32_e32 v32, 0x3fc90fda, v2
	v_lshrrev_b32_e32 v29, 30, v29
	v_add_f32_e32 v2, v31, v32
	v_add_u32_e32 v29, v38, v29
	s_andn2_saveexec_b64 s[8:9], s[26:27]
	s_cbranch_execz .LBB224_26
.LBB224_31:                             ;   in Loop: Header=BB224_4 Depth=1
	v_mul_f32_e32 v29, 0x3f22f983, v2
	v_rndne_f32_e32 v30, v29
	v_cvt_i32_f32_e32 v29, v30
	v_fmac_f32_e32 v2, 0xbfc90fda, v30
	v_fmac_f32_e32 v2, 0xb3a22168, v30
	;; [unrolled: 1-line block ×3, first 2 shown]
	s_or_b64 exec, exec, s[8:9]
	s_and_saveexec_b64 s[8:9], s[6:7]
	s_xor_b64 s[8:9], exec, s[8:9]
	s_cbranch_execz .LBB224_27
.LBB224_32:                             ;   in Loop: Header=BB224_4 Depth=1
	v_mul_f32_e32 v30, v23, v23
	v_mov_b32_e32 v31, 0x3c0881c4
	v_fmac_f32_e32 v31, 0xb94c1982, v30
	v_fma_f32 v31, v30, v31, v13
	v_mul_f32_e32 v31, v30, v31
	v_fmac_f32_e32 v23, v23, v31
	v_mov_b32_e32 v31, 0xbab64f3b
	v_fmac_f32_e32 v31, 0x37d75334, v30
	v_fma_f32 v31, v30, v31, v14
	v_fma_f32 v31, v30, v31, v15
	v_fma_f32 v30, v30, v31, 1.0
	v_and_b32_e32 v31, 1, v24
	v_cmp_eq_u32_e64 s[6:7], 0, v31
	v_lshlrev_b32_e32 v24, 30, v24
	v_cndmask_b32_e64 v23, -v23, v30, s[6:7]
	v_and_b32_e32 v24, 0x80000000, v24
	v_xor_b32_e32 v23, v24, v23
	v_cvt_f16_f32_e32 v23, v23
	v_cmp_class_f16_e64 s[6:7], v22, s44
	v_cndmask_b32_e64 v22, v18, v23, s[6:7]
	global_store_short v[4:5], v22, off
	s_or_b64 exec, exec, s[8:9]
	s_and_saveexec_b64 s[6:7], s[2:3]
	s_cbranch_execz .LBB224_28
.LBB224_33:                             ;   in Loop: Header=BB224_4 Depth=1
	v_mul_f32_e32 v22, v25, v25
	v_mov_b32_e32 v23, 0x3c0881c4
	v_fmac_f32_e32 v23, 0xb94c1982, v22
	v_fma_f32 v23, v22, v23, v13
	v_mul_f32_e32 v23, v22, v23
	v_fmac_f32_e32 v25, v25, v23
	v_mov_b32_e32 v23, 0xbab64f3b
	v_fmac_f32_e32 v23, 0x37d75334, v22
	v_fma_f32 v23, v22, v23, v14
	v_fma_f32 v23, v22, v23, v15
	v_fma_f32 v22, v22, v23, 1.0
	v_and_b32_e32 v23, 1, v26
	v_cmp_eq_u32_e64 s[2:3], 0, v23
	v_lshlrev_b32_e32 v23, 30, v26
	v_cndmask_b32_e64 v22, -v25, v22, s[2:3]
	v_and_b32_e32 v23, 0x80000000, v23
	v_xor_b32_e32 v22, v23, v22
	v_cvt_f16_f32_e32 v22, v22
	v_cmp_class_f16_e64 s[2:3], v21, s44
	v_cndmask_b32_e64 v21, v18, v22, s[2:3]
	global_store_short v[6:7], v21, off
	s_or_b64 exec, exec, s[6:7]
	s_and_saveexec_b64 s[2:3], s[0:1]
	s_cbranch_execz .LBB224_29
.LBB224_34:                             ;   in Loop: Header=BB224_4 Depth=1
	v_mul_f32_e32 v21, v27, v27
	v_mov_b32_e32 v22, 0x3c0881c4
	v_fmac_f32_e32 v22, 0xb94c1982, v21
	v_fma_f32 v22, v21, v22, v13
	v_mul_f32_e32 v22, v21, v22
	v_fmac_f32_e32 v27, v27, v22
	v_mov_b32_e32 v22, 0xbab64f3b
	v_fmac_f32_e32 v22, 0x37d75334, v21
	v_fma_f32 v22, v21, v22, v14
	v_fma_f32 v22, v21, v22, v15
	v_fma_f32 v21, v21, v22, 1.0
	v_and_b32_e32 v22, 1, v28
	v_cmp_eq_u32_e64 s[0:1], 0, v22
	v_lshlrev_b32_e32 v22, 30, v28
	v_cndmask_b32_e64 v21, -v27, v21, s[0:1]
	v_and_b32_e32 v22, 0x80000000, v22
	v_xor_b32_e32 v21, v22, v21
	v_cvt_f16_f32_e32 v21, v21
	v_cmp_class_f16_e64 s[0:1], v20, s44
	v_cndmask_b32_e64 v22, v18, v21, s[0:1]
	v_mov_b32_e32 v21, s28
	v_add_co_u32_e64 v20, s[0:1], s29, v4
	v_addc_co_u32_e64 v21, s[0:1], v5, v21, s[0:1]
	global_store_short v[20:21], v22, off
	s_or_b64 exec, exec, s[2:3]
	s_and_saveexec_b64 s[0:1], vcc
	s_cbranch_execz .LBB224_3
.LBB224_35:                             ;   in Loop: Header=BB224_4 Depth=1
	v_mul_f32_e32 v20, v2, v2
	v_mov_b32_e32 v21, 0x3c0881c4
	v_fmac_f32_e32 v21, 0xb94c1982, v20
	v_fma_f32 v21, v20, v21, v13
	v_mul_f32_e32 v21, v20, v21
	v_fmac_f32_e32 v2, v2, v21
	v_mov_b32_e32 v21, 0xbab64f3b
	v_fmac_f32_e32 v21, 0x37d75334, v20
	v_fma_f32 v21, v20, v21, v14
	v_fma_f32 v21, v20, v21, v15
	v_fma_f32 v20, v20, v21, 1.0
	v_and_b32_e32 v21, 1, v29
	v_cmp_eq_u32_e32 vcc, 0, v21
	v_cndmask_b32_e64 v2, -v2, v20, vcc
	v_lshlrev_b32_e32 v20, 30, v29
	v_and_b32_e32 v20, 0x80000000, v20
	v_xor_b32_e32 v2, v20, v2
	v_cvt_f16_f32_e32 v2, v2
	v_cmp_class_f16_e64 vcc, v19, s44
	v_mov_b32_e32 v19, s34
	v_cndmask_b32_e32 v2, v18, v2, vcc
	v_add_co_u32_e32 v20, vcc, s33, v4
	v_addc_co_u32_e32 v21, vcc, v5, v19, vcc
	global_store_short v[20:21], v2, off
	s_branch .LBB224_3
.LBB224_36:
	s_cbranch_execz .LBB224_38
	s_branch .LBB224_57
.LBB224_37:
.LBB224_38:
	v_mov_b32_e32 v3, 0
	v_lshlrev_b32_e32 v2, 2, v0
	s_mov_b32 s12, 0
	v_cmp_gt_i64_e32 vcc, s[16:17], v[2:3]
	s_and_saveexec_b64 s[0:1], vcc
	s_cbranch_execz .LBB224_57
; %bb.39:
	s_load_dword s0, s[4:5], 0xd3c
	v_lshlrev_b32_e32 v1, 3, v0
	s_mov_b32 s15, s12
	s_mov_b64 s[6:7], 0
	s_mov_b32 s22, 0xf534ddc0
	s_waitcnt lgkmcnt(0)
	s_and_b32 s0, s0, 0xffff
	s_lshl_b32 s13, s0, 2
	s_add_u32 s1, s18, s20
	s_addc_u32 s2, s19, s21
	v_add_lshl_u32 v2, v0, s0, 2
	v_mov_b32_e32 v0, s2
	v_add_co_u32_e32 v1, vcc, s1, v1
	v_addc_co_u32_e32 v4, vcc, 0, v0, vcc
	v_add_co_u32_e32 v0, vcc, 4, v1
	v_addc_co_u32_e32 v1, vcc, 0, v4, vcc
	s_lshl_b32 s14, s0, 3
	s_brev_b32 s18, 18
	s_mov_b32 s19, 0xfe5163ab
	s_mov_b32 s20, 0x3c439041
	;; [unrolled: 1-line block ×7, first 2 shown]
	v_mov_b32_e32 v8, 0xbe2aaa9d
	v_mov_b32_e32 v9, 0x3d2aabf7
	;; [unrolled: 1-line block ×3, first 2 shown]
	s_movk_i32 s27, 0x1f8
	s_mov_b64 s[8:9], 0xffff
	v_not_b32_e32 v11, 63
	v_not_b32_e32 v12, 31
	v_mov_b32_e32 v13, 0x7e00
	v_pk_mov_b32 v[4:5], v[2:3], v[2:3] op_sel:[0,1]
	s_branch .LBB224_41
.LBB224_40:                             ;   in Loop: Header=BB224_41 Depth=1
	s_or_b64 exec, exec, s[0:1]
	v_mul_f32_e32 v21, v18, v18
	v_mov_b32_e32 v22, 0x3c0881c4
	v_fmac_f32_e32 v22, 0xb94c1982, v21
	v_fma_f32 v22, v21, v22, v8
	v_mul_f32_e32 v22, v21, v22
	v_fmac_f32_e32 v18, v18, v22
	v_mov_b32_e32 v22, 0xbab64f3b
	v_fmac_f32_e32 v22, 0x37d75334, v21
	v_fma_f32 v22, v21, v22, v9
	v_fma_f32 v22, v21, v22, v10
	v_fma_f32 v21, v21, v22, 1.0
	v_and_b32_e32 v22, 1, v19
	v_cmp_eq_u32_e32 vcc, 0, v22
	v_lshlrev_b32_e32 v19, 30, v19
	v_cndmask_b32_e64 v18, -v18, v21, vcc
	v_and_b32_e32 v19, 0x80000000, v19
	v_xor_b32_e32 v18, v19, v18
	v_mul_f32_e32 v19, v16, v16
	v_mov_b32_e32 v21, 0x3c0881c4
	v_fmac_f32_e32 v21, 0xb94c1982, v19
	v_fma_f32 v21, v19, v21, v8
	v_mul_f32_e32 v21, v19, v21
	v_fmac_f32_e32 v16, v16, v21
	v_mov_b32_e32 v21, 0xbab64f3b
	v_fmac_f32_e32 v21, 0x37d75334, v19
	v_fma_f32 v21, v19, v21, v9
	v_cvt_f16_f32_e32 v18, v18
	v_fma_f32 v21, v19, v21, v10
	v_fma_f32 v19, v19, v21, 1.0
	v_and_b32_e32 v21, 1, v17
	v_cmp_eq_u32_e32 vcc, 0, v21
	v_lshlrev_b32_e32 v17, 30, v17
	v_cndmask_b32_e64 v16, -v16, v19, vcc
	v_and_b32_e32 v17, 0x80000000, v17
	v_cmp_class_f16_e64 vcc, v7, s27
	v_xor_b32_e32 v16, v17, v16
	v_cndmask_b32_e32 v17, v13, v18, vcc
	v_mul_f32_e32 v18, v14, v14
	v_mov_b32_e32 v19, 0x3c0881c4
	v_fmac_f32_e32 v19, 0xb94c1982, v18
	v_fma_f32 v19, v18, v19, v8
	v_mul_f32_e32 v19, v18, v19
	v_fmac_f32_e32 v14, v14, v19
	v_mov_b32_e32 v19, 0xbab64f3b
	v_fmac_f32_e32 v19, 0x37d75334, v18
	v_fma_f32 v19, v18, v19, v9
	v_fma_f32 v19, v18, v19, v10
	v_cmp_class_f16_sdwa s[0:1], v6, s27 src0_sel:WORD_1 src1_sel:DWORD
	v_fma_f32 v18, v18, v19, 1.0
	v_and_b32_e32 v19, 1, v15
	v_cmp_eq_u32_e32 vcc, 0, v19
	v_lshlrev_b32_e32 v15, 30, v15
	v_cndmask_b32_e64 v14, -v14, v18, vcc
	v_and_b32_e32 v15, 0x80000000, v15
	v_xor_b32_e32 v14, v15, v14
	v_mul_f32_e32 v15, v2, v2
	v_mov_b32_e32 v18, 0x3c0881c4
	v_fmac_f32_e32 v18, 0xb94c1982, v15
	v_fma_f32 v18, v15, v18, v8
	v_mul_f32_e32 v18, v15, v18
	v_fmac_f32_e32 v2, v2, v18
	v_mov_b32_e32 v18, 0xbab64f3b
	v_fmac_f32_e32 v18, 0x37d75334, v15
	v_fma_f32 v18, v15, v18, v9
	v_fma_f32 v18, v15, v18, v10
	v_fma_f32 v15, v15, v18, 1.0
	v_and_b32_e32 v18, 1, v20
	v_cmp_eq_u32_e32 vcc, 0, v18
	v_cndmask_b32_e64 v2, -v2, v15, vcc
	v_lshlrev_b32_e32 v15, 30, v20
	v_and_b32_e32 v15, 0x80000000, v15
	v_cvt_f16_f32_e32 v16, v16
	v_cvt_f16_f32_e32 v14, v14
	v_xor_b32_e32 v2, v15, v2
	v_cvt_f16_f32_e32 v2, v2
	v_cmp_class_f16_e64 vcc, v6, s27
	v_cndmask_b32_e64 v16, v13, v16, s[0:1]
	v_cndmask_b32_e32 v6, v13, v14, vcc
	v_cmp_class_f16_sdwa s[0:1], v7, s27 src0_sel:WORD_1 src1_sel:DWORD
	v_cndmask_b32_e64 v2, v13, v2, s[0:1]
	v_cmp_le_i64_e32 vcc, s[16:17], v[4:5]
	v_cmp_lt_u64_e64 s[0:1], s[8:9], v[4:5]
	v_pack_b32_f16 v7, v17, v2
	s_or_b64 s[0:1], vcc, s[0:1]
	v_mov_b32_e32 v2, s12
	v_add_co_u32_e32 v4, vcc, s13, v4
	v_pack_b32_f16 v6, v6, v16
	v_addc_co_u32_e32 v5, vcc, v5, v2, vcc
	global_store_dwordx2 v[0:1], v[6:7], off offset:-4
	v_mov_b32_e32 v2, s15
	s_and_b64 s[0:1], exec, s[0:1]
	v_add_co_u32_e32 v0, vcc, s14, v0
	s_or_b64 s[6:7], s[0:1], s[6:7]
	v_addc_co_u32_e32 v1, vcc, v1, v2, vcc
	s_andn2_b64 exec, exec, s[6:7]
	s_cbranch_execz .LBB224_57
.LBB224_41:                             ; =>This Inner Loop Header: Depth=1
	global_load_dwordx2 v[6:7], v[0:1], off offset:-4
                                        ; implicit-def: $vgpr15
	s_waitcnt vmcnt(0)
	v_cvt_f32_f16_e64 v14, |v6|
	v_cmp_ngt_f32_e32 vcc, s18, v14
	s_and_saveexec_b64 s[0:1], vcc
	s_xor_b64 s[10:11], exec, s[0:1]
	s_cbranch_execz .LBB224_43
; %bb.42:                               ;   in Loop: Header=BB224_41 Depth=1
	v_lshrrev_b32_e32 v2, 23, v14
	v_add_u32_e32 v2, 0xffffff88, v2
	v_cmp_lt_u32_e32 vcc, 63, v2
	v_cndmask_b32_e32 v15, 0, v11, vcc
	v_add_u32_e32 v2, v15, v2
	v_cmp_lt_u32_e64 s[0:1], 31, v2
	v_cndmask_b32_e64 v15, 0, v12, s[0:1]
	v_add_u32_e32 v2, v15, v2
	v_cmp_lt_u32_e64 s[2:3], 31, v2
	v_cndmask_b32_e64 v15, 0, v12, s[2:3]
	v_add_u32_e32 v28, v15, v2
	v_and_b32_e32 v2, 0x7fffff, v14
	v_or_b32_e32 v26, 0x800000, v2
	v_mad_u64_u32 v[14:15], s[4:5], v26, s19, 0
	v_mov_b32_e32 v2, v15
	v_mad_u64_u32 v[16:17], s[4:5], v26, s20, v[2:3]
	v_mov_b32_e32 v2, v17
	;; [unrolled: 2-line block ×6, first 2 shown]
	v_mad_u64_u32 v[26:27], s[4:5], v26, s25, v[2:3]
	v_cndmask_b32_e32 v15, v24, v20, vcc
	v_cndmask_b32_e32 v2, v26, v22, vcc
	;; [unrolled: 1-line block ×3, first 2 shown]
	v_cndmask_b32_e64 v17, v2, v15, s[0:1]
	v_cndmask_b32_e64 v2, v19, v2, s[0:1]
	v_cndmask_b32_e32 v19, v22, v18, vcc
	v_cndmask_b32_e64 v15, v15, v19, s[0:1]
	v_cndmask_b32_e32 v16, v20, v16, vcc
	v_cndmask_b32_e64 v2, v2, v17, s[2:3]
	v_cndmask_b32_e64 v17, v17, v15, s[2:3]
	v_sub_u32_e32 v21, 32, v28
	v_cndmask_b32_e64 v19, v19, v16, s[0:1]
	v_alignbit_b32 v22, v2, v17, v21
	v_cmp_eq_u32_e64 s[4:5], 0, v28
	v_cndmask_b32_e64 v15, v15, v19, s[2:3]
	v_cndmask_b32_e32 v14, v18, v14, vcc
	v_cndmask_b32_e64 v2, v22, v2, s[4:5]
	v_alignbit_b32 v20, v17, v15, v21
	v_cndmask_b32_e64 v14, v16, v14, s[0:1]
	v_cndmask_b32_e64 v17, v20, v17, s[4:5]
	v_bfe_u32 v23, v2, 29, 1
	v_cndmask_b32_e64 v14, v19, v14, s[2:3]
	v_alignbit_b32 v20, v2, v17, 30
	v_sub_u32_e32 v24, 0, v23
	v_alignbit_b32 v16, v15, v14, v21
	v_xor_b32_e32 v25, v20, v24
	v_cndmask_b32_e64 v15, v16, v15, s[4:5]
	v_alignbit_b32 v16, v17, v15, 30
	v_ffbh_u32_e32 v17, v25
	v_add_u32_e32 v17, 1, v17
	v_cmp_ne_u32_e32 vcc, v20, v24
	v_cndmask_b32_e32 v17, 33, v17, vcc
	v_alignbit_b32 v14, v15, v14, 30
	v_xor_b32_e32 v16, v16, v24
	v_sub_u32_e32 v18, 32, v17
	v_xor_b32_e32 v14, v14, v24
	v_alignbit_b32 v19, v25, v16, v18
	v_alignbit_b32 v14, v16, v14, v18
	;; [unrolled: 1-line block ×3, first 2 shown]
	v_ffbh_u32_e32 v16, v15
	v_min_u32_e32 v16, 32, v16
	v_lshrrev_b32_e32 v22, 29, v2
	v_sub_u32_e32 v18, 31, v16
	v_alignbit_b32 v14, v15, v14, v18
	v_lshlrev_b32_e32 v15, 31, v22
	v_or_b32_e32 v18, 0x33800000, v15
	v_add_lshl_u32 v16, v16, v17, 23
	v_lshrrev_b32_e32 v14, 9, v14
	v_sub_u32_e32 v16, v18, v16
	v_or_b32_e32 v14, v16, v14
	v_alignbit_b32 v16, v17, v19, 9
	v_or_b32_e32 v15, v16, v15
	v_xor_b32_e32 v15, 1.0, v15
	v_mul_f32_e32 v16, 0x3fc90fda, v15
	v_fma_f32 v17, v15, s26, -v16
	v_fmac_f32_e32 v17, 0x33a22168, v15
	v_fmac_f32_e32 v17, 0x3fc90fda, v14
	v_lshrrev_b32_e32 v2, 30, v2
	v_add_f32_e32 v14, v16, v17
	v_add_u32_e32 v15, v23, v2
.LBB224_43:                             ;   in Loop: Header=BB224_41 Depth=1
	s_andn2_saveexec_b64 s[0:1], s[10:11]
; %bb.44:                               ;   in Loop: Header=BB224_41 Depth=1
	v_mul_f32_e32 v2, 0x3f22f983, v14
	v_rndne_f32_e32 v2, v2
	v_cvt_i32_f32_e32 v15, v2
	v_fmac_f32_e32 v14, 0xbfc90fda, v2
	v_fmac_f32_e32 v14, 0xb3a22168, v2
	;; [unrolled: 1-line block ×3, first 2 shown]
; %bb.45:                               ;   in Loop: Header=BB224_41 Depth=1
	s_or_b64 exec, exec, s[0:1]
	v_cvt_f32_f16_sdwa v16, |v6| dst_sel:DWORD dst_unused:UNUSED_PAD src0_sel:WORD_1
                                        ; implicit-def: $vgpr17
	v_cmp_ngt_f32_e32 vcc, s18, v16
	s_and_saveexec_b64 s[0:1], vcc
	s_xor_b64 s[10:11], exec, s[0:1]
	s_cbranch_execz .LBB224_47
; %bb.46:                               ;   in Loop: Header=BB224_41 Depth=1
	v_lshrrev_b32_e32 v2, 23, v16
	v_add_u32_e32 v2, 0xffffff88, v2
	v_cmp_lt_u32_e32 vcc, 63, v2
	v_cndmask_b32_e32 v17, 0, v11, vcc
	v_add_u32_e32 v2, v17, v2
	v_cmp_lt_u32_e64 s[0:1], 31, v2
	v_cndmask_b32_e64 v17, 0, v12, s[0:1]
	v_add_u32_e32 v2, v17, v2
	v_cmp_lt_u32_e64 s[2:3], 31, v2
	v_cndmask_b32_e64 v17, 0, v12, s[2:3]
	v_add_u32_e32 v30, v17, v2
	v_and_b32_e32 v2, 0x7fffff, v16
	v_or_b32_e32 v28, 0x800000, v2
	v_mad_u64_u32 v[16:17], s[4:5], v28, s19, 0
	v_mov_b32_e32 v2, v17
	v_mad_u64_u32 v[18:19], s[4:5], v28, s20, v[2:3]
	v_mov_b32_e32 v2, v19
	;; [unrolled: 2-line block ×6, first 2 shown]
	v_mad_u64_u32 v[28:29], s[4:5], v28, s25, v[2:3]
	v_cndmask_b32_e32 v17, v26, v22, vcc
	v_cndmask_b32_e32 v2, v28, v24, vcc
	;; [unrolled: 1-line block ×3, first 2 shown]
	v_cndmask_b32_e64 v19, v2, v17, s[0:1]
	v_cndmask_b32_e64 v2, v21, v2, s[0:1]
	v_cndmask_b32_e32 v21, v24, v20, vcc
	v_cndmask_b32_e64 v17, v17, v21, s[0:1]
	v_cndmask_b32_e32 v18, v22, v18, vcc
	v_cndmask_b32_e64 v2, v2, v19, s[2:3]
	v_cndmask_b32_e64 v19, v19, v17, s[2:3]
	v_sub_u32_e32 v23, 32, v30
	v_cndmask_b32_e64 v21, v21, v18, s[0:1]
	v_alignbit_b32 v24, v2, v19, v23
	v_cmp_eq_u32_e64 s[4:5], 0, v30
	v_cndmask_b32_e64 v17, v17, v21, s[2:3]
	v_cndmask_b32_e32 v16, v20, v16, vcc
	v_cndmask_b32_e64 v2, v24, v2, s[4:5]
	v_alignbit_b32 v22, v19, v17, v23
	v_cndmask_b32_e64 v16, v18, v16, s[0:1]
	v_cndmask_b32_e64 v19, v22, v19, s[4:5]
	v_bfe_u32 v25, v2, 29, 1
	v_cndmask_b32_e64 v16, v21, v16, s[2:3]
	v_alignbit_b32 v22, v2, v19, 30
	v_sub_u32_e32 v26, 0, v25
	v_alignbit_b32 v18, v17, v16, v23
	v_xor_b32_e32 v27, v22, v26
	v_cndmask_b32_e64 v17, v18, v17, s[4:5]
	v_alignbit_b32 v18, v19, v17, 30
	v_ffbh_u32_e32 v19, v27
	v_add_u32_e32 v19, 1, v19
	v_cmp_ne_u32_e32 vcc, v22, v26
	v_cndmask_b32_e32 v19, 33, v19, vcc
	v_alignbit_b32 v16, v17, v16, 30
	v_xor_b32_e32 v18, v18, v26
	v_sub_u32_e32 v20, 32, v19
	v_xor_b32_e32 v16, v16, v26
	v_alignbit_b32 v21, v27, v18, v20
	v_alignbit_b32 v16, v18, v16, v20
	;; [unrolled: 1-line block ×3, first 2 shown]
	v_ffbh_u32_e32 v18, v17
	v_min_u32_e32 v18, 32, v18
	v_lshrrev_b32_e32 v24, 29, v2
	v_sub_u32_e32 v20, 31, v18
	v_alignbit_b32 v16, v17, v16, v20
	v_lshlrev_b32_e32 v17, 31, v24
	v_or_b32_e32 v20, 0x33800000, v17
	v_add_lshl_u32 v18, v18, v19, 23
	v_lshrrev_b32_e32 v16, 9, v16
	v_sub_u32_e32 v18, v20, v18
	v_or_b32_e32 v16, v18, v16
	v_alignbit_b32 v18, v19, v21, 9
	v_or_b32_e32 v17, v18, v17
	v_xor_b32_e32 v17, 1.0, v17
	v_mul_f32_e32 v18, 0x3fc90fda, v17
	v_fma_f32 v19, v17, s26, -v18
	v_fmac_f32_e32 v19, 0x33a22168, v17
	v_fmac_f32_e32 v19, 0x3fc90fda, v16
	v_lshrrev_b32_e32 v2, 30, v2
	v_add_f32_e32 v16, v18, v19
	v_add_u32_e32 v17, v25, v2
.LBB224_47:                             ;   in Loop: Header=BB224_41 Depth=1
	s_andn2_saveexec_b64 s[0:1], s[10:11]
; %bb.48:                               ;   in Loop: Header=BB224_41 Depth=1
	v_mul_f32_e32 v2, 0x3f22f983, v16
	v_rndne_f32_e32 v2, v2
	v_cvt_i32_f32_e32 v17, v2
	v_fmac_f32_e32 v16, 0xbfc90fda, v2
	v_fmac_f32_e32 v16, 0xb3a22168, v2
	v_fmac_f32_e32 v16, 0xa7c234c4, v2
; %bb.49:                               ;   in Loop: Header=BB224_41 Depth=1
	s_or_b64 exec, exec, s[0:1]
	v_cvt_f32_f16_e64 v18, |v7|
                                        ; implicit-def: $vgpr19
	v_cmp_ngt_f32_e32 vcc, s18, v18
	s_and_saveexec_b64 s[0:1], vcc
	s_xor_b64 s[10:11], exec, s[0:1]
	s_cbranch_execz .LBB224_51
; %bb.50:                               ;   in Loop: Header=BB224_41 Depth=1
	v_lshrrev_b32_e32 v2, 23, v18
	v_add_u32_e32 v2, 0xffffff88, v2
	v_cmp_lt_u32_e32 vcc, 63, v2
	v_cndmask_b32_e32 v19, 0, v11, vcc
	v_add_u32_e32 v2, v19, v2
	v_cmp_lt_u32_e64 s[0:1], 31, v2
	v_cndmask_b32_e64 v19, 0, v12, s[0:1]
	v_add_u32_e32 v2, v19, v2
	v_cmp_lt_u32_e64 s[2:3], 31, v2
	v_cndmask_b32_e64 v19, 0, v12, s[2:3]
	v_add_u32_e32 v32, v19, v2
	v_and_b32_e32 v2, 0x7fffff, v18
	v_or_b32_e32 v30, 0x800000, v2
	v_mad_u64_u32 v[18:19], s[4:5], v30, s19, 0
	v_mov_b32_e32 v2, v19
	v_mad_u64_u32 v[20:21], s[4:5], v30, s20, v[2:3]
	v_mov_b32_e32 v2, v21
	;; [unrolled: 2-line block ×6, first 2 shown]
	v_mad_u64_u32 v[30:31], s[4:5], v30, s25, v[2:3]
	v_cndmask_b32_e32 v19, v28, v24, vcc
	v_cndmask_b32_e32 v2, v30, v26, vcc
	;; [unrolled: 1-line block ×3, first 2 shown]
	v_cndmask_b32_e64 v21, v2, v19, s[0:1]
	v_cndmask_b32_e64 v2, v23, v2, s[0:1]
	v_cndmask_b32_e32 v23, v26, v22, vcc
	v_cndmask_b32_e64 v19, v19, v23, s[0:1]
	v_cndmask_b32_e32 v20, v24, v20, vcc
	v_cndmask_b32_e64 v2, v2, v21, s[2:3]
	v_cndmask_b32_e64 v21, v21, v19, s[2:3]
	v_sub_u32_e32 v25, 32, v32
	v_cndmask_b32_e64 v23, v23, v20, s[0:1]
	v_alignbit_b32 v26, v2, v21, v25
	v_cmp_eq_u32_e64 s[4:5], 0, v32
	v_cndmask_b32_e64 v19, v19, v23, s[2:3]
	v_cndmask_b32_e32 v18, v22, v18, vcc
	v_cndmask_b32_e64 v2, v26, v2, s[4:5]
	v_alignbit_b32 v24, v21, v19, v25
	v_cndmask_b32_e64 v18, v20, v18, s[0:1]
	v_cndmask_b32_e64 v21, v24, v21, s[4:5]
	v_bfe_u32 v27, v2, 29, 1
	v_cndmask_b32_e64 v18, v23, v18, s[2:3]
	v_alignbit_b32 v24, v2, v21, 30
	v_sub_u32_e32 v28, 0, v27
	v_alignbit_b32 v20, v19, v18, v25
	v_xor_b32_e32 v29, v24, v28
	v_cndmask_b32_e64 v19, v20, v19, s[4:5]
	v_alignbit_b32 v20, v21, v19, 30
	v_ffbh_u32_e32 v21, v29
	v_add_u32_e32 v21, 1, v21
	v_cmp_ne_u32_e32 vcc, v24, v28
	v_cndmask_b32_e32 v21, 33, v21, vcc
	v_alignbit_b32 v18, v19, v18, 30
	v_xor_b32_e32 v20, v20, v28
	v_sub_u32_e32 v22, 32, v21
	v_xor_b32_e32 v18, v18, v28
	v_alignbit_b32 v23, v29, v20, v22
	v_alignbit_b32 v18, v20, v18, v22
	v_alignbit_b32 v19, v23, v18, 9
	v_ffbh_u32_e32 v20, v19
	v_min_u32_e32 v20, 32, v20
	v_lshrrev_b32_e32 v26, 29, v2
	v_sub_u32_e32 v22, 31, v20
	v_alignbit_b32 v18, v19, v18, v22
	v_lshlrev_b32_e32 v19, 31, v26
	v_or_b32_e32 v22, 0x33800000, v19
	v_add_lshl_u32 v20, v20, v21, 23
	v_lshrrev_b32_e32 v18, 9, v18
	v_sub_u32_e32 v20, v22, v20
	v_or_b32_e32 v18, v20, v18
	v_alignbit_b32 v20, v21, v23, 9
	v_or_b32_e32 v19, v20, v19
	v_xor_b32_e32 v19, 1.0, v19
	v_mul_f32_e32 v20, 0x3fc90fda, v19
	v_fma_f32 v21, v19, s26, -v20
	v_fmac_f32_e32 v21, 0x33a22168, v19
	v_fmac_f32_e32 v21, 0x3fc90fda, v18
	v_lshrrev_b32_e32 v2, 30, v2
	v_add_f32_e32 v18, v20, v21
	v_add_u32_e32 v19, v27, v2
.LBB224_51:                             ;   in Loop: Header=BB224_41 Depth=1
	s_andn2_saveexec_b64 s[0:1], s[10:11]
; %bb.52:                               ;   in Loop: Header=BB224_41 Depth=1
	v_mul_f32_e32 v2, 0x3f22f983, v18
	v_rndne_f32_e32 v2, v2
	v_cvt_i32_f32_e32 v19, v2
	v_fmac_f32_e32 v18, 0xbfc90fda, v2
	v_fmac_f32_e32 v18, 0xb3a22168, v2
	;; [unrolled: 1-line block ×3, first 2 shown]
; %bb.53:                               ;   in Loop: Header=BB224_41 Depth=1
	s_or_b64 exec, exec, s[0:1]
	v_cvt_f32_f16_sdwa v2, |v7| dst_sel:DWORD dst_unused:UNUSED_PAD src0_sel:WORD_1
                                        ; implicit-def: $vgpr20
	v_cmp_ngt_f32_e32 vcc, s18, v2
	s_and_saveexec_b64 s[0:1], vcc
	s_xor_b64 s[10:11], exec, s[0:1]
	s_cbranch_execz .LBB224_55
; %bb.54:                               ;   in Loop: Header=BB224_41 Depth=1
	v_lshrrev_b32_e32 v20, 23, v2
	v_add_u32_e32 v20, 0xffffff88, v20
	v_cmp_lt_u32_e32 vcc, 63, v20
	v_cndmask_b32_e32 v21, 0, v11, vcc
	v_add_u32_e32 v20, v21, v20
	v_cmp_lt_u32_e64 s[0:1], 31, v20
	v_cndmask_b32_e64 v21, 0, v12, s[0:1]
	v_add_u32_e32 v20, v21, v20
	v_cmp_lt_u32_e64 s[2:3], 31, v20
	v_and_b32_e32 v2, 0x7fffff, v2
	v_cndmask_b32_e64 v21, 0, v12, s[2:3]
	v_or_b32_e32 v32, 0x800000, v2
	v_add_u32_e32 v34, v21, v20
	v_mad_u64_u32 v[20:21], s[4:5], v32, s19, 0
	v_mov_b32_e32 v2, v21
	v_mad_u64_u32 v[22:23], s[4:5], v32, s20, v[2:3]
	v_mov_b32_e32 v2, v23
	;; [unrolled: 2-line block ×6, first 2 shown]
	v_mad_u64_u32 v[32:33], s[4:5], v32, s25, v[2:3]
	v_cndmask_b32_e32 v21, v30, v26, vcc
	v_cndmask_b32_e32 v2, v32, v28, vcc
	;; [unrolled: 1-line block ×3, first 2 shown]
	v_cndmask_b32_e64 v23, v2, v21, s[0:1]
	v_cndmask_b32_e64 v2, v25, v2, s[0:1]
	v_cndmask_b32_e32 v25, v28, v24, vcc
	v_cndmask_b32_e64 v21, v21, v25, s[0:1]
	v_cndmask_b32_e64 v2, v2, v23, s[2:3]
	;; [unrolled: 1-line block ×3, first 2 shown]
	v_sub_u32_e32 v27, 32, v34
	v_alignbit_b32 v28, v2, v23, v27
	v_cmp_eq_u32_e64 s[4:5], 0, v34
	v_cndmask_b32_e64 v28, v28, v2, s[4:5]
	v_cndmask_b32_e32 v2, v26, v22, vcc
	v_cndmask_b32_e64 v22, v25, v2, s[0:1]
	v_cndmask_b32_e64 v21, v21, v22, s[2:3]
	v_alignbit_b32 v25, v23, v21, v27
	v_cndmask_b32_e64 v23, v25, v23, s[4:5]
	v_bfe_u32 v29, v28, 29, 1
	v_cndmask_b32_e32 v20, v24, v20, vcc
	v_alignbit_b32 v25, v28, v23, 30
	v_sub_u32_e32 v30, 0, v29
	v_cndmask_b32_e64 v2, v2, v20, s[0:1]
	v_xor_b32_e32 v31, v25, v30
	v_cndmask_b32_e64 v2, v22, v2, s[2:3]
	v_alignbit_b32 v20, v21, v2, v27
	v_ffbh_u32_e32 v22, v31
	v_cndmask_b32_e64 v20, v20, v21, s[4:5]
	v_add_u32_e32 v22, 1, v22
	v_cmp_ne_u32_e32 vcc, v25, v30
	v_alignbit_b32 v21, v23, v20, 30
	v_cndmask_b32_e32 v22, 33, v22, vcc
	v_alignbit_b32 v2, v20, v2, 30
	v_xor_b32_e32 v21, v21, v30
	v_sub_u32_e32 v23, 32, v22
	v_xor_b32_e32 v2, v2, v30
	v_alignbit_b32 v24, v31, v21, v23
	v_alignbit_b32 v2, v21, v2, v23
	;; [unrolled: 1-line block ×3, first 2 shown]
	v_ffbh_u32_e32 v21, v20
	v_min_u32_e32 v21, 32, v21
	v_lshrrev_b32_e32 v26, 29, v28
	v_sub_u32_e32 v23, 31, v21
	v_alignbit_b32 v2, v20, v2, v23
	v_lshlrev_b32_e32 v20, 31, v26
	v_or_b32_e32 v23, 0x33800000, v20
	v_add_lshl_u32 v21, v21, v22, 23
	v_lshrrev_b32_e32 v2, 9, v2
	v_sub_u32_e32 v21, v23, v21
	v_or_b32_e32 v2, v21, v2
	v_alignbit_b32 v21, v22, v24, 9
	v_or_b32_e32 v20, v21, v20
	v_xor_b32_e32 v20, 1.0, v20
	v_mul_f32_e32 v21, 0x3fc90fda, v20
	v_fma_f32 v22, v20, s26, -v21
	v_fmac_f32_e32 v22, 0x33a22168, v20
	v_fmac_f32_e32 v22, 0x3fc90fda, v2
	v_lshrrev_b32_e32 v20, 30, v28
	v_add_f32_e32 v2, v21, v22
	v_add_u32_e32 v20, v29, v20
.LBB224_55:                             ;   in Loop: Header=BB224_41 Depth=1
	s_andn2_saveexec_b64 s[0:1], s[10:11]
	s_cbranch_execz .LBB224_40
; %bb.56:                               ;   in Loop: Header=BB224_41 Depth=1
	v_mul_f32_e32 v20, 0x3f22f983, v2
	v_rndne_f32_e32 v21, v20
	v_cvt_i32_f32_e32 v20, v21
	v_fmac_f32_e32 v2, 0xbfc90fda, v21
	v_fmac_f32_e32 v2, 0xb3a22168, v21
	;; [unrolled: 1-line block ×3, first 2 shown]
	s_branch .LBB224_40
.LBB224_57:
	s_endpgm
	.section	.rodata,"a",@progbits
	.p2align	6, 0x0
	.amdhsa_kernel _ZN2at6native12_GLOBAL__N_125multi_tensor_apply_kernelINS1_18TensorListMetadataILi1EEENS1_14UnaryOpFunctorIN3c104HalfELi1ELi1ELi0EEEJNS0_3CosIfEEEEEvT_T0_DpT1_
		.amdhsa_group_segment_fixed_size 0
		.amdhsa_private_segment_fixed_size 0
		.amdhsa_kernarg_size 3632
		.amdhsa_user_sgpr_count 6
		.amdhsa_user_sgpr_private_segment_buffer 1
		.amdhsa_user_sgpr_dispatch_ptr 0
		.amdhsa_user_sgpr_queue_ptr 0
		.amdhsa_user_sgpr_kernarg_segment_ptr 1
		.amdhsa_user_sgpr_dispatch_id 0
		.amdhsa_user_sgpr_flat_scratch_init 0
		.amdhsa_user_sgpr_kernarg_preload_length 0
		.amdhsa_user_sgpr_kernarg_preload_offset 0
		.amdhsa_user_sgpr_private_segment_size 0
		.amdhsa_uses_dynamic_stack 0
		.amdhsa_system_sgpr_private_segment_wavefront_offset 0
		.amdhsa_system_sgpr_workgroup_id_x 1
		.amdhsa_system_sgpr_workgroup_id_y 0
		.amdhsa_system_sgpr_workgroup_id_z 0
		.amdhsa_system_sgpr_workgroup_info 0
		.amdhsa_system_vgpr_workitem_id 0
		.amdhsa_next_free_vgpr 44
		.amdhsa_next_free_sgpr 45
		.amdhsa_accum_offset 44
		.amdhsa_reserve_vcc 1
		.amdhsa_reserve_flat_scratch 0
		.amdhsa_float_round_mode_32 0
		.amdhsa_float_round_mode_16_64 0
		.amdhsa_float_denorm_mode_32 3
		.amdhsa_float_denorm_mode_16_64 3
		.amdhsa_dx10_clamp 1
		.amdhsa_ieee_mode 1
		.amdhsa_fp16_overflow 0
		.amdhsa_tg_split 0
		.amdhsa_exception_fp_ieee_invalid_op 0
		.amdhsa_exception_fp_denorm_src 0
		.amdhsa_exception_fp_ieee_div_zero 0
		.amdhsa_exception_fp_ieee_overflow 0
		.amdhsa_exception_fp_ieee_underflow 0
		.amdhsa_exception_fp_ieee_inexact 0
		.amdhsa_exception_int_div_zero 0
	.end_amdhsa_kernel
	.section	.text._ZN2at6native12_GLOBAL__N_125multi_tensor_apply_kernelINS1_18TensorListMetadataILi1EEENS1_14UnaryOpFunctorIN3c104HalfELi1ELi1ELi0EEEJNS0_3CosIfEEEEEvT_T0_DpT1_,"axG",@progbits,_ZN2at6native12_GLOBAL__N_125multi_tensor_apply_kernelINS1_18TensorListMetadataILi1EEENS1_14UnaryOpFunctorIN3c104HalfELi1ELi1ELi0EEEJNS0_3CosIfEEEEEvT_T0_DpT1_,comdat
.Lfunc_end224:
	.size	_ZN2at6native12_GLOBAL__N_125multi_tensor_apply_kernelINS1_18TensorListMetadataILi1EEENS1_14UnaryOpFunctorIN3c104HalfELi1ELi1ELi0EEEJNS0_3CosIfEEEEEvT_T0_DpT1_, .Lfunc_end224-_ZN2at6native12_GLOBAL__N_125multi_tensor_apply_kernelINS1_18TensorListMetadataILi1EEENS1_14UnaryOpFunctorIN3c104HalfELi1ELi1ELi0EEEJNS0_3CosIfEEEEEvT_T0_DpT1_
                                        ; -- End function
	.section	.AMDGPU.csdata,"",@progbits
; Kernel info:
; codeLenInByte = 7204
; NumSgprs: 49
; NumVgprs: 44
; NumAgprs: 0
; TotalNumVgprs: 44
; ScratchSize: 0
; MemoryBound: 0
; FloatMode: 240
; IeeeMode: 1
; LDSByteSize: 0 bytes/workgroup (compile time only)
; SGPRBlocks: 6
; VGPRBlocks: 5
; NumSGPRsForWavesPerEU: 49
; NumVGPRsForWavesPerEU: 44
; AccumOffset: 44
; Occupancy: 8
; WaveLimiterHint : 0
; COMPUTE_PGM_RSRC2:SCRATCH_EN: 0
; COMPUTE_PGM_RSRC2:USER_SGPR: 6
; COMPUTE_PGM_RSRC2:TRAP_HANDLER: 0
; COMPUTE_PGM_RSRC2:TGID_X_EN: 1
; COMPUTE_PGM_RSRC2:TGID_Y_EN: 0
; COMPUTE_PGM_RSRC2:TGID_Z_EN: 0
; COMPUTE_PGM_RSRC2:TIDIG_COMP_CNT: 0
; COMPUTE_PGM_RSRC3_GFX90A:ACCUM_OFFSET: 10
; COMPUTE_PGM_RSRC3_GFX90A:TG_SPLIT: 0
	.section	.text._ZN2at6native12_GLOBAL__N_125multi_tensor_apply_kernelINS1_18TensorListMetadataILi1EEENS1_14UnaryOpFunctorIN3c108BFloat16ELi1ELi1ELi0EEEJNS0_3CosIfEEEEEvT_T0_DpT1_,"axG",@progbits,_ZN2at6native12_GLOBAL__N_125multi_tensor_apply_kernelINS1_18TensorListMetadataILi1EEENS1_14UnaryOpFunctorIN3c108BFloat16ELi1ELi1ELi0EEEJNS0_3CosIfEEEEEvT_T0_DpT1_,comdat
	.globl	_ZN2at6native12_GLOBAL__N_125multi_tensor_apply_kernelINS1_18TensorListMetadataILi1EEENS1_14UnaryOpFunctorIN3c108BFloat16ELi1ELi1ELi0EEEJNS0_3CosIfEEEEEvT_T0_DpT1_ ; -- Begin function _ZN2at6native12_GLOBAL__N_125multi_tensor_apply_kernelINS1_18TensorListMetadataILi1EEENS1_14UnaryOpFunctorIN3c108BFloat16ELi1ELi1ELi0EEEJNS0_3CosIfEEEEEvT_T0_DpT1_
	.p2align	8
	.type	_ZN2at6native12_GLOBAL__N_125multi_tensor_apply_kernelINS1_18TensorListMetadataILi1EEENS1_14UnaryOpFunctorIN3c108BFloat16ELi1ELi1ELi0EEEJNS0_3CosIfEEEEEvT_T0_DpT1_,@function
_ZN2at6native12_GLOBAL__N_125multi_tensor_apply_kernelINS1_18TensorListMetadataILi1EEENS1_14UnaryOpFunctorIN3c108BFloat16ELi1ELi1ELi0EEEJNS0_3CosIfEEEEEvT_T0_DpT1_: ; @_ZN2at6native12_GLOBAL__N_125multi_tensor_apply_kernelINS1_18TensorListMetadataILi1EEENS1_14UnaryOpFunctorIN3c108BFloat16ELi1ELi1ELi0EEEJNS0_3CosIfEEEEEvT_T0_DpT1_
; %bb.0:
	v_mov_b32_e32 v1, s6
	global_load_ubyte v1, v1, s[4:5] offset:1760
	s_add_u32 s0, s4, s6
	s_mul_hi_u32 s1, s6, 3
	s_mul_i32 s6, s6, 3
	s_addc_u32 s2, s5, 0
	s_add_u32 s0, s0, s6
	s_addc_u32 s1, s2, s1
	s_load_dword s0, s[0:1], 0x820
	s_mov_b32 s7, 0
	s_waitcnt vmcnt(0)
	v_readfirstlane_b32 s2, v1
	s_lshl_b32 s1, s2, 3
	s_load_dwordx2 s[2:3], s[4:5], s1 offset:0x370
	s_load_dwordx2 s[18:19], s[4:5], s1 offset:0x0
	s_waitcnt lgkmcnt(0)
	s_ashr_i32 s1, s0, 31
	s_lshl_b64 s[20:21], s[0:1], 17
	s_lshl_b64 s[0:1], s[0:1], 16
	s_and_b32 s6, s18, 7
	s_sub_u32 s16, s2, s0
	s_subb_u32 s17, s3, s1
	s_and_b32 s0, s2, 3
	s_mov_b32 s1, s7
	s_or_b64 s[0:1], s[6:7], s[0:1]
	s_cmp_eq_u64 s[0:1], 0
	s_cbranch_scc1 .LBB225_37
; %bb.1:
	v_cmp_lt_i64_e64 s[0:1], s[16:17], 1
	s_and_b64 vcc, exec, s[0:1]
	s_cbranch_vccnz .LBB225_36
; %bb.2:
	s_load_dword s0, s[4:5], 0xd3c
	v_mov_b32_e32 v4, 0x10000
	v_mov_b32_e32 v5, 0
	v_cmp_lt_u64_e32 vcc, s[16:17], v[4:5]
	v_lshlrev_b32_e32 v1, 1, v0
	s_waitcnt lgkmcnt(0)
	s_and_b32 s2, s0, 0xffff
	s_and_b64 s[0:1], vcc, exec
	s_cselect_b32 s23, s17, 0
	s_cselect_b32 s22, s16, 0x10000
	s_lshl_b32 s3, s2, 1
	s_lshl_b32 s29, s2, 2
	s_add_u32 s6, s18, s20
	s_addc_u32 s7, s19, s21
	v_mov_b32_e32 v2, s7
	v_add_co_u32_e32 v4, vcc, s6, v1
	s_mul_i32 s0, s2, 3
	v_addc_co_u32_e32 v5, vcc, 0, v2, vcc
	v_add_co_u32_e32 v1, vcc, s0, v0
	v_addc_co_u32_e64 v8, s[0:1], 0, 0, vcc
	v_add_co_u32_e32 v9, vcc, s3, v0
	v_addc_co_u32_e64 v10, s[0:1], 0, 0, vcc
	v_add_co_u32_e32 v11, vcc, s2, v0
	v_lshlrev_b32_e32 v2, 1, v11
	s_mov_b32 s28, 0
	v_addc_co_u32_e64 v12, s[0:1], 0, 0, vcc
	v_mov_b32_e32 v7, s7
	v_add_co_u32_e32 v6, vcc, s6, v2
	v_mov_b32_e32 v3, 0
	s_lshl_b32 s30, s2, 3
	s_mov_b32 s31, s28
	s_mul_i32 s33, s2, 6
	s_mov_b32 s34, s28
	v_addc_co_u32_e32 v7, vcc, 0, v7, vcc
	s_mov_b64 s[24:25], 0
	s_brev_b32 s35, 18
	s_mov_b32 s36, 0xfe5163ab
	s_mov_b32 s37, 0x3c439041
	;; [unrolled: 1-line block ×10, first 2 shown]
	v_mov_b32_e32 v13, 0xbe2aaa9d
	v_mov_b32_e32 v14, 0x3d2aabf7
	v_mov_b32_e32 v15, 0xbf000004
	s_movk_i32 s46, 0x1f8
	s_movk_i32 s47, 0x7fff
	v_not_b32_e32 v16, 63
	v_not_b32_e32 v17, 31
	v_mov_b32_e32 v18, 0x7fc00000
	v_mov_b32_e32 v19, 0x7fc0
	s_branch .LBB225_4
.LBB225_3:                              ;   in Loop: Header=BB225_4 Depth=1
	s_or_b64 exec, exec, s[0:1]
	s_add_u32 s24, s24, s29
	s_addc_u32 s25, s25, 0
	v_pk_mov_b32 v[20:21], s[16:17], s[16:17] op_sel:[0,1]
	v_cmp_ge_i64_e32 vcc, s[24:25], v[20:21]
	v_mov_b32_e32 v20, 0xffff
	v_mov_b32_e32 v21, 0
	v_cmp_gt_u64_e64 s[0:1], s[24:25], v[20:21]
	s_or_b64 s[0:1], vcc, s[0:1]
	v_mov_b32_e32 v2, s31
	v_add_co_u32_e32 v4, vcc, s30, v4
	v_addc_co_u32_e32 v5, vcc, v5, v2, vcc
	v_add_co_u32_e32 v6, vcc, s30, v6
	v_addc_co_u32_e32 v7, vcc, v7, v2, vcc
	s_and_b64 vcc, exec, s[0:1]
	s_cbranch_vccnz .LBB225_36
.LBB225_4:                              ; =>This Inner Loop Header: Depth=1
	v_mov_b32_e32 v2, s25
	v_add_co_u32_e32 v20, vcc, s24, v0
	v_addc_co_u32_e32 v21, vcc, 0, v2, vcc
	v_cmp_gt_u64_e64 s[6:7], s[22:23], v[20:21]
	v_mov_b32_e32 v2, 0
	s_and_saveexec_b64 s[0:1], s[6:7]
	s_cbranch_execz .LBB225_6
; %bb.5:                                ;   in Loop: Header=BB225_4 Depth=1
	global_load_ushort v2, v[4:5], off
.LBB225_6:                              ;   in Loop: Header=BB225_4 Depth=1
	s_or_b64 exec, exec, s[0:1]
	v_mov_b32_e32 v21, s25
	v_add_co_u32_e32 v20, vcc, s24, v11
	v_addc_co_u32_e32 v21, vcc, v12, v21, vcc
	v_cmp_gt_u64_e64 s[2:3], s[22:23], v[20:21]
	v_mov_b32_e32 v21, 0
	s_and_saveexec_b64 s[0:1], s[2:3]
	s_cbranch_execz .LBB225_8
; %bb.7:                                ;   in Loop: Header=BB225_4 Depth=1
	global_load_ushort v21, v[6:7], off
.LBB225_8:                              ;   in Loop: Header=BB225_4 Depth=1
	s_or_b64 exec, exec, s[0:1]
	v_mov_b32_e32 v20, s25
	v_add_co_u32_e32 v22, vcc, s24, v9
	v_addc_co_u32_e32 v23, vcc, v10, v20, vcc
	v_cmp_gt_u64_e64 s[0:1], s[22:23], v[22:23]
	v_mov_b32_e32 v24, 0
	v_mov_b32_e32 v25, 0
	s_and_saveexec_b64 s[8:9], s[0:1]
	s_cbranch_execz .LBB225_10
; %bb.9:                                ;   in Loop: Header=BB225_4 Depth=1
	v_mov_b32_e32 v20, s28
	v_add_co_u32_e32 v22, vcc, s29, v4
	v_addc_co_u32_e32 v23, vcc, v5, v20, vcc
	global_load_ushort v25, v[22:23], off
.LBB225_10:                             ;   in Loop: Header=BB225_4 Depth=1
	s_or_b64 exec, exec, s[8:9]
	v_mov_b32_e32 v20, s25
	v_add_co_u32_e32 v22, vcc, s24, v1
	v_addc_co_u32_e32 v23, vcc, v8, v20, vcc
	v_cmp_gt_u64_e32 vcc, s[22:23], v[22:23]
	s_and_saveexec_b64 s[10:11], vcc
	s_cbranch_execz .LBB225_12
; %bb.11:                               ;   in Loop: Header=BB225_4 Depth=1
	v_mov_b32_e32 v20, s34
	v_add_co_u32_e64 v22, s[8:9], s33, v4
	v_addc_co_u32_e64 v23, s[8:9], v5, v20, s[8:9]
	global_load_ushort v24, v[22:23], off
.LBB225_12:                             ;   in Loop: Header=BB225_4 Depth=1
	s_or_b64 exec, exec, s[10:11]
	s_waitcnt vmcnt(0)
	v_lshlrev_b32_e32 v20, 16, v2
	v_cmp_nlt_f32_e64 s[8:9], |v20|, s35
                                        ; implicit-def: $vgpr22
                                        ; implicit-def: $vgpr23
	s_and_saveexec_b64 s[10:11], s[8:9]
	s_xor_b64 s[26:27], exec, s[10:11]
	s_cbranch_execz .LBB225_14
; %bb.13:                               ;   in Loop: Header=BB225_4 Depth=1
	v_and_b32_e32 v2, 0x7fffffff, v20
	v_lshrrev_b32_e32 v22, 23, v2
	v_add_u32_e32 v22, 0xffffff88, v22
	v_cmp_lt_u32_e64 s[8:9], 63, v22
	v_cndmask_b32_e64 v23, 0, v16, s[8:9]
	v_add_u32_e32 v22, v23, v22
	v_cmp_lt_u32_e64 s[10:11], 31, v22
	v_cndmask_b32_e64 v23, 0, v17, s[10:11]
	v_add_u32_e32 v22, v23, v22
	v_cmp_lt_u32_e64 s[12:13], 31, v22
	v_and_b32_e32 v2, 0x7fffff, v2
	v_cndmask_b32_e64 v23, 0, v17, s[12:13]
	v_or_b32_e32 v36, 0x800000, v2
	v_add_u32_e32 v38, v23, v22
	v_mad_u64_u32 v[22:23], s[14:15], v36, s36, 0
	v_mov_b32_e32 v2, v23
	v_mad_u64_u32 v[26:27], s[14:15], v36, s37, v[2:3]
	v_mov_b32_e32 v2, v27
	;; [unrolled: 2-line block ×6, first 2 shown]
	v_mad_u64_u32 v[36:37], s[14:15], v36, s42, v[2:3]
	v_cndmask_b32_e64 v23, v34, v30, s[8:9]
	v_cndmask_b32_e64 v2, v36, v32, s[8:9]
	;; [unrolled: 1-line block ×10, first 2 shown]
	v_sub_u32_e32 v31, 32, v38
	v_cndmask_b32_e64 v29, v29, v26, s[10:11]
	v_alignbit_b32 v32, v2, v27, v31
	v_cmp_eq_u32_e64 s[14:15], 0, v38
	v_cndmask_b32_e64 v23, v23, v29, s[12:13]
	v_cndmask_b32_e64 v22, v28, v22, s[8:9]
	;; [unrolled: 1-line block ×3, first 2 shown]
	v_alignbit_b32 v30, v27, v23, v31
	v_cndmask_b32_e64 v22, v26, v22, s[10:11]
	v_cndmask_b32_e64 v27, v30, v27, s[14:15]
	v_bfe_u32 v33, v2, 29, 1
	v_cndmask_b32_e64 v22, v29, v22, s[12:13]
	v_alignbit_b32 v30, v2, v27, 30
	v_sub_u32_e32 v34, 0, v33
	v_alignbit_b32 v26, v23, v22, v31
	v_xor_b32_e32 v35, v30, v34
	v_cndmask_b32_e64 v23, v26, v23, s[14:15]
	v_alignbit_b32 v26, v27, v23, 30
	v_ffbh_u32_e32 v27, v35
	v_add_u32_e32 v27, 1, v27
	v_cmp_ne_u32_e64 s[8:9], v30, v34
	v_cndmask_b32_e64 v27, 33, v27, s[8:9]
	v_alignbit_b32 v22, v23, v22, 30
	v_xor_b32_e32 v26, v26, v34
	v_sub_u32_e32 v28, 32, v27
	v_xor_b32_e32 v22, v22, v34
	v_alignbit_b32 v29, v35, v26, v28
	v_alignbit_b32 v22, v26, v22, v28
	;; [unrolled: 1-line block ×3, first 2 shown]
	v_ffbh_u32_e32 v26, v23
	v_min_u32_e32 v26, 32, v26
	v_lshrrev_b32_e32 v32, 29, v2
	v_sub_u32_e32 v28, 31, v26
	v_alignbit_b32 v22, v23, v22, v28
	v_lshlrev_b32_e32 v23, 31, v32
	v_or_b32_e32 v28, 0x33800000, v23
	v_add_lshl_u32 v26, v26, v27, 23
	v_lshrrev_b32_e32 v22, 9, v22
	v_sub_u32_e32 v26, v28, v26
	v_or_b32_e32 v22, v26, v22
	v_alignbit_b32 v26, v27, v29, 9
	v_or_b32_e32 v23, v26, v23
	v_xor_b32_e32 v23, 1.0, v23
	v_mul_f32_e32 v26, 0x3fc90fda, v23
	v_fma_f32 v27, v23, s43, -v26
	v_fmac_f32_e32 v27, 0x33a22168, v23
	v_fmac_f32_e32 v27, 0x3fc90fda, v22
	v_lshrrev_b32_e32 v2, 30, v2
	v_add_f32_e32 v23, v26, v27
	v_add_u32_e32 v22, v33, v2
.LBB225_14:                             ;   in Loop: Header=BB225_4 Depth=1
	s_andn2_saveexec_b64 s[8:9], s[26:27]
; %bb.15:                               ;   in Loop: Header=BB225_4 Depth=1
	v_mul_f32_e64 v2, |v20|, s44
	v_rndne_f32_e32 v2, v2
	v_cvt_i32_f32_e32 v22, v2
	v_fma_f32 v23, v2, s45, |v20|
	v_fmac_f32_e32 v23, 0xb3a22168, v2
	v_fmac_f32_e32 v23, 0xa7c234c4, v2
; %bb.16:                               ;   in Loop: Header=BB225_4 Depth=1
	s_or_b64 exec, exec, s[8:9]
	v_lshlrev_b32_e32 v21, 16, v21
	v_cmp_nlt_f32_e64 s[8:9], |v21|, s35
                                        ; implicit-def: $vgpr26
                                        ; implicit-def: $vgpr27
	s_and_saveexec_b64 s[10:11], s[8:9]
	s_xor_b64 s[26:27], exec, s[10:11]
	s_cbranch_execz .LBB225_18
; %bb.17:                               ;   in Loop: Header=BB225_4 Depth=1
	v_and_b32_e32 v2, 0x7fffffff, v21
	v_lshrrev_b32_e32 v26, 23, v2
	v_add_u32_e32 v26, 0xffffff88, v26
	v_cmp_lt_u32_e64 s[8:9], 63, v26
	v_cndmask_b32_e64 v27, 0, v16, s[8:9]
	v_add_u32_e32 v26, v27, v26
	v_cmp_lt_u32_e64 s[10:11], 31, v26
	v_cndmask_b32_e64 v27, 0, v17, s[10:11]
	v_add_u32_e32 v26, v27, v26
	v_cmp_lt_u32_e64 s[12:13], 31, v26
	v_and_b32_e32 v2, 0x7fffff, v2
	v_cndmask_b32_e64 v27, 0, v17, s[12:13]
	v_or_b32_e32 v38, 0x800000, v2
	v_add_u32_e32 v40, v27, v26
	v_mad_u64_u32 v[26:27], s[14:15], v38, s36, 0
	v_mov_b32_e32 v2, v27
	v_mad_u64_u32 v[28:29], s[14:15], v38, s37, v[2:3]
	v_mov_b32_e32 v2, v29
	;; [unrolled: 2-line block ×6, first 2 shown]
	v_mad_u64_u32 v[38:39], s[14:15], v38, s42, v[2:3]
	v_cndmask_b32_e64 v27, v36, v32, s[8:9]
	v_cndmask_b32_e64 v2, v38, v34, s[8:9]
	;; [unrolled: 1-line block ×10, first 2 shown]
	v_sub_u32_e32 v33, 32, v40
	v_cndmask_b32_e64 v31, v31, v28, s[10:11]
	v_alignbit_b32 v34, v2, v29, v33
	v_cmp_eq_u32_e64 s[14:15], 0, v40
	v_cndmask_b32_e64 v27, v27, v31, s[12:13]
	v_cndmask_b32_e64 v26, v30, v26, s[8:9]
	;; [unrolled: 1-line block ×3, first 2 shown]
	v_alignbit_b32 v32, v29, v27, v33
	v_cndmask_b32_e64 v26, v28, v26, s[10:11]
	v_cndmask_b32_e64 v29, v32, v29, s[14:15]
	v_bfe_u32 v35, v2, 29, 1
	v_cndmask_b32_e64 v26, v31, v26, s[12:13]
	v_alignbit_b32 v32, v2, v29, 30
	v_sub_u32_e32 v36, 0, v35
	v_alignbit_b32 v28, v27, v26, v33
	v_xor_b32_e32 v37, v32, v36
	v_cndmask_b32_e64 v27, v28, v27, s[14:15]
	v_alignbit_b32 v28, v29, v27, 30
	v_ffbh_u32_e32 v29, v37
	v_add_u32_e32 v29, 1, v29
	v_cmp_ne_u32_e64 s[8:9], v32, v36
	v_cndmask_b32_e64 v29, 33, v29, s[8:9]
	v_alignbit_b32 v26, v27, v26, 30
	v_xor_b32_e32 v28, v28, v36
	v_sub_u32_e32 v30, 32, v29
	v_xor_b32_e32 v26, v26, v36
	v_alignbit_b32 v31, v37, v28, v30
	v_alignbit_b32 v26, v28, v26, v30
	;; [unrolled: 1-line block ×3, first 2 shown]
	v_ffbh_u32_e32 v28, v27
	v_min_u32_e32 v28, 32, v28
	v_lshrrev_b32_e32 v34, 29, v2
	v_sub_u32_e32 v30, 31, v28
	v_alignbit_b32 v26, v27, v26, v30
	v_lshlrev_b32_e32 v27, 31, v34
	v_or_b32_e32 v30, 0x33800000, v27
	v_add_lshl_u32 v28, v28, v29, 23
	v_lshrrev_b32_e32 v26, 9, v26
	v_sub_u32_e32 v28, v30, v28
	v_or_b32_e32 v26, v28, v26
	v_alignbit_b32 v28, v29, v31, 9
	v_or_b32_e32 v27, v28, v27
	v_xor_b32_e32 v27, 1.0, v27
	v_mul_f32_e32 v28, 0x3fc90fda, v27
	v_fma_f32 v29, v27, s43, -v28
	v_fmac_f32_e32 v29, 0x33a22168, v27
	v_fmac_f32_e32 v29, 0x3fc90fda, v26
	v_lshrrev_b32_e32 v2, 30, v2
	v_add_f32_e32 v27, v28, v29
	v_add_u32_e32 v26, v35, v2
.LBB225_18:                             ;   in Loop: Header=BB225_4 Depth=1
	s_andn2_saveexec_b64 s[8:9], s[26:27]
; %bb.19:                               ;   in Loop: Header=BB225_4 Depth=1
	v_mul_f32_e64 v2, |v21|, s44
	v_rndne_f32_e32 v2, v2
	v_cvt_i32_f32_e32 v26, v2
	v_fma_f32 v27, v2, s45, |v21|
	v_fmac_f32_e32 v27, 0xb3a22168, v2
	v_fmac_f32_e32 v27, 0xa7c234c4, v2
; %bb.20:                               ;   in Loop: Header=BB225_4 Depth=1
	s_or_b64 exec, exec, s[8:9]
	v_lshlrev_b32_e32 v25, 16, v25
	v_cmp_nlt_f32_e64 s[8:9], |v25|, s35
                                        ; implicit-def: $vgpr28
                                        ; implicit-def: $vgpr29
	s_and_saveexec_b64 s[10:11], s[8:9]
	s_xor_b64 s[26:27], exec, s[10:11]
	s_cbranch_execz .LBB225_22
; %bb.21:                               ;   in Loop: Header=BB225_4 Depth=1
	v_and_b32_e32 v2, 0x7fffffff, v25
	v_lshrrev_b32_e32 v28, 23, v2
	v_add_u32_e32 v28, 0xffffff88, v28
	v_cmp_lt_u32_e64 s[8:9], 63, v28
	v_cndmask_b32_e64 v29, 0, v16, s[8:9]
	v_add_u32_e32 v28, v29, v28
	v_cmp_lt_u32_e64 s[10:11], 31, v28
	v_cndmask_b32_e64 v29, 0, v17, s[10:11]
	v_add_u32_e32 v28, v29, v28
	v_cmp_lt_u32_e64 s[12:13], 31, v28
	v_and_b32_e32 v2, 0x7fffff, v2
	v_cndmask_b32_e64 v29, 0, v17, s[12:13]
	v_or_b32_e32 v40, 0x800000, v2
	v_add_u32_e32 v42, v29, v28
	v_mad_u64_u32 v[28:29], s[14:15], v40, s36, 0
	v_mov_b32_e32 v2, v29
	v_mad_u64_u32 v[30:31], s[14:15], v40, s37, v[2:3]
	v_mov_b32_e32 v2, v31
	;; [unrolled: 2-line block ×6, first 2 shown]
	v_mad_u64_u32 v[40:41], s[14:15], v40, s42, v[2:3]
	v_cndmask_b32_e64 v29, v38, v34, s[8:9]
	v_cndmask_b32_e64 v2, v40, v36, s[8:9]
	;; [unrolled: 1-line block ×10, first 2 shown]
	v_sub_u32_e32 v35, 32, v42
	v_cndmask_b32_e64 v33, v33, v30, s[10:11]
	v_alignbit_b32 v36, v2, v31, v35
	v_cmp_eq_u32_e64 s[14:15], 0, v42
	v_cndmask_b32_e64 v29, v29, v33, s[12:13]
	v_cndmask_b32_e64 v28, v32, v28, s[8:9]
	;; [unrolled: 1-line block ×3, first 2 shown]
	v_alignbit_b32 v34, v31, v29, v35
	v_cndmask_b32_e64 v28, v30, v28, s[10:11]
	v_cndmask_b32_e64 v31, v34, v31, s[14:15]
	v_bfe_u32 v37, v2, 29, 1
	v_cndmask_b32_e64 v28, v33, v28, s[12:13]
	v_alignbit_b32 v34, v2, v31, 30
	v_sub_u32_e32 v38, 0, v37
	v_alignbit_b32 v30, v29, v28, v35
	v_xor_b32_e32 v39, v34, v38
	v_cndmask_b32_e64 v29, v30, v29, s[14:15]
	v_alignbit_b32 v30, v31, v29, 30
	v_ffbh_u32_e32 v31, v39
	v_add_u32_e32 v31, 1, v31
	v_cmp_ne_u32_e64 s[8:9], v34, v38
	v_cndmask_b32_e64 v31, 33, v31, s[8:9]
	v_alignbit_b32 v28, v29, v28, 30
	v_xor_b32_e32 v30, v30, v38
	v_sub_u32_e32 v32, 32, v31
	v_xor_b32_e32 v28, v28, v38
	v_alignbit_b32 v33, v39, v30, v32
	v_alignbit_b32 v28, v30, v28, v32
	;; [unrolled: 1-line block ×3, first 2 shown]
	v_ffbh_u32_e32 v30, v29
	v_min_u32_e32 v30, 32, v30
	v_lshrrev_b32_e32 v36, 29, v2
	v_sub_u32_e32 v32, 31, v30
	v_alignbit_b32 v28, v29, v28, v32
	v_lshlrev_b32_e32 v29, 31, v36
	v_or_b32_e32 v32, 0x33800000, v29
	v_add_lshl_u32 v30, v30, v31, 23
	v_lshrrev_b32_e32 v28, 9, v28
	v_sub_u32_e32 v30, v32, v30
	v_or_b32_e32 v28, v30, v28
	v_alignbit_b32 v30, v31, v33, 9
	v_or_b32_e32 v29, v30, v29
	v_xor_b32_e32 v29, 1.0, v29
	v_mul_f32_e32 v30, 0x3fc90fda, v29
	v_fma_f32 v31, v29, s43, -v30
	v_fmac_f32_e32 v31, 0x33a22168, v29
	v_fmac_f32_e32 v31, 0x3fc90fda, v28
	v_lshrrev_b32_e32 v2, 30, v2
	v_add_f32_e32 v29, v30, v31
	v_add_u32_e32 v28, v37, v2
.LBB225_22:                             ;   in Loop: Header=BB225_4 Depth=1
	s_andn2_saveexec_b64 s[8:9], s[26:27]
; %bb.23:                               ;   in Loop: Header=BB225_4 Depth=1
	v_mul_f32_e64 v2, |v25|, s44
	v_rndne_f32_e32 v2, v2
	v_cvt_i32_f32_e32 v28, v2
	v_fma_f32 v29, v2, s45, |v25|
	v_fmac_f32_e32 v29, 0xb3a22168, v2
	v_fmac_f32_e32 v29, 0xa7c234c4, v2
; %bb.24:                               ;   in Loop: Header=BB225_4 Depth=1
	s_or_b64 exec, exec, s[8:9]
	v_lshlrev_b32_e32 v24, 16, v24
	v_cmp_nlt_f32_e64 s[8:9], |v24|, s35
                                        ; implicit-def: $vgpr2
                                        ; implicit-def: $vgpr30
	s_and_saveexec_b64 s[10:11], s[8:9]
	s_xor_b64 s[26:27], exec, s[10:11]
	s_cbranch_execnz .LBB225_30
; %bb.25:                               ;   in Loop: Header=BB225_4 Depth=1
	s_andn2_saveexec_b64 s[8:9], s[26:27]
	s_cbranch_execnz .LBB225_31
.LBB225_26:                             ;   in Loop: Header=BB225_4 Depth=1
	s_or_b64 exec, exec, s[8:9]
	s_and_saveexec_b64 s[8:9], s[6:7]
	s_xor_b64 s[8:9], exec, s[8:9]
	s_cbranch_execnz .LBB225_32
.LBB225_27:                             ;   in Loop: Header=BB225_4 Depth=1
	s_or_b64 exec, exec, s[8:9]
	s_and_saveexec_b64 s[6:7], s[2:3]
	s_cbranch_execnz .LBB225_33
.LBB225_28:                             ;   in Loop: Header=BB225_4 Depth=1
	s_or_b64 exec, exec, s[6:7]
	s_and_saveexec_b64 s[2:3], s[0:1]
	s_cbranch_execnz .LBB225_34
.LBB225_29:                             ;   in Loop: Header=BB225_4 Depth=1
	s_or_b64 exec, exec, s[2:3]
	s_and_saveexec_b64 s[0:1], vcc
	s_cbranch_execz .LBB225_3
	s_branch .LBB225_35
.LBB225_30:                             ;   in Loop: Header=BB225_4 Depth=1
	v_and_b32_e32 v2, 0x7fffffff, v24
	v_lshrrev_b32_e32 v30, 23, v2
	v_add_u32_e32 v30, 0xffffff88, v30
	v_cmp_lt_u32_e64 s[8:9], 63, v30
	v_cndmask_b32_e64 v31, 0, v16, s[8:9]
	v_add_u32_e32 v30, v31, v30
	v_cmp_lt_u32_e64 s[10:11], 31, v30
	v_cndmask_b32_e64 v31, 0, v17, s[10:11]
	v_add_u32_e32 v30, v31, v30
	v_cmp_lt_u32_e64 s[12:13], 31, v30
	v_and_b32_e32 v2, 0x7fffff, v2
	v_cndmask_b32_e64 v31, 0, v17, s[12:13]
	v_or_b32_e32 v42, 0x800000, v2
	v_add_u32_e32 v44, v31, v30
	v_mad_u64_u32 v[30:31], s[14:15], v42, s36, 0
	v_mov_b32_e32 v2, v31
	v_mad_u64_u32 v[32:33], s[14:15], v42, s37, v[2:3]
	v_mov_b32_e32 v2, v33
	;; [unrolled: 2-line block ×6, first 2 shown]
	v_mad_u64_u32 v[42:43], s[14:15], v42, s42, v[2:3]
	v_cndmask_b32_e64 v31, v40, v36, s[8:9]
	v_cndmask_b32_e64 v2, v42, v38, s[8:9]
	;; [unrolled: 1-line block ×10, first 2 shown]
	v_sub_u32_e32 v37, 32, v44
	v_cndmask_b32_e64 v35, v35, v32, s[10:11]
	v_alignbit_b32 v38, v2, v33, v37
	v_cmp_eq_u32_e64 s[14:15], 0, v44
	v_cndmask_b32_e64 v31, v31, v35, s[12:13]
	v_cndmask_b32_e64 v30, v34, v30, s[8:9]
	;; [unrolled: 1-line block ×3, first 2 shown]
	v_alignbit_b32 v36, v33, v31, v37
	v_cndmask_b32_e64 v30, v32, v30, s[10:11]
	v_cndmask_b32_e64 v33, v36, v33, s[14:15]
	v_bfe_u32 v39, v2, 29, 1
	v_cndmask_b32_e64 v30, v35, v30, s[12:13]
	v_alignbit_b32 v36, v2, v33, 30
	v_sub_u32_e32 v40, 0, v39
	v_alignbit_b32 v32, v31, v30, v37
	v_xor_b32_e32 v41, v36, v40
	v_cndmask_b32_e64 v31, v32, v31, s[14:15]
	v_alignbit_b32 v32, v33, v31, 30
	v_ffbh_u32_e32 v33, v41
	v_add_u32_e32 v33, 1, v33
	v_cmp_ne_u32_e64 s[8:9], v36, v40
	v_cndmask_b32_e64 v33, 33, v33, s[8:9]
	v_alignbit_b32 v30, v31, v30, 30
	v_xor_b32_e32 v32, v32, v40
	v_sub_u32_e32 v34, 32, v33
	v_xor_b32_e32 v30, v30, v40
	v_alignbit_b32 v35, v41, v32, v34
	v_alignbit_b32 v30, v32, v30, v34
	;; [unrolled: 1-line block ×3, first 2 shown]
	v_ffbh_u32_e32 v32, v31
	v_min_u32_e32 v32, 32, v32
	v_lshrrev_b32_e32 v38, 29, v2
	v_sub_u32_e32 v34, 31, v32
	v_alignbit_b32 v30, v31, v30, v34
	v_lshlrev_b32_e32 v31, 31, v38
	v_or_b32_e32 v34, 0x33800000, v31
	v_add_lshl_u32 v32, v32, v33, 23
	v_lshrrev_b32_e32 v30, 9, v30
	v_sub_u32_e32 v32, v34, v32
	v_or_b32_e32 v30, v32, v30
	v_alignbit_b32 v32, v33, v35, 9
	v_or_b32_e32 v31, v32, v31
	v_xor_b32_e32 v31, 1.0, v31
	v_mul_f32_e32 v32, 0x3fc90fda, v31
	v_fma_f32 v33, v31, s43, -v32
	v_fmac_f32_e32 v33, 0x33a22168, v31
	v_fmac_f32_e32 v33, 0x3fc90fda, v30
	v_lshrrev_b32_e32 v2, 30, v2
	v_add_f32_e32 v30, v32, v33
	v_add_u32_e32 v2, v39, v2
	s_andn2_saveexec_b64 s[8:9], s[26:27]
	s_cbranch_execz .LBB225_26
.LBB225_31:                             ;   in Loop: Header=BB225_4 Depth=1
	v_mul_f32_e64 v2, |v24|, s44
	v_rndne_f32_e32 v31, v2
	v_cvt_i32_f32_e32 v2, v31
	v_fma_f32 v30, v31, s45, |v24|
	v_fmac_f32_e32 v30, 0xb3a22168, v31
	v_fmac_f32_e32 v30, 0xa7c234c4, v31
	s_or_b64 exec, exec, s[8:9]
	s_and_saveexec_b64 s[8:9], s[6:7]
	s_xor_b64 s[8:9], exec, s[8:9]
	s_cbranch_execz .LBB225_27
.LBB225_32:                             ;   in Loop: Header=BB225_4 Depth=1
	v_mul_f32_e32 v31, v23, v23
	v_mov_b32_e32 v32, 0x3c0881c4
	v_fmac_f32_e32 v32, 0xb94c1982, v31
	v_fma_f32 v32, v31, v32, v13
	v_mul_f32_e32 v32, v31, v32
	v_fmac_f32_e32 v23, v23, v32
	v_mov_b32_e32 v32, 0xbab64f3b
	v_fmac_f32_e32 v32, 0x37d75334, v31
	v_fma_f32 v32, v31, v32, v14
	v_fma_f32 v32, v31, v32, v15
	v_fma_f32 v31, v31, v32, 1.0
	v_and_b32_e32 v32, 1, v22
	v_cmp_eq_u32_e64 s[6:7], 0, v32
	v_lshlrev_b32_e32 v22, 30, v22
	v_cndmask_b32_e64 v23, -v23, v31, s[6:7]
	v_and_b32_e32 v22, 0x80000000, v22
	v_xor_b32_e32 v22, v22, v23
	v_cmp_class_f32_e64 s[6:7], v20, s46
	v_cndmask_b32_e64 v20, v18, v22, s[6:7]
	v_bfe_u32 v22, v20, 16, 1
	v_add3_u32 v22, v20, v22, s47
	v_lshrrev_b32_e32 v22, 16, v22
	v_cmp_o_f32_e64 s[6:7], v20, v20
	v_cndmask_b32_e64 v20, v19, v22, s[6:7]
	global_store_short v[4:5], v20, off
	s_or_b64 exec, exec, s[8:9]
	s_and_saveexec_b64 s[6:7], s[2:3]
	s_cbranch_execz .LBB225_28
.LBB225_33:                             ;   in Loop: Header=BB225_4 Depth=1
	v_mul_f32_e32 v20, v27, v27
	v_mov_b32_e32 v22, 0x3c0881c4
	v_fmac_f32_e32 v22, 0xb94c1982, v20
	v_fma_f32 v22, v20, v22, v13
	v_mul_f32_e32 v22, v20, v22
	v_fmac_f32_e32 v27, v27, v22
	v_mov_b32_e32 v22, 0xbab64f3b
	v_fmac_f32_e32 v22, 0x37d75334, v20
	v_fma_f32 v22, v20, v22, v14
	v_fma_f32 v22, v20, v22, v15
	v_fma_f32 v20, v20, v22, 1.0
	v_and_b32_e32 v22, 1, v26
	v_cmp_eq_u32_e64 s[2:3], 0, v22
	v_lshlrev_b32_e32 v22, 30, v26
	v_cndmask_b32_e64 v20, -v27, v20, s[2:3]
	v_and_b32_e32 v22, 0x80000000, v22
	v_xor_b32_e32 v20, v22, v20
	v_cmp_class_f32_e64 s[2:3], v21, s46
	v_cndmask_b32_e64 v20, v18, v20, s[2:3]
	v_bfe_u32 v21, v20, 16, 1
	v_add3_u32 v21, v20, v21, s47
	v_lshrrev_b32_e32 v21, 16, v21
	v_cmp_o_f32_e64 s[2:3], v20, v20
	v_cndmask_b32_e64 v20, v19, v21, s[2:3]
	global_store_short v[6:7], v20, off
	s_or_b64 exec, exec, s[6:7]
	s_and_saveexec_b64 s[2:3], s[0:1]
	s_cbranch_execz .LBB225_29
.LBB225_34:                             ;   in Loop: Header=BB225_4 Depth=1
	v_mul_f32_e32 v20, v29, v29
	v_mov_b32_e32 v21, 0x3c0881c4
	v_fmac_f32_e32 v21, 0xb94c1982, v20
	v_fma_f32 v21, v20, v21, v13
	v_mul_f32_e32 v21, v20, v21
	v_fmac_f32_e32 v29, v29, v21
	v_mov_b32_e32 v21, 0xbab64f3b
	v_fmac_f32_e32 v21, 0x37d75334, v20
	v_fma_f32 v21, v20, v21, v14
	v_fma_f32 v21, v20, v21, v15
	v_fma_f32 v20, v20, v21, 1.0
	v_and_b32_e32 v21, 1, v28
	v_cmp_eq_u32_e64 s[0:1], 0, v21
	v_lshlrev_b32_e32 v21, 30, v28
	v_cndmask_b32_e64 v20, -v29, v20, s[0:1]
	v_and_b32_e32 v21, 0x80000000, v21
	v_xor_b32_e32 v20, v21, v20
	v_cmp_class_f32_e64 s[0:1], v25, s46
	v_cndmask_b32_e64 v20, v18, v20, s[0:1]
	v_bfe_u32 v21, v20, 16, 1
	v_add3_u32 v21, v20, v21, s47
	v_lshrrev_b32_e32 v21, 16, v21
	v_cmp_o_f32_e64 s[0:1], v20, v20
	v_cndmask_b32_e64 v22, v19, v21, s[0:1]
	v_mov_b32_e32 v21, s28
	v_add_co_u32_e64 v20, s[0:1], s29, v4
	v_addc_co_u32_e64 v21, s[0:1], v5, v21, s[0:1]
	global_store_short v[20:21], v22, off
	s_or_b64 exec, exec, s[2:3]
	s_and_saveexec_b64 s[0:1], vcc
	s_cbranch_execz .LBB225_3
.LBB225_35:                             ;   in Loop: Header=BB225_4 Depth=1
	v_mul_f32_e32 v20, v30, v30
	v_mov_b32_e32 v21, 0x3c0881c4
	v_fmac_f32_e32 v21, 0xb94c1982, v20
	v_fma_f32 v21, v20, v21, v13
	v_mul_f32_e32 v21, v20, v21
	v_fmac_f32_e32 v30, v30, v21
	v_mov_b32_e32 v21, 0xbab64f3b
	v_fmac_f32_e32 v21, 0x37d75334, v20
	v_fma_f32 v21, v20, v21, v14
	v_fma_f32 v21, v20, v21, v15
	v_fma_f32 v20, v20, v21, 1.0
	v_and_b32_e32 v21, 1, v2
	v_cmp_eq_u32_e32 vcc, 0, v21
	v_lshlrev_b32_e32 v2, 30, v2
	v_cndmask_b32_e64 v20, -v30, v20, vcc
	v_and_b32_e32 v2, 0x80000000, v2
	v_xor_b32_e32 v2, v2, v20
	v_cmp_class_f32_e64 vcc, v24, s46
	v_cndmask_b32_e32 v2, v18, v2, vcc
	v_bfe_u32 v20, v2, 16, 1
	v_add3_u32 v20, v2, v20, s47
	v_lshrrev_b32_e32 v20, 16, v20
	v_cmp_o_f32_e32 vcc, v2, v2
	v_cndmask_b32_e32 v2, v19, v20, vcc
	v_mov_b32_e32 v21, s34
	v_add_co_u32_e32 v20, vcc, s33, v4
	v_addc_co_u32_e32 v21, vcc, v5, v21, vcc
	global_store_short v[20:21], v2, off
	s_branch .LBB225_3
.LBB225_36:
	s_cbranch_execz .LBB225_38
	s_branch .LBB225_57
.LBB225_37:
.LBB225_38:
	v_mov_b32_e32 v3, 0
	v_lshlrev_b32_e32 v2, 2, v0
	s_mov_b32 s12, 0
	v_cmp_gt_i64_e32 vcc, s[16:17], v[2:3]
	s_and_saveexec_b64 s[0:1], vcc
	s_cbranch_execz .LBB225_57
; %bb.39:
	s_load_dword s0, s[4:5], 0xd3c
	v_lshlrev_b32_e32 v1, 3, v0
	s_mov_b32 s15, s12
	s_mov_b64 s[6:7], 0
	s_mov_b32 s22, 0xf534ddc0
	s_waitcnt lgkmcnt(0)
	s_and_b32 s0, s0, 0xffff
	s_add_u32 s1, s18, s20
	s_addc_u32 s2, s19, s21
	v_mov_b32_e32 v2, s2
	v_add_co_u32_e32 v4, vcc, s1, v1
	v_addc_co_u32_e32 v5, vcc, 0, v2, vcc
	v_add_lshl_u32 v2, v0, s0, 2
	s_lshl_b32 s13, s0, 3
	s_lshl_b32 s14, s0, 2
	s_brev_b32 s18, 18
	s_mov_b32 s19, 0xfe5163ab
	s_mov_b32 s20, 0x3c439041
	;; [unrolled: 1-line block ×9, first 2 shown]
	v_mov_b32_e32 v8, 0xbe2aaa9d
	v_mov_b32_e32 v9, 0x3d2aabf7
	;; [unrolled: 1-line block ×3, first 2 shown]
	s_movk_i32 s29, 0x1f8
	s_movk_i32 s30, 0x7fff
	s_mov_b64 s[8:9], 0xffff
	v_not_b32_e32 v11, 63
	v_not_b32_e32 v12, 31
	v_mov_b32_e32 v13, 0x7fc00000
	v_mov_b32_e32 v14, 0x7fc0
	v_pk_mov_b32 v[0:1], v[2:3], v[2:3] op_sel:[0,1]
	s_branch .LBB225_41
.LBB225_40:                             ;   in Loop: Header=BB225_41 Depth=1
	s_or_b64 exec, exec, s[0:1]
	v_mul_f32_e32 v24, v22, v22
	v_mov_b32_e32 v25, 0x3c0881c4
	v_fmac_f32_e32 v25, 0xb94c1982, v24
	v_fma_f32 v25, v24, v25, v8
	v_mul_f32_e32 v25, v24, v25
	v_fmac_f32_e32 v22, v22, v25
	v_mov_b32_e32 v25, 0xbab64f3b
	v_fmac_f32_e32 v25, 0x37d75334, v24
	v_fma_f32 v25, v24, v25, v9
	v_fma_f32 v25, v24, v25, v10
	v_fma_f32 v24, v24, v25, 1.0
	v_and_b32_e32 v25, 1, v21
	v_cmp_eq_u32_e32 vcc, 0, v25
	v_lshlrev_b32_e32 v21, 30, v21
	v_cndmask_b32_e64 v22, -v22, v24, vcc
	v_and_b32_e32 v21, 0x80000000, v21
	v_xor_b32_e32 v21, v21, v22
	v_mul_f32_e32 v22, v20, v20
	v_mov_b32_e32 v24, 0x3c0881c4
	v_fmac_f32_e32 v24, 0xb94c1982, v22
	v_fma_f32 v24, v22, v24, v8
	v_mul_f32_e32 v24, v22, v24
	v_fmac_f32_e32 v20, v20, v24
	v_mov_b32_e32 v24, 0xbab64f3b
	v_fmac_f32_e32 v24, 0x37d75334, v22
	v_fma_f32 v24, v22, v24, v9
	v_fma_f32 v24, v22, v24, v10
	v_cmp_class_f32_e64 vcc, v6, s29
	v_fma_f32 v22, v22, v24, 1.0
	v_and_b32_e32 v24, 1, v19
	v_cndmask_b32_e32 v6, v13, v21, vcc
	v_cmp_eq_u32_e32 vcc, 0, v24
	v_lshlrev_b32_e32 v19, 30, v19
	v_cndmask_b32_e64 v20, -v20, v22, vcc
	v_and_b32_e32 v19, 0x80000000, v19
	v_xor_b32_e32 v19, v19, v20
	v_mul_f32_e32 v20, v17, v17
	v_mov_b32_e32 v22, 0x3c0881c4
	v_fmac_f32_e32 v22, 0xb94c1982, v20
	v_fma_f32 v22, v20, v22, v8
	v_mul_f32_e32 v22, v20, v22
	v_fmac_f32_e32 v17, v17, v22
	v_mov_b32_e32 v22, 0xbab64f3b
	v_fmac_f32_e32 v22, 0x37d75334, v20
	v_fma_f32 v22, v20, v22, v9
	v_fma_f32 v22, v20, v22, v10
	v_cmp_class_f32_e64 vcc, v18, s29
	v_fma_f32 v20, v20, v22, 1.0
	v_and_b32_e32 v22, 1, v16
	v_cndmask_b32_e32 v18, v13, v19, vcc
	;; [unrolled: 19-line block ×3, first 2 shown]
	v_cmp_eq_u32_e32 vcc, 0, v20
	v_lshlrev_b32_e32 v2, 30, v2
	v_cndmask_b32_e64 v17, -v23, v17, vcc
	v_and_b32_e32 v2, 0x80000000, v2
	v_xor_b32_e32 v2, v2, v17
	v_cmp_class_f32_e64 vcc, v7, s29
	v_cndmask_b32_e32 v2, v13, v2, vcc
	v_bfe_u32 v7, v2, 16, 1
	v_bfe_u32 v21, v6, 16, 1
	v_add3_u32 v7, v2, v7, s30
	v_add3_u32 v21, v6, v21, s30
	v_bfe_u32 v19, v18, 16, 1
	v_and_b32_e32 v7, 0xffff0000, v7
	v_cmp_o_f32_e32 vcc, v2, v2
	v_lshrrev_b32_e32 v21, 16, v21
	v_add3_u32 v19, v18, v19, s30
	v_bfe_u32 v16, v15, 16, 1
	v_cndmask_b32_e32 v2, v13, v7, vcc
	v_cmp_o_f32_e32 vcc, v6, v6
	v_and_b32_e32 v19, 0xffff0000, v19
	v_add3_u32 v16, v15, v16, s30
	v_cndmask_b32_e32 v6, v14, v21, vcc
	v_cmp_o_f32_e32 vcc, v18, v18
	v_lshrrev_b32_e32 v16, 16, v16
	v_cndmask_b32_e32 v7, v13, v19, vcc
	v_cmp_o_f32_e32 vcc, v15, v15
	v_cndmask_b32_e32 v15, v14, v16, vcc
	v_or_b32_e32 v15, v7, v15
	v_or3_b32 v7, 0, v6, v2
	v_or3_b32 v6, v15, 0, 0
	v_cmp_le_i64_e32 vcc, s[16:17], v[0:1]
	v_cmp_lt_u64_e64 s[0:1], s[8:9], v[0:1]
	global_store_dwordx2 v[4:5], v[6:7], off
	s_or_b64 s[0:1], vcc, s[0:1]
	v_mov_b32_e32 v2, s12
	v_add_co_u32_e32 v4, vcc, s13, v4
	v_addc_co_u32_e32 v5, vcc, v5, v2, vcc
	v_mov_b32_e32 v2, s15
	s_and_b64 s[0:1], exec, s[0:1]
	v_add_co_u32_e32 v0, vcc, s14, v0
	s_or_b64 s[6:7], s[0:1], s[6:7]
	v_addc_co_u32_e32 v1, vcc, v1, v2, vcc
	s_andn2_b64 exec, exec, s[6:7]
	s_cbranch_execz .LBB225_57
.LBB225_41:                             ; =>This Inner Loop Header: Depth=1
	global_load_dwordx2 v[6:7], v[4:5], off
                                        ; implicit-def: $vgpr16
                                        ; implicit-def: $vgpr17
	s_waitcnt vmcnt(0)
	v_lshlrev_b32_e32 v15, 16, v6
	v_cmp_nlt_f32_e64 s[0:1], |v15|, s18
	s_and_saveexec_b64 s[2:3], s[0:1]
	s_xor_b64 s[10:11], exec, s[2:3]
	s_cbranch_execz .LBB225_43
; %bb.42:                               ;   in Loop: Header=BB225_41 Depth=1
	v_and_b32_e32 v2, 0x7fffffff, v15
	v_lshrrev_b32_e32 v16, 23, v2
	v_add_u32_e32 v16, 0xffffff88, v16
	v_cmp_lt_u32_e32 vcc, 63, v16
	v_cndmask_b32_e32 v17, 0, v11, vcc
	v_add_u32_e32 v16, v17, v16
	v_cmp_lt_u32_e64 s[0:1], 31, v16
	v_cndmask_b32_e64 v17, 0, v12, s[0:1]
	v_add_u32_e32 v16, v17, v16
	v_cmp_lt_u32_e64 s[2:3], 31, v16
	v_and_b32_e32 v2, 0x7fffff, v2
	v_cndmask_b32_e64 v17, 0, v12, s[2:3]
	v_or_b32_e32 v28, 0x800000, v2
	v_add_u32_e32 v30, v17, v16
	v_mad_u64_u32 v[16:17], s[4:5], v28, s19, 0
	v_mov_b32_e32 v2, v17
	v_mad_u64_u32 v[18:19], s[4:5], v28, s20, v[2:3]
	v_mov_b32_e32 v2, v19
	;; [unrolled: 2-line block ×6, first 2 shown]
	v_mad_u64_u32 v[28:29], s[4:5], v28, s25, v[2:3]
	v_cndmask_b32_e32 v17, v26, v22, vcc
	v_cndmask_b32_e32 v2, v28, v24, vcc
	;; [unrolled: 1-line block ×3, first 2 shown]
	v_cndmask_b32_e64 v19, v2, v17, s[0:1]
	v_cndmask_b32_e64 v2, v21, v2, s[0:1]
	v_cndmask_b32_e32 v21, v24, v20, vcc
	v_cndmask_b32_e64 v17, v17, v21, s[0:1]
	v_cndmask_b32_e32 v18, v22, v18, vcc
	v_cndmask_b32_e64 v2, v2, v19, s[2:3]
	v_cndmask_b32_e64 v19, v19, v17, s[2:3]
	v_sub_u32_e32 v23, 32, v30
	v_cndmask_b32_e64 v21, v21, v18, s[0:1]
	v_alignbit_b32 v24, v2, v19, v23
	v_cmp_eq_u32_e64 s[4:5], 0, v30
	v_cndmask_b32_e64 v17, v17, v21, s[2:3]
	v_cndmask_b32_e32 v16, v20, v16, vcc
	v_cndmask_b32_e64 v2, v24, v2, s[4:5]
	v_alignbit_b32 v22, v19, v17, v23
	v_cndmask_b32_e64 v16, v18, v16, s[0:1]
	v_cndmask_b32_e64 v19, v22, v19, s[4:5]
	v_bfe_u32 v25, v2, 29, 1
	v_cndmask_b32_e64 v16, v21, v16, s[2:3]
	v_alignbit_b32 v22, v2, v19, 30
	v_sub_u32_e32 v26, 0, v25
	v_alignbit_b32 v18, v17, v16, v23
	v_xor_b32_e32 v27, v22, v26
	v_cndmask_b32_e64 v17, v18, v17, s[4:5]
	v_alignbit_b32 v18, v19, v17, 30
	v_ffbh_u32_e32 v19, v27
	v_add_u32_e32 v19, 1, v19
	v_cmp_ne_u32_e32 vcc, v22, v26
	v_cndmask_b32_e32 v19, 33, v19, vcc
	v_alignbit_b32 v16, v17, v16, 30
	v_xor_b32_e32 v18, v18, v26
	v_sub_u32_e32 v20, 32, v19
	v_xor_b32_e32 v16, v16, v26
	v_alignbit_b32 v21, v27, v18, v20
	v_alignbit_b32 v16, v18, v16, v20
	;; [unrolled: 1-line block ×3, first 2 shown]
	v_ffbh_u32_e32 v18, v17
	v_min_u32_e32 v18, 32, v18
	v_lshrrev_b32_e32 v24, 29, v2
	v_sub_u32_e32 v20, 31, v18
	v_alignbit_b32 v16, v17, v16, v20
	v_lshlrev_b32_e32 v17, 31, v24
	v_or_b32_e32 v20, 0x33800000, v17
	v_add_lshl_u32 v18, v18, v19, 23
	v_lshrrev_b32_e32 v16, 9, v16
	v_sub_u32_e32 v18, v20, v18
	v_or_b32_e32 v16, v18, v16
	v_alignbit_b32 v18, v19, v21, 9
	v_or_b32_e32 v17, v18, v17
	v_xor_b32_e32 v17, 1.0, v17
	v_mul_f32_e32 v18, 0x3fc90fda, v17
	v_fma_f32 v19, v17, s26, -v18
	v_fmac_f32_e32 v19, 0x33a22168, v17
	v_fmac_f32_e32 v19, 0x3fc90fda, v16
	v_lshrrev_b32_e32 v2, 30, v2
	v_add_f32_e32 v17, v18, v19
	v_add_u32_e32 v16, v25, v2
.LBB225_43:                             ;   in Loop: Header=BB225_41 Depth=1
	s_andn2_saveexec_b64 s[0:1], s[10:11]
; %bb.44:                               ;   in Loop: Header=BB225_41 Depth=1
	v_mul_f32_e64 v2, |v15|, s27
	v_rndne_f32_e32 v2, v2
	v_cvt_i32_f32_e32 v16, v2
	v_fma_f32 v17, v2, s28, |v15|
	v_fmac_f32_e32 v17, 0xb3a22168, v2
	v_fmac_f32_e32 v17, 0xa7c234c4, v2
; %bb.45:                               ;   in Loop: Header=BB225_41 Depth=1
	s_or_b64 exec, exec, s[0:1]
	v_and_b32_e32 v18, 0xffff0000, v6
	v_cmp_nlt_f32_e64 s[0:1], |v18|, s18
                                        ; implicit-def: $vgpr19
                                        ; implicit-def: $vgpr20
	s_and_saveexec_b64 s[2:3], s[0:1]
	s_xor_b64 s[10:11], exec, s[2:3]
	s_cbranch_execz .LBB225_47
; %bb.46:                               ;   in Loop: Header=BB225_41 Depth=1
	v_and_b32_e32 v2, 0x7fffffff, v18
	v_lshrrev_b32_e32 v19, 23, v2
	v_add_u32_e32 v19, 0xffffff88, v19
	v_cmp_lt_u32_e32 vcc, 63, v19
	v_cndmask_b32_e32 v20, 0, v11, vcc
	v_add_u32_e32 v19, v20, v19
	v_cmp_lt_u32_e64 s[0:1], 31, v19
	v_cndmask_b32_e64 v20, 0, v12, s[0:1]
	v_add_u32_e32 v19, v20, v19
	v_cmp_lt_u32_e64 s[2:3], 31, v19
	v_and_b32_e32 v2, 0x7fffff, v2
	v_cndmask_b32_e64 v20, 0, v12, s[2:3]
	v_or_b32_e32 v32, 0x800000, v2
	v_add_u32_e32 v19, v20, v19
	v_mad_u64_u32 v[20:21], s[4:5], v32, s19, 0
	v_mov_b32_e32 v2, v21
	v_mad_u64_u32 v[22:23], s[4:5], v32, s20, v[2:3]
	v_mov_b32_e32 v2, v23
	;; [unrolled: 2-line block ×6, first 2 shown]
	v_mad_u64_u32 v[32:33], s[4:5], v32, s25, v[2:3]
	v_cndmask_b32_e32 v21, v30, v26, vcc
	v_cndmask_b32_e32 v2, v32, v28, vcc
	;; [unrolled: 1-line block ×3, first 2 shown]
	v_cndmask_b32_e64 v23, v2, v21, s[0:1]
	v_cndmask_b32_e64 v2, v25, v2, s[0:1]
	v_cndmask_b32_e32 v25, v28, v24, vcc
	v_cndmask_b32_e64 v21, v21, v25, s[0:1]
	v_sub_u32_e32 v27, 32, v19
	v_cmp_eq_u32_e64 s[4:5], 0, v19
	v_cndmask_b32_e32 v19, v26, v22, vcc
	v_cndmask_b32_e64 v2, v2, v23, s[2:3]
	v_cndmask_b32_e64 v23, v23, v21, s[2:3]
	;; [unrolled: 1-line block ×3, first 2 shown]
	v_alignbit_b32 v28, v2, v23, v27
	v_cndmask_b32_e64 v21, v21, v22, s[2:3]
	v_cndmask_b32_e64 v2, v28, v2, s[4:5]
	v_alignbit_b32 v25, v23, v21, v27
	v_cndmask_b32_e64 v23, v25, v23, s[4:5]
	v_bfe_u32 v28, v2, 29, 1
	v_cndmask_b32_e32 v20, v24, v20, vcc
	v_alignbit_b32 v25, v2, v23, 30
	v_sub_u32_e32 v29, 0, v28
	v_cndmask_b32_e64 v19, v19, v20, s[0:1]
	v_xor_b32_e32 v30, v25, v29
	v_cndmask_b32_e64 v19, v22, v19, s[2:3]
	v_alignbit_b32 v20, v21, v19, v27
	v_ffbh_u32_e32 v22, v30
	v_cndmask_b32_e64 v20, v20, v21, s[4:5]
	v_add_u32_e32 v22, 1, v22
	v_cmp_ne_u32_e32 vcc, v25, v29
	v_alignbit_b32 v21, v23, v20, 30
	v_cndmask_b32_e32 v22, 33, v22, vcc
	v_alignbit_b32 v19, v20, v19, 30
	v_xor_b32_e32 v21, v21, v29
	v_sub_u32_e32 v23, 32, v22
	v_xor_b32_e32 v19, v19, v29
	v_alignbit_b32 v24, v30, v21, v23
	v_alignbit_b32 v19, v21, v19, v23
	;; [unrolled: 1-line block ×3, first 2 shown]
	v_ffbh_u32_e32 v21, v20
	v_min_u32_e32 v21, 32, v21
	v_lshrrev_b32_e32 v26, 29, v2
	v_sub_u32_e32 v23, 31, v21
	v_alignbit_b32 v19, v20, v19, v23
	v_lshlrev_b32_e32 v20, 31, v26
	v_or_b32_e32 v23, 0x33800000, v20
	v_add_lshl_u32 v21, v21, v22, 23
	v_lshrrev_b32_e32 v19, 9, v19
	v_sub_u32_e32 v21, v23, v21
	v_or_b32_e32 v19, v21, v19
	v_alignbit_b32 v21, v22, v24, 9
	v_or_b32_e32 v20, v21, v20
	v_xor_b32_e32 v20, 1.0, v20
	v_mul_f32_e32 v21, 0x3fc90fda, v20
	v_fma_f32 v22, v20, s26, -v21
	v_fmac_f32_e32 v22, 0x33a22168, v20
	v_fmac_f32_e32 v22, 0x3fc90fda, v19
	v_lshrrev_b32_e32 v2, 30, v2
	v_add_f32_e32 v20, v21, v22
	v_add_u32_e32 v19, v28, v2
.LBB225_47:                             ;   in Loop: Header=BB225_41 Depth=1
	s_andn2_saveexec_b64 s[0:1], s[10:11]
; %bb.48:                               ;   in Loop: Header=BB225_41 Depth=1
	v_mul_f32_e64 v2, |v18|, s27
	v_rndne_f32_e32 v2, v2
	v_cvt_i32_f32_e32 v19, v2
	v_fma_f32 v20, v2, s28, |v18|
	v_fmac_f32_e32 v20, 0xb3a22168, v2
	v_fmac_f32_e32 v20, 0xa7c234c4, v2
; %bb.49:                               ;   in Loop: Header=BB225_41 Depth=1
	s_or_b64 exec, exec, s[0:1]
	v_alignbit_b32 v2, v7, v6, 16
	v_and_b32_e32 v6, 0xffff0000, v2
	v_cmp_nlt_f32_e64 s[0:1], |v6|, s18
                                        ; implicit-def: $vgpr21
                                        ; implicit-def: $vgpr22
	s_and_saveexec_b64 s[2:3], s[0:1]
	s_xor_b64 s[10:11], exec, s[2:3]
	s_cbranch_execz .LBB225_51
; %bb.50:                               ;   in Loop: Header=BB225_41 Depth=1
	v_and_b32_e32 v2, 0x7fffffff, v6
	v_lshrrev_b32_e32 v21, 23, v2
	v_add_u32_e32 v21, 0xffffff88, v21
	v_cmp_lt_u32_e32 vcc, 63, v21
	v_cndmask_b32_e32 v22, 0, v11, vcc
	v_add_u32_e32 v21, v22, v21
	v_cmp_lt_u32_e64 s[0:1], 31, v21
	v_cndmask_b32_e64 v22, 0, v12, s[0:1]
	v_add_u32_e32 v21, v22, v21
	v_cmp_lt_u32_e64 s[2:3], 31, v21
	v_and_b32_e32 v2, 0x7fffff, v2
	v_cndmask_b32_e64 v22, 0, v12, s[2:3]
	v_or_b32_e32 v34, 0x800000, v2
	v_add_u32_e32 v21, v22, v21
	v_mad_u64_u32 v[22:23], s[4:5], v34, s19, 0
	v_mov_b32_e32 v2, v23
	v_mad_u64_u32 v[24:25], s[4:5], v34, s20, v[2:3]
	v_mov_b32_e32 v2, v25
	v_mad_u64_u32 v[26:27], s[4:5], v34, s21, v[2:3]
	v_mov_b32_e32 v2, v27
	v_mad_u64_u32 v[28:29], s[4:5], v34, s22, v[2:3]
	v_mov_b32_e32 v2, v29
	v_mad_u64_u32 v[30:31], s[4:5], v34, s23, v[2:3]
	v_mov_b32_e32 v2, v31
	v_mad_u64_u32 v[32:33], s[4:5], v34, s24, v[2:3]
	v_mov_b32_e32 v2, v33
	v_mad_u64_u32 v[34:35], s[4:5], v34, s25, v[2:3]
	v_cndmask_b32_e32 v23, v32, v28, vcc
	v_cndmask_b32_e32 v2, v34, v30, vcc
	;; [unrolled: 1-line block ×3, first 2 shown]
	v_cndmask_b32_e64 v25, v2, v23, s[0:1]
	v_cndmask_b32_e64 v2, v27, v2, s[0:1]
	v_cndmask_b32_e32 v27, v30, v26, vcc
	v_cndmask_b32_e64 v23, v23, v27, s[0:1]
	v_sub_u32_e32 v29, 32, v21
	v_cmp_eq_u32_e64 s[4:5], 0, v21
	v_cndmask_b32_e32 v21, v28, v24, vcc
	v_cndmask_b32_e64 v2, v2, v25, s[2:3]
	v_cndmask_b32_e64 v25, v25, v23, s[2:3]
	;; [unrolled: 1-line block ×3, first 2 shown]
	v_alignbit_b32 v30, v2, v25, v29
	v_cndmask_b32_e64 v23, v23, v24, s[2:3]
	v_cndmask_b32_e64 v2, v30, v2, s[4:5]
	v_alignbit_b32 v27, v25, v23, v29
	v_cndmask_b32_e64 v25, v27, v25, s[4:5]
	v_bfe_u32 v30, v2, 29, 1
	v_cndmask_b32_e32 v22, v26, v22, vcc
	v_alignbit_b32 v27, v2, v25, 30
	v_sub_u32_e32 v31, 0, v30
	v_cndmask_b32_e64 v21, v21, v22, s[0:1]
	v_xor_b32_e32 v32, v27, v31
	v_cndmask_b32_e64 v21, v24, v21, s[2:3]
	v_alignbit_b32 v22, v23, v21, v29
	v_ffbh_u32_e32 v24, v32
	v_cndmask_b32_e64 v22, v22, v23, s[4:5]
	v_add_u32_e32 v24, 1, v24
	v_cmp_ne_u32_e32 vcc, v27, v31
	v_alignbit_b32 v23, v25, v22, 30
	v_cndmask_b32_e32 v24, 33, v24, vcc
	v_alignbit_b32 v21, v22, v21, 30
	v_xor_b32_e32 v23, v23, v31
	v_sub_u32_e32 v25, 32, v24
	v_xor_b32_e32 v21, v21, v31
	v_alignbit_b32 v26, v32, v23, v25
	v_alignbit_b32 v21, v23, v21, v25
	;; [unrolled: 1-line block ×3, first 2 shown]
	v_ffbh_u32_e32 v23, v22
	v_min_u32_e32 v23, 32, v23
	v_lshrrev_b32_e32 v28, 29, v2
	v_sub_u32_e32 v25, 31, v23
	v_alignbit_b32 v21, v22, v21, v25
	v_lshlrev_b32_e32 v22, 31, v28
	v_or_b32_e32 v25, 0x33800000, v22
	v_add_lshl_u32 v23, v23, v24, 23
	v_lshrrev_b32_e32 v21, 9, v21
	v_sub_u32_e32 v23, v25, v23
	v_or_b32_e32 v21, v23, v21
	v_alignbit_b32 v23, v24, v26, 9
	v_or_b32_e32 v22, v23, v22
	v_xor_b32_e32 v22, 1.0, v22
	v_mul_f32_e32 v23, 0x3fc90fda, v22
	v_fma_f32 v24, v22, s26, -v23
	v_fmac_f32_e32 v24, 0x33a22168, v22
	v_fmac_f32_e32 v24, 0x3fc90fda, v21
	v_lshrrev_b32_e32 v2, 30, v2
	v_add_f32_e32 v22, v23, v24
	v_add_u32_e32 v21, v30, v2
.LBB225_51:                             ;   in Loop: Header=BB225_41 Depth=1
	s_andn2_saveexec_b64 s[0:1], s[10:11]
; %bb.52:                               ;   in Loop: Header=BB225_41 Depth=1
	v_mul_f32_e64 v2, |v6|, s27
	v_rndne_f32_e32 v2, v2
	v_cvt_i32_f32_e32 v21, v2
	v_fma_f32 v22, v2, s28, |v6|
	v_fmac_f32_e32 v22, 0xb3a22168, v2
	v_fmac_f32_e32 v22, 0xa7c234c4, v2
; %bb.53:                               ;   in Loop: Header=BB225_41 Depth=1
	s_or_b64 exec, exec, s[0:1]
	v_and_b32_e32 v7, 0xffff0000, v7
	v_cmp_nlt_f32_e64 s[0:1], |v7|, s18
                                        ; implicit-def: $vgpr2
                                        ; implicit-def: $vgpr23
	s_and_saveexec_b64 s[2:3], s[0:1]
	s_xor_b64 s[10:11], exec, s[2:3]
	s_cbranch_execz .LBB225_55
; %bb.54:                               ;   in Loop: Header=BB225_41 Depth=1
	v_and_b32_e32 v2, 0x7fffffff, v7
	v_lshrrev_b32_e32 v23, 23, v2
	v_add_u32_e32 v23, 0xffffff88, v23
	v_cmp_lt_u32_e32 vcc, 63, v23
	v_cndmask_b32_e32 v24, 0, v11, vcc
	v_add_u32_e32 v23, v24, v23
	v_cmp_lt_u32_e64 s[0:1], 31, v23
	v_cndmask_b32_e64 v24, 0, v12, s[0:1]
	v_add_u32_e32 v23, v24, v23
	v_cmp_lt_u32_e64 s[2:3], 31, v23
	v_and_b32_e32 v2, 0x7fffff, v2
	v_cndmask_b32_e64 v24, 0, v12, s[2:3]
	v_or_b32_e32 v36, 0x800000, v2
	v_add_u32_e32 v23, v24, v23
	v_mad_u64_u32 v[24:25], s[4:5], v36, s19, 0
	v_mov_b32_e32 v2, v25
	v_mad_u64_u32 v[26:27], s[4:5], v36, s20, v[2:3]
	v_mov_b32_e32 v2, v27
	;; [unrolled: 2-line block ×6, first 2 shown]
	v_mad_u64_u32 v[36:37], s[4:5], v36, s25, v[2:3]
	v_cndmask_b32_e32 v25, v34, v30, vcc
	v_cndmask_b32_e32 v2, v36, v32, vcc
	;; [unrolled: 1-line block ×3, first 2 shown]
	v_cndmask_b32_e64 v27, v2, v25, s[0:1]
	v_cndmask_b32_e64 v2, v29, v2, s[0:1]
	v_cndmask_b32_e32 v29, v32, v28, vcc
	v_cndmask_b32_e64 v25, v25, v29, s[0:1]
	v_sub_u32_e32 v31, 32, v23
	v_cmp_eq_u32_e64 s[4:5], 0, v23
	v_cndmask_b32_e32 v23, v30, v26, vcc
	v_cndmask_b32_e64 v2, v2, v27, s[2:3]
	v_cndmask_b32_e64 v27, v27, v25, s[2:3]
	;; [unrolled: 1-line block ×3, first 2 shown]
	v_alignbit_b32 v32, v2, v27, v31
	v_cndmask_b32_e64 v25, v25, v26, s[2:3]
	v_cndmask_b32_e64 v2, v32, v2, s[4:5]
	v_alignbit_b32 v29, v27, v25, v31
	v_cndmask_b32_e64 v27, v29, v27, s[4:5]
	v_bfe_u32 v32, v2, 29, 1
	v_cndmask_b32_e32 v24, v28, v24, vcc
	v_alignbit_b32 v29, v2, v27, 30
	v_sub_u32_e32 v33, 0, v32
	v_cndmask_b32_e64 v23, v23, v24, s[0:1]
	v_xor_b32_e32 v34, v29, v33
	v_cndmask_b32_e64 v23, v26, v23, s[2:3]
	v_alignbit_b32 v24, v25, v23, v31
	v_ffbh_u32_e32 v26, v34
	v_cndmask_b32_e64 v24, v24, v25, s[4:5]
	v_add_u32_e32 v26, 1, v26
	v_cmp_ne_u32_e32 vcc, v29, v33
	v_alignbit_b32 v25, v27, v24, 30
	v_cndmask_b32_e32 v26, 33, v26, vcc
	v_alignbit_b32 v23, v24, v23, 30
	v_xor_b32_e32 v25, v25, v33
	v_sub_u32_e32 v27, 32, v26
	v_xor_b32_e32 v23, v23, v33
	v_alignbit_b32 v28, v34, v25, v27
	v_alignbit_b32 v23, v25, v23, v27
	;; [unrolled: 1-line block ×3, first 2 shown]
	v_ffbh_u32_e32 v25, v24
	v_min_u32_e32 v25, 32, v25
	v_lshrrev_b32_e32 v30, 29, v2
	v_sub_u32_e32 v27, 31, v25
	v_alignbit_b32 v23, v24, v23, v27
	v_lshlrev_b32_e32 v24, 31, v30
	v_or_b32_e32 v27, 0x33800000, v24
	v_add_lshl_u32 v25, v25, v26, 23
	v_lshrrev_b32_e32 v23, 9, v23
	v_sub_u32_e32 v25, v27, v25
	v_or_b32_e32 v23, v25, v23
	v_alignbit_b32 v25, v26, v28, 9
	v_or_b32_e32 v24, v25, v24
	v_xor_b32_e32 v24, 1.0, v24
	v_mul_f32_e32 v25, 0x3fc90fda, v24
	v_fma_f32 v26, v24, s26, -v25
	v_fmac_f32_e32 v26, 0x33a22168, v24
	v_fmac_f32_e32 v26, 0x3fc90fda, v23
	v_lshrrev_b32_e32 v2, 30, v2
	v_add_f32_e32 v23, v25, v26
	v_add_u32_e32 v2, v32, v2
.LBB225_55:                             ;   in Loop: Header=BB225_41 Depth=1
	s_andn2_saveexec_b64 s[0:1], s[10:11]
	s_cbranch_execz .LBB225_40
; %bb.56:                               ;   in Loop: Header=BB225_41 Depth=1
	v_mul_f32_e64 v2, |v7|, s27
	v_rndne_f32_e32 v24, v2
	v_cvt_i32_f32_e32 v2, v24
	v_fma_f32 v23, v24, s28, |v7|
	v_fmac_f32_e32 v23, 0xb3a22168, v24
	v_fmac_f32_e32 v23, 0xa7c234c4, v24
	s_branch .LBB225_40
.LBB225_57:
	s_endpgm
	.section	.rodata,"a",@progbits
	.p2align	6, 0x0
	.amdhsa_kernel _ZN2at6native12_GLOBAL__N_125multi_tensor_apply_kernelINS1_18TensorListMetadataILi1EEENS1_14UnaryOpFunctorIN3c108BFloat16ELi1ELi1ELi0EEEJNS0_3CosIfEEEEEvT_T0_DpT1_
		.amdhsa_group_segment_fixed_size 0
		.amdhsa_private_segment_fixed_size 0
		.amdhsa_kernarg_size 3632
		.amdhsa_user_sgpr_count 6
		.amdhsa_user_sgpr_private_segment_buffer 1
		.amdhsa_user_sgpr_dispatch_ptr 0
		.amdhsa_user_sgpr_queue_ptr 0
		.amdhsa_user_sgpr_kernarg_segment_ptr 1
		.amdhsa_user_sgpr_dispatch_id 0
		.amdhsa_user_sgpr_flat_scratch_init 0
		.amdhsa_user_sgpr_kernarg_preload_length 0
		.amdhsa_user_sgpr_kernarg_preload_offset 0
		.amdhsa_user_sgpr_private_segment_size 0
		.amdhsa_uses_dynamic_stack 0
		.amdhsa_system_sgpr_private_segment_wavefront_offset 0
		.amdhsa_system_sgpr_workgroup_id_x 1
		.amdhsa_system_sgpr_workgroup_id_y 0
		.amdhsa_system_sgpr_workgroup_id_z 0
		.amdhsa_system_sgpr_workgroup_info 0
		.amdhsa_system_vgpr_workitem_id 0
		.amdhsa_next_free_vgpr 45
		.amdhsa_next_free_sgpr 48
		.amdhsa_accum_offset 48
		.amdhsa_reserve_vcc 1
		.amdhsa_reserve_flat_scratch 0
		.amdhsa_float_round_mode_32 0
		.amdhsa_float_round_mode_16_64 0
		.amdhsa_float_denorm_mode_32 3
		.amdhsa_float_denorm_mode_16_64 3
		.amdhsa_dx10_clamp 1
		.amdhsa_ieee_mode 1
		.amdhsa_fp16_overflow 0
		.amdhsa_tg_split 0
		.amdhsa_exception_fp_ieee_invalid_op 0
		.amdhsa_exception_fp_denorm_src 0
		.amdhsa_exception_fp_ieee_div_zero 0
		.amdhsa_exception_fp_ieee_overflow 0
		.amdhsa_exception_fp_ieee_underflow 0
		.amdhsa_exception_fp_ieee_inexact 0
		.amdhsa_exception_int_div_zero 0
	.end_amdhsa_kernel
	.section	.text._ZN2at6native12_GLOBAL__N_125multi_tensor_apply_kernelINS1_18TensorListMetadataILi1EEENS1_14UnaryOpFunctorIN3c108BFloat16ELi1ELi1ELi0EEEJNS0_3CosIfEEEEEvT_T0_DpT1_,"axG",@progbits,_ZN2at6native12_GLOBAL__N_125multi_tensor_apply_kernelINS1_18TensorListMetadataILi1EEENS1_14UnaryOpFunctorIN3c108BFloat16ELi1ELi1ELi0EEEJNS0_3CosIfEEEEEvT_T0_DpT1_,comdat
.Lfunc_end225:
	.size	_ZN2at6native12_GLOBAL__N_125multi_tensor_apply_kernelINS1_18TensorListMetadataILi1EEENS1_14UnaryOpFunctorIN3c108BFloat16ELi1ELi1ELi0EEEJNS0_3CosIfEEEEEvT_T0_DpT1_, .Lfunc_end225-_ZN2at6native12_GLOBAL__N_125multi_tensor_apply_kernelINS1_18TensorListMetadataILi1EEENS1_14UnaryOpFunctorIN3c108BFloat16ELi1ELi1ELi0EEEJNS0_3CosIfEEEEEvT_T0_DpT1_
                                        ; -- End function
	.section	.AMDGPU.csdata,"",@progbits
; Kernel info:
; codeLenInByte = 7540
; NumSgprs: 52
; NumVgprs: 45
; NumAgprs: 0
; TotalNumVgprs: 45
; ScratchSize: 0
; MemoryBound: 0
; FloatMode: 240
; IeeeMode: 1
; LDSByteSize: 0 bytes/workgroup (compile time only)
; SGPRBlocks: 6
; VGPRBlocks: 5
; NumSGPRsForWavesPerEU: 52
; NumVGPRsForWavesPerEU: 45
; AccumOffset: 48
; Occupancy: 8
; WaveLimiterHint : 0
; COMPUTE_PGM_RSRC2:SCRATCH_EN: 0
; COMPUTE_PGM_RSRC2:USER_SGPR: 6
; COMPUTE_PGM_RSRC2:TRAP_HANDLER: 0
; COMPUTE_PGM_RSRC2:TGID_X_EN: 1
; COMPUTE_PGM_RSRC2:TGID_Y_EN: 0
; COMPUTE_PGM_RSRC2:TGID_Z_EN: 0
; COMPUTE_PGM_RSRC2:TIDIG_COMP_CNT: 0
; COMPUTE_PGM_RSRC3_GFX90A:ACCUM_OFFSET: 11
; COMPUTE_PGM_RSRC3_GFX90A:TG_SPLIT: 0
	.section	.text._ZN2at6native12_GLOBAL__N_125multi_tensor_apply_kernelINS1_18TensorListMetadataILi2EEENS1_14UnaryOpFunctorIdLi2ELi1ELi1EEEJNS0_4SqrtIdEEEEEvT_T0_DpT1_,"axG",@progbits,_ZN2at6native12_GLOBAL__N_125multi_tensor_apply_kernelINS1_18TensorListMetadataILi2EEENS1_14UnaryOpFunctorIdLi2ELi1ELi1EEEJNS0_4SqrtIdEEEEEvT_T0_DpT1_,comdat
	.globl	_ZN2at6native12_GLOBAL__N_125multi_tensor_apply_kernelINS1_18TensorListMetadataILi2EEENS1_14UnaryOpFunctorIdLi2ELi1ELi1EEEJNS0_4SqrtIdEEEEEvT_T0_DpT1_ ; -- Begin function _ZN2at6native12_GLOBAL__N_125multi_tensor_apply_kernelINS1_18TensorListMetadataILi2EEENS1_14UnaryOpFunctorIdLi2ELi1ELi1EEEJNS0_4SqrtIdEEEEEvT_T0_DpT1_
	.p2align	8
	.type	_ZN2at6native12_GLOBAL__N_125multi_tensor_apply_kernelINS1_18TensorListMetadataILi2EEENS1_14UnaryOpFunctorIdLi2ELi1ELi1EEEJNS0_4SqrtIdEEEEEvT_T0_DpT1_,@function
_ZN2at6native12_GLOBAL__N_125multi_tensor_apply_kernelINS1_18TensorListMetadataILi2EEENS1_14UnaryOpFunctorIdLi2ELi1ELi1EEEJNS0_4SqrtIdEEEEEvT_T0_DpT1_: ; @_ZN2at6native12_GLOBAL__N_125multi_tensor_apply_kernelINS1_18TensorListMetadataILi2EEENS1_14UnaryOpFunctorIdLi2ELi1ELi1EEEJNS0_4SqrtIdEEEEEvT_T0_DpT1_
; %bb.0:
	v_mov_b32_e32 v1, s6
	global_load_ubyte v1, v1, s[4:5] offset:1536
	s_add_u32 s0, s4, s6
	s_mul_hi_u32 s2, s6, 3
	s_mul_i32 s6, s6, 3
	s_addc_u32 s9, s5, 0
	s_add_u32 s8, s0, s6
	s_addc_u32 s9, s9, s2
	s_load_dword s10, s[8:9], 0x740
	s_mov_b32 s1, 0
	s_mov_b32 s7, s1
	;; [unrolled: 1-line block ×3, first 2 shown]
	s_waitcnt lgkmcnt(0)
	s_ashr_i32 s11, s10, 31
	s_lshl_b64 s[8:9], s[10:11], 19
	s_waitcnt vmcnt(0)
	v_readfirstlane_b32 s0, v1
	s_lshl_b32 s0, s0, 3
	s_load_dwordx2 s[16:17], s[4:5], s0 offset:0x0
	s_load_dwordx2 s[12:13], s[4:5], s0 offset:0x400
	;; [unrolled: 1-line block ×3, first 2 shown]
	s_waitcnt lgkmcnt(0)
	s_add_u32 s24, s16, s8
	s_addc_u32 s25, s17, s9
	s_and_b32 s0, s24, 31
	s_add_u32 s26, s14, s8
	s_addc_u32 s27, s15, s9
	s_and_b32 s6, s12, 3
	s_and_b32 s2, s26, 31
	s_or_b64 s[6:7], s[0:1], s[6:7]
	s_or_b64 s[2:3], s[2:3], s[6:7]
	s_lshl_b64 s[6:7], s[10:11], 16
	s_sub_u32 s10, s12, s6
	s_subb_u32 s11, s13, s7
	s_cmp_eq_u64 s[2:3], 0
	s_mov_b64 s[2:3], -1
	s_cbranch_scc0 .LBB226_5
; %bb.1:
	v_mov_b32_e32 v3, 0
	v_lshlrev_b32_e32 v2, 2, v0
	v_cmp_gt_i64_e32 vcc, s[10:11], v[2:3]
	s_and_saveexec_b64 s[12:13], vcc
	s_cbranch_execz .LBB226_4
; %bb.2:
	s_load_dword s0, s[4:5], 0xc5c
	s_mov_b32 s20, 0
	v_lshlrev_b32_e32 v4, 5, v0
	s_mov_b64 s[18:19], 0
	s_brev_b32 s21, 8
	s_waitcnt lgkmcnt(0)
	s_and_b32 s0, s0, 0xffff
	v_add_lshl_u32 v2, v0, s0, 2
	s_lshl_b32 s28, s0, 2
	s_lshl_b32 s29, s0, 5
	v_mov_b32_e32 v1, 0xffffff80
	v_mov_b32_e32 v5, 0x260
	s_mov_b64 s[22:23], 0xffff
	v_mov_b32_e32 v6, s1
.LBB226_3:                              ; =>This Inner Loop Header: Depth=1
	v_mov_b32_e32 v7, s25
	v_add_co_u32_e32 v16, vcc, s24, v4
	v_addc_co_u32_e32 v17, vcc, 0, v7, vcc
	global_load_dwordx4 v[8:11], v[16:17], off
	global_load_dwordx4 v[12:15], v[16:17], off offset:16
	v_cmp_le_i64_e32 vcc, s[10:11], v[2:3]
	v_cmp_lt_u64_e64 s[0:1], s[22:23], v[2:3]
	s_or_b64 s[0:1], vcc, s[0:1]
	v_add_co_u32_e64 v2, s[2:3], s28, v2
	s_add_u32 s24, s24, s29
	v_addc_co_u32_e64 v3, s[2:3], v3, v6, s[2:3]
	s_addc_u32 s25, s25, 0
	v_add_co_u32_e64 v16, s[2:3], s26, v4
	s_add_u32 s26, s26, s29
	v_mov_b32_e32 v7, s27
	s_addc_u32 s27, s27, 0
	s_and_b64 s[0:1], exec, s[0:1]
	v_addc_co_u32_e64 v17, s[2:3], 0, v7, s[2:3]
	s_or_b64 s[18:19], s[0:1], s[18:19]
	s_waitcnt vmcnt(1)
	v_cmp_gt_f64_e32 vcc, s[20:21], v[8:9]
	v_cmp_gt_f64_e64 s[0:1], s[20:21], v[10:11]
	v_cndmask_b32_e64 v7, 0, 1, vcc
	v_cndmask_b32_e64 v18, 0, 1, s[0:1]
	s_waitcnt vmcnt(0)
	v_cmp_gt_f64_e64 s[2:3], s[20:21], v[12:13]
	v_cmp_gt_f64_e64 s[6:7], s[20:21], v[14:15]
	v_cndmask_b32_e64 v19, 0, 1, s[2:3]
	v_cndmask_b32_e64 v20, 0, 1, s[6:7]
	v_lshlrev_b32_e32 v7, 8, v7
	v_lshlrev_b32_e32 v18, 8, v18
	;; [unrolled: 1-line block ×4, first 2 shown]
	v_ldexp_f64 v[8:9], v[8:9], v7
	v_ldexp_f64 v[10:11], v[10:11], v18
	;; [unrolled: 1-line block ×4, first 2 shown]
	v_rsq_f64_e32 v[18:19], v[8:9]
	v_rsq_f64_e32 v[20:21], v[10:11]
	;; [unrolled: 1-line block ×4, first 2 shown]
	v_mul_f64 v[26:27], v[8:9], v[18:19]
	v_mul_f64 v[18:19], v[18:19], 0.5
	v_mul_f64 v[28:29], v[10:11], v[20:21]
	v_mul_f64 v[20:21], v[20:21], 0.5
	;; [unrolled: 2-line block ×4, first 2 shown]
	v_fma_f64 v[34:35], -v[18:19], v[26:27], 0.5
	v_fma_f64 v[36:37], -v[20:21], v[28:29], 0.5
	;; [unrolled: 1-line block ×4, first 2 shown]
	v_fmac_f64_e32 v[26:27], v[26:27], v[34:35]
	v_fmac_f64_e32 v[28:29], v[28:29], v[36:37]
	;; [unrolled: 1-line block ×6, first 2 shown]
	v_fma_f64 v[34:35], -v[26:27], v[26:27], v[8:9]
	v_fma_f64 v[36:37], -v[28:29], v[28:29], v[10:11]
	v_fmac_f64_e32 v[22:23], v[22:23], v[38:39]
	v_fmac_f64_e32 v[24:25], v[24:25], v[40:41]
	v_fma_f64 v[38:39], -v[30:31], v[30:31], v[12:13]
	v_fma_f64 v[40:41], -v[32:33], v[32:33], v[14:15]
	v_fmac_f64_e32 v[26:27], v[34:35], v[18:19]
	v_fmac_f64_e32 v[28:29], v[36:37], v[20:21]
	;; [unrolled: 1-line block ×4, first 2 shown]
	v_fma_f64 v[34:35], -v[26:27], v[26:27], v[8:9]
	v_fma_f64 v[36:37], -v[28:29], v[28:29], v[10:11]
	v_cndmask_b32_e32 v42, 0, v1, vcc
	v_cndmask_b32_e64 v43, 0, v1, s[0:1]
	v_fma_f64 v[38:39], -v[30:31], v[30:31], v[12:13]
	v_fma_f64 v[40:41], -v[32:33], v[32:33], v[14:15]
	v_fmac_f64_e32 v[26:27], v[34:35], v[18:19]
	v_fmac_f64_e32 v[28:29], v[36:37], v[20:21]
	v_cndmask_b32_e64 v44, 0, v1, s[2:3]
	v_cndmask_b32_e64 v45, 0, v1, s[6:7]
	v_fmac_f64_e32 v[30:31], v[38:39], v[22:23]
	v_fmac_f64_e32 v[32:33], v[40:41], v[24:25]
	v_ldexp_f64 v[18:19], v[26:27], v42
	v_ldexp_f64 v[20:21], v[28:29], v43
	v_cmp_class_f64_e32 vcc, v[10:11], v5
	v_cmp_class_f64_e64 s[6:7], v[8:9], v5
	v_ldexp_f64 v[22:23], v[30:31], v44
	v_cmp_class_f64_e64 s[0:1], v[12:13], v5
	v_ldexp_f64 v[24:25], v[32:33], v45
	v_cmp_class_f64_e64 s[2:3], v[14:15], v5
	v_cndmask_b32_e64 v9, v19, v9, s[6:7]
	v_cndmask_b32_e64 v8, v18, v8, s[6:7]
	v_cndmask_b32_e32 v11, v21, v11, vcc
	v_cndmask_b32_e32 v10, v20, v10, vcc
	v_cndmask_b32_e64 v13, v23, v13, s[0:1]
	v_cndmask_b32_e64 v12, v22, v12, s[0:1]
	;; [unrolled: 1-line block ×4, first 2 shown]
	global_store_dwordx4 v[16:17], v[8:11], off
	global_store_dwordx4 v[16:17], v[12:15], off offset:16
	s_andn2_b64 exec, exec, s[18:19]
	s_cbranch_execnz .LBB226_3
.LBB226_4:
	s_or_b64 exec, exec, s[12:13]
	s_mov_b64 s[2:3], 0
.LBB226_5:
	s_andn2_b64 vcc, exec, s[2:3]
	s_cbranch_vccnz .LBB226_25
; %bb.6:
	v_cmp_lt_i64_e64 s[0:1], s[10:11], 1
	s_and_b64 vcc, exec, s[0:1]
	s_cbranch_vccnz .LBB226_25
; %bb.7:
	s_load_dword s0, s[4:5], 0xc5c
	v_mov_b32_e32 v2, 0x10000
	v_mov_b32_e32 v3, 0
	v_cmp_lt_u64_e32 vcc, s[10:11], v[2:3]
	v_lshlrev_b32_e32 v10, 3, v0
	s_waitcnt lgkmcnt(0)
	s_and_b32 s2, s0, 0xffff
	s_and_b64 s[0:1], vcc, exec
	v_mov_b32_e32 v13, s17
	v_add_co_u32_e32 v2, vcc, s16, v10
	v_addc_co_u32_e32 v1, vcc, 0, v13, vcc
	v_mov_b32_e32 v11, 0
	v_mov_b32_e32 v15, s15
	v_add_co_u32_e32 v4, vcc, s14, v10
	v_addc_co_u32_e32 v3, vcc, 0, v15, vcc
	v_mad_u64_u32 v[8:9], s[0:1], s2, 24, v[10:11]
	v_add_co_u32_e32 v6, vcc, s16, v8
	v_addc_co_u32_e32 v5, vcc, v13, v9, vcc
	v_add_co_u32_e32 v8, vcc, s14, v8
	s_mul_i32 s4, s2, 3
	v_addc_co_u32_e32 v7, vcc, v15, v9, vcc
	v_add_co_u32_e32 v17, vcc, s4, v0
	v_addc_co_u32_e64 v26, s[0:1], 0, 0, vcc
	s_cselect_b32 s13, s11, 0
	s_cselect_b32 s12, s10, 0x10000
	s_lshl_b32 s0, s2, 4
	v_add_co_u32_e32 v11, vcc, s0, v10
	v_addc_co_u32_e64 v14, s[0:1], 0, 0, vcc
	v_add_co_u32_e32 v10, vcc, s16, v11
	v_addc_co_u32_e32 v9, vcc, v13, v14, vcc
	v_add_co_u32_e32 v12, vcc, s14, v11
	s_lshl_b32 s3, s2, 1
	v_addc_co_u32_e32 v11, vcc, v15, v14, vcc
	v_add_co_u32_e32 v27, vcc, s3, v0
	v_addc_co_u32_e64 v28, s[0:1], 0, 0, vcc
	v_add_co_u32_e32 v29, vcc, s2, v0
	v_lshlrev_b32_e32 v16, 3, v29
	v_addc_co_u32_e64 v30, s[0:1], 0, 0, vcc
	v_add_co_u32_e32 v14, vcc, s16, v16
	v_addc_co_u32_e32 v13, vcc, 0, v13, vcc
	v_add_co_u32_e32 v16, vcc, s14, v16
	s_mov_b32 s16, 0
	s_mov_b32 s20, 0
	s_lshl_b32 s21, s2, 2
	s_lshl_b32 s22, s2, 5
	v_addc_co_u32_e32 v15, vcc, 0, v15, vcc
	s_mov_b64 s[14:15], 0
	s_brev_b32 s17, 8
	v_mov_b32_e32 v31, 0x260
	v_mov_b32_e32 v32, 0xffffff80
	s_branch .LBB226_9
.LBB226_8:                              ;   in Loop: Header=BB226_9 Depth=1
	s_or_b64 exec, exec, s[0:1]
	s_add_u32 s14, s14, s21
	s_addc_u32 s15, s15, 0
	s_waitcnt vmcnt(0)
	v_pk_mov_b32 v[18:19], s[10:11], s[10:11] op_sel:[0,1]
	v_cmp_ge_i64_e32 vcc, s[14:15], v[18:19]
	v_mov_b32_e32 v18, 0xffff
	v_mov_b32_e32 v19, 0
	v_cmp_gt_u64_e64 s[0:1], s[14:15], v[18:19]
	s_or_b64 s[0:1], vcc, s[0:1]
	v_mov_b32_e32 v18, s20
	v_add_co_u32_e32 v2, vcc, s22, v2
	v_addc_co_u32_e32 v1, vcc, v1, v18, vcc
	v_add_co_u32_e32 v4, vcc, s22, v4
	v_addc_co_u32_e32 v3, vcc, v3, v18, vcc
	;; [unrolled: 2-line block ×8, first 2 shown]
	s_and_b64 vcc, exec, s[0:1]
	s_cbranch_vccnz .LBB226_25
.LBB226_9:                              ; =>This Inner Loop Header: Depth=1
	v_mov_b32_e32 v19, s15
	v_add_co_u32_e32 v18, vcc, s14, v0
	v_addc_co_u32_e32 v19, vcc, 0, v19, vcc
	v_pk_mov_b32 v[20:21], 0, 0
	v_cmp_gt_u64_e64 s[4:5], s[12:13], v[18:19]
	v_pk_mov_b32 v[24:25], v[20:21], v[20:21] op_sel:[0,1]
	s_and_saveexec_b64 s[0:1], s[4:5]
	s_cbranch_execz .LBB226_11
; %bb.10:                               ;   in Loop: Header=BB226_9 Depth=1
	v_mov_b32_e32 v19, s9
	v_add_co_u32_e32 v18, vcc, s8, v2
	v_addc_co_u32_e32 v19, vcc, v1, v19, vcc
	global_load_dwordx2 v[24:25], v[18:19], off
.LBB226_11:                             ;   in Loop: Header=BB226_9 Depth=1
	s_or_b64 exec, exec, s[0:1]
	v_mov_b32_e32 v19, s15
	v_add_co_u32_e32 v18, vcc, s14, v29
	v_addc_co_u32_e32 v19, vcc, v30, v19, vcc
	v_cmp_gt_u64_e64 s[2:3], s[12:13], v[18:19]
	s_and_saveexec_b64 s[0:1], s[2:3]
	s_cbranch_execz .LBB226_13
; %bb.12:                               ;   in Loop: Header=BB226_9 Depth=1
	v_mov_b32_e32 v19, s9
	v_add_co_u32_e32 v18, vcc, s8, v14
	v_addc_co_u32_e32 v19, vcc, v13, v19, vcc
	global_load_dwordx2 v[20:21], v[18:19], off
.LBB226_13:                             ;   in Loop: Header=BB226_9 Depth=1
	s_or_b64 exec, exec, s[0:1]
	v_mov_b32_e32 v19, s15
	v_add_co_u32_e32 v18, vcc, s14, v27
	v_addc_co_u32_e32 v19, vcc, v28, v19, vcc
	v_cmp_gt_u64_e64 s[0:1], s[12:13], v[18:19]
	v_pk_mov_b32 v[18:19], 0, 0
	v_pk_mov_b32 v[22:23], v[18:19], v[18:19] op_sel:[0,1]
	s_and_saveexec_b64 s[6:7], s[0:1]
	s_cbranch_execz .LBB226_15
; %bb.14:                               ;   in Loop: Header=BB226_9 Depth=1
	v_mov_b32_e32 v23, s9
	v_add_co_u32_e32 v22, vcc, s8, v10
	v_addc_co_u32_e32 v23, vcc, v9, v23, vcc
	global_load_dwordx2 v[22:23], v[22:23], off
.LBB226_15:                             ;   in Loop: Header=BB226_9 Depth=1
	s_or_b64 exec, exec, s[6:7]
	v_mov_b32_e32 v33, s15
	v_add_co_u32_e32 v34, vcc, s14, v17
	v_addc_co_u32_e32 v35, vcc, v26, v33, vcc
	v_cmp_gt_u64_e32 vcc, s[12:13], v[34:35]
	s_and_saveexec_b64 s[18:19], vcc
	s_cbranch_execnz .LBB226_20
; %bb.16:                               ;   in Loop: Header=BB226_9 Depth=1
	s_or_b64 exec, exec, s[18:19]
	s_and_saveexec_b64 s[18:19], s[4:5]
	s_cbranch_execnz .LBB226_21
.LBB226_17:                             ;   in Loop: Header=BB226_9 Depth=1
	s_or_b64 exec, exec, s[18:19]
	s_and_saveexec_b64 s[4:5], s[2:3]
	s_cbranch_execnz .LBB226_22
.LBB226_18:                             ;   in Loop: Header=BB226_9 Depth=1
	s_or_b64 exec, exec, s[4:5]
	s_and_saveexec_b64 s[2:3], s[0:1]
	s_cbranch_execnz .LBB226_23
.LBB226_19:                             ;   in Loop: Header=BB226_9 Depth=1
	s_or_b64 exec, exec, s[2:3]
	s_and_saveexec_b64 s[0:1], vcc
	s_cbranch_execz .LBB226_8
	s_branch .LBB226_24
.LBB226_20:                             ;   in Loop: Header=BB226_9 Depth=1
	v_mov_b32_e32 v19, s9
	v_add_co_u32_e64 v18, s[6:7], s8, v6
	v_addc_co_u32_e64 v19, s[6:7], v5, v19, s[6:7]
	global_load_dwordx2 v[18:19], v[18:19], off
	s_or_b64 exec, exec, s[18:19]
	s_and_saveexec_b64 s[18:19], s[4:5]
	s_cbranch_execz .LBB226_17
.LBB226_21:                             ;   in Loop: Header=BB226_9 Depth=1
	s_waitcnt vmcnt(0)
	v_cmp_gt_f64_e64 s[4:5], s[16:17], v[24:25]
	v_cndmask_b32_e64 v34, 0, 1, s[4:5]
	v_lshlrev_b32_e32 v34, 8, v34
	v_ldexp_f64 v[24:25], v[24:25], v34
	v_rsq_f64_e32 v[34:35], v[24:25]
	v_mov_b32_e32 v33, s9
	v_add_co_u32_e64 v36, s[6:7], s8, v4
	v_mul_f64 v[38:39], v[24:25], v[34:35]
	v_mul_f64 v[34:35], v[34:35], 0.5
	v_fma_f64 v[40:41], -v[34:35], v[38:39], 0.5
	v_fmac_f64_e32 v[38:39], v[38:39], v[40:41]
	v_fma_f64 v[42:43], -v[38:39], v[38:39], v[24:25]
	v_fmac_f64_e32 v[34:35], v[34:35], v[40:41]
	v_fmac_f64_e32 v[38:39], v[42:43], v[34:35]
	v_fma_f64 v[40:41], -v[38:39], v[38:39], v[24:25]
	v_addc_co_u32_e64 v37, s[6:7], v3, v33, s[6:7]
	v_fmac_f64_e32 v[38:39], v[40:41], v[34:35]
	v_cndmask_b32_e64 v33, 0, v32, s[4:5]
	v_ldexp_f64 v[34:35], v[38:39], v33
	v_cmp_class_f64_e64 s[4:5], v[24:25], v31
	v_cndmask_b32_e64 v25, v35, v25, s[4:5]
	v_cndmask_b32_e64 v24, v34, v24, s[4:5]
	global_store_dwordx2 v[36:37], v[24:25], off
	s_or_b64 exec, exec, s[18:19]
	s_and_saveexec_b64 s[4:5], s[2:3]
	s_cbranch_execz .LBB226_18
.LBB226_22:                             ;   in Loop: Header=BB226_9 Depth=1
	s_waitcnt vmcnt(0)
	v_cmp_gt_f64_e64 s[2:3], s[16:17], v[20:21]
	v_cndmask_b32_e64 v24, 0, 1, s[2:3]
	v_lshlrev_b32_e32 v24, 8, v24
	v_ldexp_f64 v[20:21], v[20:21], v24
	v_rsq_f64_e32 v[24:25], v[20:21]
	v_mul_f64 v[34:35], v[20:21], v[24:25]
	v_mul_f64 v[24:25], v[24:25], 0.5
	v_fma_f64 v[36:37], -v[24:25], v[34:35], 0.5
	v_fmac_f64_e32 v[34:35], v[34:35], v[36:37]
	v_fmac_f64_e32 v[24:25], v[24:25], v[36:37]
	v_fma_f64 v[36:37], -v[34:35], v[34:35], v[20:21]
	v_fmac_f64_e32 v[34:35], v[36:37], v[24:25]
	v_fma_f64 v[36:37], -v[34:35], v[34:35], v[20:21]
	v_fmac_f64_e32 v[34:35], v[36:37], v[24:25]
	v_cndmask_b32_e64 v24, 0, v32, s[2:3]
	v_ldexp_f64 v[24:25], v[34:35], v24
	v_cmp_class_f64_e64 s[2:3], v[20:21], v31
	v_cndmask_b32_e64 v21, v25, v21, s[2:3]
	v_cndmask_b32_e64 v20, v24, v20, s[2:3]
	v_mov_b32_e32 v25, s9
	v_add_co_u32_e64 v24, s[2:3], s8, v16
	v_addc_co_u32_e64 v25, s[2:3], v15, v25, s[2:3]
	global_store_dwordx2 v[24:25], v[20:21], off
	s_or_b64 exec, exec, s[4:5]
	s_and_saveexec_b64 s[2:3], s[0:1]
	s_cbranch_execz .LBB226_19
.LBB226_23:                             ;   in Loop: Header=BB226_9 Depth=1
	s_waitcnt vmcnt(0)
	v_cmp_gt_f64_e64 s[0:1], s[16:17], v[22:23]
	v_cndmask_b32_e64 v20, 0, 1, s[0:1]
	v_lshlrev_b32_e32 v20, 8, v20
	v_ldexp_f64 v[20:21], v[22:23], v20
	v_rsq_f64_e32 v[22:23], v[20:21]
	v_mul_f64 v[24:25], v[20:21], v[22:23]
	v_mul_f64 v[22:23], v[22:23], 0.5
	v_fma_f64 v[34:35], -v[22:23], v[24:25], 0.5
	v_fmac_f64_e32 v[24:25], v[24:25], v[34:35]
	v_fmac_f64_e32 v[22:23], v[22:23], v[34:35]
	v_fma_f64 v[34:35], -v[24:25], v[24:25], v[20:21]
	v_fmac_f64_e32 v[24:25], v[34:35], v[22:23]
	v_fma_f64 v[34:35], -v[24:25], v[24:25], v[20:21]
	v_fmac_f64_e32 v[24:25], v[34:35], v[22:23]
	v_cndmask_b32_e64 v22, 0, v32, s[0:1]
	v_ldexp_f64 v[22:23], v[24:25], v22
	v_cmp_class_f64_e64 s[0:1], v[20:21], v31
	v_cndmask_b32_e64 v21, v23, v21, s[0:1]
	v_cndmask_b32_e64 v20, v22, v20, s[0:1]
	v_mov_b32_e32 v23, s9
	v_add_co_u32_e64 v22, s[0:1], s8, v12
	v_addc_co_u32_e64 v23, s[0:1], v11, v23, s[0:1]
	global_store_dwordx2 v[22:23], v[20:21], off
	s_or_b64 exec, exec, s[2:3]
	s_and_saveexec_b64 s[0:1], vcc
	s_cbranch_execz .LBB226_8
.LBB226_24:                             ;   in Loop: Header=BB226_9 Depth=1
	s_waitcnt vmcnt(0)
	v_cmp_gt_f64_e32 vcc, s[16:17], v[18:19]
	v_cndmask_b32_e64 v20, 0, 1, vcc
	v_lshlrev_b32_e32 v20, 8, v20
	v_ldexp_f64 v[18:19], v[18:19], v20
	v_rsq_f64_e32 v[20:21], v[18:19]
	v_mul_f64 v[22:23], v[18:19], v[20:21]
	v_mul_f64 v[20:21], v[20:21], 0.5
	v_fma_f64 v[24:25], -v[20:21], v[22:23], 0.5
	v_fmac_f64_e32 v[22:23], v[22:23], v[24:25]
	v_fmac_f64_e32 v[20:21], v[20:21], v[24:25]
	v_fma_f64 v[24:25], -v[22:23], v[22:23], v[18:19]
	v_fmac_f64_e32 v[22:23], v[24:25], v[20:21]
	v_fma_f64 v[24:25], -v[22:23], v[22:23], v[18:19]
	v_fmac_f64_e32 v[22:23], v[24:25], v[20:21]
	v_cndmask_b32_e32 v20, 0, v32, vcc
	v_ldexp_f64 v[20:21], v[22:23], v20
	v_cmp_class_f64_e32 vcc, v[18:19], v31
	v_cndmask_b32_e32 v19, v21, v19, vcc
	v_cndmask_b32_e32 v18, v20, v18, vcc
	v_mov_b32_e32 v21, s9
	v_add_co_u32_e32 v20, vcc, s8, v8
	v_addc_co_u32_e32 v21, vcc, v7, v21, vcc
	global_store_dwordx2 v[20:21], v[18:19], off
	s_branch .LBB226_8
.LBB226_25:
	s_endpgm
	.section	.rodata,"a",@progbits
	.p2align	6, 0x0
	.amdhsa_kernel _ZN2at6native12_GLOBAL__N_125multi_tensor_apply_kernelINS1_18TensorListMetadataILi2EEENS1_14UnaryOpFunctorIdLi2ELi1ELi1EEEJNS0_4SqrtIdEEEEEvT_T0_DpT1_
		.amdhsa_group_segment_fixed_size 0
		.amdhsa_private_segment_fixed_size 0
		.amdhsa_kernarg_size 3408
		.amdhsa_user_sgpr_count 6
		.amdhsa_user_sgpr_private_segment_buffer 1
		.amdhsa_user_sgpr_dispatch_ptr 0
		.amdhsa_user_sgpr_queue_ptr 0
		.amdhsa_user_sgpr_kernarg_segment_ptr 1
		.amdhsa_user_sgpr_dispatch_id 0
		.amdhsa_user_sgpr_flat_scratch_init 0
		.amdhsa_user_sgpr_kernarg_preload_length 0
		.amdhsa_user_sgpr_kernarg_preload_offset 0
		.amdhsa_user_sgpr_private_segment_size 0
		.amdhsa_uses_dynamic_stack 0
		.amdhsa_system_sgpr_private_segment_wavefront_offset 0
		.amdhsa_system_sgpr_workgroup_id_x 1
		.amdhsa_system_sgpr_workgroup_id_y 0
		.amdhsa_system_sgpr_workgroup_id_z 0
		.amdhsa_system_sgpr_workgroup_info 0
		.amdhsa_system_vgpr_workitem_id 0
		.amdhsa_next_free_vgpr 46
		.amdhsa_next_free_sgpr 30
		.amdhsa_accum_offset 48
		.amdhsa_reserve_vcc 1
		.amdhsa_reserve_flat_scratch 0
		.amdhsa_float_round_mode_32 0
		.amdhsa_float_round_mode_16_64 0
		.amdhsa_float_denorm_mode_32 3
		.amdhsa_float_denorm_mode_16_64 3
		.amdhsa_dx10_clamp 1
		.amdhsa_ieee_mode 1
		.amdhsa_fp16_overflow 0
		.amdhsa_tg_split 0
		.amdhsa_exception_fp_ieee_invalid_op 0
		.amdhsa_exception_fp_denorm_src 0
		.amdhsa_exception_fp_ieee_div_zero 0
		.amdhsa_exception_fp_ieee_overflow 0
		.amdhsa_exception_fp_ieee_underflow 0
		.amdhsa_exception_fp_ieee_inexact 0
		.amdhsa_exception_int_div_zero 0
	.end_amdhsa_kernel
	.section	.text._ZN2at6native12_GLOBAL__N_125multi_tensor_apply_kernelINS1_18TensorListMetadataILi2EEENS1_14UnaryOpFunctorIdLi2ELi1ELi1EEEJNS0_4SqrtIdEEEEEvT_T0_DpT1_,"axG",@progbits,_ZN2at6native12_GLOBAL__N_125multi_tensor_apply_kernelINS1_18TensorListMetadataILi2EEENS1_14UnaryOpFunctorIdLi2ELi1ELi1EEEJNS0_4SqrtIdEEEEEvT_T0_DpT1_,comdat
.Lfunc_end226:
	.size	_ZN2at6native12_GLOBAL__N_125multi_tensor_apply_kernelINS1_18TensorListMetadataILi2EEENS1_14UnaryOpFunctorIdLi2ELi1ELi1EEEJNS0_4SqrtIdEEEEEvT_T0_DpT1_, .Lfunc_end226-_ZN2at6native12_GLOBAL__N_125multi_tensor_apply_kernelINS1_18TensorListMetadataILi2EEENS1_14UnaryOpFunctorIdLi2ELi1ELi1EEEJNS0_4SqrtIdEEEEEvT_T0_DpT1_
                                        ; -- End function
	.section	.AMDGPU.csdata,"",@progbits
; Kernel info:
; codeLenInByte = 2264
; NumSgprs: 34
; NumVgprs: 46
; NumAgprs: 0
; TotalNumVgprs: 46
; ScratchSize: 0
; MemoryBound: 0
; FloatMode: 240
; IeeeMode: 1
; LDSByteSize: 0 bytes/workgroup (compile time only)
; SGPRBlocks: 4
; VGPRBlocks: 5
; NumSGPRsForWavesPerEU: 34
; NumVGPRsForWavesPerEU: 46
; AccumOffset: 48
; Occupancy: 8
; WaveLimiterHint : 0
; COMPUTE_PGM_RSRC2:SCRATCH_EN: 0
; COMPUTE_PGM_RSRC2:USER_SGPR: 6
; COMPUTE_PGM_RSRC2:TRAP_HANDLER: 0
; COMPUTE_PGM_RSRC2:TGID_X_EN: 1
; COMPUTE_PGM_RSRC2:TGID_Y_EN: 0
; COMPUTE_PGM_RSRC2:TGID_Z_EN: 0
; COMPUTE_PGM_RSRC2:TIDIG_COMP_CNT: 0
; COMPUTE_PGM_RSRC3_GFX90A:ACCUM_OFFSET: 11
; COMPUTE_PGM_RSRC3_GFX90A:TG_SPLIT: 0
	.section	.text._ZN2at6native12_GLOBAL__N_125multi_tensor_apply_kernelINS1_18TensorListMetadataILi2EEENS1_14UnaryOpFunctorIfLi2ELi1ELi1EEEJNS0_4SqrtIfEEEEEvT_T0_DpT1_,"axG",@progbits,_ZN2at6native12_GLOBAL__N_125multi_tensor_apply_kernelINS1_18TensorListMetadataILi2EEENS1_14UnaryOpFunctorIfLi2ELi1ELi1EEEJNS0_4SqrtIfEEEEEvT_T0_DpT1_,comdat
	.globl	_ZN2at6native12_GLOBAL__N_125multi_tensor_apply_kernelINS1_18TensorListMetadataILi2EEENS1_14UnaryOpFunctorIfLi2ELi1ELi1EEEJNS0_4SqrtIfEEEEEvT_T0_DpT1_ ; -- Begin function _ZN2at6native12_GLOBAL__N_125multi_tensor_apply_kernelINS1_18TensorListMetadataILi2EEENS1_14UnaryOpFunctorIfLi2ELi1ELi1EEEJNS0_4SqrtIfEEEEEvT_T0_DpT1_
	.p2align	8
	.type	_ZN2at6native12_GLOBAL__N_125multi_tensor_apply_kernelINS1_18TensorListMetadataILi2EEENS1_14UnaryOpFunctorIfLi2ELi1ELi1EEEJNS0_4SqrtIfEEEEEvT_T0_DpT1_,@function
_ZN2at6native12_GLOBAL__N_125multi_tensor_apply_kernelINS1_18TensorListMetadataILi2EEENS1_14UnaryOpFunctorIfLi2ELi1ELi1EEEJNS0_4SqrtIfEEEEEvT_T0_DpT1_: ; @_ZN2at6native12_GLOBAL__N_125multi_tensor_apply_kernelINS1_18TensorListMetadataILi2EEENS1_14UnaryOpFunctorIfLi2ELi1ELi1EEEJNS0_4SqrtIfEEEEEvT_T0_DpT1_
; %bb.0:
	v_mov_b32_e32 v1, s6
	global_load_ubyte v1, v1, s[4:5] offset:1536
	s_add_u32 s0, s4, s6
	s_mul_hi_u32 s2, s6, 3
	s_mul_i32 s6, s6, 3
	s_addc_u32 s7, s5, 0
	s_add_u32 s6, s0, s6
	s_addc_u32 s7, s7, s2
	s_mov_b32 s1, 0
	s_mov_b32 s3, s1
	s_waitcnt vmcnt(0)
	v_readfirstlane_b32 s0, v1
	s_lshl_b32 s0, s0, 3
	s_load_dword s8, s[6:7], 0x740
	s_load_dwordx2 s[22:23], s[4:5], s0 offset:0x0
	s_load_dwordx2 s[10:11], s[4:5], s0 offset:0x400
	;; [unrolled: 1-line block ×3, first 2 shown]
	s_mov_b32 s7, s1
	s_waitcnt lgkmcnt(0)
	s_ashr_i32 s9, s8, 31
	s_and_b32 s0, s22, 15
	s_and_b32 s6, s10, 3
	;; [unrolled: 1-line block ×3, first 2 shown]
	s_or_b64 s[6:7], s[0:1], s[6:7]
	s_lshl_b64 s[16:17], s[8:9], 18
	s_or_b64 s[2:3], s[2:3], s[6:7]
	s_lshl_b64 s[6:7], s[8:9], 16
	s_sub_u32 s18, s10, s6
	s_subb_u32 s19, s11, s7
	s_cmp_eq_u64 s[2:3], 0
	s_mov_b64 s[2:3], -1
	s_cbranch_scc0 .LBB227_5
; %bb.1:
	v_mov_b32_e32 v3, 0
	v_lshlrev_b32_e32 v2, 2, v0
	v_cmp_gt_i64_e32 vcc, s[18:19], v[2:3]
	s_and_saveexec_b64 s[24:25], vcc
	s_cbranch_execz .LBB227_4
; %bb.2:
	s_load_dword s0, s[4:5], 0xc5c
	v_lshlrev_b32_e32 v1, 4, v0
	v_mov_b32_e32 v4, s17
	v_add_co_u32_e32 v1, vcc, s16, v1
	v_addc_co_u32_e32 v5, vcc, 0, v4, vcc
	s_waitcnt lgkmcnt(0)
	s_and_b32 s0, s0, 0xffff
	v_add_co_u32_e32 v4, vcc, 8, v1
	v_add_lshl_u32 v2, v0, s0, 2
	s_lshl_b32 s30, s0, 2
	v_addc_co_u32_e32 v1, vcc, 0, v5, vcc
	s_lshl_b32 s31, s0, 4
	s_mov_b64 s[26:27], 0
	v_mov_b32_e32 v5, s23
	v_mov_b32_e32 v6, s21
	s_mov_b32 s33, 0xf800000
	v_mov_b32_e32 v7, 0x260
	s_mov_b64 s[28:29], 0xffff
	v_mov_b32_e32 v8, s1
	v_mov_b32_e32 v9, s1
.LBB227_3:                              ; =>This Inner Loop Header: Depth=1
	v_add_co_u32_e32 v10, vcc, s22, v4
	v_addc_co_u32_e32 v11, vcc, v5, v1, vcc
	global_load_dwordx4 v[10:13], v[10:11], off offset:-8
	v_add_co_u32_e32 v14, vcc, s20, v4
	v_addc_co_u32_e32 v15, vcc, v6, v1, vcc
	v_cmp_le_i64_e32 vcc, s[18:19], v[2:3]
	v_cmp_lt_u64_e64 s[0:1], s[28:29], v[2:3]
	v_add_co_u32_e64 v2, s[2:3], s30, v2
	v_addc_co_u32_e64 v3, s[2:3], v3, v8, s[2:3]
	v_add_co_u32_e64 v4, s[2:3], s31, v4
	s_or_b64 s[0:1], vcc, s[0:1]
	v_addc_co_u32_e64 v1, s[2:3], v1, v9, s[2:3]
	s_and_b64 s[0:1], exec, s[0:1]
	s_or_b64 s[26:27], s[0:1], s[26:27]
	s_waitcnt vmcnt(0)
	v_mul_f32_e32 v16, 0x4f800000, v11
	v_cmp_gt_f32_e64 s[6:7], s33, v11
	v_mul_f32_e32 v17, 0x4f800000, v10
	v_cmp_gt_f32_e32 vcc, s33, v10
	v_mul_f32_e32 v18, 0x4f800000, v13
	v_cmp_gt_f32_e64 s[0:1], s33, v13
	v_mul_f32_e32 v19, 0x4f800000, v12
	v_cmp_gt_f32_e64 s[2:3], s33, v12
	v_cndmask_b32_e64 v11, v11, v16, s[6:7]
	v_cndmask_b32_e32 v10, v10, v17, vcc
	v_cndmask_b32_e64 v13, v13, v18, s[0:1]
	v_cndmask_b32_e64 v12, v12, v19, s[2:3]
	v_sqrt_f32_e32 v16, v11
	v_sqrt_f32_e32 v17, v10
	;; [unrolled: 1-line block ×4, first 2 shown]
	v_add_u32_e32 v20, -1, v16
	v_add_u32_e32 v22, -1, v17
	;; [unrolled: 1-line block ×4, first 2 shown]
	v_fma_f32 v28, -v20, v16, v11
	v_add_u32_e32 v21, 1, v16
	v_add_u32_e32 v23, 1, v17
	;; [unrolled: 1-line block ×4, first 2 shown]
	v_fma_f32 v30, -v22, v17, v10
	v_fma_f32 v32, -v24, v18, v13
	;; [unrolled: 1-line block ×3, first 2 shown]
	v_cmp_ge_f32_e64 s[8:9], 0, v28
	v_fma_f32 v29, -v21, v16, v11
	v_fma_f32 v31, -v23, v17, v10
	;; [unrolled: 1-line block ×4, first 2 shown]
	v_cndmask_b32_e64 v16, v16, v20, s[8:9]
	v_cmp_ge_f32_e64 s[8:9], 0, v30
	v_cmp_ge_f32_e64 s[10:11], 0, v32
	;; [unrolled: 1-line block ×3, first 2 shown]
	v_cndmask_b32_e64 v17, v17, v22, s[8:9]
	v_cmp_lt_f32_e64 s[8:9], 0, v31
	v_cndmask_b32_e64 v18, v18, v24, s[10:11]
	v_cmp_lt_f32_e64 s[10:11], 0, v33
	v_cndmask_b32_e64 v19, v19, v26, s[12:13]
	v_cmp_lt_f32_e64 s[12:13], 0, v35
	v_cmp_lt_f32_e64 s[14:15], 0, v29
	v_cndmask_b32_e64 v16, v16, v21, s[14:15]
	v_cndmask_b32_e64 v17, v17, v23, s[8:9]
	;; [unrolled: 1-line block ×4, first 2 shown]
	v_mul_f32_e32 v20, 0x37800000, v16
	v_mul_f32_e32 v21, 0x37800000, v17
	;; [unrolled: 1-line block ×4, first 2 shown]
	v_cndmask_b32_e64 v16, v16, v20, s[6:7]
	v_cndmask_b32_e32 v17, v17, v21, vcc
	v_cmp_class_f32_e32 vcc, v10, v7
	v_cndmask_b32_e64 v18, v18, v22, s[0:1]
	v_cmp_class_f32_e64 s[0:1], v13, v7
	v_cndmask_b32_e64 v19, v19, v23, s[2:3]
	v_cmp_class_f32_e64 s[2:3], v12, v7
	v_cmp_class_f32_e64 s[6:7], v11, v7
	v_cndmask_b32_e64 v11, v16, v11, s[6:7]
	v_cndmask_b32_e32 v10, v17, v10, vcc
	v_cndmask_b32_e64 v13, v18, v13, s[0:1]
	v_cndmask_b32_e64 v12, v19, v12, s[2:3]
	global_store_dwordx4 v[14:15], v[10:13], off offset:-8
	s_andn2_b64 exec, exec, s[26:27]
	s_cbranch_execnz .LBB227_3
.LBB227_4:
	s_or_b64 exec, exec, s[24:25]
	s_mov_b64 s[2:3], 0
.LBB227_5:
	s_andn2_b64 vcc, exec, s[2:3]
	s_cbranch_vccnz .LBB227_25
; %bb.6:
	v_cmp_lt_i64_e64 s[0:1], s[18:19], 1
	s_and_b64 vcc, exec, s[0:1]
	s_cbranch_vccnz .LBB227_25
; %bb.7:
	s_load_dword s0, s[4:5], 0xc5c
	v_mov_b32_e32 v2, 0x10000
	v_mov_b32_e32 v3, 0
	v_cmp_lt_u64_e32 vcc, s[18:19], v[2:3]
	v_lshlrev_b32_e32 v10, 2, v0
	s_waitcnt lgkmcnt(0)
	s_and_b32 s2, s0, 0xffff
	s_and_b64 s[0:1], vcc, exec
	v_mov_b32_e32 v13, s23
	v_add_co_u32_e32 v2, vcc, s22, v10
	v_addc_co_u32_e32 v1, vcc, 0, v13, vcc
	v_mov_b32_e32 v11, 0
	v_mov_b32_e32 v15, s21
	v_add_co_u32_e32 v4, vcc, s20, v10
	v_addc_co_u32_e32 v3, vcc, 0, v15, vcc
	v_mad_u64_u32 v[8:9], s[0:1], s2, 12, v[10:11]
	v_add_co_u32_e32 v6, vcc, s22, v8
	v_addc_co_u32_e32 v5, vcc, v13, v9, vcc
	v_add_co_u32_e32 v8, vcc, s20, v8
	s_mul_i32 s4, s2, 3
	v_addc_co_u32_e32 v7, vcc, v15, v9, vcc
	v_add_co_u32_e32 v17, vcc, s4, v0
	v_addc_co_u32_e64 v18, s[0:1], 0, 0, vcc
	s_cselect_b32 s9, s19, 0
	s_cselect_b32 s8, s18, 0x10000
	s_lshl_b32 s0, s2, 3
	v_add_co_u32_e32 v11, vcc, s0, v10
	v_addc_co_u32_e64 v14, s[0:1], 0, 0, vcc
	v_add_co_u32_e32 v10, vcc, s22, v11
	v_addc_co_u32_e32 v9, vcc, v13, v14, vcc
	v_add_co_u32_e32 v12, vcc, s20, v11
	s_lshl_b32 s3, s2, 1
	v_addc_co_u32_e32 v11, vcc, v15, v14, vcc
	v_add_co_u32_e32 v19, vcc, s3, v0
	v_addc_co_u32_e64 v20, s[0:1], 0, 0, vcc
	v_add_co_u32_e32 v21, vcc, s2, v0
	v_lshlrev_b32_e32 v16, 2, v21
	v_addc_co_u32_e64 v22, s[0:1], 0, 0, vcc
	v_add_co_u32_e32 v14, vcc, s22, v16
	v_addc_co_u32_e32 v13, vcc, 0, v13, vcc
	v_add_co_u32_e32 v16, vcc, s20, v16
	s_mov_b32 s14, 0
	s_lshl_b32 s15, s2, 2
	s_lshl_b32 s23, s2, 4
	v_addc_co_u32_e32 v15, vcc, 0, v15, vcc
	s_mov_b64 s[10:11], 0
	s_mov_b32 s20, 0xf800000
	v_mov_b32_e32 v23, 0x260
	s_branch .LBB227_9
.LBB227_8:                              ;   in Loop: Header=BB227_9 Depth=1
	s_or_b64 exec, exec, s[2:3]
	s_add_u32 s10, s10, s15
	s_addc_u32 s11, s11, 0
	s_waitcnt vmcnt(0)
	v_pk_mov_b32 v[24:25], s[18:19], s[18:19] op_sel:[0,1]
	v_cmp_ge_i64_e32 vcc, s[10:11], v[24:25]
	v_mov_b32_e32 v24, 0xffff
	v_mov_b32_e32 v25, 0
	v_cmp_gt_u64_e64 s[0:1], s[10:11], v[24:25]
	s_or_b64 s[0:1], vcc, s[0:1]
	v_mov_b32_e32 v24, s14
	v_add_co_u32_e32 v2, vcc, s23, v2
	v_addc_co_u32_e32 v1, vcc, v1, v24, vcc
	v_add_co_u32_e32 v4, vcc, s23, v4
	v_addc_co_u32_e32 v3, vcc, v3, v24, vcc
	;; [unrolled: 2-line block ×8, first 2 shown]
	s_and_b64 vcc, exec, s[0:1]
	s_cbranch_vccnz .LBB227_25
.LBB227_9:                              ; =>This Inner Loop Header: Depth=1
	v_mov_b32_e32 v25, s11
	v_add_co_u32_e32 v24, vcc, s10, v0
	v_addc_co_u32_e32 v25, vcc, 0, v25, vcc
	v_cmp_gt_u64_e64 s[4:5], s[8:9], v[24:25]
	v_mov_b32_e32 v27, 0
	s_and_saveexec_b64 s[0:1], s[4:5]
	s_cbranch_execz .LBB227_11
; %bb.10:                               ;   in Loop: Header=BB227_9 Depth=1
	v_mov_b32_e32 v25, s17
	v_add_co_u32_e32 v24, vcc, s16, v2
	v_addc_co_u32_e32 v25, vcc, v1, v25, vcc
	global_load_dword v27, v[24:25], off
.LBB227_11:                             ;   in Loop: Header=BB227_9 Depth=1
	s_or_b64 exec, exec, s[0:1]
	v_mov_b32_e32 v25, s11
	v_add_co_u32_e32 v24, vcc, s10, v21
	v_addc_co_u32_e32 v25, vcc, v22, v25, vcc
	v_cmp_gt_u64_e64 s[2:3], s[8:9], v[24:25]
	v_mov_b32_e32 v26, 0
	s_and_saveexec_b64 s[0:1], s[2:3]
	s_cbranch_execz .LBB227_13
; %bb.12:                               ;   in Loop: Header=BB227_9 Depth=1
	v_mov_b32_e32 v25, s17
	v_add_co_u32_e32 v24, vcc, s16, v14
	v_addc_co_u32_e32 v25, vcc, v13, v25, vcc
	global_load_dword v26, v[24:25], off
.LBB227_13:                             ;   in Loop: Header=BB227_9 Depth=1
	s_or_b64 exec, exec, s[0:1]
	v_mov_b32_e32 v25, s11
	v_add_co_u32_e32 v24, vcc, s10, v19
	v_addc_co_u32_e32 v25, vcc, v20, v25, vcc
	v_cmp_gt_u64_e64 s[0:1], s[8:9], v[24:25]
	v_mov_b32_e32 v24, 0
	v_mov_b32_e32 v25, 0
	s_and_saveexec_b64 s[6:7], s[0:1]
	s_cbranch_execz .LBB227_15
; %bb.14:                               ;   in Loop: Header=BB227_9 Depth=1
	v_mov_b32_e32 v25, s17
	v_add_co_u32_e32 v28, vcc, s16, v10
	v_addc_co_u32_e32 v29, vcc, v9, v25, vcc
	global_load_dword v25, v[28:29], off
.LBB227_15:                             ;   in Loop: Header=BB227_9 Depth=1
	s_or_b64 exec, exec, s[6:7]
	v_mov_b32_e32 v29, s11
	v_add_co_u32_e32 v28, vcc, s10, v17
	v_addc_co_u32_e32 v29, vcc, v18, v29, vcc
	v_cmp_gt_u64_e32 vcc, s[8:9], v[28:29]
	s_and_saveexec_b64 s[12:13], vcc
	s_cbranch_execnz .LBB227_20
; %bb.16:                               ;   in Loop: Header=BB227_9 Depth=1
	s_or_b64 exec, exec, s[12:13]
	s_and_saveexec_b64 s[12:13], s[4:5]
	s_cbranch_execnz .LBB227_21
.LBB227_17:                             ;   in Loop: Header=BB227_9 Depth=1
	s_or_b64 exec, exec, s[12:13]
	s_and_saveexec_b64 s[6:7], s[2:3]
	s_cbranch_execnz .LBB227_22
.LBB227_18:                             ;   in Loop: Header=BB227_9 Depth=1
	s_or_b64 exec, exec, s[6:7]
	s_and_saveexec_b64 s[4:5], s[0:1]
	s_cbranch_execnz .LBB227_23
.LBB227_19:                             ;   in Loop: Header=BB227_9 Depth=1
	s_or_b64 exec, exec, s[4:5]
	s_and_saveexec_b64 s[2:3], vcc
	s_cbranch_execz .LBB227_8
	s_branch .LBB227_24
.LBB227_20:                             ;   in Loop: Header=BB227_9 Depth=1
	v_mov_b32_e32 v24, s17
	v_add_co_u32_e64 v28, s[6:7], s16, v6
	v_addc_co_u32_e64 v29, s[6:7], v5, v24, s[6:7]
	global_load_dword v24, v[28:29], off
	s_or_b64 exec, exec, s[12:13]
	s_and_saveexec_b64 s[12:13], s[4:5]
	s_cbranch_execz .LBB227_17
.LBB227_21:                             ;   in Loop: Header=BB227_9 Depth=1
	s_waitcnt vmcnt(0)
	v_mul_f32_e32 v28, 0x4f800000, v27
	v_cmp_gt_f32_e64 s[4:5], s20, v27
	v_cndmask_b32_e64 v27, v27, v28, s[4:5]
	v_sqrt_f32_e32 v30, v27
	v_mov_b32_e32 v29, s17
	v_add_co_u32_e64 v28, s[6:7], s16, v4
	v_add_u32_e32 v31, -1, v30
	v_addc_co_u32_e64 v29, s[6:7], v3, v29, s[6:7]
	v_fma_f32 v32, -v31, v30, v27
	v_cmp_ge_f32_e64 s[6:7], 0, v32
	v_add_u32_e32 v32, 1, v30
	v_cndmask_b32_e64 v31, v30, v31, s[6:7]
	v_fma_f32 v30, -v32, v30, v27
	v_cmp_lt_f32_e64 s[6:7], 0, v30
	v_cndmask_b32_e64 v30, v31, v32, s[6:7]
	v_mul_f32_e32 v31, 0x37800000, v30
	v_cndmask_b32_e64 v30, v30, v31, s[4:5]
	v_cmp_class_f32_e64 s[4:5], v27, v23
	v_cndmask_b32_e64 v27, v30, v27, s[4:5]
	global_store_dword v[28:29], v27, off
	s_or_b64 exec, exec, s[12:13]
	s_and_saveexec_b64 s[6:7], s[2:3]
	s_cbranch_execz .LBB227_18
.LBB227_22:                             ;   in Loop: Header=BB227_9 Depth=1
	s_waitcnt vmcnt(0)
	v_mul_f32_e32 v27, 0x4f800000, v26
	v_cmp_gt_f32_e64 s[2:3], s20, v26
	v_cndmask_b32_e64 v26, v26, v27, s[2:3]
	v_sqrt_f32_e32 v27, v26
	v_add_u32_e32 v28, -1, v27
	v_fma_f32 v30, -v28, v27, v26
	v_add_u32_e32 v29, 1, v27
	v_cmp_ge_f32_e64 s[4:5], 0, v30
	v_cndmask_b32_e64 v28, v27, v28, s[4:5]
	v_fma_f32 v27, -v29, v27, v26
	v_cmp_lt_f32_e64 s[4:5], 0, v27
	v_cndmask_b32_e64 v27, v28, v29, s[4:5]
	v_mul_f32_e32 v28, 0x37800000, v27
	v_cndmask_b32_e64 v27, v27, v28, s[2:3]
	v_cmp_class_f32_e64 s[2:3], v26, v23
	v_cndmask_b32_e64 v28, v27, v26, s[2:3]
	v_mov_b32_e32 v27, s17
	v_add_co_u32_e64 v26, s[2:3], s16, v16
	v_addc_co_u32_e64 v27, s[2:3], v15, v27, s[2:3]
	global_store_dword v[26:27], v28, off
	s_or_b64 exec, exec, s[6:7]
	s_and_saveexec_b64 s[4:5], s[0:1]
	s_cbranch_execz .LBB227_19
.LBB227_23:                             ;   in Loop: Header=BB227_9 Depth=1
	s_waitcnt vmcnt(0)
	v_mul_f32_e32 v26, 0x4f800000, v25
	v_cmp_gt_f32_e64 s[0:1], s20, v25
	v_cndmask_b32_e64 v25, v25, v26, s[0:1]
	v_sqrt_f32_e32 v26, v25
	v_add_u32_e32 v27, -1, v26
	v_fma_f32 v29, -v27, v26, v25
	v_add_u32_e32 v28, 1, v26
	v_cmp_ge_f32_e64 s[2:3], 0, v29
	v_cndmask_b32_e64 v27, v26, v27, s[2:3]
	v_fma_f32 v26, -v28, v26, v25
	v_cmp_lt_f32_e64 s[2:3], 0, v26
	v_cndmask_b32_e64 v26, v27, v28, s[2:3]
	v_mul_f32_e32 v27, 0x37800000, v26
	v_cndmask_b32_e64 v26, v26, v27, s[0:1]
	v_cmp_class_f32_e64 s[0:1], v25, v23
	v_cndmask_b32_e64 v25, v26, v25, s[0:1]
	v_mov_b32_e32 v27, s17
	v_add_co_u32_e64 v26, s[0:1], s16, v12
	v_addc_co_u32_e64 v27, s[0:1], v11, v27, s[0:1]
	global_store_dword v[26:27], v25, off
	s_or_b64 exec, exec, s[4:5]
	s_and_saveexec_b64 s[2:3], vcc
	s_cbranch_execz .LBB227_8
.LBB227_24:                             ;   in Loop: Header=BB227_9 Depth=1
	s_waitcnt vmcnt(0)
	v_mul_f32_e32 v25, 0x4f800000, v24
	v_cmp_gt_f32_e32 vcc, s20, v24
	v_cndmask_b32_e32 v24, v24, v25, vcc
	v_sqrt_f32_e32 v25, v24
	v_add_u32_e32 v26, -1, v25
	v_fma_f32 v28, -v26, v25, v24
	v_add_u32_e32 v27, 1, v25
	v_cmp_ge_f32_e64 s[0:1], 0, v28
	v_cndmask_b32_e64 v26, v25, v26, s[0:1]
	v_fma_f32 v25, -v27, v25, v24
	v_cmp_lt_f32_e64 s[0:1], 0, v25
	v_cndmask_b32_e64 v25, v26, v27, s[0:1]
	v_mul_f32_e32 v26, 0x37800000, v25
	v_cndmask_b32_e32 v25, v25, v26, vcc
	v_cmp_class_f32_e32 vcc, v24, v23
	v_cndmask_b32_e32 v26, v25, v24, vcc
	v_mov_b32_e32 v25, s17
	v_add_co_u32_e32 v24, vcc, s16, v8
	v_addc_co_u32_e32 v25, vcc, v7, v25, vcc
	global_store_dword v[24:25], v26, off
	s_branch .LBB227_8
.LBB227_25:
	s_endpgm
	.section	.rodata,"a",@progbits
	.p2align	6, 0x0
	.amdhsa_kernel _ZN2at6native12_GLOBAL__N_125multi_tensor_apply_kernelINS1_18TensorListMetadataILi2EEENS1_14UnaryOpFunctorIfLi2ELi1ELi1EEEJNS0_4SqrtIfEEEEEvT_T0_DpT1_
		.amdhsa_group_segment_fixed_size 0
		.amdhsa_private_segment_fixed_size 0
		.amdhsa_kernarg_size 3408
		.amdhsa_user_sgpr_count 6
		.amdhsa_user_sgpr_private_segment_buffer 1
		.amdhsa_user_sgpr_dispatch_ptr 0
		.amdhsa_user_sgpr_queue_ptr 0
		.amdhsa_user_sgpr_kernarg_segment_ptr 1
		.amdhsa_user_sgpr_dispatch_id 0
		.amdhsa_user_sgpr_flat_scratch_init 0
		.amdhsa_user_sgpr_kernarg_preload_length 0
		.amdhsa_user_sgpr_kernarg_preload_offset 0
		.amdhsa_user_sgpr_private_segment_size 0
		.amdhsa_uses_dynamic_stack 0
		.amdhsa_system_sgpr_private_segment_wavefront_offset 0
		.amdhsa_system_sgpr_workgroup_id_x 1
		.amdhsa_system_sgpr_workgroup_id_y 0
		.amdhsa_system_sgpr_workgroup_id_z 0
		.amdhsa_system_sgpr_workgroup_info 0
		.amdhsa_system_vgpr_workitem_id 0
		.amdhsa_next_free_vgpr 36
		.amdhsa_next_free_sgpr 34
		.amdhsa_accum_offset 36
		.amdhsa_reserve_vcc 1
		.amdhsa_reserve_flat_scratch 0
		.amdhsa_float_round_mode_32 0
		.amdhsa_float_round_mode_16_64 0
		.amdhsa_float_denorm_mode_32 3
		.amdhsa_float_denorm_mode_16_64 3
		.amdhsa_dx10_clamp 1
		.amdhsa_ieee_mode 1
		.amdhsa_fp16_overflow 0
		.amdhsa_tg_split 0
		.amdhsa_exception_fp_ieee_invalid_op 0
		.amdhsa_exception_fp_denorm_src 0
		.amdhsa_exception_fp_ieee_div_zero 0
		.amdhsa_exception_fp_ieee_overflow 0
		.amdhsa_exception_fp_ieee_underflow 0
		.amdhsa_exception_fp_ieee_inexact 0
		.amdhsa_exception_int_div_zero 0
	.end_amdhsa_kernel
	.section	.text._ZN2at6native12_GLOBAL__N_125multi_tensor_apply_kernelINS1_18TensorListMetadataILi2EEENS1_14UnaryOpFunctorIfLi2ELi1ELi1EEEJNS0_4SqrtIfEEEEEvT_T0_DpT1_,"axG",@progbits,_ZN2at6native12_GLOBAL__N_125multi_tensor_apply_kernelINS1_18TensorListMetadataILi2EEENS1_14UnaryOpFunctorIfLi2ELi1ELi1EEEJNS0_4SqrtIfEEEEEvT_T0_DpT1_,comdat
.Lfunc_end227:
	.size	_ZN2at6native12_GLOBAL__N_125multi_tensor_apply_kernelINS1_18TensorListMetadataILi2EEENS1_14UnaryOpFunctorIfLi2ELi1ELi1EEEJNS0_4SqrtIfEEEEEvT_T0_DpT1_, .Lfunc_end227-_ZN2at6native12_GLOBAL__N_125multi_tensor_apply_kernelINS1_18TensorListMetadataILi2EEENS1_14UnaryOpFunctorIfLi2ELi1ELi1EEEJNS0_4SqrtIfEEEEEvT_T0_DpT1_
                                        ; -- End function
	.section	.AMDGPU.csdata,"",@progbits
; Kernel info:
; codeLenInByte = 2112
; NumSgprs: 38
; NumVgprs: 36
; NumAgprs: 0
; TotalNumVgprs: 36
; ScratchSize: 0
; MemoryBound: 0
; FloatMode: 240
; IeeeMode: 1
; LDSByteSize: 0 bytes/workgroup (compile time only)
; SGPRBlocks: 4
; VGPRBlocks: 4
; NumSGPRsForWavesPerEU: 38
; NumVGPRsForWavesPerEU: 36
; AccumOffset: 36
; Occupancy: 8
; WaveLimiterHint : 0
; COMPUTE_PGM_RSRC2:SCRATCH_EN: 0
; COMPUTE_PGM_RSRC2:USER_SGPR: 6
; COMPUTE_PGM_RSRC2:TRAP_HANDLER: 0
; COMPUTE_PGM_RSRC2:TGID_X_EN: 1
; COMPUTE_PGM_RSRC2:TGID_Y_EN: 0
; COMPUTE_PGM_RSRC2:TGID_Z_EN: 0
; COMPUTE_PGM_RSRC2:TIDIG_COMP_CNT: 0
; COMPUTE_PGM_RSRC3_GFX90A:ACCUM_OFFSET: 8
; COMPUTE_PGM_RSRC3_GFX90A:TG_SPLIT: 0
	.section	.text._ZN2at6native12_GLOBAL__N_125multi_tensor_apply_kernelINS1_18TensorListMetadataILi2EEENS1_14UnaryOpFunctorIN3c107complexIdEELi2ELi1ELi1EEEJNS0_4SqrtIS8_EEEEEvT_T0_DpT1_,"axG",@progbits,_ZN2at6native12_GLOBAL__N_125multi_tensor_apply_kernelINS1_18TensorListMetadataILi2EEENS1_14UnaryOpFunctorIN3c107complexIdEELi2ELi1ELi1EEEJNS0_4SqrtIS8_EEEEEvT_T0_DpT1_,comdat
	.globl	_ZN2at6native12_GLOBAL__N_125multi_tensor_apply_kernelINS1_18TensorListMetadataILi2EEENS1_14UnaryOpFunctorIN3c107complexIdEELi2ELi1ELi1EEEJNS0_4SqrtIS8_EEEEEvT_T0_DpT1_ ; -- Begin function _ZN2at6native12_GLOBAL__N_125multi_tensor_apply_kernelINS1_18TensorListMetadataILi2EEENS1_14UnaryOpFunctorIN3c107complexIdEELi2ELi1ELi1EEEJNS0_4SqrtIS8_EEEEEvT_T0_DpT1_
	.p2align	8
	.type	_ZN2at6native12_GLOBAL__N_125multi_tensor_apply_kernelINS1_18TensorListMetadataILi2EEENS1_14UnaryOpFunctorIN3c107complexIdEELi2ELi1ELi1EEEJNS0_4SqrtIS8_EEEEEvT_T0_DpT1_,@function
_ZN2at6native12_GLOBAL__N_125multi_tensor_apply_kernelINS1_18TensorListMetadataILi2EEENS1_14UnaryOpFunctorIN3c107complexIdEELi2ELi1ELi1EEEJNS0_4SqrtIS8_EEEEEvT_T0_DpT1_: ; @_ZN2at6native12_GLOBAL__N_125multi_tensor_apply_kernelINS1_18TensorListMetadataILi2EEENS1_14UnaryOpFunctorIN3c107complexIdEELi2ELi1ELi1EEEJNS0_4SqrtIS8_EEEEEvT_T0_DpT1_
; %bb.0:
	v_mov_b32_e32 v1, s6
	global_load_ubyte v1, v1, s[4:5] offset:1536
	s_add_u32 s0, s4, s6
	s_mul_hi_u32 s3, s6, 3
	s_mul_i32 s6, s6, 3
	s_addc_u32 s7, s5, 0
	s_add_u32 s2, s0, s6
	s_addc_u32 s3, s7, s3
	s_load_dword s2, s[2:3], 0x740
	s_mov_b32 s11, 0
	s_mov_b32 s1, s11
	;; [unrolled: 1-line block ×3, first 2 shown]
	s_waitcnt lgkmcnt(0)
	s_ashr_i32 s3, s2, 31
	s_lshl_b64 s[12:13], s[2:3], 20
	s_waitcnt vmcnt(0)
	v_readfirstlane_b32 s0, v1
	s_lshl_b32 s0, s0, 3
	s_load_dwordx2 s[8:9], s[4:5], s0 offset:0x0
	s_load_dwordx2 s[14:15], s[4:5], s0 offset:0x400
	;; [unrolled: 1-line block ×3, first 2 shown]
	s_waitcnt lgkmcnt(0)
	s_add_u32 s33, s8, s12
	s_addc_u32 s44, s9, s13
	s_add_u32 s45, s6, s12
	s_addc_u32 s46, s7, s13
	s_and_b32 s0, s33, 63
	s_and_b32 s16, s14, 3
	;; [unrolled: 1-line block ×3, first 2 shown]
	s_or_b64 s[0:1], s[0:1], s[16:17]
	s_lshl_b64 s[2:3], s[2:3], 16
	s_or_b64 s[0:1], s[10:11], s[0:1]
	s_sub_u32 s14, s14, s2
	s_subb_u32 s15, s15, s3
	s_cmp_eq_u64 s[0:1], 0
	s_mov_b64 s[0:1], -1
	s_cbranch_scc0 .LBB228_125
; %bb.1:
	v_mov_b32_e32 v25, 0
	v_lshlrev_b32_e32 v24, 2, v0
	v_cmp_gt_i64_e32 vcc, s[14:15], v[24:25]
	s_and_saveexec_b64 s[16:17], vcc
	s_cbranch_execz .LBB228_124
; %bb.2:
	s_load_dword s0, s[4:5], 0xc5c
	s_mov_b32 s20, 0
	s_mov_b32 s22, 0x99fcef32
	;; [unrolled: 1-line block ×4, first 2 shown]
	s_waitcnt lgkmcnt(0)
	s_and_b32 s0, s0, 0xffff
	v_lshlrev_b32_e32 v26, 6, v0
	s_mov_b64 s[18:19], 0
	v_add_lshl_u32 v24, v0, s0, 2
	s_lshl_b32 s10, s0, 2
	s_lshl_b32 s47, s0, 6
	s_mov_b32 s21, 0x7ff00000
	s_mov_b32 s23, 0x7fda8279
	;; [unrolled: 1-line block ×3, first 2 shown]
	s_movk_i32 s48, 0x204
	s_brev_b32 s27, 8
	v_mov_b32_e32 v1, 0x260
	s_brev_b32 s49, -2
	s_mov_b64 s[28:29], 0xffff
	v_mov_b32_e32 v27, 0x7ff80000
	v_mov_b32_e32 v30, 0x7ff00000
	v_mov_b32_e32 v31, 0xffffff80
	s_branch .LBB228_6
.LBB228_3:                              ;   in Loop: Header=BB228_6 Depth=1
	s_or_b64 exec, exec, s[0:1]
	v_pk_mov_b32 v[10:11], v[2:3], v[2:3] op_sel:[0,1]
.LBB228_4:                              ;   in Loop: Header=BB228_6 Depth=1
	s_or_b64 exec, exec, s[34:35]
.LBB228_5:                              ;   in Loop: Header=BB228_6 Depth=1
	s_or_b64 exec, exec, s[30:31]
	v_mov_b32_e32 v3, s46
	v_add_co_u32_e32 v2, vcc, s45, v26
	v_addc_co_u32_e32 v3, vcc, 0, v3, vcc
	v_cmp_le_i64_e32 vcc, s[14:15], v[24:25]
	v_cmp_lt_u64_e64 s[0:1], s[28:29], v[24:25]
	s_or_b64 s[0:1], vcc, s[0:1]
	s_add_u32 s33, s33, s47
	s_addc_u32 s44, s44, 0
	v_mov_b32_e32 v22, v16
	v_mov_b32_e32 v23, v17
	s_add_u32 s45, s45, s47
	global_store_dwordx4 v[2:3], v[20:23], off
	v_mov_b32_e32 v16, v8
	v_mov_b32_e32 v20, v12
	;; [unrolled: 1-line block ×6, first 2 shown]
	s_addc_u32 s46, s46, 0
	global_store_dwordx4 v[2:3], v[18:21], off offset:16
	global_store_dwordx4 v[2:3], v[14:17], off offset:32
	;; [unrolled: 1-line block ×3, first 2 shown]
	v_mov_b32_e32 v2, s11
	s_and_b64 s[0:1], exec, s[0:1]
	v_add_co_u32_e32 v24, vcc, s10, v24
	s_or_b64 s[18:19], s[0:1], s[18:19]
	v_addc_co_u32_e32 v25, vcc, v25, v2, vcc
	s_andn2_b64 exec, exec, s[18:19]
	s_cbranch_execz .LBB228_124
.LBB228_6:                              ; =>This Inner Loop Header: Depth=1
	v_mov_b32_e32 v2, s44
	v_add_co_u32_e32 v18, vcc, s33, v26
	v_addc_co_u32_e32 v19, vcc, 0, v2, vcc
	global_load_dwordx4 v[14:17], v[18:19], off
	global_load_dwordx4 v[10:13], v[18:19], off offset:16
	global_load_dwordx4 v[2:5], v[18:19], off offset:48
	;; [unrolled: 1-line block ×3, first 2 shown]
	v_pk_mov_b32 v[18:19], 0, 0
	v_pk_mov_b32 v[20:21], v[18:19], v[18:19] op_sel:[0,1]
	s_waitcnt vmcnt(3)
	v_cmp_neq_f64_e32 vcc, 0, v[14:15]
	v_cmp_neq_f64_e64 s[0:1], 0, v[16:17]
	s_or_b64 s[0:1], vcc, s[0:1]
	s_and_saveexec_b64 s[30:31], s[0:1]
	s_cbranch_execz .LBB228_35
; %bb.7:                                ;   in Loop: Header=BB228_6 Depth=1
	v_cmp_neq_f64_e64 s[0:1], |v[16:17]|, s[20:21]
	v_pk_mov_b32 v[20:21], s[20:21], s[20:21] op_sel:[0,1]
	s_and_saveexec_b64 s[34:35], s[0:1]
	s_cbranch_execz .LBB228_34
; %bb.8:                                ;   in Loop: Header=BB228_6 Depth=1
	v_cmp_o_f64_e32 vcc, v[14:15], v[14:15]
	s_and_saveexec_b64 s[0:1], vcc
	s_xor_b64 s[36:37], exec, s[0:1]
	s_cbranch_execz .LBB228_31
; %bb.9:                                ;   in Loop: Header=BB228_6 Depth=1
	v_cmp_neq_f64_e64 s[0:1], |v[14:15]|, s[20:21]
	s_and_saveexec_b64 s[2:3], s[0:1]
	s_xor_b64 s[38:39], exec, s[2:3]
	s_cbranch_execz .LBB228_25
; %bb.10:                               ;   in Loop: Header=BB228_6 Depth=1
	v_max_f64 v[20:21], |v[16:17]|, |v[16:17]|
	v_max_f64 v[22:23], |v[14:15]|, |v[14:15]|
	v_max_f64 v[20:21], v[22:23], v[20:21]
	v_cmp_nle_f64_e64 s[0:1], s[22:23], v[20:21]
                                        ; implicit-def: $sgpr40_sgpr41
	s_and_saveexec_b64 s[2:3], s[0:1]
	s_xor_b64 s[2:3], exec, s[2:3]
	s_cbranch_execz .LBB228_14
; %bb.11:                               ;   in Loop: Header=BB228_6 Depth=1
	v_cmp_le_f64_e64 s[40:41], |v[14:15]|, s[24:25]
	v_cmp_le_f64_e64 s[42:43], |v[16:17]|, s[24:25]
	s_and_b64 s[50:51], s[40:41], s[42:43]
	s_mov_b64 s[40:41], 0
	s_and_saveexec_b64 s[42:43], s[50:51]
; %bb.12:                               ;   in Loop: Header=BB228_6 Depth=1
	s_mov_b64 s[40:41], exec
	v_mul_f64 v[14:15], v[14:15], 4.0
	v_mul_f64 v[16:17], v[16:17], 4.0
; %bb.13:                               ;   in Loop: Header=BB228_6 Depth=1
	s_or_b64 exec, exec, s[42:43]
	s_and_b64 s[40:41], s[40:41], exec
.LBB228_14:                             ;   in Loop: Header=BB228_6 Depth=1
	s_andn2_saveexec_b64 s[2:3], s[2:3]
; %bb.15:                               ;   in Loop: Header=BB228_6 Depth=1
	v_ldexp_f64 v[14:15], v[14:15], -2
	v_ldexp_f64 v[16:17], v[16:17], -2
	s_andn2_b64 s[40:41], s[40:41], exec
; %bb.16:                               ;   in Loop: Header=BB228_6 Depth=1
	s_or_b64 exec, exec, s[2:3]
	v_max_f64 v[20:21], |v[16:17]|, |v[16:17]|
	v_max_f64 v[22:23], |v[14:15]|, |v[14:15]|
	v_max_f64 v[20:21], v[22:23], v[20:21]
	v_frexp_exp_i32_f64_e32 v34, v[20:21]
	v_sub_u32_e32 v22, 0, v34
	v_ldexp_f64 v[20:21], |v[14:15]|, v22
	v_ldexp_f64 v[22:23], |v[16:17]|, v22
	v_mul_f64 v[22:23], v[22:23], v[22:23]
	v_fmac_f64_e32 v[22:23], v[20:21], v[20:21]
	v_rsq_f64_e32 v[20:21], v[22:23]
	v_cmp_eq_f64_e64 s[2:3], 0, v[22:23]
	v_cmp_class_f64_e64 s[42:43], v[16:17], s48
	v_cmp_le_f64_e32 vcc, 0, v[14:15]
	v_mul_f64 v[28:29], v[22:23], v[20:21]
	v_mul_f64 v[20:21], v[20:21], 0.5
	v_fma_f64 v[32:33], -v[20:21], v[28:29], 0.5
	v_fmac_f64_e32 v[28:29], v[28:29], v[32:33]
	v_fmac_f64_e32 v[20:21], v[20:21], v[32:33]
	v_fma_f64 v[32:33], -v[28:29], v[28:29], v[22:23]
	v_fmac_f64_e32 v[28:29], v[32:33], v[20:21]
	v_cndmask_b32_e64 v21, v29, v23, s[2:3]
	v_cndmask_b32_e64 v20, v28, v22, s[2:3]
	v_ldexp_f64 v[20:21], v[20:21], v34
	v_cmp_o_f64_e64 s[2:3], v[16:17], v[16:17]
	v_cndmask_b32_e64 v20, 0, v20, s[2:3]
	v_cndmask_b32_e64 v21, v27, v21, s[2:3]
	v_cmp_class_f64_e64 s[2:3], v[14:15], s48
	s_or_b64 s[2:3], s[42:43], s[2:3]
	v_cndmask_b32_e64 v29, v21, v30, s[2:3]
	v_cndmask_b32_e64 v28, v20, 0, s[2:3]
                                        ; implicit-def: $vgpr20_vgpr21
                                        ; implicit-def: $vgpr22_vgpr23
	s_and_saveexec_b64 s[2:3], vcc
	s_xor_b64 s[2:3], exec, s[2:3]
	s_cbranch_execz .LBB228_18
; %bb.17:                               ;   in Loop: Header=BB228_6 Depth=1
	v_add_f64 v[14:15], v[14:15], v[28:29]
	v_mul_f64 v[14:15], v[14:15], 0.5
	v_cmp_gt_f64_e32 vcc, s[26:27], v[14:15]
	v_cndmask_b32_e64 v20, 0, 1, vcc
	v_lshlrev_b32_e32 v20, 8, v20
	v_ldexp_f64 v[14:15], v[14:15], v20
	v_rsq_f64_e32 v[20:21], v[14:15]
	v_mul_f64 v[22:23], v[14:15], v[20:21]
	v_mul_f64 v[20:21], v[20:21], 0.5
	v_fma_f64 v[28:29], -v[20:21], v[22:23], 0.5
	v_fmac_f64_e32 v[22:23], v[22:23], v[28:29]
	v_fmac_f64_e32 v[20:21], v[20:21], v[28:29]
	v_fma_f64 v[28:29], -v[22:23], v[22:23], v[14:15]
	v_fmac_f64_e32 v[22:23], v[28:29], v[20:21]
	v_fma_f64 v[28:29], -v[22:23], v[22:23], v[14:15]
	v_fmac_f64_e32 v[22:23], v[28:29], v[20:21]
	v_cndmask_b32_e32 v20, 0, v31, vcc
	v_ldexp_f64 v[20:21], v[22:23], v20
	v_cmp_class_f64_e32 vcc, v[14:15], v1
	v_cndmask_b32_e32 v23, v21, v15, vcc
	v_cndmask_b32_e32 v22, v20, v14, vcc
	v_add_f64 v[14:15], v[22:23], v[22:23]
	v_div_scale_f64 v[20:21], s[42:43], v[14:15], v[14:15], v[16:17]
	v_rcp_f64_e32 v[28:29], v[20:21]
	v_fma_f64 v[32:33], -v[20:21], v[28:29], 1.0
	v_fmac_f64_e32 v[28:29], v[28:29], v[32:33]
	v_fma_f64 v[32:33], -v[20:21], v[28:29], 1.0
	v_fmac_f64_e32 v[28:29], v[28:29], v[32:33]
	v_div_scale_f64 v[32:33], vcc, v[16:17], v[14:15], v[16:17]
	v_mul_f64 v[34:35], v[32:33], v[28:29]
	v_fma_f64 v[20:21], -v[20:21], v[34:35], v[32:33]
	s_nop 1
	v_div_fmas_f64 v[20:21], v[20:21], v[28:29], v[34:35]
	v_div_fixup_f64 v[20:21], v[20:21], v[14:15], v[16:17]
                                        ; implicit-def: $vgpr28_vgpr29
                                        ; implicit-def: $vgpr14_vgpr15
	s_andn2_saveexec_b64 s[2:3], s[2:3]
	s_cbranch_execz .LBB228_20
	s_branch .LBB228_19
.LBB228_18:                             ;   in Loop: Header=BB228_6 Depth=1
	s_andn2_saveexec_b64 s[2:3], s[2:3]
	s_cbranch_execz .LBB228_20
.LBB228_19:                             ;   in Loop: Header=BB228_6 Depth=1
	v_add_f64 v[14:15], v[28:29], -v[14:15]
	v_mul_f64 v[14:15], v[14:15], 0.5
	v_cmp_gt_f64_e32 vcc, s[26:27], v[14:15]
	v_cndmask_b32_e64 v20, 0, 1, vcc
	v_lshlrev_b32_e32 v20, 8, v20
	v_ldexp_f64 v[14:15], v[14:15], v20
	v_rsq_f64_e32 v[20:21], v[14:15]
	v_mul_f64 v[22:23], v[14:15], v[20:21]
	v_mul_f64 v[20:21], v[20:21], 0.5
	v_fma_f64 v[28:29], -v[20:21], v[22:23], 0.5
	v_fmac_f64_e32 v[22:23], v[22:23], v[28:29]
	v_fmac_f64_e32 v[20:21], v[20:21], v[28:29]
	v_fma_f64 v[28:29], -v[22:23], v[22:23], v[14:15]
	v_fmac_f64_e32 v[22:23], v[28:29], v[20:21]
	v_fma_f64 v[28:29], -v[22:23], v[22:23], v[14:15]
	v_fmac_f64_e32 v[22:23], v[28:29], v[20:21]
	v_cndmask_b32_e32 v20, 0, v31, vcc
	v_ldexp_f64 v[20:21], v[22:23], v20
	v_cmp_class_f64_e32 vcc, v[14:15], v1
	v_cndmask_b32_e32 v21, v21, v15, vcc
	v_cndmask_b32_e32 v20, v20, v14, vcc
	v_add_f64 v[14:15], v[20:21], v[20:21]
	v_and_b32_e32 v23, 0x7fffffff, v17
	v_mov_b32_e32 v22, v16
	v_div_scale_f64 v[28:29], s[42:43], v[14:15], v[14:15], v[22:23]
	v_rcp_f64_e32 v[32:33], v[28:29]
	v_div_scale_f64 v[22:23], vcc, v[22:23], v[14:15], v[22:23]
	v_bfi_b32 v21, s49, v21, v17
	v_fma_f64 v[34:35], -v[28:29], v[32:33], 1.0
	v_fmac_f64_e32 v[32:33], v[32:33], v[34:35]
	v_fma_f64 v[34:35], -v[28:29], v[32:33], 1.0
	v_fmac_f64_e32 v[32:33], v[32:33], v[34:35]
	v_mul_f64 v[34:35], v[22:23], v[32:33]
	v_fma_f64 v[22:23], -v[28:29], v[34:35], v[22:23]
	v_div_fmas_f64 v[22:23], v[22:23], v[32:33], v[34:35]
	v_div_fixup_f64 v[22:23], v[22:23], v[14:15], |v[16:17]|
.LBB228_20:                             ;   in Loop: Header=BB228_6 Depth=1
	s_or_b64 exec, exec, s[2:3]
                                        ; implicit-def: $vgpr16_vgpr17
	s_and_saveexec_b64 s[2:3], s[0:1]
	s_xor_b64 s[0:1], exec, s[2:3]
	s_cbranch_execz .LBB228_22
; %bb.21:                               ;   in Loop: Header=BB228_6 Depth=1
	v_mul_f64 v[14:15], v[22:23], 0.5
	v_mul_f64 v[16:17], v[20:21], 0.5
	v_cndmask_b32_e64 v15, v23, v15, s[40:41]
	v_cndmask_b32_e64 v14, v22, v14, s[40:41]
	;; [unrolled: 1-line block ×4, first 2 shown]
                                        ; implicit-def: $vgpr22_vgpr23
                                        ; implicit-def: $vgpr20_vgpr21
	s_andn2_saveexec_b64 s[0:1], s[0:1]
	s_cbranch_execnz .LBB228_23
	s_branch .LBB228_24
.LBB228_22:                             ;   in Loop: Header=BB228_6 Depth=1
	s_andn2_saveexec_b64 s[0:1], s[0:1]
.LBB228_23:                             ;   in Loop: Header=BB228_6 Depth=1
	v_add_f64 v[14:15], v[22:23], v[22:23]
	v_add_f64 v[16:17], v[20:21], v[20:21]
.LBB228_24:                             ;   in Loop: Header=BB228_6 Depth=1
	s_or_b64 exec, exec, s[0:1]
.LBB228_25:                             ;   in Loop: Header=BB228_6 Depth=1
	s_andn2_saveexec_b64 s[0:1], s[38:39]
	s_cbranch_execz .LBB228_47
; %bb.26:                               ;   in Loop: Header=BB228_6 Depth=1
	v_cmp_lt_i64_e32 vcc, -1, v[14:15]
	v_add_f64 v[20:21], v[16:17], -v[16:17]
	s_and_saveexec_b64 s[2:3], vcc
	s_xor_b64 s[2:3], exec, s[2:3]
; %bb.27:                               ;   in Loop: Header=BB228_6 Depth=1
	v_bfi_b32 v21, s49, v21, v17
	v_pk_mov_b32 v[16:17], v[20:21], v[20:21] op_sel:[0,1]
                                        ; implicit-def: $vgpr20_vgpr21
; %bb.28:                               ;   in Loop: Header=BB228_6 Depth=1
	s_andn2_saveexec_b64 s[2:3], s[2:3]
; %bb.29:                               ;   in Loop: Header=BB228_6 Depth=1
	v_and_b32_e32 v21, 0x7fffffff, v21
	v_bfi_b32 v15, s49, v15, v17
	v_pk_mov_b32 v[16:17], v[14:15], v[14:15] op_sel:[0,1]
	v_pk_mov_b32 v[14:15], v[20:21], v[20:21] op_sel:[0,1]
; %bb.30:                               ;   in Loop: Header=BB228_6 Depth=1
	s_or_b64 exec, exec, s[2:3]
	s_or_b64 exec, exec, s[0:1]
.LBB228_31:                             ;   in Loop: Header=BB228_6 Depth=1
	s_andn2_saveexec_b64 s[0:1], s[36:37]
.LBB228_32:                             ;   in Loop: Header=BB228_6 Depth=1
	v_add_f64 v[16:17], v[16:17], -v[16:17]
	v_div_scale_f64 v[20:21], vcc, v[16:17], v[16:17], v[16:17]
	v_rcp_f64_e32 v[22:23], v[20:21]
	v_fma_f64 v[28:29], -v[20:21], v[22:23], 1.0
	v_fmac_f64_e32 v[22:23], v[22:23], v[28:29]
	v_fma_f64 v[28:29], -v[20:21], v[22:23], 1.0
	v_fmac_f64_e32 v[22:23], v[22:23], v[28:29]
	v_mul_f64 v[28:29], v[20:21], v[22:23]
	v_fma_f64 v[20:21], -v[20:21], v[28:29], v[20:21]
	v_div_fmas_f64 v[20:21], v[20:21], v[22:23], v[28:29]
	v_div_fixup_f64 v[16:17], v[20:21], v[16:17], v[16:17]
.LBB228_33:                             ;   in Loop: Header=BB228_6 Depth=1
	s_or_b64 exec, exec, s[0:1]
	v_pk_mov_b32 v[20:21], v[14:15], v[14:15] op_sel:[0,1]
.LBB228_34:                             ;   in Loop: Header=BB228_6 Depth=1
	s_or_b64 exec, exec, s[34:35]
.LBB228_35:                             ;   in Loop: Header=BB228_6 Depth=1
	s_or_b64 exec, exec, s[30:31]
	s_waitcnt vmcnt(2)
	v_cmp_neq_f64_e32 vcc, 0, v[10:11]
	v_cmp_neq_f64_e64 s[0:1], 0, v[12:13]
	s_or_b64 s[0:1], vcc, s[0:1]
	s_and_saveexec_b64 s[30:31], s[0:1]
	s_cbranch_execz .LBB228_66
; %bb.36:                               ;   in Loop: Header=BB228_6 Depth=1
	v_cmp_neq_f64_e64 s[0:1], |v[12:13]|, s[20:21]
	v_pk_mov_b32 v[18:19], s[20:21], s[20:21] op_sel:[0,1]
	s_and_saveexec_b64 s[34:35], s[0:1]
	s_cbranch_execz .LBB228_65
; %bb.37:                               ;   in Loop: Header=BB228_6 Depth=1
	v_cmp_o_f64_e32 vcc, v[10:11], v[10:11]
	s_and_saveexec_b64 s[0:1], vcc
	s_xor_b64 s[36:37], exec, s[0:1]
	s_cbranch_execz .LBB228_62
; %bb.38:                               ;   in Loop: Header=BB228_6 Depth=1
	v_cmp_neq_f64_e64 s[0:1], |v[10:11]|, s[20:21]
	s_and_saveexec_b64 s[2:3], s[0:1]
	s_xor_b64 s[38:39], exec, s[2:3]
	s_cbranch_execz .LBB228_55
; %bb.39:                               ;   in Loop: Header=BB228_6 Depth=1
	v_max_f64 v[14:15], |v[12:13]|, |v[12:13]|
	v_max_f64 v[18:19], |v[10:11]|, |v[10:11]|
	v_max_f64 v[14:15], v[18:19], v[14:15]
	v_cmp_nle_f64_e64 s[0:1], s[22:23], v[14:15]
                                        ; implicit-def: $sgpr40_sgpr41
	s_and_saveexec_b64 s[2:3], s[0:1]
	s_xor_b64 s[2:3], exec, s[2:3]
	s_cbranch_execz .LBB228_43
; %bb.40:                               ;   in Loop: Header=BB228_6 Depth=1
	v_cmp_le_f64_e64 s[40:41], |v[10:11]|, s[24:25]
	v_cmp_le_f64_e64 s[42:43], |v[12:13]|, s[24:25]
	s_and_b64 s[50:51], s[40:41], s[42:43]
	s_mov_b64 s[40:41], 0
	s_and_saveexec_b64 s[42:43], s[50:51]
; %bb.41:                               ;   in Loop: Header=BB228_6 Depth=1
	s_mov_b64 s[40:41], exec
	v_mul_f64 v[10:11], v[10:11], 4.0
	v_mul_f64 v[12:13], v[12:13], 4.0
; %bb.42:                               ;   in Loop: Header=BB228_6 Depth=1
	s_or_b64 exec, exec, s[42:43]
	s_and_b64 s[40:41], s[40:41], exec
.LBB228_43:                             ;   in Loop: Header=BB228_6 Depth=1
	s_andn2_saveexec_b64 s[2:3], s[2:3]
; %bb.44:                               ;   in Loop: Header=BB228_6 Depth=1
	v_ldexp_f64 v[10:11], v[10:11], -2
	v_ldexp_f64 v[12:13], v[12:13], -2
	s_andn2_b64 s[40:41], s[40:41], exec
; %bb.45:                               ;   in Loop: Header=BB228_6 Depth=1
	s_or_b64 exec, exec, s[2:3]
	v_max_f64 v[14:15], |v[12:13]|, |v[12:13]|
	v_max_f64 v[18:19], |v[10:11]|, |v[10:11]|
	v_max_f64 v[14:15], v[18:19], v[14:15]
	v_frexp_exp_i32_f64_e32 v32, v[14:15]
	v_sub_u32_e32 v18, 0, v32
	v_ldexp_f64 v[14:15], |v[10:11]|, v18
	v_ldexp_f64 v[18:19], |v[12:13]|, v18
	v_mul_f64 v[18:19], v[18:19], v[18:19]
	v_fmac_f64_e32 v[18:19], v[14:15], v[14:15]
	v_rsq_f64_e32 v[14:15], v[18:19]
	v_cmp_eq_f64_e64 s[2:3], 0, v[18:19]
	v_cmp_class_f64_e64 s[42:43], v[12:13], s48
	v_cmp_le_f64_e32 vcc, 0, v[10:11]
	v_mul_f64 v[22:23], v[18:19], v[14:15]
	v_mul_f64 v[14:15], v[14:15], 0.5
	v_fma_f64 v[28:29], -v[14:15], v[22:23], 0.5
	v_fmac_f64_e32 v[22:23], v[22:23], v[28:29]
	v_fmac_f64_e32 v[14:15], v[14:15], v[28:29]
	v_fma_f64 v[28:29], -v[22:23], v[22:23], v[18:19]
	v_fmac_f64_e32 v[22:23], v[28:29], v[14:15]
	v_cndmask_b32_e64 v15, v23, v19, s[2:3]
	v_cndmask_b32_e64 v14, v22, v18, s[2:3]
	v_ldexp_f64 v[14:15], v[14:15], v32
	v_cmp_o_f64_e64 s[2:3], v[12:13], v[12:13]
	v_cndmask_b32_e64 v14, 0, v14, s[2:3]
	v_cndmask_b32_e64 v15, v27, v15, s[2:3]
	v_cmp_class_f64_e64 s[2:3], v[10:11], s48
	s_or_b64 s[2:3], s[42:43], s[2:3]
	v_cndmask_b32_e64 v23, v15, v30, s[2:3]
	v_cndmask_b32_e64 v22, v14, 0, s[2:3]
                                        ; implicit-def: $vgpr14_vgpr15
                                        ; implicit-def: $vgpr18_vgpr19
	s_and_saveexec_b64 s[2:3], vcc
	s_xor_b64 s[2:3], exec, s[2:3]
	s_cbranch_execz .LBB228_48
; %bb.46:                               ;   in Loop: Header=BB228_6 Depth=1
	v_add_f64 v[10:11], v[10:11], v[22:23]
	v_mul_f64 v[10:11], v[10:11], 0.5
	v_cmp_gt_f64_e32 vcc, s[26:27], v[10:11]
	v_cndmask_b32_e64 v14, 0, 1, vcc
	v_lshlrev_b32_e32 v14, 8, v14
	v_ldexp_f64 v[10:11], v[10:11], v14
	v_rsq_f64_e32 v[14:15], v[10:11]
	v_mul_f64 v[18:19], v[10:11], v[14:15]
	v_mul_f64 v[14:15], v[14:15], 0.5
	v_fma_f64 v[22:23], -v[14:15], v[18:19], 0.5
	v_fmac_f64_e32 v[18:19], v[18:19], v[22:23]
	v_fmac_f64_e32 v[14:15], v[14:15], v[22:23]
	v_fma_f64 v[22:23], -v[18:19], v[18:19], v[10:11]
	v_fmac_f64_e32 v[18:19], v[22:23], v[14:15]
	v_fma_f64 v[22:23], -v[18:19], v[18:19], v[10:11]
	v_fmac_f64_e32 v[18:19], v[22:23], v[14:15]
	v_cndmask_b32_e32 v14, 0, v31, vcc
	v_ldexp_f64 v[14:15], v[18:19], v14
	v_cmp_class_f64_e32 vcc, v[10:11], v1
	v_cndmask_b32_e32 v19, v15, v11, vcc
	v_cndmask_b32_e32 v18, v14, v10, vcc
	v_add_f64 v[10:11], v[18:19], v[18:19]
	v_div_scale_f64 v[14:15], s[42:43], v[10:11], v[10:11], v[12:13]
	v_rcp_f64_e32 v[22:23], v[14:15]
	v_fma_f64 v[28:29], -v[14:15], v[22:23], 1.0
	v_fmac_f64_e32 v[22:23], v[22:23], v[28:29]
	v_fma_f64 v[28:29], -v[14:15], v[22:23], 1.0
	v_fmac_f64_e32 v[22:23], v[22:23], v[28:29]
	v_div_scale_f64 v[28:29], vcc, v[12:13], v[10:11], v[12:13]
	v_mul_f64 v[32:33], v[28:29], v[22:23]
	v_fma_f64 v[14:15], -v[14:15], v[32:33], v[28:29]
	s_nop 1
	v_div_fmas_f64 v[14:15], v[14:15], v[22:23], v[32:33]
	v_div_fixup_f64 v[14:15], v[14:15], v[10:11], v[12:13]
                                        ; implicit-def: $vgpr22_vgpr23
                                        ; implicit-def: $vgpr10_vgpr11
	s_andn2_saveexec_b64 s[2:3], s[2:3]
	s_cbranch_execz .LBB228_50
	s_branch .LBB228_49
.LBB228_47:                             ;   in Loop: Header=BB228_6 Depth=1
	s_or_b64 exec, exec, s[0:1]
	s_andn2_saveexec_b64 s[0:1], s[36:37]
	s_cbranch_execnz .LBB228_32
	s_branch .LBB228_33
.LBB228_48:                             ;   in Loop: Header=BB228_6 Depth=1
	s_andn2_saveexec_b64 s[2:3], s[2:3]
	s_cbranch_execz .LBB228_50
.LBB228_49:                             ;   in Loop: Header=BB228_6 Depth=1
	v_add_f64 v[10:11], v[22:23], -v[10:11]
	v_mul_f64 v[10:11], v[10:11], 0.5
	v_cmp_gt_f64_e32 vcc, s[26:27], v[10:11]
	v_cndmask_b32_e64 v14, 0, 1, vcc
	v_lshlrev_b32_e32 v14, 8, v14
	v_ldexp_f64 v[10:11], v[10:11], v14
	v_rsq_f64_e32 v[14:15], v[10:11]
	v_mul_f64 v[18:19], v[10:11], v[14:15]
	v_mul_f64 v[14:15], v[14:15], 0.5
	v_fma_f64 v[22:23], -v[14:15], v[18:19], 0.5
	v_fmac_f64_e32 v[18:19], v[18:19], v[22:23]
	v_fmac_f64_e32 v[14:15], v[14:15], v[22:23]
	v_fma_f64 v[22:23], -v[18:19], v[18:19], v[10:11]
	v_fmac_f64_e32 v[18:19], v[22:23], v[14:15]
	v_fma_f64 v[22:23], -v[18:19], v[18:19], v[10:11]
	v_fmac_f64_e32 v[18:19], v[22:23], v[14:15]
	v_cndmask_b32_e32 v14, 0, v31, vcc
	v_ldexp_f64 v[14:15], v[18:19], v14
	v_cmp_class_f64_e32 vcc, v[10:11], v1
	v_cndmask_b32_e32 v15, v15, v11, vcc
	v_cndmask_b32_e32 v14, v14, v10, vcc
	v_add_f64 v[10:11], v[14:15], v[14:15]
	v_and_b32_e32 v19, 0x7fffffff, v13
	v_mov_b32_e32 v18, v12
	v_div_scale_f64 v[22:23], s[42:43], v[10:11], v[10:11], v[18:19]
	v_rcp_f64_e32 v[28:29], v[22:23]
	v_div_scale_f64 v[18:19], vcc, v[18:19], v[10:11], v[18:19]
	v_bfi_b32 v15, s49, v15, v13
	v_fma_f64 v[32:33], -v[22:23], v[28:29], 1.0
	v_fmac_f64_e32 v[28:29], v[28:29], v[32:33]
	v_fma_f64 v[32:33], -v[22:23], v[28:29], 1.0
	v_fmac_f64_e32 v[28:29], v[28:29], v[32:33]
	v_mul_f64 v[32:33], v[18:19], v[28:29]
	v_fma_f64 v[18:19], -v[22:23], v[32:33], v[18:19]
	v_div_fmas_f64 v[18:19], v[18:19], v[28:29], v[32:33]
	v_div_fixup_f64 v[18:19], v[18:19], v[10:11], |v[12:13]|
.LBB228_50:                             ;   in Loop: Header=BB228_6 Depth=1
	s_or_b64 exec, exec, s[2:3]
                                        ; implicit-def: $vgpr12_vgpr13
	s_and_saveexec_b64 s[2:3], s[0:1]
	s_xor_b64 s[0:1], exec, s[2:3]
	s_cbranch_execz .LBB228_52
; %bb.51:                               ;   in Loop: Header=BB228_6 Depth=1
	v_mul_f64 v[10:11], v[18:19], 0.5
	v_mul_f64 v[12:13], v[14:15], 0.5
	v_cndmask_b32_e64 v11, v19, v11, s[40:41]
	v_cndmask_b32_e64 v10, v18, v10, s[40:41]
	;; [unrolled: 1-line block ×4, first 2 shown]
                                        ; implicit-def: $vgpr18_vgpr19
                                        ; implicit-def: $vgpr14_vgpr15
	s_andn2_saveexec_b64 s[0:1], s[0:1]
	s_cbranch_execnz .LBB228_53
	s_branch .LBB228_54
.LBB228_52:                             ;   in Loop: Header=BB228_6 Depth=1
	s_andn2_saveexec_b64 s[0:1], s[0:1]
.LBB228_53:                             ;   in Loop: Header=BB228_6 Depth=1
	v_add_f64 v[10:11], v[18:19], v[18:19]
	v_add_f64 v[12:13], v[14:15], v[14:15]
.LBB228_54:                             ;   in Loop: Header=BB228_6 Depth=1
	s_or_b64 exec, exec, s[0:1]
.LBB228_55:                             ;   in Loop: Header=BB228_6 Depth=1
	s_andn2_saveexec_b64 s[0:1], s[38:39]
	s_cbranch_execz .LBB228_61
; %bb.56:                               ;   in Loop: Header=BB228_6 Depth=1
	v_cmp_lt_i64_e32 vcc, -1, v[10:11]
	v_add_f64 v[14:15], v[12:13], -v[12:13]
	s_and_saveexec_b64 s[2:3], vcc
	s_xor_b64 s[2:3], exec, s[2:3]
; %bb.57:                               ;   in Loop: Header=BB228_6 Depth=1
	v_bfi_b32 v15, s49, v15, v13
	v_pk_mov_b32 v[12:13], v[14:15], v[14:15] op_sel:[0,1]
                                        ; implicit-def: $vgpr14_vgpr15
; %bb.58:                               ;   in Loop: Header=BB228_6 Depth=1
	s_andn2_saveexec_b64 s[2:3], s[2:3]
; %bb.59:                               ;   in Loop: Header=BB228_6 Depth=1
	v_and_b32_e32 v15, 0x7fffffff, v15
	v_bfi_b32 v11, s49, v11, v13
	v_pk_mov_b32 v[12:13], v[10:11], v[10:11] op_sel:[0,1]
	v_pk_mov_b32 v[10:11], v[14:15], v[14:15] op_sel:[0,1]
; %bb.60:                               ;   in Loop: Header=BB228_6 Depth=1
	s_or_b64 exec, exec, s[2:3]
.LBB228_61:                             ;   in Loop: Header=BB228_6 Depth=1
	s_or_b64 exec, exec, s[0:1]
.LBB228_62:                             ;   in Loop: Header=BB228_6 Depth=1
	s_andn2_saveexec_b64 s[0:1], s[36:37]
; %bb.63:                               ;   in Loop: Header=BB228_6 Depth=1
	v_add_f64 v[12:13], v[12:13], -v[12:13]
	v_div_scale_f64 v[14:15], vcc, v[12:13], v[12:13], v[12:13]
	v_rcp_f64_e32 v[18:19], v[14:15]
	v_fma_f64 v[22:23], -v[14:15], v[18:19], 1.0
	v_fmac_f64_e32 v[18:19], v[18:19], v[22:23]
	v_fma_f64 v[22:23], -v[14:15], v[18:19], 1.0
	v_fmac_f64_e32 v[18:19], v[18:19], v[22:23]
	v_mul_f64 v[22:23], v[14:15], v[18:19]
	v_fma_f64 v[14:15], -v[14:15], v[22:23], v[14:15]
	v_div_fmas_f64 v[14:15], v[14:15], v[18:19], v[22:23]
	v_div_fixup_f64 v[12:13], v[14:15], v[12:13], v[12:13]
; %bb.64:                               ;   in Loop: Header=BB228_6 Depth=1
	s_or_b64 exec, exec, s[0:1]
	v_pk_mov_b32 v[18:19], v[10:11], v[10:11] op_sel:[0,1]
.LBB228_65:                             ;   in Loop: Header=BB228_6 Depth=1
	s_or_b64 exec, exec, s[34:35]
.LBB228_66:                             ;   in Loop: Header=BB228_6 Depth=1
	s_or_b64 exec, exec, s[30:31]
	s_waitcnt vmcnt(0)
	v_cmp_neq_f64_e32 vcc, 0, v[6:7]
	v_cmp_neq_f64_e64 s[0:1], 0, v[8:9]
	v_pk_mov_b32 v[10:11], 0, 0
	s_or_b64 s[0:1], vcc, s[0:1]
	v_pk_mov_b32 v[14:15], v[10:11], v[10:11] op_sel:[0,1]
	s_and_saveexec_b64 s[30:31], s[0:1]
	s_cbranch_execz .LBB228_96
; %bb.67:                               ;   in Loop: Header=BB228_6 Depth=1
	v_cmp_neq_f64_e64 s[0:1], |v[8:9]|, s[20:21]
	v_pk_mov_b32 v[14:15], s[20:21], s[20:21] op_sel:[0,1]
	s_and_saveexec_b64 s[34:35], s[0:1]
	s_cbranch_execz .LBB228_95
; %bb.68:                               ;   in Loop: Header=BB228_6 Depth=1
	v_cmp_o_f64_e32 vcc, v[6:7], v[6:7]
	s_and_saveexec_b64 s[0:1], vcc
	s_xor_b64 s[36:37], exec, s[0:1]
	s_cbranch_execz .LBB228_92
; %bb.69:                               ;   in Loop: Header=BB228_6 Depth=1
	v_cmp_neq_f64_e64 s[0:1], |v[6:7]|, s[20:21]
	s_and_saveexec_b64 s[2:3], s[0:1]
	s_xor_b64 s[38:39], exec, s[2:3]
	s_cbranch_execz .LBB228_85
; %bb.70:                               ;   in Loop: Header=BB228_6 Depth=1
	v_max_f64 v[14:15], |v[8:9]|, |v[8:9]|
	v_max_f64 v[22:23], |v[6:7]|, |v[6:7]|
	v_max_f64 v[14:15], v[22:23], v[14:15]
	v_cmp_nle_f64_e64 s[0:1], s[22:23], v[14:15]
                                        ; implicit-def: $sgpr40_sgpr41
	s_and_saveexec_b64 s[2:3], s[0:1]
	s_xor_b64 s[2:3], exec, s[2:3]
	s_cbranch_execz .LBB228_74
; %bb.71:                               ;   in Loop: Header=BB228_6 Depth=1
	v_cmp_le_f64_e64 s[40:41], |v[6:7]|, s[24:25]
	v_cmp_le_f64_e64 s[42:43], |v[8:9]|, s[24:25]
	s_and_b64 s[50:51], s[40:41], s[42:43]
	s_mov_b64 s[40:41], 0
	s_and_saveexec_b64 s[42:43], s[50:51]
; %bb.72:                               ;   in Loop: Header=BB228_6 Depth=1
	s_mov_b64 s[40:41], exec
	v_mul_f64 v[6:7], v[6:7], 4.0
	v_mul_f64 v[8:9], v[8:9], 4.0
; %bb.73:                               ;   in Loop: Header=BB228_6 Depth=1
	s_or_b64 exec, exec, s[42:43]
	s_and_b64 s[40:41], s[40:41], exec
.LBB228_74:                             ;   in Loop: Header=BB228_6 Depth=1
	s_andn2_saveexec_b64 s[2:3], s[2:3]
; %bb.75:                               ;   in Loop: Header=BB228_6 Depth=1
	v_ldexp_f64 v[6:7], v[6:7], -2
	v_ldexp_f64 v[8:9], v[8:9], -2
	s_andn2_b64 s[40:41], s[40:41], exec
; %bb.76:                               ;   in Loop: Header=BB228_6 Depth=1
	s_or_b64 exec, exec, s[2:3]
	v_max_f64 v[14:15], |v[8:9]|, |v[8:9]|
	v_max_f64 v[22:23], |v[6:7]|, |v[6:7]|
	v_max_f64 v[14:15], v[22:23], v[14:15]
	v_frexp_exp_i32_f64_e32 v34, v[14:15]
	v_sub_u32_e32 v22, 0, v34
	v_ldexp_f64 v[14:15], |v[6:7]|, v22
	v_ldexp_f64 v[22:23], |v[8:9]|, v22
	v_mul_f64 v[22:23], v[22:23], v[22:23]
	v_fmac_f64_e32 v[22:23], v[14:15], v[14:15]
	v_rsq_f64_e32 v[14:15], v[22:23]
	v_cmp_eq_f64_e64 s[2:3], 0, v[22:23]
	v_cmp_class_f64_e64 s[42:43], v[8:9], s48
	v_cmp_le_f64_e32 vcc, 0, v[6:7]
	v_mul_f64 v[28:29], v[22:23], v[14:15]
	v_mul_f64 v[14:15], v[14:15], 0.5
	v_fma_f64 v[32:33], -v[14:15], v[28:29], 0.5
	v_fmac_f64_e32 v[28:29], v[28:29], v[32:33]
	v_fmac_f64_e32 v[14:15], v[14:15], v[32:33]
	v_fma_f64 v[32:33], -v[28:29], v[28:29], v[22:23]
	v_fmac_f64_e32 v[28:29], v[32:33], v[14:15]
	v_cndmask_b32_e64 v15, v29, v23, s[2:3]
	v_cndmask_b32_e64 v14, v28, v22, s[2:3]
	v_ldexp_f64 v[14:15], v[14:15], v34
	v_cmp_o_f64_e64 s[2:3], v[8:9], v[8:9]
	v_cndmask_b32_e64 v14, 0, v14, s[2:3]
	v_cndmask_b32_e64 v15, v27, v15, s[2:3]
	v_cmp_class_f64_e64 s[2:3], v[6:7], s48
	s_or_b64 s[2:3], s[42:43], s[2:3]
	v_cndmask_b32_e64 v29, v15, v30, s[2:3]
	v_cndmask_b32_e64 v28, v14, 0, s[2:3]
                                        ; implicit-def: $vgpr14_vgpr15
                                        ; implicit-def: $vgpr22_vgpr23
	s_and_saveexec_b64 s[2:3], vcc
	s_xor_b64 s[2:3], exec, s[2:3]
	s_cbranch_execz .LBB228_78
; %bb.77:                               ;   in Loop: Header=BB228_6 Depth=1
	v_add_f64 v[6:7], v[6:7], v[28:29]
	v_mul_f64 v[6:7], v[6:7], 0.5
	v_cmp_gt_f64_e32 vcc, s[26:27], v[6:7]
	v_cndmask_b32_e64 v14, 0, 1, vcc
	v_lshlrev_b32_e32 v14, 8, v14
	v_ldexp_f64 v[6:7], v[6:7], v14
	v_rsq_f64_e32 v[14:15], v[6:7]
	v_mul_f64 v[22:23], v[6:7], v[14:15]
	v_mul_f64 v[14:15], v[14:15], 0.5
	v_fma_f64 v[28:29], -v[14:15], v[22:23], 0.5
	v_fmac_f64_e32 v[22:23], v[22:23], v[28:29]
	v_fmac_f64_e32 v[14:15], v[14:15], v[28:29]
	v_fma_f64 v[28:29], -v[22:23], v[22:23], v[6:7]
	v_fmac_f64_e32 v[22:23], v[28:29], v[14:15]
	v_fma_f64 v[28:29], -v[22:23], v[22:23], v[6:7]
	v_fmac_f64_e32 v[22:23], v[28:29], v[14:15]
	v_cndmask_b32_e32 v14, 0, v31, vcc
	v_ldexp_f64 v[14:15], v[22:23], v14
	v_cmp_class_f64_e32 vcc, v[6:7], v1
	v_cndmask_b32_e32 v23, v15, v7, vcc
	v_cndmask_b32_e32 v22, v14, v6, vcc
	v_add_f64 v[6:7], v[22:23], v[22:23]
	v_div_scale_f64 v[14:15], s[42:43], v[6:7], v[6:7], v[8:9]
	v_rcp_f64_e32 v[28:29], v[14:15]
	v_fma_f64 v[32:33], -v[14:15], v[28:29], 1.0
	v_fmac_f64_e32 v[28:29], v[28:29], v[32:33]
	v_fma_f64 v[32:33], -v[14:15], v[28:29], 1.0
	v_fmac_f64_e32 v[28:29], v[28:29], v[32:33]
	v_div_scale_f64 v[32:33], vcc, v[8:9], v[6:7], v[8:9]
	v_mul_f64 v[34:35], v[32:33], v[28:29]
	v_fma_f64 v[14:15], -v[14:15], v[34:35], v[32:33]
	s_nop 1
	v_div_fmas_f64 v[14:15], v[14:15], v[28:29], v[34:35]
	v_div_fixup_f64 v[14:15], v[14:15], v[6:7], v[8:9]
                                        ; implicit-def: $vgpr28_vgpr29
                                        ; implicit-def: $vgpr6_vgpr7
	s_andn2_saveexec_b64 s[2:3], s[2:3]
	s_cbranch_execz .LBB228_80
	s_branch .LBB228_79
.LBB228_78:                             ;   in Loop: Header=BB228_6 Depth=1
	s_andn2_saveexec_b64 s[2:3], s[2:3]
	s_cbranch_execz .LBB228_80
.LBB228_79:                             ;   in Loop: Header=BB228_6 Depth=1
	v_add_f64 v[6:7], v[28:29], -v[6:7]
	v_mul_f64 v[6:7], v[6:7], 0.5
	v_cmp_gt_f64_e32 vcc, s[26:27], v[6:7]
	v_cndmask_b32_e64 v14, 0, 1, vcc
	v_lshlrev_b32_e32 v14, 8, v14
	v_ldexp_f64 v[6:7], v[6:7], v14
	v_rsq_f64_e32 v[14:15], v[6:7]
	v_mul_f64 v[22:23], v[6:7], v[14:15]
	v_mul_f64 v[14:15], v[14:15], 0.5
	v_fma_f64 v[28:29], -v[14:15], v[22:23], 0.5
	v_fmac_f64_e32 v[22:23], v[22:23], v[28:29]
	v_fmac_f64_e32 v[14:15], v[14:15], v[28:29]
	v_fma_f64 v[28:29], -v[22:23], v[22:23], v[6:7]
	v_fmac_f64_e32 v[22:23], v[28:29], v[14:15]
	v_fma_f64 v[28:29], -v[22:23], v[22:23], v[6:7]
	v_fmac_f64_e32 v[22:23], v[28:29], v[14:15]
	v_cndmask_b32_e32 v14, 0, v31, vcc
	v_ldexp_f64 v[14:15], v[22:23], v14
	v_cmp_class_f64_e32 vcc, v[6:7], v1
	v_cndmask_b32_e32 v15, v15, v7, vcc
	v_cndmask_b32_e32 v14, v14, v6, vcc
	v_add_f64 v[6:7], v[14:15], v[14:15]
	v_and_b32_e32 v23, 0x7fffffff, v9
	v_mov_b32_e32 v22, v8
	v_div_scale_f64 v[28:29], s[42:43], v[6:7], v[6:7], v[22:23]
	v_rcp_f64_e32 v[32:33], v[28:29]
	v_div_scale_f64 v[22:23], vcc, v[22:23], v[6:7], v[22:23]
	v_bfi_b32 v15, s49, v15, v9
	v_fma_f64 v[34:35], -v[28:29], v[32:33], 1.0
	v_fmac_f64_e32 v[32:33], v[32:33], v[34:35]
	v_fma_f64 v[34:35], -v[28:29], v[32:33], 1.0
	v_fmac_f64_e32 v[32:33], v[32:33], v[34:35]
	v_mul_f64 v[34:35], v[22:23], v[32:33]
	v_fma_f64 v[22:23], -v[28:29], v[34:35], v[22:23]
	v_div_fmas_f64 v[22:23], v[22:23], v[32:33], v[34:35]
	v_div_fixup_f64 v[22:23], v[22:23], v[6:7], |v[8:9]|
.LBB228_80:                             ;   in Loop: Header=BB228_6 Depth=1
	s_or_b64 exec, exec, s[2:3]
                                        ; implicit-def: $vgpr8_vgpr9
	s_and_saveexec_b64 s[2:3], s[0:1]
	s_xor_b64 s[0:1], exec, s[2:3]
	s_cbranch_execz .LBB228_82
; %bb.81:                               ;   in Loop: Header=BB228_6 Depth=1
	v_mul_f64 v[6:7], v[22:23], 0.5
	v_mul_f64 v[8:9], v[14:15], 0.5
	v_cndmask_b32_e64 v7, v23, v7, s[40:41]
	v_cndmask_b32_e64 v6, v22, v6, s[40:41]
	;; [unrolled: 1-line block ×4, first 2 shown]
                                        ; implicit-def: $vgpr22_vgpr23
                                        ; implicit-def: $vgpr14_vgpr15
	s_andn2_saveexec_b64 s[0:1], s[0:1]
	s_cbranch_execnz .LBB228_83
	s_branch .LBB228_84
.LBB228_82:                             ;   in Loop: Header=BB228_6 Depth=1
	s_andn2_saveexec_b64 s[0:1], s[0:1]
.LBB228_83:                             ;   in Loop: Header=BB228_6 Depth=1
	v_add_f64 v[6:7], v[22:23], v[22:23]
	v_add_f64 v[8:9], v[14:15], v[14:15]
.LBB228_84:                             ;   in Loop: Header=BB228_6 Depth=1
	s_or_b64 exec, exec, s[0:1]
.LBB228_85:                             ;   in Loop: Header=BB228_6 Depth=1
	s_andn2_saveexec_b64 s[0:1], s[38:39]
	s_cbranch_execz .LBB228_91
; %bb.86:                               ;   in Loop: Header=BB228_6 Depth=1
	v_cmp_lt_i64_e32 vcc, -1, v[6:7]
	v_add_f64 v[14:15], v[8:9], -v[8:9]
	s_and_saveexec_b64 s[2:3], vcc
	s_xor_b64 s[2:3], exec, s[2:3]
; %bb.87:                               ;   in Loop: Header=BB228_6 Depth=1
	v_bfi_b32 v15, s49, v15, v9
	v_pk_mov_b32 v[8:9], v[14:15], v[14:15] op_sel:[0,1]
                                        ; implicit-def: $vgpr14_vgpr15
; %bb.88:                               ;   in Loop: Header=BB228_6 Depth=1
	s_andn2_saveexec_b64 s[2:3], s[2:3]
; %bb.89:                               ;   in Loop: Header=BB228_6 Depth=1
	v_and_b32_e32 v15, 0x7fffffff, v15
	v_bfi_b32 v7, s49, v7, v9
	v_pk_mov_b32 v[8:9], v[6:7], v[6:7] op_sel:[0,1]
	v_pk_mov_b32 v[6:7], v[14:15], v[14:15] op_sel:[0,1]
; %bb.90:                               ;   in Loop: Header=BB228_6 Depth=1
	s_or_b64 exec, exec, s[2:3]
.LBB228_91:                             ;   in Loop: Header=BB228_6 Depth=1
	s_or_b64 exec, exec, s[0:1]
.LBB228_92:                             ;   in Loop: Header=BB228_6 Depth=1
	s_andn2_saveexec_b64 s[0:1], s[36:37]
; %bb.93:                               ;   in Loop: Header=BB228_6 Depth=1
	v_add_f64 v[8:9], v[8:9], -v[8:9]
	v_div_scale_f64 v[14:15], vcc, v[8:9], v[8:9], v[8:9]
	v_rcp_f64_e32 v[22:23], v[14:15]
	v_fma_f64 v[28:29], -v[14:15], v[22:23], 1.0
	v_fmac_f64_e32 v[22:23], v[22:23], v[28:29]
	v_fma_f64 v[28:29], -v[14:15], v[22:23], 1.0
	v_fmac_f64_e32 v[22:23], v[22:23], v[28:29]
	v_mul_f64 v[28:29], v[14:15], v[22:23]
	v_fma_f64 v[14:15], -v[14:15], v[28:29], v[14:15]
	v_div_fmas_f64 v[14:15], v[14:15], v[22:23], v[28:29]
	v_div_fixup_f64 v[8:9], v[14:15], v[8:9], v[8:9]
; %bb.94:                               ;   in Loop: Header=BB228_6 Depth=1
	s_or_b64 exec, exec, s[0:1]
	v_pk_mov_b32 v[14:15], v[6:7], v[6:7] op_sel:[0,1]
.LBB228_95:                             ;   in Loop: Header=BB228_6 Depth=1
	s_or_b64 exec, exec, s[34:35]
.LBB228_96:                             ;   in Loop: Header=BB228_6 Depth=1
	s_or_b64 exec, exec, s[30:31]
	v_cmp_neq_f64_e32 vcc, 0, v[2:3]
	v_cmp_neq_f64_e64 s[0:1], 0, v[4:5]
	s_or_b64 s[0:1], vcc, s[0:1]
	s_and_saveexec_b64 s[30:31], s[0:1]
	s_cbranch_execz .LBB228_5
; %bb.97:                               ;   in Loop: Header=BB228_6 Depth=1
	v_cmp_neq_f64_e64 s[0:1], |v[4:5]|, s[20:21]
	v_pk_mov_b32 v[10:11], s[20:21], s[20:21] op_sel:[0,1]
	s_and_saveexec_b64 s[34:35], s[0:1]
	s_cbranch_execz .LBB228_4
; %bb.98:                               ;   in Loop: Header=BB228_6 Depth=1
	v_cmp_o_f64_e32 vcc, v[2:3], v[2:3]
	s_and_saveexec_b64 s[0:1], vcc
	s_xor_b64 s[36:37], exec, s[0:1]
	s_cbranch_execz .LBB228_122
; %bb.99:                               ;   in Loop: Header=BB228_6 Depth=1
	v_cmp_neq_f64_e64 s[0:1], |v[2:3]|, s[20:21]
	s_and_saveexec_b64 s[2:3], s[0:1]
	s_xor_b64 s[38:39], exec, s[2:3]
	s_cbranch_execz .LBB228_115
; %bb.100:                              ;   in Loop: Header=BB228_6 Depth=1
	v_max_f64 v[6:7], |v[4:5]|, |v[4:5]|
	v_max_f64 v[10:11], |v[2:3]|, |v[2:3]|
	v_max_f64 v[6:7], v[10:11], v[6:7]
	v_cmp_nle_f64_e64 s[0:1], s[22:23], v[6:7]
                                        ; implicit-def: $sgpr40_sgpr41
	s_and_saveexec_b64 s[2:3], s[0:1]
	s_xor_b64 s[2:3], exec, s[2:3]
	s_cbranch_execz .LBB228_104
; %bb.101:                              ;   in Loop: Header=BB228_6 Depth=1
	v_cmp_le_f64_e64 s[40:41], |v[2:3]|, s[24:25]
	v_cmp_le_f64_e64 s[42:43], |v[4:5]|, s[24:25]
	s_and_b64 s[50:51], s[40:41], s[42:43]
	s_mov_b64 s[40:41], 0
	s_and_saveexec_b64 s[42:43], s[50:51]
; %bb.102:                              ;   in Loop: Header=BB228_6 Depth=1
	s_mov_b64 s[40:41], exec
	v_mul_f64 v[2:3], v[2:3], 4.0
	v_mul_f64 v[4:5], v[4:5], 4.0
; %bb.103:                              ;   in Loop: Header=BB228_6 Depth=1
	s_or_b64 exec, exec, s[42:43]
	s_and_b64 s[40:41], s[40:41], exec
.LBB228_104:                            ;   in Loop: Header=BB228_6 Depth=1
	s_andn2_saveexec_b64 s[2:3], s[2:3]
; %bb.105:                              ;   in Loop: Header=BB228_6 Depth=1
	v_ldexp_f64 v[2:3], v[2:3], -2
	v_ldexp_f64 v[4:5], v[4:5], -2
	s_andn2_b64 s[40:41], s[40:41], exec
; %bb.106:                              ;   in Loop: Header=BB228_6 Depth=1
	s_or_b64 exec, exec, s[2:3]
	v_max_f64 v[6:7], |v[4:5]|, |v[4:5]|
	v_max_f64 v[10:11], |v[2:3]|, |v[2:3]|
	v_max_f64 v[6:7], v[10:11], v[6:7]
	v_frexp_exp_i32_f64_e32 v32, v[6:7]
	v_sub_u32_e32 v10, 0, v32
	v_ldexp_f64 v[6:7], |v[2:3]|, v10
	v_ldexp_f64 v[10:11], |v[4:5]|, v10
	v_mul_f64 v[10:11], v[10:11], v[10:11]
	v_fmac_f64_e32 v[10:11], v[6:7], v[6:7]
	v_rsq_f64_e32 v[6:7], v[10:11]
	v_cmp_eq_f64_e64 s[2:3], 0, v[10:11]
	v_cmp_class_f64_e64 s[42:43], v[4:5], s48
	v_cmp_le_f64_e32 vcc, 0, v[2:3]
	v_mul_f64 v[22:23], v[10:11], v[6:7]
	v_mul_f64 v[6:7], v[6:7], 0.5
	v_fma_f64 v[28:29], -v[6:7], v[22:23], 0.5
	v_fmac_f64_e32 v[22:23], v[22:23], v[28:29]
	v_fmac_f64_e32 v[6:7], v[6:7], v[28:29]
	v_fma_f64 v[28:29], -v[22:23], v[22:23], v[10:11]
	v_fmac_f64_e32 v[22:23], v[28:29], v[6:7]
	v_cndmask_b32_e64 v7, v23, v11, s[2:3]
	v_cndmask_b32_e64 v6, v22, v10, s[2:3]
	v_ldexp_f64 v[6:7], v[6:7], v32
	v_cmp_o_f64_e64 s[2:3], v[4:5], v[4:5]
	v_cndmask_b32_e64 v6, 0, v6, s[2:3]
	v_cndmask_b32_e64 v7, v27, v7, s[2:3]
	v_cmp_class_f64_e64 s[2:3], v[2:3], s48
	s_or_b64 s[2:3], s[42:43], s[2:3]
	v_cndmask_b32_e64 v23, v7, v30, s[2:3]
	v_cndmask_b32_e64 v22, v6, 0, s[2:3]
                                        ; implicit-def: $vgpr6_vgpr7
                                        ; implicit-def: $vgpr10_vgpr11
	s_and_saveexec_b64 s[2:3], vcc
	s_xor_b64 s[2:3], exec, s[2:3]
	s_cbranch_execz .LBB228_108
; %bb.107:                              ;   in Loop: Header=BB228_6 Depth=1
	v_add_f64 v[2:3], v[2:3], v[22:23]
	v_mul_f64 v[2:3], v[2:3], 0.5
	v_cmp_gt_f64_e32 vcc, s[26:27], v[2:3]
	v_cndmask_b32_e64 v6, 0, 1, vcc
	v_lshlrev_b32_e32 v6, 8, v6
	v_ldexp_f64 v[2:3], v[2:3], v6
	v_rsq_f64_e32 v[6:7], v[2:3]
	v_mul_f64 v[10:11], v[2:3], v[6:7]
	v_mul_f64 v[6:7], v[6:7], 0.5
	v_fma_f64 v[22:23], -v[6:7], v[10:11], 0.5
	v_fmac_f64_e32 v[10:11], v[10:11], v[22:23]
	v_fmac_f64_e32 v[6:7], v[6:7], v[22:23]
	v_fma_f64 v[22:23], -v[10:11], v[10:11], v[2:3]
	v_fmac_f64_e32 v[10:11], v[22:23], v[6:7]
	v_fma_f64 v[22:23], -v[10:11], v[10:11], v[2:3]
	v_fmac_f64_e32 v[10:11], v[22:23], v[6:7]
	v_cndmask_b32_e32 v6, 0, v31, vcc
	v_ldexp_f64 v[6:7], v[10:11], v6
	v_cmp_class_f64_e32 vcc, v[2:3], v1
	v_cndmask_b32_e32 v11, v7, v3, vcc
	v_cndmask_b32_e32 v10, v6, v2, vcc
	v_add_f64 v[2:3], v[10:11], v[10:11]
	v_div_scale_f64 v[6:7], s[42:43], v[2:3], v[2:3], v[4:5]
	v_rcp_f64_e32 v[22:23], v[6:7]
	v_fma_f64 v[28:29], -v[6:7], v[22:23], 1.0
	v_fmac_f64_e32 v[22:23], v[22:23], v[28:29]
	v_fma_f64 v[28:29], -v[6:7], v[22:23], 1.0
	v_fmac_f64_e32 v[22:23], v[22:23], v[28:29]
	v_div_scale_f64 v[28:29], vcc, v[4:5], v[2:3], v[4:5]
	v_mul_f64 v[32:33], v[28:29], v[22:23]
	v_fma_f64 v[6:7], -v[6:7], v[32:33], v[28:29]
	s_nop 1
	v_div_fmas_f64 v[6:7], v[6:7], v[22:23], v[32:33]
	v_div_fixup_f64 v[6:7], v[6:7], v[2:3], v[4:5]
                                        ; implicit-def: $vgpr22_vgpr23
                                        ; implicit-def: $vgpr2_vgpr3
	s_andn2_saveexec_b64 s[2:3], s[2:3]
	s_cbranch_execz .LBB228_110
	s_branch .LBB228_109
.LBB228_108:                            ;   in Loop: Header=BB228_6 Depth=1
	s_andn2_saveexec_b64 s[2:3], s[2:3]
	s_cbranch_execz .LBB228_110
.LBB228_109:                            ;   in Loop: Header=BB228_6 Depth=1
	v_add_f64 v[2:3], v[22:23], -v[2:3]
	v_mul_f64 v[2:3], v[2:3], 0.5
	v_cmp_gt_f64_e32 vcc, s[26:27], v[2:3]
	v_cndmask_b32_e64 v6, 0, 1, vcc
	v_lshlrev_b32_e32 v6, 8, v6
	v_ldexp_f64 v[2:3], v[2:3], v6
	v_rsq_f64_e32 v[6:7], v[2:3]
	v_mul_f64 v[10:11], v[2:3], v[6:7]
	v_mul_f64 v[6:7], v[6:7], 0.5
	v_fma_f64 v[22:23], -v[6:7], v[10:11], 0.5
	v_fmac_f64_e32 v[10:11], v[10:11], v[22:23]
	v_fmac_f64_e32 v[6:7], v[6:7], v[22:23]
	v_fma_f64 v[22:23], -v[10:11], v[10:11], v[2:3]
	v_fmac_f64_e32 v[10:11], v[22:23], v[6:7]
	v_fma_f64 v[22:23], -v[10:11], v[10:11], v[2:3]
	v_fmac_f64_e32 v[10:11], v[22:23], v[6:7]
	v_cndmask_b32_e32 v6, 0, v31, vcc
	v_ldexp_f64 v[6:7], v[10:11], v6
	v_cmp_class_f64_e32 vcc, v[2:3], v1
	v_cndmask_b32_e32 v7, v7, v3, vcc
	v_cndmask_b32_e32 v6, v6, v2, vcc
	v_add_f64 v[2:3], v[6:7], v[6:7]
	v_and_b32_e32 v11, 0x7fffffff, v5
	v_mov_b32_e32 v10, v4
	v_div_scale_f64 v[22:23], s[42:43], v[2:3], v[2:3], v[10:11]
	v_rcp_f64_e32 v[28:29], v[22:23]
	v_div_scale_f64 v[10:11], vcc, v[10:11], v[2:3], v[10:11]
	v_bfi_b32 v7, s49, v7, v5
	v_fma_f64 v[32:33], -v[22:23], v[28:29], 1.0
	v_fmac_f64_e32 v[28:29], v[28:29], v[32:33]
	v_fma_f64 v[32:33], -v[22:23], v[28:29], 1.0
	v_fmac_f64_e32 v[28:29], v[28:29], v[32:33]
	v_mul_f64 v[32:33], v[10:11], v[28:29]
	v_fma_f64 v[10:11], -v[22:23], v[32:33], v[10:11]
	v_div_fmas_f64 v[10:11], v[10:11], v[28:29], v[32:33]
	v_div_fixup_f64 v[10:11], v[10:11], v[2:3], |v[4:5]|
.LBB228_110:                            ;   in Loop: Header=BB228_6 Depth=1
	s_or_b64 exec, exec, s[2:3]
                                        ; implicit-def: $vgpr4_vgpr5
	s_and_saveexec_b64 s[2:3], s[0:1]
	s_xor_b64 s[0:1], exec, s[2:3]
	s_cbranch_execz .LBB228_112
; %bb.111:                              ;   in Loop: Header=BB228_6 Depth=1
	v_mul_f64 v[2:3], v[10:11], 0.5
	v_mul_f64 v[4:5], v[6:7], 0.5
	v_cndmask_b32_e64 v3, v11, v3, s[40:41]
	v_cndmask_b32_e64 v2, v10, v2, s[40:41]
	;; [unrolled: 1-line block ×4, first 2 shown]
                                        ; implicit-def: $vgpr10_vgpr11
                                        ; implicit-def: $vgpr6_vgpr7
	s_andn2_saveexec_b64 s[0:1], s[0:1]
	s_cbranch_execnz .LBB228_113
	s_branch .LBB228_114
.LBB228_112:                            ;   in Loop: Header=BB228_6 Depth=1
	s_andn2_saveexec_b64 s[0:1], s[0:1]
.LBB228_113:                            ;   in Loop: Header=BB228_6 Depth=1
	v_add_f64 v[2:3], v[10:11], v[10:11]
	v_add_f64 v[4:5], v[6:7], v[6:7]
.LBB228_114:                            ;   in Loop: Header=BB228_6 Depth=1
	s_or_b64 exec, exec, s[0:1]
.LBB228_115:                            ;   in Loop: Header=BB228_6 Depth=1
	s_andn2_saveexec_b64 s[0:1], s[38:39]
	s_cbranch_execz .LBB228_121
; %bb.116:                              ;   in Loop: Header=BB228_6 Depth=1
	v_cmp_lt_i64_e32 vcc, -1, v[2:3]
	v_add_f64 v[6:7], v[4:5], -v[4:5]
	s_and_saveexec_b64 s[2:3], vcc
	s_xor_b64 s[2:3], exec, s[2:3]
; %bb.117:                              ;   in Loop: Header=BB228_6 Depth=1
	v_bfi_b32 v7, s49, v7, v5
	v_pk_mov_b32 v[4:5], v[6:7], v[6:7] op_sel:[0,1]
                                        ; implicit-def: $vgpr6_vgpr7
; %bb.118:                              ;   in Loop: Header=BB228_6 Depth=1
	s_andn2_saveexec_b64 s[2:3], s[2:3]
; %bb.119:                              ;   in Loop: Header=BB228_6 Depth=1
	v_and_b32_e32 v7, 0x7fffffff, v7
	v_bfi_b32 v3, s49, v3, v5
	v_pk_mov_b32 v[4:5], v[2:3], v[2:3] op_sel:[0,1]
	v_pk_mov_b32 v[2:3], v[6:7], v[6:7] op_sel:[0,1]
; %bb.120:                              ;   in Loop: Header=BB228_6 Depth=1
	s_or_b64 exec, exec, s[2:3]
.LBB228_121:                            ;   in Loop: Header=BB228_6 Depth=1
	s_or_b64 exec, exec, s[0:1]
.LBB228_122:                            ;   in Loop: Header=BB228_6 Depth=1
	s_andn2_saveexec_b64 s[0:1], s[36:37]
	s_cbranch_execz .LBB228_3
; %bb.123:                              ;   in Loop: Header=BB228_6 Depth=1
	v_add_f64 v[4:5], v[4:5], -v[4:5]
	v_div_scale_f64 v[6:7], vcc, v[4:5], v[4:5], v[4:5]
	v_rcp_f64_e32 v[10:11], v[6:7]
	v_fma_f64 v[22:23], -v[6:7], v[10:11], 1.0
	v_fmac_f64_e32 v[10:11], v[10:11], v[22:23]
	v_fma_f64 v[22:23], -v[6:7], v[10:11], 1.0
	v_fmac_f64_e32 v[10:11], v[10:11], v[22:23]
	v_mul_f64 v[22:23], v[6:7], v[10:11]
	v_fma_f64 v[6:7], -v[6:7], v[22:23], v[6:7]
	v_div_fmas_f64 v[6:7], v[6:7], v[10:11], v[22:23]
	v_div_fixup_f64 v[4:5], v[6:7], v[4:5], v[4:5]
	s_branch .LBB228_3
.LBB228_124:
	s_or_b64 exec, exec, s[16:17]
	s_mov_b64 s[0:1], 0
.LBB228_125:
	s_andn2_b64 vcc, exec, s[0:1]
	s_cbranch_vccnz .LBB228_265
; %bb.126:
	v_cmp_lt_i64_e64 s[0:1], s[14:15], 1
	s_and_b64 vcc, exec, s[0:1]
	s_cbranch_vccnz .LBB228_265
; %bb.127:
	s_load_dword s0, s[4:5], 0xc5c
	v_mov_b32_e32 v2, 0x10000
	v_mov_b32_e32 v3, 0
	v_cmp_lt_u64_e32 vcc, s[14:15], v[2:3]
	v_lshl_or_b32 v2, v0, 4, 8
	s_waitcnt lgkmcnt(0)
	s_and_b32 s44, s0, 0xffff
	s_and_b64 s[0:1], vcc, exec
	v_mov_b32_e32 v6, s9
	v_add_co_u32_e32 v24, vcc, s8, v2
	v_addc_co_u32_e32 v25, vcc, 0, v6, vcc
	v_mov_b32_e32 v7, s7
	v_add_co_u32_e32 v26, vcc, s6, v2
	v_mov_b32_e32 v1, 0
	v_addc_co_u32_e32 v27, vcc, 0, v7, vcc
	v_add_lshl_u32 v8, v0, s44, 4
	v_mov_b32_e32 v3, v1
	v_add_co_u32_e32 v28, vcc, s6, v8
	v_addc_co_u32_e32 v29, vcc, 0, v7, vcc
	v_mad_u64_u32 v[4:5], s[0:1], s44, 48, v[2:3]
	v_add_co_u32_e32 v30, vcc, s8, v4
	v_addc_co_u32_e32 v31, vcc, v6, v5, vcc
	v_add_co_u32_e32 v32, vcc, s8, v8
	v_addc_co_u32_e32 v33, vcc, 0, v6, vcc
	v_add_co_u32_e32 v34, vcc, s6, v4
	s_cselect_b32 s17, s15, 0
	s_cselect_b32 s16, s14, 0x10000
	v_addc_co_u32_e32 v35, vcc, v7, v5, vcc
	s_lshl_b32 s0, s44, 5
	v_add_co_u32_e32 v2, vcc, s0, v2
	v_addc_co_u32_e64 v3, s[0:1], 0, 0, vcc
	v_add_co_u32_e32 v36, vcc, s8, v2
	s_mov_b32 s33, 0
	v_addc_co_u32_e32 v37, vcc, v6, v3, vcc
	s_lshl_b32 s18, s44, 2
	s_mov_b32 s19, s33
	v_add_co_u32_e32 v38, vcc, s6, v2
	s_mov_b32 s20, 0
	s_mov_b32 s22, 0x99fcef32
	;; [unrolled: 1-line block ×4, first 2 shown]
	s_lshl_b32 s45, s44, 1
	s_mov_b32 s46, s33
	s_mul_i32 s47, s44, 3
	s_mov_b32 s48, s33
	s_lshl_b32 s49, s44, 6
	s_mov_b32 s50, s33
	v_addc_co_u32_e32 v39, vcc, v7, v3, vcc
	s_mov_b32 s21, 0x7ff00000
	s_mov_b32 s23, 0x7fda8279
	;; [unrolled: 1-line block ×3, first 2 shown]
	s_movk_i32 s51, 0x204
	s_brev_b32 s27, 8
	v_mov_b32_e32 v42, 0x260
	s_brev_b32 s52, -2
	v_mov_b32_e32 v43, 0x7ff80000
	v_mov_b32_e32 v44, 0x7ff00000
	;; [unrolled: 1-line block ×3, first 2 shown]
	s_mov_b64 s[28:29], s[18:19]
	s_branch .LBB228_129
.LBB228_128:                            ;   in Loop: Header=BB228_129 Depth=1
	s_or_b64 exec, exec, s[0:1]
	v_pk_mov_b32 v[2:3], s[14:15], s[14:15] op_sel:[0,1]
	v_cmp_ge_i64_e32 vcc, s[28:29], v[2:3]
	v_mov_b32_e32 v2, 0xffff
	v_mov_b32_e32 v3, 0
	v_cmp_gt_u64_e64 s[0:1], s[28:29], v[2:3]
	s_or_b64 s[0:1], vcc, s[0:1]
	v_mov_b32_e32 v2, s19
	v_add_co_u32_e32 v0, vcc, s18, v0
	v_addc_co_u32_e32 v1, vcc, v1, v2, vcc
	v_mov_b32_e32 v2, s50
	v_add_co_u32_e32 v24, vcc, s49, v24
	v_addc_co_u32_e32 v25, vcc, v25, v2, vcc
	v_add_co_u32_e32 v26, vcc, s49, v26
	v_addc_co_u32_e32 v27, vcc, v27, v2, vcc
	;; [unrolled: 2-line block ×7, first 2 shown]
	v_add_co_u32_e32 v38, vcc, s49, v38
	s_add_u32 s28, s28, s18
	v_addc_co_u32_e32 v39, vcc, v39, v2, vcc
	s_addc_u32 s29, s29, 0
	s_and_b64 vcc, exec, s[0:1]
	s_cbranch_vccnz .LBB228_265
.LBB228_129:                            ; =>This Inner Loop Header: Depth=1
	v_pk_mov_b32 v[4:5], 0, 0
	v_cmp_gt_u64_e64 s[0:1], s[16:17], v[0:1]
	v_pk_mov_b32 v[8:9], v[4:5], v[4:5] op_sel:[0,1]
	v_pk_mov_b32 v[6:7], v[4:5], v[4:5] op_sel:[0,1]
	s_and_saveexec_b64 s[2:3], s[0:1]
	s_cbranch_execz .LBB228_131
; %bb.130:                              ;   in Loop: Header=BB228_129 Depth=1
	v_mov_b32_e32 v3, s13
	v_add_co_u32_e32 v2, vcc, s12, v24
	v_addc_co_u32_e32 v3, vcc, v25, v3, vcc
	global_load_dwordx4 v[6:9], v[2:3], off offset:-8
.LBB228_131:                            ;   in Loop: Header=BB228_129 Depth=1
	s_or_b64 exec, exec, s[2:3]
	v_mov_b32_e32 v3, s33
	v_add_co_u32_e32 v2, vcc, s44, v0
	v_addc_co_u32_e32 v3, vcc, v3, v1, vcc
	v_cmp_gt_u64_e64 s[2:3], s[16:17], v[2:3]
	v_pk_mov_b32 v[2:3], v[4:5], v[4:5] op_sel:[0,1]
	s_and_saveexec_b64 s[4:5], s[2:3]
	s_cbranch_execz .LBB228_133
; %bb.132:                              ;   in Loop: Header=BB228_129 Depth=1
	v_mov_b32_e32 v3, s13
	v_add_co_u32_e32 v2, vcc, s12, v32
	v_addc_co_u32_e32 v3, vcc, v33, v3, vcc
	global_load_dwordx4 v[2:5], v[2:3], off
.LBB228_133:                            ;   in Loop: Header=BB228_129 Depth=1
	s_or_b64 exec, exec, s[4:5]
	v_mov_b32_e32 v11, s46
	v_add_co_u32_e32 v10, vcc, s45, v0
	v_addc_co_u32_e32 v11, vcc, v11, v1, vcc
	v_pk_mov_b32 v[12:13], 0, 0
	v_cmp_gt_u64_e64 s[4:5], s[16:17], v[10:11]
	v_pk_mov_b32 v[16:17], v[12:13], v[12:13] op_sel:[0,1]
	v_pk_mov_b32 v[14:15], v[12:13], v[12:13] op_sel:[0,1]
	s_and_saveexec_b64 s[6:7], s[4:5]
	s_cbranch_execz .LBB228_135
; %bb.134:                              ;   in Loop: Header=BB228_129 Depth=1
	v_mov_b32_e32 v11, s13
	v_add_co_u32_e32 v10, vcc, s12, v36
	v_addc_co_u32_e32 v11, vcc, v37, v11, vcc
	global_load_dwordx4 v[14:17], v[10:11], off offset:-8
.LBB228_135:                            ;   in Loop: Header=BB228_129 Depth=1
	s_or_b64 exec, exec, s[6:7]
	v_mov_b32_e32 v11, s48
	v_add_co_u32_e32 v10, vcc, s47, v0
	v_addc_co_u32_e32 v11, vcc, v11, v1, vcc
	v_cmp_gt_u64_e64 s[6:7], s[16:17], v[10:11]
	v_pk_mov_b32 v[10:11], v[12:13], v[12:13] op_sel:[0,1]
	s_and_saveexec_b64 s[8:9], s[6:7]
	s_cbranch_execz .LBB228_137
; %bb.136:                              ;   in Loop: Header=BB228_129 Depth=1
	v_mov_b32_e32 v11, s13
	v_add_co_u32_e32 v10, vcc, s12, v30
	v_addc_co_u32_e32 v11, vcc, v31, v11, vcc
	global_load_dwordx4 v[10:13], v[10:11], off offset:-8
.LBB228_137:                            ;   in Loop: Header=BB228_129 Depth=1
	s_or_b64 exec, exec, s[8:9]
	s_waitcnt vmcnt(0)
	v_cmp_neq_f64_e32 vcc, 0, v[6:7]
	v_cmp_neq_f64_e64 s[8:9], 0, v[8:9]
	v_pk_mov_b32 v[18:19], 0, 0
	s_or_b64 s[8:9], vcc, s[8:9]
	v_pk_mov_b32 v[20:21], v[18:19], v[18:19] op_sel:[0,1]
	s_and_saveexec_b64 s[30:31], s[8:9]
	s_cbranch_execz .LBB228_166
; %bb.138:                              ;   in Loop: Header=BB228_129 Depth=1
	v_cmp_neq_f64_e64 s[8:9], |v[8:9]|, s[20:21]
	v_pk_mov_b32 v[20:21], s[20:21], s[20:21] op_sel:[0,1]
	s_and_saveexec_b64 s[34:35], s[8:9]
	s_cbranch_execz .LBB228_165
; %bb.139:                              ;   in Loop: Header=BB228_129 Depth=1
	v_cmp_o_f64_e32 vcc, v[6:7], v[6:7]
	s_and_saveexec_b64 s[8:9], vcc
	s_xor_b64 s[36:37], exec, s[8:9]
	s_cbranch_execz .LBB228_162
; %bb.140:                              ;   in Loop: Header=BB228_129 Depth=1
	v_cmp_neq_f64_e64 s[8:9], |v[6:7]|, s[20:21]
	s_and_saveexec_b64 s[10:11], s[8:9]
	s_xor_b64 s[38:39], exec, s[10:11]
	s_cbranch_execz .LBB228_156
; %bb.141:                              ;   in Loop: Header=BB228_129 Depth=1
	v_max_f64 v[20:21], |v[6:7]|, |v[6:7]|
	v_max_f64 v[22:23], |v[8:9]|, |v[8:9]|
	v_max_f64 v[20:21], v[22:23], v[20:21]
	v_cmp_nle_f64_e64 s[8:9], s[22:23], v[20:21]
                                        ; implicit-def: $sgpr40_sgpr41
	s_and_saveexec_b64 s[10:11], s[8:9]
	s_xor_b64 s[10:11], exec, s[10:11]
	s_cbranch_execz .LBB228_145
; %bb.142:                              ;   in Loop: Header=BB228_129 Depth=1
	v_cmp_le_f64_e64 s[40:41], |v[6:7]|, s[24:25]
	v_cmp_le_f64_e64 s[42:43], |v[8:9]|, s[24:25]
	s_and_b64 s[54:55], s[42:43], s[40:41]
	s_mov_b64 s[40:41], 0
	s_and_saveexec_b64 s[42:43], s[54:55]
; %bb.143:                              ;   in Loop: Header=BB228_129 Depth=1
	s_mov_b64 s[40:41], exec
	v_mul_f64 v[6:7], v[6:7], 4.0
	v_mul_f64 v[8:9], v[8:9], 4.0
; %bb.144:                              ;   in Loop: Header=BB228_129 Depth=1
	s_or_b64 exec, exec, s[42:43]
	s_and_b64 s[40:41], s[40:41], exec
.LBB228_145:                            ;   in Loop: Header=BB228_129 Depth=1
	s_andn2_saveexec_b64 s[10:11], s[10:11]
; %bb.146:                              ;   in Loop: Header=BB228_129 Depth=1
	v_ldexp_f64 v[6:7], v[6:7], -2
	v_ldexp_f64 v[8:9], v[8:9], -2
	s_andn2_b64 s[40:41], s[40:41], exec
; %bb.147:                              ;   in Loop: Header=BB228_129 Depth=1
	s_or_b64 exec, exec, s[10:11]
	v_max_f64 v[20:21], |v[8:9]|, |v[8:9]|
	v_max_f64 v[22:23], |v[6:7]|, |v[6:7]|
	v_max_f64 v[20:21], v[22:23], v[20:21]
	v_frexp_exp_i32_f64_e32 v48, v[20:21]
	v_sub_u32_e32 v22, 0, v48
	v_ldexp_f64 v[20:21], |v[6:7]|, v22
	v_ldexp_f64 v[22:23], |v[8:9]|, v22
	v_mul_f64 v[22:23], v[22:23], v[22:23]
	v_fmac_f64_e32 v[22:23], v[20:21], v[20:21]
	v_rsq_f64_e32 v[20:21], v[22:23]
	v_cmp_eq_f64_e64 s[10:11], 0, v[22:23]
	v_cmp_class_f64_e64 s[42:43], v[8:9], s51
	v_cmp_le_f64_e32 vcc, 0, v[6:7]
	v_mul_f64 v[40:41], v[22:23], v[20:21]
	v_mul_f64 v[20:21], v[20:21], 0.5
	v_fma_f64 v[46:47], -v[20:21], v[40:41], 0.5
	v_fmac_f64_e32 v[40:41], v[40:41], v[46:47]
	v_fmac_f64_e32 v[20:21], v[20:21], v[46:47]
	v_fma_f64 v[46:47], -v[40:41], v[40:41], v[22:23]
	v_fmac_f64_e32 v[40:41], v[46:47], v[20:21]
	v_cndmask_b32_e64 v21, v41, v23, s[10:11]
	v_cndmask_b32_e64 v20, v40, v22, s[10:11]
	v_ldexp_f64 v[20:21], v[20:21], v48
	v_cmp_o_f64_e64 s[10:11], v[8:9], v[8:9]
	v_cndmask_b32_e64 v20, 0, v20, s[10:11]
	v_cndmask_b32_e64 v21, v43, v21, s[10:11]
	v_cmp_class_f64_e64 s[10:11], v[6:7], s51
	s_or_b64 s[10:11], s[42:43], s[10:11]
	v_cndmask_b32_e64 v41, v21, v44, s[10:11]
	v_cndmask_b32_e64 v40, v20, 0, s[10:11]
                                        ; implicit-def: $vgpr20_vgpr21
                                        ; implicit-def: $vgpr22_vgpr23
	s_and_saveexec_b64 s[10:11], vcc
	s_xor_b64 s[10:11], exec, s[10:11]
	s_cbranch_execz .LBB228_149
; %bb.148:                              ;   in Loop: Header=BB228_129 Depth=1
	v_add_f64 v[6:7], v[6:7], v[40:41]
	v_mul_f64 v[6:7], v[6:7], 0.5
	v_cmp_gt_f64_e32 vcc, s[26:27], v[6:7]
	v_cndmask_b32_e64 v20, 0, 1, vcc
	v_lshlrev_b32_e32 v20, 8, v20
	v_ldexp_f64 v[6:7], v[6:7], v20
	v_rsq_f64_e32 v[20:21], v[6:7]
	v_mul_f64 v[22:23], v[6:7], v[20:21]
	v_mul_f64 v[20:21], v[20:21], 0.5
	v_fma_f64 v[40:41], -v[20:21], v[22:23], 0.5
	v_fmac_f64_e32 v[22:23], v[22:23], v[40:41]
	v_fmac_f64_e32 v[20:21], v[20:21], v[40:41]
	v_fma_f64 v[40:41], -v[22:23], v[22:23], v[6:7]
	v_fmac_f64_e32 v[22:23], v[40:41], v[20:21]
	v_fma_f64 v[40:41], -v[22:23], v[22:23], v[6:7]
	v_fmac_f64_e32 v[22:23], v[40:41], v[20:21]
	v_cndmask_b32_e32 v20, 0, v45, vcc
	v_ldexp_f64 v[20:21], v[22:23], v20
	v_cmp_class_f64_e32 vcc, v[6:7], v42
	v_cndmask_b32_e32 v23, v21, v7, vcc
	v_cndmask_b32_e32 v22, v20, v6, vcc
	v_add_f64 v[6:7], v[22:23], v[22:23]
	v_div_scale_f64 v[20:21], s[42:43], v[6:7], v[6:7], v[8:9]
	v_rcp_f64_e32 v[40:41], v[20:21]
	v_fma_f64 v[46:47], -v[20:21], v[40:41], 1.0
	v_fmac_f64_e32 v[40:41], v[40:41], v[46:47]
	v_fma_f64 v[46:47], -v[20:21], v[40:41], 1.0
	v_fmac_f64_e32 v[40:41], v[40:41], v[46:47]
	v_div_scale_f64 v[46:47], vcc, v[8:9], v[6:7], v[8:9]
	v_mul_f64 v[48:49], v[46:47], v[40:41]
	v_fma_f64 v[20:21], -v[20:21], v[48:49], v[46:47]
	s_nop 1
	v_div_fmas_f64 v[20:21], v[20:21], v[40:41], v[48:49]
	v_div_fixup_f64 v[20:21], v[20:21], v[6:7], v[8:9]
                                        ; implicit-def: $vgpr40_vgpr41
                                        ; implicit-def: $vgpr6_vgpr7
	s_andn2_saveexec_b64 s[10:11], s[10:11]
	s_cbranch_execz .LBB228_151
	s_branch .LBB228_150
.LBB228_149:                            ;   in Loop: Header=BB228_129 Depth=1
	s_andn2_saveexec_b64 s[10:11], s[10:11]
	s_cbranch_execz .LBB228_151
.LBB228_150:                            ;   in Loop: Header=BB228_129 Depth=1
	v_add_f64 v[6:7], v[40:41], -v[6:7]
	v_mul_f64 v[6:7], v[6:7], 0.5
	v_cmp_gt_f64_e32 vcc, s[26:27], v[6:7]
	v_cndmask_b32_e64 v20, 0, 1, vcc
	v_lshlrev_b32_e32 v20, 8, v20
	v_ldexp_f64 v[6:7], v[6:7], v20
	v_rsq_f64_e32 v[20:21], v[6:7]
	v_mul_f64 v[22:23], v[6:7], v[20:21]
	v_mul_f64 v[20:21], v[20:21], 0.5
	v_fma_f64 v[40:41], -v[20:21], v[22:23], 0.5
	v_fmac_f64_e32 v[22:23], v[22:23], v[40:41]
	v_fmac_f64_e32 v[20:21], v[20:21], v[40:41]
	v_fma_f64 v[40:41], -v[22:23], v[22:23], v[6:7]
	v_fmac_f64_e32 v[22:23], v[40:41], v[20:21]
	v_fma_f64 v[40:41], -v[22:23], v[22:23], v[6:7]
	v_fmac_f64_e32 v[22:23], v[40:41], v[20:21]
	v_cndmask_b32_e32 v20, 0, v45, vcc
	v_ldexp_f64 v[20:21], v[22:23], v20
	v_cmp_class_f64_e32 vcc, v[6:7], v42
	v_cndmask_b32_e32 v21, v21, v7, vcc
	v_cndmask_b32_e32 v20, v20, v6, vcc
	v_add_f64 v[6:7], v[20:21], v[20:21]
	v_and_b32_e32 v23, 0x7fffffff, v9
	v_mov_b32_e32 v22, v8
	v_div_scale_f64 v[40:41], s[42:43], v[6:7], v[6:7], v[22:23]
	v_rcp_f64_e32 v[46:47], v[40:41]
	v_div_scale_f64 v[22:23], vcc, v[22:23], v[6:7], v[22:23]
	v_bfi_b32 v21, s52, v21, v9
	v_fma_f64 v[48:49], -v[40:41], v[46:47], 1.0
	v_fmac_f64_e32 v[46:47], v[46:47], v[48:49]
	v_fma_f64 v[48:49], -v[40:41], v[46:47], 1.0
	v_fmac_f64_e32 v[46:47], v[46:47], v[48:49]
	v_mul_f64 v[48:49], v[22:23], v[46:47]
	v_fma_f64 v[22:23], -v[40:41], v[48:49], v[22:23]
	v_div_fmas_f64 v[22:23], v[22:23], v[46:47], v[48:49]
	v_div_fixup_f64 v[22:23], v[22:23], v[6:7], |v[8:9]|
.LBB228_151:                            ;   in Loop: Header=BB228_129 Depth=1
	s_or_b64 exec, exec, s[10:11]
                                        ; implicit-def: $vgpr8_vgpr9
	s_and_saveexec_b64 s[10:11], s[8:9]
	s_xor_b64 s[8:9], exec, s[10:11]
	s_cbranch_execz .LBB228_153
; %bb.152:                              ;   in Loop: Header=BB228_129 Depth=1
	v_mul_f64 v[6:7], v[22:23], 0.5
	v_mul_f64 v[8:9], v[20:21], 0.5
	v_cndmask_b32_e64 v7, v23, v7, s[40:41]
	v_cndmask_b32_e64 v6, v22, v6, s[40:41]
	;; [unrolled: 1-line block ×4, first 2 shown]
                                        ; implicit-def: $vgpr22_vgpr23
                                        ; implicit-def: $vgpr20_vgpr21
	s_andn2_saveexec_b64 s[8:9], s[8:9]
	s_cbranch_execnz .LBB228_154
	s_branch .LBB228_155
.LBB228_153:                            ;   in Loop: Header=BB228_129 Depth=1
	s_andn2_saveexec_b64 s[8:9], s[8:9]
.LBB228_154:                            ;   in Loop: Header=BB228_129 Depth=1
	v_add_f64 v[6:7], v[22:23], v[22:23]
	v_add_f64 v[8:9], v[20:21], v[20:21]
.LBB228_155:                            ;   in Loop: Header=BB228_129 Depth=1
	s_or_b64 exec, exec, s[8:9]
.LBB228_156:                            ;   in Loop: Header=BB228_129 Depth=1
	s_andn2_saveexec_b64 s[8:9], s[38:39]
	s_cbranch_execz .LBB228_178
; %bb.157:                              ;   in Loop: Header=BB228_129 Depth=1
	v_cmp_lt_i64_e32 vcc, -1, v[6:7]
	v_add_f64 v[20:21], v[8:9], -v[8:9]
	s_and_saveexec_b64 s[10:11], vcc
	s_xor_b64 s[10:11], exec, s[10:11]
; %bb.158:                              ;   in Loop: Header=BB228_129 Depth=1
	v_bfi_b32 v21, s52, v21, v9
	v_pk_mov_b32 v[8:9], v[20:21], v[20:21] op_sel:[0,1]
                                        ; implicit-def: $vgpr20_vgpr21
; %bb.159:                              ;   in Loop: Header=BB228_129 Depth=1
	s_andn2_saveexec_b64 s[10:11], s[10:11]
; %bb.160:                              ;   in Loop: Header=BB228_129 Depth=1
	v_and_b32_e32 v21, 0x7fffffff, v21
	v_bfi_b32 v7, s52, v7, v9
	v_pk_mov_b32 v[8:9], v[6:7], v[6:7] op_sel:[0,1]
	v_pk_mov_b32 v[6:7], v[20:21], v[20:21] op_sel:[0,1]
; %bb.161:                              ;   in Loop: Header=BB228_129 Depth=1
	s_or_b64 exec, exec, s[10:11]
	s_or_b64 exec, exec, s[8:9]
.LBB228_162:                            ;   in Loop: Header=BB228_129 Depth=1
	s_andn2_saveexec_b64 s[8:9], s[36:37]
.LBB228_163:                            ;   in Loop: Header=BB228_129 Depth=1
	v_add_f64 v[8:9], v[8:9], -v[8:9]
	v_div_scale_f64 v[20:21], vcc, v[8:9], v[8:9], v[8:9]
	v_rcp_f64_e32 v[22:23], v[20:21]
	v_fma_f64 v[40:41], -v[20:21], v[22:23], 1.0
	v_fmac_f64_e32 v[22:23], v[22:23], v[40:41]
	v_fma_f64 v[40:41], -v[20:21], v[22:23], 1.0
	v_fmac_f64_e32 v[22:23], v[22:23], v[40:41]
	v_mul_f64 v[40:41], v[20:21], v[22:23]
	v_fma_f64 v[20:21], -v[20:21], v[40:41], v[20:21]
	v_div_fmas_f64 v[20:21], v[20:21], v[22:23], v[40:41]
	v_div_fixup_f64 v[8:9], v[20:21], v[8:9], v[8:9]
.LBB228_164:                            ;   in Loop: Header=BB228_129 Depth=1
	s_or_b64 exec, exec, s[8:9]
	v_pk_mov_b32 v[20:21], v[6:7], v[6:7] op_sel:[0,1]
.LBB228_165:                            ;   in Loop: Header=BB228_129 Depth=1
	s_or_b64 exec, exec, s[34:35]
.LBB228_166:                            ;   in Loop: Header=BB228_129 Depth=1
	s_or_b64 exec, exec, s[30:31]
	v_cmp_neq_f64_e32 vcc, 0, v[2:3]
	v_cmp_neq_f64_e64 s[8:9], 0, v[4:5]
	s_or_b64 s[8:9], vcc, s[8:9]
	s_and_saveexec_b64 s[30:31], s[8:9]
	s_cbranch_execz .LBB228_197
; %bb.167:                              ;   in Loop: Header=BB228_129 Depth=1
	v_cmp_neq_f64_e64 s[8:9], |v[4:5]|, s[20:21]
	v_pk_mov_b32 v[18:19], s[20:21], s[20:21] op_sel:[0,1]
	s_and_saveexec_b64 s[34:35], s[8:9]
	s_cbranch_execz .LBB228_196
; %bb.168:                              ;   in Loop: Header=BB228_129 Depth=1
	v_cmp_o_f64_e32 vcc, v[2:3], v[2:3]
	s_and_saveexec_b64 s[8:9], vcc
	s_xor_b64 s[36:37], exec, s[8:9]
	s_cbranch_execz .LBB228_193
; %bb.169:                              ;   in Loop: Header=BB228_129 Depth=1
	v_cmp_neq_f64_e64 s[8:9], |v[2:3]|, s[20:21]
	s_and_saveexec_b64 s[10:11], s[8:9]
	s_xor_b64 s[38:39], exec, s[10:11]
	s_cbranch_execz .LBB228_186
; %bb.170:                              ;   in Loop: Header=BB228_129 Depth=1
	v_max_f64 v[6:7], |v[2:3]|, |v[2:3]|
	v_max_f64 v[18:19], |v[4:5]|, |v[4:5]|
	v_max_f64 v[6:7], v[18:19], v[6:7]
	v_cmp_nle_f64_e64 s[8:9], s[22:23], v[6:7]
                                        ; implicit-def: $sgpr40_sgpr41
	s_and_saveexec_b64 s[10:11], s[8:9]
	s_xor_b64 s[10:11], exec, s[10:11]
	s_cbranch_execz .LBB228_174
; %bb.171:                              ;   in Loop: Header=BB228_129 Depth=1
	v_cmp_le_f64_e64 s[40:41], |v[2:3]|, s[24:25]
	v_cmp_le_f64_e64 s[42:43], |v[4:5]|, s[24:25]
	s_and_b64 s[54:55], s[42:43], s[40:41]
	s_mov_b64 s[40:41], 0
	s_and_saveexec_b64 s[42:43], s[54:55]
; %bb.172:                              ;   in Loop: Header=BB228_129 Depth=1
	s_mov_b64 s[40:41], exec
	v_mul_f64 v[2:3], v[2:3], 4.0
	v_mul_f64 v[4:5], v[4:5], 4.0
; %bb.173:                              ;   in Loop: Header=BB228_129 Depth=1
	s_or_b64 exec, exec, s[42:43]
	s_and_b64 s[40:41], s[40:41], exec
.LBB228_174:                            ;   in Loop: Header=BB228_129 Depth=1
	s_andn2_saveexec_b64 s[10:11], s[10:11]
; %bb.175:                              ;   in Loop: Header=BB228_129 Depth=1
	v_ldexp_f64 v[2:3], v[2:3], -2
	v_ldexp_f64 v[4:5], v[4:5], -2
	s_andn2_b64 s[40:41], s[40:41], exec
; %bb.176:                              ;   in Loop: Header=BB228_129 Depth=1
	s_or_b64 exec, exec, s[10:11]
	v_max_f64 v[6:7], |v[4:5]|, |v[4:5]|
	v_max_f64 v[18:19], |v[2:3]|, |v[2:3]|
	v_max_f64 v[6:7], v[18:19], v[6:7]
	v_frexp_exp_i32_f64_e32 v46, v[6:7]
	v_sub_u32_e32 v18, 0, v46
	v_ldexp_f64 v[6:7], |v[2:3]|, v18
	v_ldexp_f64 v[18:19], |v[4:5]|, v18
	v_mul_f64 v[18:19], v[18:19], v[18:19]
	v_fmac_f64_e32 v[18:19], v[6:7], v[6:7]
	v_rsq_f64_e32 v[6:7], v[18:19]
	v_cmp_eq_f64_e64 s[10:11], 0, v[18:19]
	v_cmp_class_f64_e64 s[42:43], v[4:5], s51
	v_cmp_le_f64_e32 vcc, 0, v[2:3]
	v_mul_f64 v[22:23], v[18:19], v[6:7]
	v_mul_f64 v[6:7], v[6:7], 0.5
	v_fma_f64 v[40:41], -v[6:7], v[22:23], 0.5
	v_fmac_f64_e32 v[22:23], v[22:23], v[40:41]
	v_fmac_f64_e32 v[6:7], v[6:7], v[40:41]
	v_fma_f64 v[40:41], -v[22:23], v[22:23], v[18:19]
	v_fmac_f64_e32 v[22:23], v[40:41], v[6:7]
	v_cndmask_b32_e64 v7, v23, v19, s[10:11]
	v_cndmask_b32_e64 v6, v22, v18, s[10:11]
	v_ldexp_f64 v[6:7], v[6:7], v46
	v_cmp_o_f64_e64 s[10:11], v[4:5], v[4:5]
	v_cndmask_b32_e64 v6, 0, v6, s[10:11]
	v_cndmask_b32_e64 v7, v43, v7, s[10:11]
	v_cmp_class_f64_e64 s[10:11], v[2:3], s51
	s_or_b64 s[10:11], s[42:43], s[10:11]
	v_cndmask_b32_e64 v23, v7, v44, s[10:11]
	v_cndmask_b32_e64 v22, v6, 0, s[10:11]
                                        ; implicit-def: $vgpr6_vgpr7
                                        ; implicit-def: $vgpr18_vgpr19
	s_and_saveexec_b64 s[10:11], vcc
	s_xor_b64 s[10:11], exec, s[10:11]
	s_cbranch_execz .LBB228_179
; %bb.177:                              ;   in Loop: Header=BB228_129 Depth=1
	v_add_f64 v[2:3], v[2:3], v[22:23]
	v_mul_f64 v[2:3], v[2:3], 0.5
	v_cmp_gt_f64_e32 vcc, s[26:27], v[2:3]
	v_cndmask_b32_e64 v6, 0, 1, vcc
	v_lshlrev_b32_e32 v6, 8, v6
	v_ldexp_f64 v[2:3], v[2:3], v6
	v_rsq_f64_e32 v[6:7], v[2:3]
	v_mul_f64 v[18:19], v[2:3], v[6:7]
	v_mul_f64 v[6:7], v[6:7], 0.5
	v_fma_f64 v[22:23], -v[6:7], v[18:19], 0.5
	v_fmac_f64_e32 v[18:19], v[18:19], v[22:23]
	v_fmac_f64_e32 v[6:7], v[6:7], v[22:23]
	v_fma_f64 v[22:23], -v[18:19], v[18:19], v[2:3]
	v_fmac_f64_e32 v[18:19], v[22:23], v[6:7]
	v_fma_f64 v[22:23], -v[18:19], v[18:19], v[2:3]
	v_fmac_f64_e32 v[18:19], v[22:23], v[6:7]
	v_cndmask_b32_e32 v6, 0, v45, vcc
	v_ldexp_f64 v[6:7], v[18:19], v6
	v_cmp_class_f64_e32 vcc, v[2:3], v42
	v_cndmask_b32_e32 v19, v7, v3, vcc
	v_cndmask_b32_e32 v18, v6, v2, vcc
	v_add_f64 v[2:3], v[18:19], v[18:19]
	v_div_scale_f64 v[6:7], s[42:43], v[2:3], v[2:3], v[4:5]
	v_rcp_f64_e32 v[22:23], v[6:7]
	v_fma_f64 v[40:41], -v[6:7], v[22:23], 1.0
	v_fmac_f64_e32 v[22:23], v[22:23], v[40:41]
	v_fma_f64 v[40:41], -v[6:7], v[22:23], 1.0
	v_fmac_f64_e32 v[22:23], v[22:23], v[40:41]
	v_div_scale_f64 v[40:41], vcc, v[4:5], v[2:3], v[4:5]
	v_mul_f64 v[46:47], v[40:41], v[22:23]
	v_fma_f64 v[6:7], -v[6:7], v[46:47], v[40:41]
	s_nop 1
	v_div_fmas_f64 v[6:7], v[6:7], v[22:23], v[46:47]
	v_div_fixup_f64 v[6:7], v[6:7], v[2:3], v[4:5]
                                        ; implicit-def: $vgpr22_vgpr23
                                        ; implicit-def: $vgpr2_vgpr3
	s_andn2_saveexec_b64 s[10:11], s[10:11]
	s_cbranch_execz .LBB228_181
	s_branch .LBB228_180
.LBB228_178:                            ;   in Loop: Header=BB228_129 Depth=1
	s_or_b64 exec, exec, s[8:9]
	s_andn2_saveexec_b64 s[8:9], s[36:37]
	s_cbranch_execnz .LBB228_163
	s_branch .LBB228_164
.LBB228_179:                            ;   in Loop: Header=BB228_129 Depth=1
	s_andn2_saveexec_b64 s[10:11], s[10:11]
	s_cbranch_execz .LBB228_181
.LBB228_180:                            ;   in Loop: Header=BB228_129 Depth=1
	v_add_f64 v[2:3], v[22:23], -v[2:3]
	v_mul_f64 v[2:3], v[2:3], 0.5
	v_cmp_gt_f64_e32 vcc, s[26:27], v[2:3]
	v_cndmask_b32_e64 v6, 0, 1, vcc
	v_lshlrev_b32_e32 v6, 8, v6
	v_ldexp_f64 v[2:3], v[2:3], v6
	v_rsq_f64_e32 v[6:7], v[2:3]
	v_mul_f64 v[18:19], v[2:3], v[6:7]
	v_mul_f64 v[6:7], v[6:7], 0.5
	v_fma_f64 v[22:23], -v[6:7], v[18:19], 0.5
	v_fmac_f64_e32 v[18:19], v[18:19], v[22:23]
	v_fmac_f64_e32 v[6:7], v[6:7], v[22:23]
	v_fma_f64 v[22:23], -v[18:19], v[18:19], v[2:3]
	v_fmac_f64_e32 v[18:19], v[22:23], v[6:7]
	v_fma_f64 v[22:23], -v[18:19], v[18:19], v[2:3]
	v_fmac_f64_e32 v[18:19], v[22:23], v[6:7]
	v_cndmask_b32_e32 v6, 0, v45, vcc
	v_ldexp_f64 v[6:7], v[18:19], v6
	v_cmp_class_f64_e32 vcc, v[2:3], v42
	v_cndmask_b32_e32 v7, v7, v3, vcc
	v_cndmask_b32_e32 v6, v6, v2, vcc
	v_add_f64 v[2:3], v[6:7], v[6:7]
	v_and_b32_e32 v19, 0x7fffffff, v5
	v_mov_b32_e32 v18, v4
	v_div_scale_f64 v[22:23], s[42:43], v[2:3], v[2:3], v[18:19]
	v_rcp_f64_e32 v[40:41], v[22:23]
	v_div_scale_f64 v[18:19], vcc, v[18:19], v[2:3], v[18:19]
	v_bfi_b32 v7, s52, v7, v5
	v_fma_f64 v[46:47], -v[22:23], v[40:41], 1.0
	v_fmac_f64_e32 v[40:41], v[40:41], v[46:47]
	v_fma_f64 v[46:47], -v[22:23], v[40:41], 1.0
	v_fmac_f64_e32 v[40:41], v[40:41], v[46:47]
	v_mul_f64 v[46:47], v[18:19], v[40:41]
	v_fma_f64 v[18:19], -v[22:23], v[46:47], v[18:19]
	v_div_fmas_f64 v[18:19], v[18:19], v[40:41], v[46:47]
	v_div_fixup_f64 v[18:19], v[18:19], v[2:3], |v[4:5]|
.LBB228_181:                            ;   in Loop: Header=BB228_129 Depth=1
	s_or_b64 exec, exec, s[10:11]
                                        ; implicit-def: $vgpr4_vgpr5
	s_and_saveexec_b64 s[10:11], s[8:9]
	s_xor_b64 s[8:9], exec, s[10:11]
	s_cbranch_execz .LBB228_183
; %bb.182:                              ;   in Loop: Header=BB228_129 Depth=1
	v_mul_f64 v[2:3], v[18:19], 0.5
	v_mul_f64 v[4:5], v[6:7], 0.5
	v_cndmask_b32_e64 v3, v19, v3, s[40:41]
	v_cndmask_b32_e64 v2, v18, v2, s[40:41]
	;; [unrolled: 1-line block ×4, first 2 shown]
                                        ; implicit-def: $vgpr18_vgpr19
                                        ; implicit-def: $vgpr6_vgpr7
	s_andn2_saveexec_b64 s[8:9], s[8:9]
	s_cbranch_execnz .LBB228_184
	s_branch .LBB228_185
.LBB228_183:                            ;   in Loop: Header=BB228_129 Depth=1
	s_andn2_saveexec_b64 s[8:9], s[8:9]
.LBB228_184:                            ;   in Loop: Header=BB228_129 Depth=1
	v_add_f64 v[2:3], v[18:19], v[18:19]
	v_add_f64 v[4:5], v[6:7], v[6:7]
.LBB228_185:                            ;   in Loop: Header=BB228_129 Depth=1
	s_or_b64 exec, exec, s[8:9]
.LBB228_186:                            ;   in Loop: Header=BB228_129 Depth=1
	s_andn2_saveexec_b64 s[8:9], s[38:39]
	s_cbranch_execz .LBB228_192
; %bb.187:                              ;   in Loop: Header=BB228_129 Depth=1
	v_cmp_lt_i64_e32 vcc, -1, v[2:3]
	v_add_f64 v[6:7], v[4:5], -v[4:5]
	s_and_saveexec_b64 s[10:11], vcc
	s_xor_b64 s[10:11], exec, s[10:11]
; %bb.188:                              ;   in Loop: Header=BB228_129 Depth=1
	v_bfi_b32 v7, s52, v7, v5
	v_pk_mov_b32 v[4:5], v[6:7], v[6:7] op_sel:[0,1]
                                        ; implicit-def: $vgpr6_vgpr7
; %bb.189:                              ;   in Loop: Header=BB228_129 Depth=1
	s_andn2_saveexec_b64 s[10:11], s[10:11]
; %bb.190:                              ;   in Loop: Header=BB228_129 Depth=1
	v_and_b32_e32 v7, 0x7fffffff, v7
	v_bfi_b32 v3, s52, v3, v5
	v_pk_mov_b32 v[4:5], v[2:3], v[2:3] op_sel:[0,1]
	v_pk_mov_b32 v[2:3], v[6:7], v[6:7] op_sel:[0,1]
; %bb.191:                              ;   in Loop: Header=BB228_129 Depth=1
	s_or_b64 exec, exec, s[10:11]
.LBB228_192:                            ;   in Loop: Header=BB228_129 Depth=1
	s_or_b64 exec, exec, s[8:9]
.LBB228_193:                            ;   in Loop: Header=BB228_129 Depth=1
	s_andn2_saveexec_b64 s[8:9], s[36:37]
; %bb.194:                              ;   in Loop: Header=BB228_129 Depth=1
	v_add_f64 v[4:5], v[4:5], -v[4:5]
	v_div_scale_f64 v[6:7], vcc, v[4:5], v[4:5], v[4:5]
	v_rcp_f64_e32 v[18:19], v[6:7]
	v_fma_f64 v[22:23], -v[6:7], v[18:19], 1.0
	v_fmac_f64_e32 v[18:19], v[18:19], v[22:23]
	v_fma_f64 v[22:23], -v[6:7], v[18:19], 1.0
	v_fmac_f64_e32 v[18:19], v[18:19], v[22:23]
	v_mul_f64 v[22:23], v[6:7], v[18:19]
	v_fma_f64 v[6:7], -v[6:7], v[22:23], v[6:7]
	v_div_fmas_f64 v[6:7], v[6:7], v[18:19], v[22:23]
	v_div_fixup_f64 v[4:5], v[6:7], v[4:5], v[4:5]
; %bb.195:                              ;   in Loop: Header=BB228_129 Depth=1
	s_or_b64 exec, exec, s[8:9]
	v_pk_mov_b32 v[18:19], v[2:3], v[2:3] op_sel:[0,1]
.LBB228_196:                            ;   in Loop: Header=BB228_129 Depth=1
	s_or_b64 exec, exec, s[34:35]
.LBB228_197:                            ;   in Loop: Header=BB228_129 Depth=1
	s_or_b64 exec, exec, s[30:31]
	v_cmp_neq_f64_e32 vcc, 0, v[14:15]
	v_cmp_neq_f64_e64 s[8:9], 0, v[16:17]
	v_pk_mov_b32 v[2:3], 0, 0
	s_or_b64 s[8:9], vcc, s[8:9]
	v_pk_mov_b32 v[6:7], v[2:3], v[2:3] op_sel:[0,1]
	s_and_saveexec_b64 s[30:31], s[8:9]
	s_cbranch_execz .LBB228_227
; %bb.198:                              ;   in Loop: Header=BB228_129 Depth=1
	v_cmp_neq_f64_e64 s[8:9], |v[16:17]|, s[20:21]
	v_pk_mov_b32 v[6:7], s[20:21], s[20:21] op_sel:[0,1]
	s_and_saveexec_b64 s[34:35], s[8:9]
	s_cbranch_execz .LBB228_226
; %bb.199:                              ;   in Loop: Header=BB228_129 Depth=1
	v_cmp_o_f64_e32 vcc, v[14:15], v[14:15]
	s_and_saveexec_b64 s[8:9], vcc
	s_xor_b64 s[36:37], exec, s[8:9]
	s_cbranch_execz .LBB228_223
; %bb.200:                              ;   in Loop: Header=BB228_129 Depth=1
	v_cmp_neq_f64_e64 s[8:9], |v[14:15]|, s[20:21]
	s_and_saveexec_b64 s[10:11], s[8:9]
	s_xor_b64 s[38:39], exec, s[10:11]
	s_cbranch_execz .LBB228_216
; %bb.201:                              ;   in Loop: Header=BB228_129 Depth=1
	v_max_f64 v[6:7], |v[14:15]|, |v[14:15]|
	v_max_f64 v[22:23], |v[16:17]|, |v[16:17]|
	v_max_f64 v[6:7], v[22:23], v[6:7]
	v_cmp_nle_f64_e64 s[8:9], s[22:23], v[6:7]
                                        ; implicit-def: $sgpr40_sgpr41
	s_and_saveexec_b64 s[10:11], s[8:9]
	s_xor_b64 s[10:11], exec, s[10:11]
	s_cbranch_execz .LBB228_205
; %bb.202:                              ;   in Loop: Header=BB228_129 Depth=1
	v_cmp_le_f64_e64 s[40:41], |v[14:15]|, s[24:25]
	v_cmp_le_f64_e64 s[42:43], |v[16:17]|, s[24:25]
	s_and_b64 s[54:55], s[42:43], s[40:41]
	s_mov_b64 s[40:41], 0
	s_and_saveexec_b64 s[42:43], s[54:55]
; %bb.203:                              ;   in Loop: Header=BB228_129 Depth=1
	s_mov_b64 s[40:41], exec
	v_mul_f64 v[14:15], v[14:15], 4.0
	v_mul_f64 v[16:17], v[16:17], 4.0
; %bb.204:                              ;   in Loop: Header=BB228_129 Depth=1
	s_or_b64 exec, exec, s[42:43]
	s_and_b64 s[40:41], s[40:41], exec
.LBB228_205:                            ;   in Loop: Header=BB228_129 Depth=1
	s_andn2_saveexec_b64 s[10:11], s[10:11]
; %bb.206:                              ;   in Loop: Header=BB228_129 Depth=1
	v_ldexp_f64 v[14:15], v[14:15], -2
	v_ldexp_f64 v[16:17], v[16:17], -2
	s_andn2_b64 s[40:41], s[40:41], exec
; %bb.207:                              ;   in Loop: Header=BB228_129 Depth=1
	s_or_b64 exec, exec, s[10:11]
	v_max_f64 v[6:7], |v[16:17]|, |v[16:17]|
	v_max_f64 v[22:23], |v[14:15]|, |v[14:15]|
	v_max_f64 v[6:7], v[22:23], v[6:7]
	v_frexp_exp_i32_f64_e32 v48, v[6:7]
	v_sub_u32_e32 v22, 0, v48
	v_ldexp_f64 v[6:7], |v[14:15]|, v22
	v_ldexp_f64 v[22:23], |v[16:17]|, v22
	v_mul_f64 v[22:23], v[22:23], v[22:23]
	v_fmac_f64_e32 v[22:23], v[6:7], v[6:7]
	v_rsq_f64_e32 v[6:7], v[22:23]
	v_cmp_eq_f64_e64 s[10:11], 0, v[22:23]
	v_cmp_class_f64_e64 s[42:43], v[16:17], s51
	v_cmp_le_f64_e32 vcc, 0, v[14:15]
	v_mul_f64 v[40:41], v[22:23], v[6:7]
	v_mul_f64 v[6:7], v[6:7], 0.5
	v_fma_f64 v[46:47], -v[6:7], v[40:41], 0.5
	v_fmac_f64_e32 v[40:41], v[40:41], v[46:47]
	v_fmac_f64_e32 v[6:7], v[6:7], v[46:47]
	v_fma_f64 v[46:47], -v[40:41], v[40:41], v[22:23]
	v_fmac_f64_e32 v[40:41], v[46:47], v[6:7]
	v_cndmask_b32_e64 v7, v41, v23, s[10:11]
	v_cndmask_b32_e64 v6, v40, v22, s[10:11]
	v_ldexp_f64 v[6:7], v[6:7], v48
	v_cmp_o_f64_e64 s[10:11], v[16:17], v[16:17]
	v_cndmask_b32_e64 v6, 0, v6, s[10:11]
	v_cndmask_b32_e64 v7, v43, v7, s[10:11]
	v_cmp_class_f64_e64 s[10:11], v[14:15], s51
	s_or_b64 s[10:11], s[42:43], s[10:11]
	v_cndmask_b32_e64 v41, v7, v44, s[10:11]
	v_cndmask_b32_e64 v40, v6, 0, s[10:11]
                                        ; implicit-def: $vgpr6_vgpr7
                                        ; implicit-def: $vgpr22_vgpr23
	s_and_saveexec_b64 s[10:11], vcc
	s_xor_b64 s[10:11], exec, s[10:11]
	s_cbranch_execz .LBB228_209
; %bb.208:                              ;   in Loop: Header=BB228_129 Depth=1
	v_add_f64 v[6:7], v[14:15], v[40:41]
	v_mul_f64 v[6:7], v[6:7], 0.5
	v_cmp_gt_f64_e32 vcc, s[26:27], v[6:7]
	v_cndmask_b32_e64 v14, 0, 1, vcc
	v_lshlrev_b32_e32 v14, 8, v14
	v_ldexp_f64 v[6:7], v[6:7], v14
	v_rsq_f64_e32 v[14:15], v[6:7]
	v_mul_f64 v[22:23], v[6:7], v[14:15]
	v_mul_f64 v[14:15], v[14:15], 0.5
	v_fma_f64 v[40:41], -v[14:15], v[22:23], 0.5
	v_fmac_f64_e32 v[22:23], v[22:23], v[40:41]
	v_fmac_f64_e32 v[14:15], v[14:15], v[40:41]
	v_fma_f64 v[40:41], -v[22:23], v[22:23], v[6:7]
	v_fmac_f64_e32 v[22:23], v[40:41], v[14:15]
	v_fma_f64 v[40:41], -v[22:23], v[22:23], v[6:7]
	v_fmac_f64_e32 v[22:23], v[40:41], v[14:15]
	v_cndmask_b32_e32 v14, 0, v45, vcc
	v_ldexp_f64 v[14:15], v[22:23], v14
	v_cmp_class_f64_e32 vcc, v[6:7], v42
	v_cndmask_b32_e32 v23, v15, v7, vcc
	v_cndmask_b32_e32 v22, v14, v6, vcc
	v_add_f64 v[6:7], v[22:23], v[22:23]
	v_div_scale_f64 v[14:15], s[42:43], v[6:7], v[6:7], v[16:17]
	v_rcp_f64_e32 v[40:41], v[14:15]
	v_fma_f64 v[46:47], -v[14:15], v[40:41], 1.0
	v_fmac_f64_e32 v[40:41], v[40:41], v[46:47]
	v_fma_f64 v[46:47], -v[14:15], v[40:41], 1.0
	v_fmac_f64_e32 v[40:41], v[40:41], v[46:47]
	v_div_scale_f64 v[46:47], vcc, v[16:17], v[6:7], v[16:17]
	v_mul_f64 v[48:49], v[46:47], v[40:41]
	v_fma_f64 v[14:15], -v[14:15], v[48:49], v[46:47]
	s_nop 1
	v_div_fmas_f64 v[14:15], v[14:15], v[40:41], v[48:49]
	v_div_fixup_f64 v[6:7], v[14:15], v[6:7], v[16:17]
                                        ; implicit-def: $vgpr40_vgpr41
                                        ; implicit-def: $vgpr14_vgpr15
	s_andn2_saveexec_b64 s[10:11], s[10:11]
	s_cbranch_execz .LBB228_211
	s_branch .LBB228_210
.LBB228_209:                            ;   in Loop: Header=BB228_129 Depth=1
	s_andn2_saveexec_b64 s[10:11], s[10:11]
	s_cbranch_execz .LBB228_211
.LBB228_210:                            ;   in Loop: Header=BB228_129 Depth=1
	v_add_f64 v[6:7], v[40:41], -v[14:15]
	v_mul_f64 v[6:7], v[6:7], 0.5
	v_cmp_gt_f64_e32 vcc, s[26:27], v[6:7]
	v_cndmask_b32_e64 v14, 0, 1, vcc
	v_lshlrev_b32_e32 v14, 8, v14
	v_ldexp_f64 v[6:7], v[6:7], v14
	v_rsq_f64_e32 v[14:15], v[6:7]
	v_mul_f64 v[22:23], v[6:7], v[14:15]
	v_mul_f64 v[14:15], v[14:15], 0.5
	v_fma_f64 v[40:41], -v[14:15], v[22:23], 0.5
	v_fmac_f64_e32 v[22:23], v[22:23], v[40:41]
	v_fmac_f64_e32 v[14:15], v[14:15], v[40:41]
	v_fma_f64 v[40:41], -v[22:23], v[22:23], v[6:7]
	v_fmac_f64_e32 v[22:23], v[40:41], v[14:15]
	v_fma_f64 v[40:41], -v[22:23], v[22:23], v[6:7]
	v_fmac_f64_e32 v[22:23], v[40:41], v[14:15]
	v_cndmask_b32_e32 v14, 0, v45, vcc
	v_ldexp_f64 v[14:15], v[22:23], v14
	v_cmp_class_f64_e32 vcc, v[6:7], v42
	v_cndmask_b32_e32 v7, v15, v7, vcc
	v_cndmask_b32_e32 v6, v14, v6, vcc
	v_add_f64 v[14:15], v[6:7], v[6:7]
	v_and_b32_e32 v23, 0x7fffffff, v17
	v_mov_b32_e32 v22, v16
	v_div_scale_f64 v[40:41], s[42:43], v[14:15], v[14:15], v[22:23]
	v_rcp_f64_e32 v[46:47], v[40:41]
	v_div_scale_f64 v[22:23], vcc, v[22:23], v[14:15], v[22:23]
	v_bfi_b32 v7, s52, v7, v17
	v_fma_f64 v[48:49], -v[40:41], v[46:47], 1.0
	v_fmac_f64_e32 v[46:47], v[46:47], v[48:49]
	v_fma_f64 v[48:49], -v[40:41], v[46:47], 1.0
	v_fmac_f64_e32 v[46:47], v[46:47], v[48:49]
	v_mul_f64 v[48:49], v[22:23], v[46:47]
	v_fma_f64 v[22:23], -v[40:41], v[48:49], v[22:23]
	v_div_fmas_f64 v[22:23], v[22:23], v[46:47], v[48:49]
	v_div_fixup_f64 v[22:23], v[22:23], v[14:15], |v[16:17]|
.LBB228_211:                            ;   in Loop: Header=BB228_129 Depth=1
	s_or_b64 exec, exec, s[10:11]
                                        ; implicit-def: $vgpr16_vgpr17
	s_and_saveexec_b64 s[10:11], s[8:9]
	s_xor_b64 s[8:9], exec, s[10:11]
	s_cbranch_execz .LBB228_213
; %bb.212:                              ;   in Loop: Header=BB228_129 Depth=1
	v_mul_f64 v[14:15], v[22:23], 0.5
	v_mul_f64 v[16:17], v[6:7], 0.5
	v_cndmask_b32_e64 v15, v23, v15, s[40:41]
	v_cndmask_b32_e64 v14, v22, v14, s[40:41]
	;; [unrolled: 1-line block ×4, first 2 shown]
                                        ; implicit-def: $vgpr22_vgpr23
                                        ; implicit-def: $vgpr6_vgpr7
	s_andn2_saveexec_b64 s[8:9], s[8:9]
	s_cbranch_execnz .LBB228_214
	s_branch .LBB228_215
.LBB228_213:                            ;   in Loop: Header=BB228_129 Depth=1
	s_andn2_saveexec_b64 s[8:9], s[8:9]
.LBB228_214:                            ;   in Loop: Header=BB228_129 Depth=1
	v_add_f64 v[14:15], v[22:23], v[22:23]
	v_add_f64 v[16:17], v[6:7], v[6:7]
.LBB228_215:                            ;   in Loop: Header=BB228_129 Depth=1
	s_or_b64 exec, exec, s[8:9]
.LBB228_216:                            ;   in Loop: Header=BB228_129 Depth=1
	s_andn2_saveexec_b64 s[8:9], s[38:39]
	s_cbranch_execz .LBB228_222
; %bb.217:                              ;   in Loop: Header=BB228_129 Depth=1
	v_cmp_lt_i64_e32 vcc, -1, v[14:15]
	v_add_f64 v[6:7], v[16:17], -v[16:17]
	s_and_saveexec_b64 s[10:11], vcc
	s_xor_b64 s[10:11], exec, s[10:11]
; %bb.218:                              ;   in Loop: Header=BB228_129 Depth=1
	v_bfi_b32 v7, s52, v7, v17
	v_pk_mov_b32 v[16:17], v[6:7], v[6:7] op_sel:[0,1]
                                        ; implicit-def: $vgpr6_vgpr7
; %bb.219:                              ;   in Loop: Header=BB228_129 Depth=1
	s_andn2_saveexec_b64 s[10:11], s[10:11]
; %bb.220:                              ;   in Loop: Header=BB228_129 Depth=1
	v_and_b32_e32 v7, 0x7fffffff, v7
	v_bfi_b32 v15, s52, v15, v17
	v_pk_mov_b32 v[16:17], v[14:15], v[14:15] op_sel:[0,1]
	v_pk_mov_b32 v[14:15], v[6:7], v[6:7] op_sel:[0,1]
; %bb.221:                              ;   in Loop: Header=BB228_129 Depth=1
	s_or_b64 exec, exec, s[10:11]
.LBB228_222:                            ;   in Loop: Header=BB228_129 Depth=1
	s_or_b64 exec, exec, s[8:9]
.LBB228_223:                            ;   in Loop: Header=BB228_129 Depth=1
	s_andn2_saveexec_b64 s[8:9], s[36:37]
; %bb.224:                              ;   in Loop: Header=BB228_129 Depth=1
	v_add_f64 v[6:7], v[16:17], -v[16:17]
	v_div_scale_f64 v[16:17], vcc, v[6:7], v[6:7], v[6:7]
	v_rcp_f64_e32 v[22:23], v[16:17]
	v_fma_f64 v[40:41], -v[16:17], v[22:23], 1.0
	v_fmac_f64_e32 v[22:23], v[22:23], v[40:41]
	v_fma_f64 v[40:41], -v[16:17], v[22:23], 1.0
	v_fmac_f64_e32 v[22:23], v[22:23], v[40:41]
	v_mul_f64 v[40:41], v[16:17], v[22:23]
	v_fma_f64 v[16:17], -v[16:17], v[40:41], v[16:17]
	v_div_fmas_f64 v[16:17], v[16:17], v[22:23], v[40:41]
	v_div_fixup_f64 v[16:17], v[16:17], v[6:7], v[6:7]
; %bb.225:                              ;   in Loop: Header=BB228_129 Depth=1
	s_or_b64 exec, exec, s[8:9]
	v_pk_mov_b32 v[6:7], v[14:15], v[14:15] op_sel:[0,1]
.LBB228_226:                            ;   in Loop: Header=BB228_129 Depth=1
	s_or_b64 exec, exec, s[34:35]
.LBB228_227:                            ;   in Loop: Header=BB228_129 Depth=1
	s_or_b64 exec, exec, s[30:31]
	v_cmp_neq_f64_e32 vcc, 0, v[10:11]
	v_cmp_neq_f64_e64 s[8:9], 0, v[12:13]
	s_or_b64 s[8:9], vcc, s[8:9]
	s_and_saveexec_b64 s[30:31], s[8:9]
	s_cbranch_execz .LBB228_239
; %bb.228:                              ;   in Loop: Header=BB228_129 Depth=1
	v_cmp_neq_f64_e64 s[8:9], |v[12:13]|, s[20:21]
	v_pk_mov_b32 v[2:3], s[20:21], s[20:21] op_sel:[0,1]
	s_and_saveexec_b64 s[34:35], s[8:9]
	s_cbranch_execz .LBB228_260
; %bb.229:                              ;   in Loop: Header=BB228_129 Depth=1
	v_cmp_o_f64_e32 vcc, v[10:11], v[10:11]
	s_and_saveexec_b64 s[8:9], vcc
	s_xor_b64 s[36:37], exec, s[8:9]
	s_cbranch_execz .LBB228_257
; %bb.230:                              ;   in Loop: Header=BB228_129 Depth=1
	v_cmp_neq_f64_e64 s[8:9], |v[10:11]|, s[20:21]
	s_and_saveexec_b64 s[10:11], s[8:9]
	s_xor_b64 s[38:39], exec, s[10:11]
	s_cbranch_execz .LBB228_250
; %bb.231:                              ;   in Loop: Header=BB228_129 Depth=1
	v_max_f64 v[2:3], |v[10:11]|, |v[10:11]|
	v_max_f64 v[14:15], |v[12:13]|, |v[12:13]|
	v_max_f64 v[2:3], v[14:15], v[2:3]
	v_cmp_nle_f64_e64 s[8:9], s[22:23], v[2:3]
                                        ; implicit-def: $sgpr40_sgpr41
	s_and_saveexec_b64 s[10:11], s[8:9]
	s_xor_b64 s[10:11], exec, s[10:11]
	s_cbranch_execz .LBB228_235
; %bb.232:                              ;   in Loop: Header=BB228_129 Depth=1
	v_cmp_le_f64_e64 s[40:41], |v[10:11]|, s[24:25]
	v_cmp_le_f64_e64 s[42:43], |v[12:13]|, s[24:25]
	s_and_b64 s[54:55], s[42:43], s[40:41]
	s_mov_b64 s[40:41], 0
	s_and_saveexec_b64 s[42:43], s[54:55]
; %bb.233:                              ;   in Loop: Header=BB228_129 Depth=1
	s_mov_b64 s[40:41], exec
	v_mul_f64 v[10:11], v[10:11], 4.0
	v_mul_f64 v[12:13], v[12:13], 4.0
; %bb.234:                              ;   in Loop: Header=BB228_129 Depth=1
	s_or_b64 exec, exec, s[42:43]
	s_and_b64 s[40:41], s[40:41], exec
.LBB228_235:                            ;   in Loop: Header=BB228_129 Depth=1
	s_andn2_saveexec_b64 s[10:11], s[10:11]
; %bb.236:                              ;   in Loop: Header=BB228_129 Depth=1
	v_ldexp_f64 v[10:11], v[10:11], -2
	v_ldexp_f64 v[12:13], v[12:13], -2
	s_andn2_b64 s[40:41], s[40:41], exec
; %bb.237:                              ;   in Loop: Header=BB228_129 Depth=1
	s_or_b64 exec, exec, s[10:11]
	v_max_f64 v[2:3], |v[12:13]|, |v[12:13]|
	v_max_f64 v[14:15], |v[10:11]|, |v[10:11]|
	v_max_f64 v[2:3], v[14:15], v[2:3]
	v_frexp_exp_i32_f64_e32 v46, v[2:3]
	v_sub_u32_e32 v14, 0, v46
	v_ldexp_f64 v[2:3], |v[10:11]|, v14
	v_ldexp_f64 v[14:15], |v[12:13]|, v14
	v_mul_f64 v[14:15], v[14:15], v[14:15]
	v_fmac_f64_e32 v[14:15], v[2:3], v[2:3]
	v_rsq_f64_e32 v[2:3], v[14:15]
	v_cmp_eq_f64_e64 s[10:11], 0, v[14:15]
	v_cmp_class_f64_e64 s[42:43], v[12:13], s51
	v_cmp_le_f64_e32 vcc, 0, v[10:11]
	v_mul_f64 v[22:23], v[14:15], v[2:3]
	v_mul_f64 v[2:3], v[2:3], 0.5
	v_fma_f64 v[40:41], -v[2:3], v[22:23], 0.5
	v_fmac_f64_e32 v[22:23], v[22:23], v[40:41]
	v_fmac_f64_e32 v[2:3], v[2:3], v[40:41]
	v_fma_f64 v[40:41], -v[22:23], v[22:23], v[14:15]
	v_fmac_f64_e32 v[22:23], v[40:41], v[2:3]
	v_cndmask_b32_e64 v3, v23, v15, s[10:11]
	v_cndmask_b32_e64 v2, v22, v14, s[10:11]
	v_ldexp_f64 v[2:3], v[2:3], v46
	v_cmp_o_f64_e64 s[10:11], v[12:13], v[12:13]
	v_cndmask_b32_e64 v2, 0, v2, s[10:11]
	v_cndmask_b32_e64 v3, v43, v3, s[10:11]
	v_cmp_class_f64_e64 s[10:11], v[10:11], s51
	s_or_b64 s[10:11], s[42:43], s[10:11]
	v_cndmask_b32_e64 v23, v3, v44, s[10:11]
	v_cndmask_b32_e64 v22, v2, 0, s[10:11]
                                        ; implicit-def: $vgpr2_vgpr3
                                        ; implicit-def: $vgpr14_vgpr15
	s_and_saveexec_b64 s[10:11], vcc
	s_xor_b64 s[10:11], exec, s[10:11]
	s_cbranch_execz .LBB228_243
; %bb.238:                              ;   in Loop: Header=BB228_129 Depth=1
	v_add_f64 v[2:3], v[10:11], v[22:23]
	v_mul_f64 v[2:3], v[2:3], 0.5
	v_cmp_gt_f64_e32 vcc, s[26:27], v[2:3]
	v_cndmask_b32_e64 v10, 0, 1, vcc
	v_lshlrev_b32_e32 v10, 8, v10
	v_ldexp_f64 v[2:3], v[2:3], v10
	v_rsq_f64_e32 v[10:11], v[2:3]
	v_mul_f64 v[14:15], v[2:3], v[10:11]
	v_mul_f64 v[10:11], v[10:11], 0.5
	v_fma_f64 v[22:23], -v[10:11], v[14:15], 0.5
	v_fmac_f64_e32 v[14:15], v[14:15], v[22:23]
	v_fmac_f64_e32 v[10:11], v[10:11], v[22:23]
	v_fma_f64 v[22:23], -v[14:15], v[14:15], v[2:3]
	v_fmac_f64_e32 v[14:15], v[22:23], v[10:11]
	v_fma_f64 v[22:23], -v[14:15], v[14:15], v[2:3]
	v_fmac_f64_e32 v[14:15], v[22:23], v[10:11]
	v_cndmask_b32_e32 v10, 0, v45, vcc
	v_ldexp_f64 v[10:11], v[14:15], v10
	v_cmp_class_f64_e32 vcc, v[2:3], v42
	v_cndmask_b32_e32 v15, v11, v3, vcc
	v_cndmask_b32_e32 v14, v10, v2, vcc
	v_add_f64 v[2:3], v[14:15], v[14:15]
	v_div_scale_f64 v[10:11], s[42:43], v[2:3], v[2:3], v[12:13]
	v_rcp_f64_e32 v[22:23], v[10:11]
	v_fma_f64 v[40:41], -v[10:11], v[22:23], 1.0
	v_fmac_f64_e32 v[22:23], v[22:23], v[40:41]
	v_fma_f64 v[40:41], -v[10:11], v[22:23], 1.0
	v_fmac_f64_e32 v[22:23], v[22:23], v[40:41]
	v_div_scale_f64 v[40:41], vcc, v[12:13], v[2:3], v[12:13]
	v_mul_f64 v[46:47], v[40:41], v[22:23]
	v_fma_f64 v[10:11], -v[10:11], v[46:47], v[40:41]
	s_nop 1
	v_div_fmas_f64 v[10:11], v[10:11], v[22:23], v[46:47]
	v_div_fixup_f64 v[2:3], v[10:11], v[2:3], v[12:13]
                                        ; implicit-def: $vgpr22_vgpr23
                                        ; implicit-def: $vgpr10_vgpr11
	s_andn2_saveexec_b64 s[10:11], s[10:11]
	s_cbranch_execz .LBB228_245
	s_branch .LBB228_244
.LBB228_239:                            ;   in Loop: Header=BB228_129 Depth=1
	s_or_b64 exec, exec, s[30:31]
	s_and_saveexec_b64 s[8:9], s[0:1]
	s_xor_b64 s[0:1], exec, s[8:9]
	s_cbranch_execz .LBB228_261
.LBB228_240:                            ;   in Loop: Header=BB228_129 Depth=1
	v_mov_b32_e32 v11, s13
	v_add_co_u32_e32 v10, vcc, s12, v26
	v_addc_co_u32_e32 v11, vcc, v27, v11, vcc
	v_mov_b32_e32 v22, v8
	v_mov_b32_e32 v23, v9
	global_store_dwordx4 v[10:11], v[20:23], off offset:-8
	s_or_b64 exec, exec, s[0:1]
	s_and_saveexec_b64 s[0:1], s[2:3]
	s_cbranch_execnz .LBB228_262
.LBB228_241:                            ;   in Loop: Header=BB228_129 Depth=1
	s_or_b64 exec, exec, s[0:1]
	s_and_saveexec_b64 s[0:1], s[4:5]
	s_cbranch_execz .LBB228_263
.LBB228_242:                            ;   in Loop: Header=BB228_129 Depth=1
	v_mov_b32_e32 v5, s13
	v_add_co_u32_e32 v4, vcc, s12, v38
	v_addc_co_u32_e32 v5, vcc, v39, v5, vcc
	v_mov_b32_e32 v8, v16
	v_mov_b32_e32 v9, v17
	global_store_dwordx4 v[4:5], v[6:9], off offset:-8
	s_or_b64 exec, exec, s[0:1]
	s_and_saveexec_b64 s[0:1], s[6:7]
	s_cbranch_execz .LBB228_128
	s_branch .LBB228_264
.LBB228_243:                            ;   in Loop: Header=BB228_129 Depth=1
	s_andn2_saveexec_b64 s[10:11], s[10:11]
	s_cbranch_execz .LBB228_245
.LBB228_244:                            ;   in Loop: Header=BB228_129 Depth=1
	v_add_f64 v[2:3], v[22:23], -v[10:11]
	v_mul_f64 v[2:3], v[2:3], 0.5
	v_cmp_gt_f64_e32 vcc, s[26:27], v[2:3]
	v_cndmask_b32_e64 v10, 0, 1, vcc
	v_lshlrev_b32_e32 v10, 8, v10
	v_ldexp_f64 v[2:3], v[2:3], v10
	v_rsq_f64_e32 v[10:11], v[2:3]
	v_mul_f64 v[14:15], v[2:3], v[10:11]
	v_mul_f64 v[10:11], v[10:11], 0.5
	v_fma_f64 v[22:23], -v[10:11], v[14:15], 0.5
	v_fmac_f64_e32 v[14:15], v[14:15], v[22:23]
	v_fmac_f64_e32 v[10:11], v[10:11], v[22:23]
	v_fma_f64 v[22:23], -v[14:15], v[14:15], v[2:3]
	v_fmac_f64_e32 v[14:15], v[22:23], v[10:11]
	v_fma_f64 v[22:23], -v[14:15], v[14:15], v[2:3]
	v_fmac_f64_e32 v[14:15], v[22:23], v[10:11]
	v_cndmask_b32_e32 v10, 0, v45, vcc
	v_ldexp_f64 v[10:11], v[14:15], v10
	v_cmp_class_f64_e32 vcc, v[2:3], v42
	v_cndmask_b32_e32 v3, v11, v3, vcc
	v_cndmask_b32_e32 v2, v10, v2, vcc
	v_add_f64 v[10:11], v[2:3], v[2:3]
	v_and_b32_e32 v15, 0x7fffffff, v13
	v_mov_b32_e32 v14, v12
	v_div_scale_f64 v[22:23], s[42:43], v[10:11], v[10:11], v[14:15]
	v_rcp_f64_e32 v[40:41], v[22:23]
	v_div_scale_f64 v[14:15], vcc, v[14:15], v[10:11], v[14:15]
	v_bfi_b32 v3, s52, v3, v13
	v_fma_f64 v[46:47], -v[22:23], v[40:41], 1.0
	v_fmac_f64_e32 v[40:41], v[40:41], v[46:47]
	v_fma_f64 v[46:47], -v[22:23], v[40:41], 1.0
	v_fmac_f64_e32 v[40:41], v[40:41], v[46:47]
	v_mul_f64 v[46:47], v[14:15], v[40:41]
	v_fma_f64 v[14:15], -v[22:23], v[46:47], v[14:15]
	v_div_fmas_f64 v[14:15], v[14:15], v[40:41], v[46:47]
	v_div_fixup_f64 v[14:15], v[14:15], v[10:11], |v[12:13]|
.LBB228_245:                            ;   in Loop: Header=BB228_129 Depth=1
	s_or_b64 exec, exec, s[10:11]
                                        ; implicit-def: $vgpr12_vgpr13
	s_and_saveexec_b64 s[10:11], s[8:9]
	s_xor_b64 s[8:9], exec, s[10:11]
	s_cbranch_execz .LBB228_247
; %bb.246:                              ;   in Loop: Header=BB228_129 Depth=1
	v_mul_f64 v[10:11], v[14:15], 0.5
	v_mul_f64 v[12:13], v[2:3], 0.5
	v_cndmask_b32_e64 v11, v15, v11, s[40:41]
	v_cndmask_b32_e64 v10, v14, v10, s[40:41]
	;; [unrolled: 1-line block ×4, first 2 shown]
                                        ; implicit-def: $vgpr14_vgpr15
                                        ; implicit-def: $vgpr2_vgpr3
	s_andn2_saveexec_b64 s[8:9], s[8:9]
	s_cbranch_execnz .LBB228_248
	s_branch .LBB228_249
.LBB228_247:                            ;   in Loop: Header=BB228_129 Depth=1
	s_andn2_saveexec_b64 s[8:9], s[8:9]
.LBB228_248:                            ;   in Loop: Header=BB228_129 Depth=1
	v_add_f64 v[10:11], v[14:15], v[14:15]
	v_add_f64 v[12:13], v[2:3], v[2:3]
.LBB228_249:                            ;   in Loop: Header=BB228_129 Depth=1
	s_or_b64 exec, exec, s[8:9]
.LBB228_250:                            ;   in Loop: Header=BB228_129 Depth=1
	s_andn2_saveexec_b64 s[8:9], s[38:39]
	s_cbranch_execz .LBB228_256
; %bb.251:                              ;   in Loop: Header=BB228_129 Depth=1
	v_cmp_lt_i64_e32 vcc, -1, v[10:11]
	v_add_f64 v[2:3], v[12:13], -v[12:13]
	s_and_saveexec_b64 s[10:11], vcc
	s_xor_b64 s[10:11], exec, s[10:11]
; %bb.252:                              ;   in Loop: Header=BB228_129 Depth=1
	v_bfi_b32 v3, s52, v3, v13
	v_pk_mov_b32 v[12:13], v[2:3], v[2:3] op_sel:[0,1]
                                        ; implicit-def: $vgpr2_vgpr3
; %bb.253:                              ;   in Loop: Header=BB228_129 Depth=1
	s_andn2_saveexec_b64 s[10:11], s[10:11]
; %bb.254:                              ;   in Loop: Header=BB228_129 Depth=1
	v_and_b32_e32 v3, 0x7fffffff, v3
	v_bfi_b32 v11, s52, v11, v13
	v_pk_mov_b32 v[12:13], v[10:11], v[10:11] op_sel:[0,1]
	v_pk_mov_b32 v[10:11], v[2:3], v[2:3] op_sel:[0,1]
; %bb.255:                              ;   in Loop: Header=BB228_129 Depth=1
	s_or_b64 exec, exec, s[10:11]
.LBB228_256:                            ;   in Loop: Header=BB228_129 Depth=1
	s_or_b64 exec, exec, s[8:9]
.LBB228_257:                            ;   in Loop: Header=BB228_129 Depth=1
	s_andn2_saveexec_b64 s[8:9], s[36:37]
; %bb.258:                              ;   in Loop: Header=BB228_129 Depth=1
	v_add_f64 v[2:3], v[12:13], -v[12:13]
	v_div_scale_f64 v[12:13], vcc, v[2:3], v[2:3], v[2:3]
	v_rcp_f64_e32 v[14:15], v[12:13]
	v_fma_f64 v[22:23], -v[12:13], v[14:15], 1.0
	v_fmac_f64_e32 v[14:15], v[14:15], v[22:23]
	v_fma_f64 v[22:23], -v[12:13], v[14:15], 1.0
	v_fmac_f64_e32 v[14:15], v[14:15], v[22:23]
	v_mul_f64 v[22:23], v[12:13], v[14:15]
	v_fma_f64 v[12:13], -v[12:13], v[22:23], v[12:13]
	v_div_fmas_f64 v[12:13], v[12:13], v[14:15], v[22:23]
	v_div_fixup_f64 v[12:13], v[12:13], v[2:3], v[2:3]
; %bb.259:                              ;   in Loop: Header=BB228_129 Depth=1
	s_or_b64 exec, exec, s[8:9]
	v_pk_mov_b32 v[2:3], v[10:11], v[10:11] op_sel:[0,1]
.LBB228_260:                            ;   in Loop: Header=BB228_129 Depth=1
	s_or_b64 exec, exec, s[34:35]
	s_or_b64 exec, exec, s[30:31]
	s_and_saveexec_b64 s[8:9], s[0:1]
	s_xor_b64 s[0:1], exec, s[8:9]
	s_cbranch_execnz .LBB228_240
.LBB228_261:                            ;   in Loop: Header=BB228_129 Depth=1
	s_or_b64 exec, exec, s[0:1]
	s_and_saveexec_b64 s[0:1], s[2:3]
	s_cbranch_execz .LBB228_241
.LBB228_262:                            ;   in Loop: Header=BB228_129 Depth=1
	v_mov_b32_e32 v9, s13
	v_add_co_u32_e32 v8, vcc, s12, v28
	v_addc_co_u32_e32 v9, vcc, v29, v9, vcc
	v_mov_b32_e32 v20, v4
	v_mov_b32_e32 v21, v5
	global_store_dwordx4 v[8:9], v[18:21], off
	s_or_b64 exec, exec, s[0:1]
	s_and_saveexec_b64 s[0:1], s[4:5]
	s_cbranch_execnz .LBB228_242
.LBB228_263:                            ;   in Loop: Header=BB228_129 Depth=1
	s_or_b64 exec, exec, s[0:1]
	s_and_saveexec_b64 s[0:1], s[6:7]
	s_cbranch_execz .LBB228_128
.LBB228_264:                            ;   in Loop: Header=BB228_129 Depth=1
	v_mov_b32_e32 v4, s13
	v_add_co_u32_e32 v6, vcc, s12, v34
	v_addc_co_u32_e32 v7, vcc, v35, v4, vcc
	v_mov_b32_e32 v4, v12
	v_mov_b32_e32 v5, v13
	global_store_dwordx4 v[6:7], v[2:5], off offset:-8
	s_branch .LBB228_128
.LBB228_265:
	s_endpgm
	.section	.rodata,"a",@progbits
	.p2align	6, 0x0
	.amdhsa_kernel _ZN2at6native12_GLOBAL__N_125multi_tensor_apply_kernelINS1_18TensorListMetadataILi2EEENS1_14UnaryOpFunctorIN3c107complexIdEELi2ELi1ELi1EEEJNS0_4SqrtIS8_EEEEEvT_T0_DpT1_
		.amdhsa_group_segment_fixed_size 0
		.amdhsa_private_segment_fixed_size 0
		.amdhsa_kernarg_size 3408
		.amdhsa_user_sgpr_count 6
		.amdhsa_user_sgpr_private_segment_buffer 1
		.amdhsa_user_sgpr_dispatch_ptr 0
		.amdhsa_user_sgpr_queue_ptr 0
		.amdhsa_user_sgpr_kernarg_segment_ptr 1
		.amdhsa_user_sgpr_dispatch_id 0
		.amdhsa_user_sgpr_flat_scratch_init 0
		.amdhsa_user_sgpr_kernarg_preload_length 0
		.amdhsa_user_sgpr_kernarg_preload_offset 0
		.amdhsa_user_sgpr_private_segment_size 0
		.amdhsa_uses_dynamic_stack 0
		.amdhsa_system_sgpr_private_segment_wavefront_offset 0
		.amdhsa_system_sgpr_workgroup_id_x 1
		.amdhsa_system_sgpr_workgroup_id_y 0
		.amdhsa_system_sgpr_workgroup_id_z 0
		.amdhsa_system_sgpr_workgroup_info 0
		.amdhsa_system_vgpr_workitem_id 0
		.amdhsa_next_free_vgpr 50
		.amdhsa_next_free_sgpr 56
		.amdhsa_accum_offset 52
		.amdhsa_reserve_vcc 1
		.amdhsa_reserve_flat_scratch 0
		.amdhsa_float_round_mode_32 0
		.amdhsa_float_round_mode_16_64 0
		.amdhsa_float_denorm_mode_32 3
		.amdhsa_float_denorm_mode_16_64 3
		.amdhsa_dx10_clamp 1
		.amdhsa_ieee_mode 1
		.amdhsa_fp16_overflow 0
		.amdhsa_tg_split 0
		.amdhsa_exception_fp_ieee_invalid_op 0
		.amdhsa_exception_fp_denorm_src 0
		.amdhsa_exception_fp_ieee_div_zero 0
		.amdhsa_exception_fp_ieee_overflow 0
		.amdhsa_exception_fp_ieee_underflow 0
		.amdhsa_exception_fp_ieee_inexact 0
		.amdhsa_exception_int_div_zero 0
	.end_amdhsa_kernel
	.section	.text._ZN2at6native12_GLOBAL__N_125multi_tensor_apply_kernelINS1_18TensorListMetadataILi2EEENS1_14UnaryOpFunctorIN3c107complexIdEELi2ELi1ELi1EEEJNS0_4SqrtIS8_EEEEEvT_T0_DpT1_,"axG",@progbits,_ZN2at6native12_GLOBAL__N_125multi_tensor_apply_kernelINS1_18TensorListMetadataILi2EEENS1_14UnaryOpFunctorIN3c107complexIdEELi2ELi1ELi1EEEJNS0_4SqrtIS8_EEEEEvT_T0_DpT1_,comdat
.Lfunc_end228:
	.size	_ZN2at6native12_GLOBAL__N_125multi_tensor_apply_kernelINS1_18TensorListMetadataILi2EEENS1_14UnaryOpFunctorIN3c107complexIdEELi2ELi1ELi1EEEJNS0_4SqrtIS8_EEEEEvT_T0_DpT1_, .Lfunc_end228-_ZN2at6native12_GLOBAL__N_125multi_tensor_apply_kernelINS1_18TensorListMetadataILi2EEENS1_14UnaryOpFunctorIN3c107complexIdEELi2ELi1ELi1EEEJNS0_4SqrtIS8_EEEEEvT_T0_DpT1_
                                        ; -- End function
	.section	.AMDGPU.csdata,"",@progbits
; Kernel info:
; codeLenInByte = 10996
; NumSgprs: 60
; NumVgprs: 50
; NumAgprs: 0
; TotalNumVgprs: 50
; ScratchSize: 0
; MemoryBound: 1
; FloatMode: 240
; IeeeMode: 1
; LDSByteSize: 0 bytes/workgroup (compile time only)
; SGPRBlocks: 7
; VGPRBlocks: 6
; NumSGPRsForWavesPerEU: 60
; NumVGPRsForWavesPerEU: 50
; AccumOffset: 52
; Occupancy: 8
; WaveLimiterHint : 0
; COMPUTE_PGM_RSRC2:SCRATCH_EN: 0
; COMPUTE_PGM_RSRC2:USER_SGPR: 6
; COMPUTE_PGM_RSRC2:TRAP_HANDLER: 0
; COMPUTE_PGM_RSRC2:TGID_X_EN: 1
; COMPUTE_PGM_RSRC2:TGID_Y_EN: 0
; COMPUTE_PGM_RSRC2:TGID_Z_EN: 0
; COMPUTE_PGM_RSRC2:TIDIG_COMP_CNT: 0
; COMPUTE_PGM_RSRC3_GFX90A:ACCUM_OFFSET: 12
; COMPUTE_PGM_RSRC3_GFX90A:TG_SPLIT: 0
	.section	.text._ZN2at6native12_GLOBAL__N_125multi_tensor_apply_kernelINS1_18TensorListMetadataILi2EEENS1_14UnaryOpFunctorIN3c107complexIfEELi2ELi1ELi1EEEJNS0_4SqrtIS8_EEEEEvT_T0_DpT1_,"axG",@progbits,_ZN2at6native12_GLOBAL__N_125multi_tensor_apply_kernelINS1_18TensorListMetadataILi2EEENS1_14UnaryOpFunctorIN3c107complexIfEELi2ELi1ELi1EEEJNS0_4SqrtIS8_EEEEEvT_T0_DpT1_,comdat
	.globl	_ZN2at6native12_GLOBAL__N_125multi_tensor_apply_kernelINS1_18TensorListMetadataILi2EEENS1_14UnaryOpFunctorIN3c107complexIfEELi2ELi1ELi1EEEJNS0_4SqrtIS8_EEEEEvT_T0_DpT1_ ; -- Begin function _ZN2at6native12_GLOBAL__N_125multi_tensor_apply_kernelINS1_18TensorListMetadataILi2EEENS1_14UnaryOpFunctorIN3c107complexIfEELi2ELi1ELi1EEEJNS0_4SqrtIS8_EEEEEvT_T0_DpT1_
	.p2align	8
	.type	_ZN2at6native12_GLOBAL__N_125multi_tensor_apply_kernelINS1_18TensorListMetadataILi2EEENS1_14UnaryOpFunctorIN3c107complexIfEELi2ELi1ELi1EEEJNS0_4SqrtIS8_EEEEEvT_T0_DpT1_,@function
_ZN2at6native12_GLOBAL__N_125multi_tensor_apply_kernelINS1_18TensorListMetadataILi2EEENS1_14UnaryOpFunctorIN3c107complexIfEELi2ELi1ELi1EEEJNS0_4SqrtIS8_EEEEEvT_T0_DpT1_: ; @_ZN2at6native12_GLOBAL__N_125multi_tensor_apply_kernelINS1_18TensorListMetadataILi2EEENS1_14UnaryOpFunctorIN3c107complexIfEELi2ELi1ELi1EEEJNS0_4SqrtIS8_EEEEEvT_T0_DpT1_
; %bb.0:
	v_mov_b32_e32 v1, s6
	global_load_ubyte v1, v1, s[4:5] offset:1536
	s_add_u32 s0, s4, s6
	s_mul_hi_u32 s3, s6, 3
	s_mul_i32 s6, s6, 3
	s_addc_u32 s7, s5, 0
	s_add_u32 s2, s0, s6
	s_addc_u32 s3, s7, s3
	s_load_dword s2, s[2:3], 0x740
	s_mov_b32 s11, 0
	s_mov_b32 s1, s11
	;; [unrolled: 1-line block ×3, first 2 shown]
	s_waitcnt lgkmcnt(0)
	s_ashr_i32 s3, s2, 31
	s_lshl_b64 s[12:13], s[2:3], 19
	s_waitcnt vmcnt(0)
	v_readfirstlane_b32 s0, v1
	s_lshl_b32 s0, s0, 3
	s_load_dwordx2 s[6:7], s[4:5], s0 offset:0x0
	s_load_dwordx2 s[14:15], s[4:5], s0 offset:0x400
	;; [unrolled: 1-line block ×3, first 2 shown]
	s_waitcnt lgkmcnt(0)
	s_add_u32 s33, s6, s12
	s_addc_u32 s36, s7, s13
	s_add_u32 s37, s8, s12
	s_addc_u32 s38, s9, s13
	s_and_b32 s0, s33, 31
	s_and_b32 s16, s14, 3
	;; [unrolled: 1-line block ×3, first 2 shown]
	s_or_b64 s[0:1], s[0:1], s[16:17]
	s_lshl_b64 s[2:3], s[2:3], 16
	s_or_b64 s[0:1], s[10:11], s[0:1]
	s_sub_u32 s14, s14, s2
	s_subb_u32 s15, s15, s3
	s_cmp_eq_u64 s[0:1], 0
	s_mov_b64 s[0:1], -1
	s_cbranch_scc0 .LBB229_117
; %bb.1:
	v_mov_b32_e32 v15, 0
	v_lshlrev_b32_e32 v14, 2, v0
	v_cmp_gt_i64_e32 vcc, s[14:15], v[14:15]
	s_and_saveexec_b64 s[16:17], vcc
	s_cbranch_execz .LBB229_116
; %bb.2:
	s_load_dword s0, s[4:5], 0xc5c
	v_lshlrev_b32_e32 v16, 5, v0
	s_mov_b64 s[18:19], 0
	s_mov_b32 s41, 0x7f800000
	s_mov_b32 s42, 0x7ed413cb
	s_waitcnt lgkmcnt(0)
	s_and_b32 s0, s0, 0xffff
	v_add_lshl_u32 v14, v0, s0, 2
	s_lshl_b32 s39, s0, 2
	s_lshl_b32 s40, s0, 5
	s_mov_b32 s43, 0x1000000
	s_mov_b32 s10, 0x3e800000
	s_mov_b32 s44, 0xf800000
	v_mov_b32_e32 v1, 0x260
	s_brev_b32 s45, -2
	s_mov_b64 s[20:21], 0xffff
	v_mov_b32_e32 v17, 0x7f800000
	s_branch .LBB229_6
.LBB229_3:                              ;   in Loop: Header=BB229_6 Depth=1
	s_or_b64 exec, exec, s[0:1]
	v_mov_b32_e32 v12, v8
.LBB229_4:                              ;   in Loop: Header=BB229_6 Depth=1
	s_or_b64 exec, exec, s[24:25]
.LBB229_5:                              ;   in Loop: Header=BB229_6 Depth=1
	s_or_b64 exec, exec, s[22:23]
	v_mov_b32_e32 v5, s38
	v_add_co_u32_e32 v6, vcc, s37, v16
	v_addc_co_u32_e32 v7, vcc, 0, v5, vcc
	v_cmp_le_i64_e32 vcc, s[14:15], v[14:15]
	v_cmp_lt_u64_e64 s[0:1], s[20:21], v[14:15]
	s_or_b64 s[0:1], vcc, s[0:1]
	s_add_u32 s33, s33, s40
	s_addc_u32 s36, s36, 0
	s_add_u32 s37, s37, s40
	v_mov_b32_e32 v5, v13
	s_addc_u32 s38, s38, 0
	global_store_dwordx4 v[6:7], v[2:5], off
	s_and_b64 s[0:1], exec, s[0:1]
	v_mov_b32_e32 v2, s11
	v_add_co_u32_e32 v14, vcc, s39, v14
	v_mov_b32_e32 v13, v9
	s_or_b64 s[18:19], s[0:1], s[18:19]
	v_addc_co_u32_e32 v15, vcc, v15, v2, vcc
	global_store_dwordx4 v[6:7], v[10:13], off offset:16
	s_andn2_b64 exec, exec, s[18:19]
	s_cbranch_execz .LBB229_116
.LBB229_6:                              ; =>This Inner Loop Header: Depth=1
	v_mov_b32_e32 v3, s36
	v_add_co_u32_e32 v2, vcc, s33, v16
	v_addc_co_u32_e32 v3, vcc, 0, v3, vcc
	global_load_dwordx4 v[10:13], v[2:3], off
	global_load_dwordx4 v[6:9], v[2:3], off offset:16
	v_mov_b32_e32 v4, 0
	v_mov_b32_e32 v2, 0
	s_waitcnt vmcnt(1)
	v_cmp_neq_f32_e32 vcc, 0, v10
	v_cmp_neq_f32_e64 s[0:1], 0, v11
	s_or_b64 s[0:1], vcc, s[0:1]
	v_mov_b32_e32 v3, v11
	s_and_saveexec_b64 s[22:23], s[0:1]
	s_cbranch_execz .LBB229_33
; %bb.7:                                ;   in Loop: Header=BB229_6 Depth=1
	v_cmp_neq_f32_e64 s[0:1], |v11|, s41
	v_mov_b32_e32 v2, 0x7f800000
	v_mov_b32_e32 v3, v11
	s_and_saveexec_b64 s[24:25], s[0:1]
	s_cbranch_execz .LBB229_32
; %bb.8:                                ;   in Loop: Header=BB229_6 Depth=1
	v_cmp_o_f32_e32 vcc, v10, v10
	s_and_saveexec_b64 s[0:1], vcc
	s_xor_b64 s[26:27], exec, s[0:1]
	s_cbranch_execz .LBB229_29
; %bb.9:                                ;   in Loop: Header=BB229_6 Depth=1
	v_cmp_neq_f32_e64 s[0:1], |v10|, s41
	s_and_saveexec_b64 s[2:3], s[0:1]
	s_xor_b64 s[28:29], exec, s[2:3]
	s_cbranch_execz .LBB229_23
; %bb.10:                               ;   in Loop: Header=BB229_6 Depth=1
	v_max_f32_e64 v2, |v11|, |v11|
	v_max_f32_e64 v3, |v10|, |v10|
	v_max_f32_e32 v2, v3, v2
	v_cmp_nle_f32_e64 s[0:1], s42, v2
                                        ; implicit-def: $sgpr30_sgpr31
                                        ; implicit-def: $vgpr2_vgpr3
	s_and_saveexec_b64 s[2:3], s[0:1]
	s_xor_b64 s[2:3], exec, s[2:3]
; %bb.11:                               ;   in Loop: Header=BB229_6 Depth=1
	v_cmp_nle_f32_e64 s[30:31], |v10|, s43
	v_cmp_nle_f32_e64 s[34:35], |v11|, s43
	s_or_b64 vcc, s[30:31], s[34:35]
	v_pk_mul_f32 v[2:3], v[10:11], 4.0 op_sel_hi:[1,0]
	s_xor_b64 s[30:31], vcc, -1
	v_cndmask_b32_e32 v3, v3, v11, vcc
	v_cndmask_b32_e32 v2, v2, v10, vcc
	s_and_b64 s[30:31], s[30:31], exec
; %bb.12:                               ;   in Loop: Header=BB229_6 Depth=1
	s_andn2_saveexec_b64 s[2:3], s[2:3]
; %bb.13:                               ;   in Loop: Header=BB229_6 Depth=1
	v_pk_mul_f32 v[2:3], v[10:11], s[10:11] op_sel_hi:[1,0]
	s_andn2_b64 s[30:31], s[30:31], exec
; %bb.14:                               ;   in Loop: Header=BB229_6 Depth=1
	s_or_b64 exec, exec, s[2:3]
	v_max_f32_e64 v5, |v3|, |v3|
	v_max_f32_e64 v18, |v2|, |v2|
	v_max_f32_e32 v5, v18, v5
	v_cvt_f64_f32_e32 v[18:19], v5
	v_frexp_exp_i32_f64_e32 v18, v[18:19]
	v_sub_u32_e32 v19, 0, v18
	v_ldexp_f32 v20, |v2|, v19
	v_ldexp_f32 v19, |v3|, v19
	v_mul_f32_e32 v19, v19, v19
	v_fmac_f32_e32 v19, v20, v20
	v_sqrt_f32_e32 v19, v19
	v_cmp_neq_f32_e64 s[2:3], s41, v5
	v_cmp_le_f32_e32 vcc, 0, v2
                                        ; implicit-def: $vgpr5
	v_ldexp_f32 v18, v19, v18
	v_cndmask_b32_e64 v19, v17, v18, s[2:3]
                                        ; implicit-def: $vgpr18
	s_and_saveexec_b64 s[2:3], vcc
	s_xor_b64 s[34:35], exec, s[2:3]
	s_cbranch_execz .LBB229_18
; %bb.15:                               ;   in Loop: Header=BB229_6 Depth=1
	v_add_f32_e32 v2, v2, v19
	v_mul_f32_e32 v2, 0.5, v2
	v_mul_f32_e32 v5, 0x4f800000, v2
	v_cmp_gt_f32_e32 vcc, s44, v2
	v_cndmask_b32_e32 v2, v2, v5, vcc
	v_sqrt_f32_e32 v5, v2
	v_add_u32_e32 v18, -1, v5
	v_fma_f32 v20, -v18, v5, v2
	v_add_u32_e32 v19, 1, v5
	v_cmp_ge_f32_e64 s[2:3], 0, v20
	v_cndmask_b32_e64 v18, v5, v18, s[2:3]
	v_fma_f32 v5, -v19, v5, v2
	v_cmp_lt_f32_e64 s[2:3], 0, v5
	v_cndmask_b32_e64 v5, v18, v19, s[2:3]
	v_mul_f32_e32 v18, 0x37800000, v5
	v_cndmask_b32_e32 v5, v5, v18, vcc
	v_cmp_class_f32_e32 vcc, v2, v1
	v_cndmask_b32_e32 v5, v5, v2, vcc
	v_add_f32_e32 v2, v5, v5
	v_div_scale_f32 v18, s[2:3], v2, v2, v3
	v_rcp_f32_e32 v19, v18
	v_fma_f32 v20, -v18, v19, 1.0
	v_fmac_f32_e32 v19, v20, v19
	v_div_scale_f32 v20, vcc, v3, v2, v3
	v_mul_f32_e32 v21, v20, v19
	v_fma_f32 v22, -v18, v21, v20
	v_fmac_f32_e32 v21, v22, v19
	v_fma_f32 v18, -v18, v21, v20
	v_div_fmas_f32 v18, v18, v19, v21
	v_div_fixup_f32 v18, v18, v2, v3
                                        ; implicit-def: $vgpr19
                                        ; implicit-def: $vgpr2_vgpr3
	s_andn2_saveexec_b64 s[34:35], s[34:35]
	s_cbranch_execnz .LBB229_19
.LBB229_16:                             ;   in Loop: Header=BB229_6 Depth=1
	s_or_b64 exec, exec, s[34:35]
	s_and_saveexec_b64 s[2:3], s[0:1]
	s_xor_b64 s[0:1], exec, s[2:3]
	s_cbranch_execz .LBB229_20
.LBB229_17:                             ;   in Loop: Header=BB229_6 Depth=1
	v_mul_f32_e32 v2, 0.5, v5
	v_mul_f32_e32 v3, 0.5, v18
	v_cndmask_b32_e64 v2, v5, v2, s[30:31]
	v_cndmask_b32_e64 v3, v18, v3, s[30:31]
                                        ; implicit-def: $vgpr5
                                        ; implicit-def: $vgpr18
	s_andn2_saveexec_b64 s[0:1], s[0:1]
	s_cbranch_execnz .LBB229_21
	s_branch .LBB229_22
.LBB229_18:                             ;   in Loop: Header=BB229_6 Depth=1
	s_andn2_saveexec_b64 s[34:35], s[34:35]
	s_cbranch_execz .LBB229_16
.LBB229_19:                             ;   in Loop: Header=BB229_6 Depth=1
	v_sub_f32_e32 v2, v19, v2
	v_mul_f32_e32 v2, 0.5, v2
	v_mul_f32_e32 v5, 0x4f800000, v2
	v_cmp_gt_f32_e32 vcc, s44, v2
	v_cndmask_b32_e32 v2, v2, v5, vcc
	v_sqrt_f32_e32 v5, v2
	v_add_u32_e32 v18, -1, v5
	v_fma_f32 v20, -v18, v5, v2
	v_add_u32_e32 v19, 1, v5
	v_cmp_ge_f32_e64 s[2:3], 0, v20
	v_cndmask_b32_e64 v18, v5, v18, s[2:3]
	v_fma_f32 v5, -v19, v5, v2
	v_cmp_lt_f32_e64 s[2:3], 0, v5
	v_cndmask_b32_e64 v5, v18, v19, s[2:3]
	v_mul_f32_e32 v18, 0x37800000, v5
	v_cndmask_b32_e32 v5, v5, v18, vcc
	v_cmp_class_f32_e32 vcc, v2, v1
	v_cndmask_b32_e32 v2, v5, v2, vcc
	v_add_f32_e32 v5, v2, v2
	v_and_b32_e32 v18, 0x7fffffff, v3
	v_div_scale_f32 v19, s[2:3], v5, v5, v18
	v_rcp_f32_e32 v20, v19
	v_div_scale_f32 v18, vcc, v18, v5, v18
	v_fma_f32 v21, -v19, v20, 1.0
	v_fmac_f32_e32 v20, v21, v20
	v_mul_f32_e32 v21, v18, v20
	v_fma_f32 v22, -v19, v21, v18
	v_fmac_f32_e32 v21, v22, v20
	v_fma_f32 v18, -v19, v21, v18
	v_div_fmas_f32 v18, v18, v20, v21
	v_div_fixup_f32 v5, v18, v5, |v3|
	v_bfi_b32 v18, s45, v2, v3
	s_or_b64 exec, exec, s[34:35]
	s_and_saveexec_b64 s[2:3], s[0:1]
	s_xor_b64 s[0:1], exec, s[2:3]
	s_cbranch_execnz .LBB229_17
.LBB229_20:                             ;   in Loop: Header=BB229_6 Depth=1
	s_andn2_saveexec_b64 s[0:1], s[0:1]
.LBB229_21:                             ;   in Loop: Header=BB229_6 Depth=1
	v_add_f32_e32 v2, v5, v5
	v_add_f32_e32 v3, v18, v18
.LBB229_22:                             ;   in Loop: Header=BB229_6 Depth=1
	s_or_b64 exec, exec, s[0:1]
.LBB229_23:                             ;   in Loop: Header=BB229_6 Depth=1
	s_andn2_saveexec_b64 s[0:1], s[28:29]
	s_cbranch_execz .LBB229_43
; %bb.24:                               ;   in Loop: Header=BB229_6 Depth=1
	v_cmp_lt_i32_e32 vcc, -1, v10
	v_sub_f32_e32 v5, v11, v11
	s_and_saveexec_b64 s[2:3], vcc
	s_xor_b64 s[2:3], exec, s[2:3]
; %bb.25:                               ;   in Loop: Header=BB229_6 Depth=1
	v_bfi_b32 v3, s45, v5, v11
                                        ; implicit-def: $vgpr5
; %bb.26:                               ;   in Loop: Header=BB229_6 Depth=1
	s_or_saveexec_b64 s[2:3], s[2:3]
	v_mov_b32_e32 v2, v10
	s_xor_b64 exec, exec, s[2:3]
; %bb.27:                               ;   in Loop: Header=BB229_6 Depth=1
	v_and_b32_e32 v2, 0x7fffffff, v5
	v_bfi_b32 v3, s45, v10, v11
; %bb.28:                               ;   in Loop: Header=BB229_6 Depth=1
	s_or_b64 exec, exec, s[2:3]
	s_or_b64 exec, exec, s[0:1]
.LBB229_29:                             ;   in Loop: Header=BB229_6 Depth=1
	s_andn2_saveexec_b64 s[0:1], s[26:27]
	s_cbranch_execz .LBB229_31
.LBB229_30:                             ;   in Loop: Header=BB229_6 Depth=1
	v_sub_f32_e32 v2, v11, v11
	v_div_scale_f32 v3, vcc, v2, v2, v2
	v_rcp_f32_e32 v5, v3
	v_fma_f32 v11, -v3, v5, 1.0
	v_fmac_f32_e32 v5, v11, v5
	v_mul_f32_e32 v11, v3, v5
	v_fma_f32 v18, -v3, v11, v3
	v_fmac_f32_e32 v11, v18, v5
	v_fma_f32 v3, -v3, v11, v3
	v_div_fmas_f32 v3, v3, v5, v11
	v_div_fixup_f32 v3, v3, v2, v2
	v_mov_b32_e32 v2, v10
.LBB229_31:                             ;   in Loop: Header=BB229_6 Depth=1
	s_or_b64 exec, exec, s[0:1]
.LBB229_32:                             ;   in Loop: Header=BB229_6 Depth=1
	s_or_b64 exec, exec, s[24:25]
.LBB229_33:                             ;   in Loop: Header=BB229_6 Depth=1
	s_or_b64 exec, exec, s[22:23]
	v_cmp_neq_f32_e32 vcc, 0, v12
	v_cmp_neq_f32_e64 s[0:1], 0, v13
	s_or_b64 s[0:1], vcc, s[0:1]
	s_and_saveexec_b64 s[22:23], s[0:1]
	s_cbranch_execz .LBB229_62
; %bb.34:                               ;   in Loop: Header=BB229_6 Depth=1
	v_cmp_neq_f32_e64 s[0:1], |v13|, s41
	v_mov_b32_e32 v4, 0x7f800000
	s_and_saveexec_b64 s[24:25], s[0:1]
	s_cbranch_execz .LBB229_61
; %bb.35:                               ;   in Loop: Header=BB229_6 Depth=1
	v_cmp_o_f32_e32 vcc, v12, v12
	s_and_saveexec_b64 s[0:1], vcc
	s_xor_b64 s[26:27], exec, s[0:1]
	s_cbranch_execz .LBB229_58
; %bb.36:                               ;   in Loop: Header=BB229_6 Depth=1
	v_cmp_neq_f32_e64 s[0:1], |v12|, s41
	s_and_saveexec_b64 s[2:3], s[0:1]
	s_xor_b64 s[28:29], exec, s[2:3]
	s_cbranch_execz .LBB229_51
; %bb.37:                               ;   in Loop: Header=BB229_6 Depth=1
	v_max_f32_e64 v4, |v13|, |v13|
	v_max_f32_e64 v5, |v12|, |v12|
	v_max_f32_e32 v4, v5, v4
	v_cmp_nle_f32_e64 s[0:1], s42, v4
                                        ; implicit-def: $sgpr30_sgpr31
                                        ; implicit-def: $vgpr4_vgpr5
	s_and_saveexec_b64 s[2:3], s[0:1]
	s_xor_b64 s[2:3], exec, s[2:3]
; %bb.38:                               ;   in Loop: Header=BB229_6 Depth=1
	v_cmp_nle_f32_e64 s[30:31], |v12|, s43
	v_cmp_nle_f32_e64 s[34:35], |v13|, s43
	s_or_b64 vcc, s[30:31], s[34:35]
	v_pk_mul_f32 v[4:5], v[12:13], 4.0 op_sel_hi:[1,0]
	s_xor_b64 s[30:31], vcc, -1
	v_cndmask_b32_e32 v5, v5, v13, vcc
	v_cndmask_b32_e32 v4, v4, v12, vcc
	s_and_b64 s[30:31], s[30:31], exec
                                        ; implicit-def: $vgpr12_vgpr13
; %bb.39:                               ;   in Loop: Header=BB229_6 Depth=1
	s_andn2_saveexec_b64 s[2:3], s[2:3]
; %bb.40:                               ;   in Loop: Header=BB229_6 Depth=1
	v_pk_mul_f32 v[4:5], v[12:13], s[10:11] op_sel_hi:[1,0]
	s_andn2_b64 s[30:31], s[30:31], exec
; %bb.41:                               ;   in Loop: Header=BB229_6 Depth=1
	s_or_b64 exec, exec, s[2:3]
	v_max_f32_e64 v10, |v5|, |v5|
	v_max_f32_e64 v11, |v4|, |v4|
	v_max_f32_e32 v12, v11, v10
	v_cvt_f64_f32_e32 v[10:11], v12
	v_frexp_exp_i32_f64_e32 v10, v[10:11]
	v_sub_u32_e32 v11, 0, v10
	v_ldexp_f32 v13, |v4|, v11
	v_ldexp_f32 v11, |v5|, v11
	v_mul_f32_e32 v11, v11, v11
	v_fmac_f32_e32 v11, v13, v13
	v_sqrt_f32_e32 v11, v11
	v_cmp_neq_f32_e64 s[2:3], s41, v12
	v_cmp_le_f32_e32 vcc, 0, v4
	v_ldexp_f32 v10, v11, v10
	v_cndmask_b32_e64 v12, v17, v10, s[2:3]
                                        ; implicit-def: $vgpr11
                                        ; implicit-def: $vgpr10
	s_and_saveexec_b64 s[2:3], vcc
	s_xor_b64 s[34:35], exec, s[2:3]
	s_cbranch_execz .LBB229_44
; %bb.42:                               ;   in Loop: Header=BB229_6 Depth=1
	v_add_f32_e32 v4, v4, v12
	v_mul_f32_e32 v4, 0.5, v4
	v_mul_f32_e32 v10, 0x4f800000, v4
	v_cmp_gt_f32_e32 vcc, s44, v4
	v_cndmask_b32_e32 v4, v4, v10, vcc
	v_sqrt_f32_e32 v10, v4
	v_add_u32_e32 v11, -1, v10
	v_fma_f32 v13, -v11, v10, v4
	v_add_u32_e32 v12, 1, v10
	v_cmp_ge_f32_e64 s[2:3], 0, v13
	v_cndmask_b32_e64 v11, v10, v11, s[2:3]
	v_fma_f32 v10, -v12, v10, v4
	v_cmp_lt_f32_e64 s[2:3], 0, v10
	v_cndmask_b32_e64 v10, v11, v12, s[2:3]
	v_mul_f32_e32 v11, 0x37800000, v10
	v_cndmask_b32_e32 v10, v10, v11, vcc
	v_cmp_class_f32_e32 vcc, v4, v1
	v_cndmask_b32_e32 v10, v10, v4, vcc
	v_add_f32_e32 v4, v10, v10
	v_div_scale_f32 v11, s[2:3], v4, v4, v5
	v_rcp_f32_e32 v12, v11
	v_fma_f32 v13, -v11, v12, 1.0
	v_fmac_f32_e32 v12, v13, v12
	v_div_scale_f32 v13, vcc, v5, v4, v5
	v_mul_f32_e32 v18, v13, v12
	v_fma_f32 v19, -v11, v18, v13
	v_fmac_f32_e32 v18, v19, v12
	v_fma_f32 v11, -v11, v18, v13
	v_div_fmas_f32 v11, v11, v12, v18
	v_div_fixup_f32 v11, v11, v4, v5
                                        ; implicit-def: $vgpr12
                                        ; implicit-def: $vgpr4_vgpr5
	s_andn2_saveexec_b64 s[34:35], s[34:35]
	s_cbranch_execz .LBB229_46
	s_branch .LBB229_45
.LBB229_43:                             ;   in Loop: Header=BB229_6 Depth=1
	s_or_b64 exec, exec, s[0:1]
	s_andn2_saveexec_b64 s[0:1], s[26:27]
	s_cbranch_execnz .LBB229_30
	s_branch .LBB229_31
.LBB229_44:                             ;   in Loop: Header=BB229_6 Depth=1
	s_andn2_saveexec_b64 s[34:35], s[34:35]
	s_cbranch_execz .LBB229_46
.LBB229_45:                             ;   in Loop: Header=BB229_6 Depth=1
	v_sub_f32_e32 v4, v12, v4
	v_mul_f32_e32 v4, 0.5, v4
	v_mul_f32_e32 v10, 0x4f800000, v4
	v_cmp_gt_f32_e32 vcc, s44, v4
	v_cndmask_b32_e32 v4, v4, v10, vcc
	v_sqrt_f32_e32 v10, v4
	v_add_u32_e32 v11, -1, v10
	v_fma_f32 v13, -v11, v10, v4
	v_add_u32_e32 v12, 1, v10
	v_cmp_ge_f32_e64 s[2:3], 0, v13
	v_cndmask_b32_e64 v11, v10, v11, s[2:3]
	v_fma_f32 v10, -v12, v10, v4
	v_cmp_lt_f32_e64 s[2:3], 0, v10
	v_cndmask_b32_e64 v10, v11, v12, s[2:3]
	v_mul_f32_e32 v11, 0x37800000, v10
	v_cndmask_b32_e32 v10, v10, v11, vcc
	v_cmp_class_f32_e32 vcc, v4, v1
	v_cndmask_b32_e32 v4, v10, v4, vcc
	v_add_f32_e32 v10, v4, v4
	v_and_b32_e32 v11, 0x7fffffff, v5
	v_div_scale_f32 v12, s[2:3], v10, v10, v11
	v_rcp_f32_e32 v13, v12
	v_div_scale_f32 v11, vcc, v11, v10, v11
	v_fma_f32 v18, -v12, v13, 1.0
	v_fmac_f32_e32 v13, v18, v13
	v_mul_f32_e32 v18, v11, v13
	v_fma_f32 v19, -v12, v18, v11
	v_fmac_f32_e32 v18, v19, v13
	v_fma_f32 v11, -v12, v18, v11
	v_div_fmas_f32 v11, v11, v13, v18
	v_div_fixup_f32 v10, v11, v10, |v5|
	v_bfi_b32 v11, s45, v4, v5
.LBB229_46:                             ;   in Loop: Header=BB229_6 Depth=1
	s_or_b64 exec, exec, s[34:35]
                                        ; implicit-def: $vgpr13
	s_and_saveexec_b64 s[2:3], s[0:1]
	s_xor_b64 s[0:1], exec, s[2:3]
	s_cbranch_execz .LBB229_48
; %bb.47:                               ;   in Loop: Header=BB229_6 Depth=1
	v_mul_f32_e32 v4, 0.5, v10
	v_mul_f32_e32 v5, 0.5, v11
	v_cndmask_b32_e64 v12, v10, v4, s[30:31]
	v_cndmask_b32_e64 v13, v11, v5, s[30:31]
                                        ; implicit-def: $vgpr10
                                        ; implicit-def: $vgpr11
	s_andn2_saveexec_b64 s[0:1], s[0:1]
	s_cbranch_execnz .LBB229_49
	s_branch .LBB229_50
.LBB229_48:                             ;   in Loop: Header=BB229_6 Depth=1
	s_andn2_saveexec_b64 s[0:1], s[0:1]
.LBB229_49:                             ;   in Loop: Header=BB229_6 Depth=1
	v_add_f32_e32 v12, v10, v10
	v_add_f32_e32 v13, v11, v11
.LBB229_50:                             ;   in Loop: Header=BB229_6 Depth=1
	s_or_b64 exec, exec, s[0:1]
.LBB229_51:                             ;   in Loop: Header=BB229_6 Depth=1
	s_andn2_saveexec_b64 s[0:1], s[28:29]
	s_cbranch_execz .LBB229_57
; %bb.52:                               ;   in Loop: Header=BB229_6 Depth=1
	v_cmp_lt_i32_e32 vcc, -1, v12
	v_sub_f32_e32 v4, v13, v13
	s_and_saveexec_b64 s[2:3], vcc
	s_xor_b64 s[2:3], exec, s[2:3]
; %bb.53:                               ;   in Loop: Header=BB229_6 Depth=1
	v_bfi_b32 v13, s45, v4, v13
                                        ; implicit-def: $vgpr4
; %bb.54:                               ;   in Loop: Header=BB229_6 Depth=1
	s_andn2_saveexec_b64 s[2:3], s[2:3]
; %bb.55:                               ;   in Loop: Header=BB229_6 Depth=1
	v_and_b32_e32 v4, 0x7fffffff, v4
	v_bfi_b32 v13, s45, v12, v13
	v_mov_b32_e32 v12, v4
; %bb.56:                               ;   in Loop: Header=BB229_6 Depth=1
	s_or_b64 exec, exec, s[2:3]
.LBB229_57:                             ;   in Loop: Header=BB229_6 Depth=1
	s_or_b64 exec, exec, s[0:1]
.LBB229_58:                             ;   in Loop: Header=BB229_6 Depth=1
	s_andn2_saveexec_b64 s[0:1], s[26:27]
; %bb.59:                               ;   in Loop: Header=BB229_6 Depth=1
	v_sub_f32_e32 v4, v13, v13
	v_div_scale_f32 v5, vcc, v4, v4, v4
	v_rcp_f32_e32 v10, v5
	v_fma_f32 v11, -v5, v10, 1.0
	v_fmac_f32_e32 v10, v11, v10
	v_mul_f32_e32 v11, v5, v10
	v_fma_f32 v13, -v5, v11, v5
	v_fmac_f32_e32 v11, v13, v10
	v_fma_f32 v5, -v5, v11, v5
	v_div_fmas_f32 v5, v5, v10, v11
	v_div_fixup_f32 v13, v5, v4, v4
; %bb.60:                               ;   in Loop: Header=BB229_6 Depth=1
	s_or_b64 exec, exec, s[0:1]
	v_mov_b32_e32 v4, v12
.LBB229_61:                             ;   in Loop: Header=BB229_6 Depth=1
	s_or_b64 exec, exec, s[24:25]
.LBB229_62:                             ;   in Loop: Header=BB229_6 Depth=1
	s_or_b64 exec, exec, s[22:23]
	s_waitcnt vmcnt(0)
	v_cmp_neq_f32_e32 vcc, 0, v6
	v_cmp_neq_f32_e64 s[0:1], 0, v7
	s_or_b64 s[0:1], vcc, s[0:1]
	v_mov_b32_e32 v12, 0
	v_mov_b32_e32 v10, 0
	;; [unrolled: 1-line block ×3, first 2 shown]
	s_and_saveexec_b64 s[22:23], s[0:1]
	s_cbranch_execz .LBB229_90
; %bb.63:                               ;   in Loop: Header=BB229_6 Depth=1
	v_cmp_neq_f32_e64 s[0:1], |v7|, s41
	v_mov_b32_e32 v10, 0x7f800000
	v_mov_b32_e32 v11, v7
	s_and_saveexec_b64 s[24:25], s[0:1]
	s_cbranch_execz .LBB229_89
; %bb.64:                               ;   in Loop: Header=BB229_6 Depth=1
	v_cmp_o_f32_e32 vcc, v6, v6
	s_and_saveexec_b64 s[0:1], vcc
	s_xor_b64 s[26:27], exec, s[0:1]
	s_cbranch_execz .LBB229_86
; %bb.65:                               ;   in Loop: Header=BB229_6 Depth=1
	v_cmp_neq_f32_e64 s[0:1], |v6|, s41
	s_and_saveexec_b64 s[2:3], s[0:1]
	s_xor_b64 s[28:29], exec, s[2:3]
	s_cbranch_execz .LBB229_79
; %bb.66:                               ;   in Loop: Header=BB229_6 Depth=1
	v_max_f32_e64 v5, |v7|, |v7|
	v_max_f32_e64 v10, |v6|, |v6|
	v_max_f32_e32 v5, v10, v5
	v_cmp_nle_f32_e64 s[0:1], s42, v5
                                        ; implicit-def: $sgpr30_sgpr31
                                        ; implicit-def: $vgpr10_vgpr11
	s_and_saveexec_b64 s[2:3], s[0:1]
	s_xor_b64 s[2:3], exec, s[2:3]
; %bb.67:                               ;   in Loop: Header=BB229_6 Depth=1
	v_cmp_nle_f32_e64 s[30:31], |v6|, s43
	v_cmp_nle_f32_e64 s[34:35], |v7|, s43
	s_or_b64 vcc, s[30:31], s[34:35]
	v_pk_mul_f32 v[10:11], v[6:7], 4.0 op_sel_hi:[1,0]
	s_xor_b64 s[30:31], vcc, -1
	v_cndmask_b32_e32 v11, v11, v7, vcc
	v_cndmask_b32_e32 v10, v10, v6, vcc
	s_and_b64 s[30:31], s[30:31], exec
; %bb.68:                               ;   in Loop: Header=BB229_6 Depth=1
	s_andn2_saveexec_b64 s[2:3], s[2:3]
; %bb.69:                               ;   in Loop: Header=BB229_6 Depth=1
	v_pk_mul_f32 v[10:11], v[6:7], s[10:11] op_sel_hi:[1,0]
	s_andn2_b64 s[30:31], s[30:31], exec
; %bb.70:                               ;   in Loop: Header=BB229_6 Depth=1
	s_or_b64 exec, exec, s[2:3]
	v_max_f32_e64 v5, |v11|, |v11|
	v_max_f32_e64 v18, |v10|, |v10|
	v_max_f32_e32 v5, v18, v5
	v_cvt_f64_f32_e32 v[18:19], v5
	v_frexp_exp_i32_f64_e32 v18, v[18:19]
	v_sub_u32_e32 v19, 0, v18
	v_ldexp_f32 v20, |v10|, v19
	v_ldexp_f32 v19, |v11|, v19
	v_mul_f32_e32 v19, v19, v19
	v_fmac_f32_e32 v19, v20, v20
	v_sqrt_f32_e32 v19, v19
	v_cmp_neq_f32_e64 s[2:3], s41, v5
	v_cmp_le_f32_e32 vcc, 0, v10
                                        ; implicit-def: $vgpr5
	v_ldexp_f32 v18, v19, v18
	v_cndmask_b32_e64 v19, v17, v18, s[2:3]
                                        ; implicit-def: $vgpr18
	s_and_saveexec_b64 s[2:3], vcc
	s_xor_b64 s[34:35], exec, s[2:3]
	s_cbranch_execz .LBB229_74
; %bb.71:                               ;   in Loop: Header=BB229_6 Depth=1
	v_add_f32_e32 v5, v10, v19
	v_mul_f32_e32 v5, 0.5, v5
	v_mul_f32_e32 v10, 0x4f800000, v5
	v_cmp_gt_f32_e32 vcc, s44, v5
	v_cndmask_b32_e32 v5, v5, v10, vcc
	v_sqrt_f32_e32 v10, v5
	v_add_u32_e32 v18, -1, v10
	v_fma_f32 v20, -v18, v10, v5
	v_add_u32_e32 v19, 1, v10
	v_cmp_ge_f32_e64 s[2:3], 0, v20
	v_cndmask_b32_e64 v18, v10, v18, s[2:3]
	v_fma_f32 v10, -v19, v10, v5
	v_cmp_lt_f32_e64 s[2:3], 0, v10
	v_cndmask_b32_e64 v10, v18, v19, s[2:3]
	v_mul_f32_e32 v18, 0x37800000, v10
	v_cndmask_b32_e32 v10, v10, v18, vcc
	v_cmp_class_f32_e32 vcc, v5, v1
	v_cndmask_b32_e32 v5, v10, v5, vcc
	v_add_f32_e32 v10, v5, v5
	v_div_scale_f32 v18, s[2:3], v10, v10, v11
	v_rcp_f32_e32 v19, v18
	v_fma_f32 v20, -v18, v19, 1.0
	v_fmac_f32_e32 v19, v20, v19
	v_div_scale_f32 v20, vcc, v11, v10, v11
	v_mul_f32_e32 v21, v20, v19
	v_fma_f32 v22, -v18, v21, v20
	v_fmac_f32_e32 v21, v22, v19
	v_fma_f32 v18, -v18, v21, v20
	v_div_fmas_f32 v18, v18, v19, v21
	v_div_fixup_f32 v18, v18, v10, v11
                                        ; implicit-def: $vgpr19
                                        ; implicit-def: $vgpr10_vgpr11
	s_andn2_saveexec_b64 s[34:35], s[34:35]
	s_cbranch_execnz .LBB229_75
.LBB229_72:                             ;   in Loop: Header=BB229_6 Depth=1
	s_or_b64 exec, exec, s[34:35]
	s_and_saveexec_b64 s[2:3], s[0:1]
	s_xor_b64 s[0:1], exec, s[2:3]
	s_cbranch_execz .LBB229_76
.LBB229_73:                             ;   in Loop: Header=BB229_6 Depth=1
	v_mul_f32_e32 v10, 0.5, v5
	v_mul_f32_e32 v11, 0.5, v18
	v_cndmask_b32_e64 v10, v5, v10, s[30:31]
	v_cndmask_b32_e64 v11, v18, v11, s[30:31]
                                        ; implicit-def: $vgpr5
                                        ; implicit-def: $vgpr18
	s_andn2_saveexec_b64 s[0:1], s[0:1]
	s_cbranch_execnz .LBB229_77
	s_branch .LBB229_78
.LBB229_74:                             ;   in Loop: Header=BB229_6 Depth=1
	s_andn2_saveexec_b64 s[34:35], s[34:35]
	s_cbranch_execz .LBB229_72
.LBB229_75:                             ;   in Loop: Header=BB229_6 Depth=1
	v_sub_f32_e32 v5, v19, v10
	v_mul_f32_e32 v5, 0.5, v5
	v_mul_f32_e32 v10, 0x4f800000, v5
	v_cmp_gt_f32_e32 vcc, s44, v5
	v_cndmask_b32_e32 v5, v5, v10, vcc
	v_sqrt_f32_e32 v10, v5
	v_add_u32_e32 v18, -1, v10
	v_fma_f32 v20, -v18, v10, v5
	v_add_u32_e32 v19, 1, v10
	v_cmp_ge_f32_e64 s[2:3], 0, v20
	v_cndmask_b32_e64 v18, v10, v18, s[2:3]
	v_fma_f32 v10, -v19, v10, v5
	v_cmp_lt_f32_e64 s[2:3], 0, v10
	v_cndmask_b32_e64 v10, v18, v19, s[2:3]
	v_mul_f32_e32 v18, 0x37800000, v10
	v_cndmask_b32_e32 v10, v10, v18, vcc
	v_cmp_class_f32_e32 vcc, v5, v1
	v_cndmask_b32_e32 v10, v10, v5, vcc
	v_add_f32_e32 v5, v10, v10
	v_and_b32_e32 v18, 0x7fffffff, v11
	v_div_scale_f32 v19, s[2:3], v5, v5, v18
	v_rcp_f32_e32 v20, v19
	v_div_scale_f32 v18, vcc, v18, v5, v18
	v_fma_f32 v21, -v19, v20, 1.0
	v_fmac_f32_e32 v20, v21, v20
	v_mul_f32_e32 v21, v18, v20
	v_fma_f32 v22, -v19, v21, v18
	v_fmac_f32_e32 v21, v22, v20
	v_fma_f32 v18, -v19, v21, v18
	v_div_fmas_f32 v18, v18, v20, v21
	v_div_fixup_f32 v5, v18, v5, |v11|
	v_bfi_b32 v18, s45, v10, v11
	s_or_b64 exec, exec, s[34:35]
	s_and_saveexec_b64 s[2:3], s[0:1]
	s_xor_b64 s[0:1], exec, s[2:3]
	s_cbranch_execnz .LBB229_73
.LBB229_76:                             ;   in Loop: Header=BB229_6 Depth=1
	s_andn2_saveexec_b64 s[0:1], s[0:1]
.LBB229_77:                             ;   in Loop: Header=BB229_6 Depth=1
	v_add_f32_e32 v10, v5, v5
	v_add_f32_e32 v11, v18, v18
.LBB229_78:                             ;   in Loop: Header=BB229_6 Depth=1
	s_or_b64 exec, exec, s[0:1]
.LBB229_79:                             ;   in Loop: Header=BB229_6 Depth=1
	s_andn2_saveexec_b64 s[0:1], s[28:29]
	s_cbranch_execz .LBB229_85
; %bb.80:                               ;   in Loop: Header=BB229_6 Depth=1
	v_cmp_lt_i32_e32 vcc, -1, v6
	v_sub_f32_e32 v5, v7, v7
	s_and_saveexec_b64 s[2:3], vcc
	s_xor_b64 s[2:3], exec, s[2:3]
; %bb.81:                               ;   in Loop: Header=BB229_6 Depth=1
	v_bfi_b32 v11, s45, v5, v7
                                        ; implicit-def: $vgpr5
; %bb.82:                               ;   in Loop: Header=BB229_6 Depth=1
	s_or_saveexec_b64 s[2:3], s[2:3]
	v_mov_b32_e32 v10, v6
	s_xor_b64 exec, exec, s[2:3]
; %bb.83:                               ;   in Loop: Header=BB229_6 Depth=1
	v_and_b32_e32 v10, 0x7fffffff, v5
	v_bfi_b32 v11, s45, v6, v7
; %bb.84:                               ;   in Loop: Header=BB229_6 Depth=1
	s_or_b64 exec, exec, s[2:3]
.LBB229_85:                             ;   in Loop: Header=BB229_6 Depth=1
	s_or_b64 exec, exec, s[0:1]
.LBB229_86:                             ;   in Loop: Header=BB229_6 Depth=1
	s_andn2_saveexec_b64 s[0:1], s[26:27]
	s_cbranch_execz .LBB229_88
; %bb.87:                               ;   in Loop: Header=BB229_6 Depth=1
	v_sub_f32_e32 v5, v7, v7
	v_div_scale_f32 v7, vcc, v5, v5, v5
	v_rcp_f32_e32 v10, v7
	v_fma_f32 v11, -v7, v10, 1.0
	v_fmac_f32_e32 v10, v11, v10
	v_mul_f32_e32 v11, v7, v10
	v_fma_f32 v18, -v7, v11, v7
	v_fmac_f32_e32 v11, v18, v10
	v_fma_f32 v7, -v7, v11, v7
	v_div_fmas_f32 v7, v7, v10, v11
	v_div_fixup_f32 v11, v7, v5, v5
	v_mov_b32_e32 v10, v6
.LBB229_88:                             ;   in Loop: Header=BB229_6 Depth=1
	s_or_b64 exec, exec, s[0:1]
.LBB229_89:                             ;   in Loop: Header=BB229_6 Depth=1
	s_or_b64 exec, exec, s[24:25]
.LBB229_90:                             ;   in Loop: Header=BB229_6 Depth=1
	s_or_b64 exec, exec, s[22:23]
	v_cmp_neq_f32_e32 vcc, 0, v8
	v_cmp_neq_f32_e64 s[0:1], 0, v9
	s_or_b64 s[0:1], vcc, s[0:1]
	s_and_saveexec_b64 s[22:23], s[0:1]
	s_cbranch_execz .LBB229_5
; %bb.91:                               ;   in Loop: Header=BB229_6 Depth=1
	v_cmp_neq_f32_e64 s[0:1], |v9|, s41
	v_mov_b32_e32 v12, 0x7f800000
	s_and_saveexec_b64 s[24:25], s[0:1]
	s_cbranch_execz .LBB229_4
; %bb.92:                               ;   in Loop: Header=BB229_6 Depth=1
	v_cmp_o_f32_e32 vcc, v8, v8
	s_and_saveexec_b64 s[0:1], vcc
	s_xor_b64 s[26:27], exec, s[0:1]
	s_cbranch_execz .LBB229_114
; %bb.93:                               ;   in Loop: Header=BB229_6 Depth=1
	v_cmp_neq_f32_e64 s[0:1], |v8|, s41
	s_and_saveexec_b64 s[2:3], s[0:1]
	s_xor_b64 s[28:29], exec, s[2:3]
	s_cbranch_execz .LBB229_107
; %bb.94:                               ;   in Loop: Header=BB229_6 Depth=1
	v_max_f32_e64 v5, |v9|, |v9|
	v_max_f32_e64 v6, |v8|, |v8|
	v_max_f32_e32 v5, v6, v5
	v_cmp_nle_f32_e64 s[0:1], s42, v5
                                        ; implicit-def: $sgpr30_sgpr31
                                        ; implicit-def: $vgpr6_vgpr7
	s_and_saveexec_b64 s[2:3], s[0:1]
	s_xor_b64 s[2:3], exec, s[2:3]
; %bb.95:                               ;   in Loop: Header=BB229_6 Depth=1
	v_cmp_nle_f32_e64 s[30:31], |v8|, s43
	v_cmp_nle_f32_e64 s[34:35], |v9|, s43
	s_or_b64 vcc, s[30:31], s[34:35]
	v_pk_mul_f32 v[6:7], v[8:9], 4.0 op_sel_hi:[1,0]
	s_xor_b64 s[30:31], vcc, -1
	v_cndmask_b32_e32 v7, v7, v9, vcc
	v_cndmask_b32_e32 v6, v6, v8, vcc
	s_and_b64 s[30:31], s[30:31], exec
                                        ; implicit-def: $vgpr8_vgpr9
; %bb.96:                               ;   in Loop: Header=BB229_6 Depth=1
	s_andn2_saveexec_b64 s[2:3], s[2:3]
; %bb.97:                               ;   in Loop: Header=BB229_6 Depth=1
	v_pk_mul_f32 v[6:7], v[8:9], s[10:11] op_sel_hi:[1,0]
	s_andn2_b64 s[30:31], s[30:31], exec
; %bb.98:                               ;   in Loop: Header=BB229_6 Depth=1
	s_or_b64 exec, exec, s[2:3]
	v_max_f32_e64 v5, |v7|, |v7|
	v_max_f32_e64 v8, |v6|, |v6|
	v_max_f32_e32 v5, v8, v5
	v_cvt_f64_f32_e32 v[8:9], v5
	v_frexp_exp_i32_f64_e32 v8, v[8:9]
	v_sub_u32_e32 v9, 0, v8
	v_ldexp_f32 v12, |v6|, v9
	v_ldexp_f32 v9, |v7|, v9
	v_mul_f32_e32 v9, v9, v9
	v_fmac_f32_e32 v9, v12, v12
	v_sqrt_f32_e32 v9, v9
	v_cmp_neq_f32_e64 s[2:3], s41, v5
	v_cmp_le_f32_e32 vcc, 0, v6
                                        ; implicit-def: $vgpr12
                                        ; implicit-def: $vgpr5
	v_ldexp_f32 v8, v9, v8
	v_cndmask_b32_e64 v8, v17, v8, s[2:3]
	s_and_saveexec_b64 s[2:3], vcc
	s_xor_b64 s[34:35], exec, s[2:3]
	s_cbranch_execz .LBB229_100
; %bb.99:                               ;   in Loop: Header=BB229_6 Depth=1
	v_add_f32_e32 v5, v6, v8
	v_mul_f32_e32 v5, 0.5, v5
	v_mul_f32_e32 v6, 0x4f800000, v5
	v_cmp_gt_f32_e32 vcc, s44, v5
	v_cndmask_b32_e32 v5, v5, v6, vcc
	v_sqrt_f32_e32 v6, v5
	v_add_u32_e32 v8, -1, v6
	v_fma_f32 v12, -v8, v6, v5
	v_add_u32_e32 v9, 1, v6
	v_cmp_ge_f32_e64 s[2:3], 0, v12
	v_cndmask_b32_e64 v8, v6, v8, s[2:3]
	v_fma_f32 v6, -v9, v6, v5
	v_cmp_lt_f32_e64 s[2:3], 0, v6
	v_cndmask_b32_e64 v6, v8, v9, s[2:3]
	v_mul_f32_e32 v8, 0x37800000, v6
	v_cndmask_b32_e32 v6, v6, v8, vcc
	v_cmp_class_f32_e32 vcc, v5, v1
	v_cndmask_b32_e32 v5, v6, v5, vcc
	v_add_f32_e32 v6, v5, v5
	v_div_scale_f32 v8, s[2:3], v6, v6, v7
	v_rcp_f32_e32 v9, v8
	v_fma_f32 v12, -v8, v9, 1.0
	v_fmac_f32_e32 v9, v12, v9
	v_div_scale_f32 v12, vcc, v7, v6, v7
	v_mul_f32_e32 v18, v12, v9
	v_fma_f32 v19, -v8, v18, v12
	v_fmac_f32_e32 v18, v19, v9
	v_fma_f32 v8, -v8, v18, v12
	v_div_fmas_f32 v8, v8, v9, v18
	v_div_fixup_f32 v12, v8, v6, v7
                                        ; implicit-def: $vgpr8
                                        ; implicit-def: $vgpr6_vgpr7
	s_andn2_saveexec_b64 s[34:35], s[34:35]
	s_cbranch_execz .LBB229_102
	s_branch .LBB229_101
.LBB229_100:                            ;   in Loop: Header=BB229_6 Depth=1
	s_andn2_saveexec_b64 s[34:35], s[34:35]
	s_cbranch_execz .LBB229_102
.LBB229_101:                            ;   in Loop: Header=BB229_6 Depth=1
	v_sub_f32_e32 v5, v8, v6
	v_mul_f32_e32 v5, 0.5, v5
	v_mul_f32_e32 v6, 0x4f800000, v5
	v_cmp_gt_f32_e32 vcc, s44, v5
	v_cndmask_b32_e32 v5, v5, v6, vcc
	v_sqrt_f32_e32 v6, v5
	v_add_u32_e32 v8, -1, v6
	v_fma_f32 v12, -v8, v6, v5
	v_add_u32_e32 v9, 1, v6
	v_cmp_ge_f32_e64 s[2:3], 0, v12
	v_cndmask_b32_e64 v8, v6, v8, s[2:3]
	v_fma_f32 v6, -v9, v6, v5
	v_cmp_lt_f32_e64 s[2:3], 0, v6
	v_cndmask_b32_e64 v6, v8, v9, s[2:3]
	v_mul_f32_e32 v8, 0x37800000, v6
	v_cndmask_b32_e32 v6, v6, v8, vcc
	v_cmp_class_f32_e32 vcc, v5, v1
	v_cndmask_b32_e32 v6, v6, v5, vcc
	v_add_f32_e32 v5, v6, v6
	v_and_b32_e32 v8, 0x7fffffff, v7
	v_div_scale_f32 v9, s[2:3], v5, v5, v8
	v_rcp_f32_e32 v12, v9
	v_div_scale_f32 v8, vcc, v8, v5, v8
	v_fma_f32 v18, -v9, v12, 1.0
	v_fmac_f32_e32 v12, v18, v12
	v_mul_f32_e32 v18, v8, v12
	v_fma_f32 v19, -v9, v18, v8
	v_fmac_f32_e32 v18, v19, v12
	v_fma_f32 v8, -v9, v18, v8
	v_div_fmas_f32 v8, v8, v12, v18
	v_div_fixup_f32 v5, v8, v5, |v7|
	v_bfi_b32 v12, s45, v6, v7
.LBB229_102:                            ;   in Loop: Header=BB229_6 Depth=1
	s_or_b64 exec, exec, s[34:35]
                                        ; implicit-def: $vgpr9
	s_and_saveexec_b64 s[2:3], s[0:1]
	s_xor_b64 s[0:1], exec, s[2:3]
	s_cbranch_execz .LBB229_104
; %bb.103:                              ;   in Loop: Header=BB229_6 Depth=1
	v_mul_f32_e32 v6, 0.5, v5
	v_mul_f32_e32 v7, 0.5, v12
	v_cndmask_b32_e64 v8, v5, v6, s[30:31]
	v_cndmask_b32_e64 v9, v12, v7, s[30:31]
                                        ; implicit-def: $vgpr5
                                        ; implicit-def: $vgpr12
	s_andn2_saveexec_b64 s[0:1], s[0:1]
	s_cbranch_execnz .LBB229_105
	s_branch .LBB229_106
.LBB229_104:                            ;   in Loop: Header=BB229_6 Depth=1
	s_andn2_saveexec_b64 s[0:1], s[0:1]
.LBB229_105:                            ;   in Loop: Header=BB229_6 Depth=1
	v_add_f32_e32 v8, v5, v5
	v_add_f32_e32 v9, v12, v12
.LBB229_106:                            ;   in Loop: Header=BB229_6 Depth=1
	s_or_b64 exec, exec, s[0:1]
.LBB229_107:                            ;   in Loop: Header=BB229_6 Depth=1
	s_andn2_saveexec_b64 s[0:1], s[28:29]
	s_cbranch_execz .LBB229_113
; %bb.108:                              ;   in Loop: Header=BB229_6 Depth=1
	v_cmp_lt_i32_e32 vcc, -1, v8
	v_sub_f32_e32 v5, v9, v9
	s_and_saveexec_b64 s[2:3], vcc
	s_xor_b64 s[2:3], exec, s[2:3]
; %bb.109:                              ;   in Loop: Header=BB229_6 Depth=1
	v_bfi_b32 v9, s45, v5, v9
                                        ; implicit-def: $vgpr5
; %bb.110:                              ;   in Loop: Header=BB229_6 Depth=1
	s_andn2_saveexec_b64 s[2:3], s[2:3]
; %bb.111:                              ;   in Loop: Header=BB229_6 Depth=1
	v_and_b32_e32 v5, 0x7fffffff, v5
	v_bfi_b32 v9, s45, v8, v9
	v_mov_b32_e32 v8, v5
; %bb.112:                              ;   in Loop: Header=BB229_6 Depth=1
	s_or_b64 exec, exec, s[2:3]
.LBB229_113:                            ;   in Loop: Header=BB229_6 Depth=1
	s_or_b64 exec, exec, s[0:1]
.LBB229_114:                            ;   in Loop: Header=BB229_6 Depth=1
	s_andn2_saveexec_b64 s[0:1], s[26:27]
	s_cbranch_execz .LBB229_3
; %bb.115:                              ;   in Loop: Header=BB229_6 Depth=1
	v_sub_f32_e32 v5, v9, v9
	v_div_scale_f32 v6, vcc, v5, v5, v5
	v_rcp_f32_e32 v7, v6
	v_fma_f32 v9, -v6, v7, 1.0
	v_fmac_f32_e32 v7, v9, v7
	v_mul_f32_e32 v9, v6, v7
	v_fma_f32 v12, -v6, v9, v6
	v_fmac_f32_e32 v9, v12, v7
	v_fma_f32 v6, -v6, v9, v6
	v_div_fmas_f32 v6, v6, v7, v9
	v_div_fixup_f32 v9, v6, v5, v5
	s_branch .LBB229_3
.LBB229_116:
	s_or_b64 exec, exec, s[16:17]
	s_mov_b64 s[0:1], 0
.LBB229_117:
	s_andn2_b64 vcc, exec, s[0:1]
	s_cbranch_vccnz .LBB229_249
; %bb.118:
	v_cmp_lt_i64_e64 s[0:1], s[14:15], 1
	s_and_b64 vcc, exec, s[0:1]
	s_cbranch_vccnz .LBB229_249
; %bb.119:
	s_load_dword s0, s[4:5], 0xc5c
	v_mov_b32_e32 v2, 0x10000
	v_mov_b32_e32 v3, 0
	v_cmp_lt_u64_e32 vcc, s[14:15], v[2:3]
	v_lshlrev_b32_e32 v10, 3, v0
	s_waitcnt lgkmcnt(0)
	s_and_b32 s21, s0, 0xffff
	s_and_b64 s[0:1], vcc, exec
	v_mov_b32_e32 v17, s7
	v_add_co_u32_e32 v2, vcc, s6, v10
	v_addc_co_u32_e32 v3, vcc, 0, v17, vcc
	v_mov_b32_e32 v14, s9
	v_add_co_u32_e32 v4, vcc, s8, v10
	v_mov_b32_e32 v1, 0
	v_addc_co_u32_e32 v5, vcc, 0, v14, vcc
	v_mov_b32_e32 v11, v1
	v_add_co_u32_e32 v4, vcc, 4, v4
	v_addc_co_u32_e32 v5, vcc, 0, v5, vcc
	v_mad_u64_u32 v[8:9], s[0:1], s21, 24, v[10:11]
	v_add_co_u32_e32 v6, vcc, s6, v8
	v_addc_co_u32_e32 v7, vcc, v17, v9, vcc
	v_add_co_u32_e32 v8, vcc, s8, v8
	v_addc_co_u32_e32 v9, vcc, v9, v14, vcc
	v_add_co_u32_e32 v8, vcc, 4, v8
	s_cselect_b32 s17, s15, 0
	s_cselect_b32 s16, s14, 0x10000
	v_addc_co_u32_e32 v9, vcc, 0, v9, vcc
	s_lshl_b32 s0, s21, 4
	v_add_co_u32_e32 v15, vcc, s0, v10
	v_addc_co_u32_e64 v16, s[0:1], 0, 0, vcc
	v_add_co_u32_e32 v10, vcc, s6, v15
	v_addc_co_u32_e32 v11, vcc, v17, v16, vcc
	v_add_lshl_u32 v18, v0, s21, 3
	v_mov_b32_e32 v13, s9
	v_add_co_u32_e32 v12, vcc, s8, v18
	v_addc_co_u32_e32 v13, vcc, 0, v13, vcc
	v_add_co_u32_e32 v15, vcc, s8, v15
	v_addc_co_u32_e32 v16, vcc, v16, v14, vcc
	v_add_co_u32_e32 v14, vcc, 4, v15
	s_mov_b32 s2, 0
	v_addc_co_u32_e32 v15, vcc, 0, v16, vcc
	s_lshl_b32 s18, s21, 2
	s_mov_b32 s19, s2
	v_add_co_u32_e32 v16, vcc, s6, v18
	s_lshl_b32 s33, s21, 1
	s_mov_b32 s38, s2
	s_mul_i32 s39, s21, 3
	s_mov_b32 s40, s2
	s_lshl_b32 s41, s21, 5
	s_mov_b32 s42, s2
	v_addc_co_u32_e32 v17, vcc, 0, v17, vcc
	s_mov_b32 s43, 0x7f800000
	s_mov_b32 s44, 0x7ed413cb
	;; [unrolled: 1-line block ×5, first 2 shown]
	v_mov_b32_e32 v32, 0x260
	s_brev_b32 s47, -2
	v_mov_b32_e32 v33, s2
	v_mov_b32_e32 v34, 0x7f800000
	s_mov_b64 s[22:23], s[18:19]
	s_branch .LBB229_121
.LBB229_120:                            ;   in Loop: Header=BB229_121 Depth=1
	s_or_b64 exec, exec, s[0:1]
	v_pk_mov_b32 v[18:19], s[14:15], s[14:15] op_sel:[0,1]
	v_cmp_ge_i64_e32 vcc, s[22:23], v[18:19]
	v_mov_b32_e32 v18, 0xffff
	v_mov_b32_e32 v19, 0
	v_cmp_gt_u64_e64 s[0:1], s[22:23], v[18:19]
	s_or_b64 s[0:1], vcc, s[0:1]
	v_mov_b32_e32 v18, s42
	v_add_co_u32_e32 v2, vcc, s41, v2
	v_addc_co_u32_e32 v3, vcc, v3, v18, vcc
	v_mov_b32_e32 v19, s19
	v_add_co_u32_e32 v0, vcc, s18, v0
	v_addc_co_u32_e32 v1, vcc, v1, v19, vcc
	v_add_co_u32_e32 v4, vcc, s41, v4
	v_addc_co_u32_e32 v5, vcc, v5, v18, vcc
	;; [unrolled: 2-line block ×7, first 2 shown]
	v_add_co_u32_e32 v16, vcc, s41, v16
	s_add_u32 s22, s22, s18
	v_addc_co_u32_e32 v17, vcc, v17, v18, vcc
	s_addc_u32 s23, s23, 0
	s_and_b64 vcc, exec, s[0:1]
	s_cbranch_vccnz .LBB229_249
.LBB229_121:                            ; =>This Inner Loop Header: Depth=1
	v_cmp_gt_u64_e64 s[0:1], s[16:17], v[0:1]
	v_mov_b32_e32 v20, 0
	v_mov_b32_e32 v21, 0
	s_and_saveexec_b64 s[2:3], s[0:1]
	s_cbranch_execz .LBB229_123
; %bb.122:                              ;   in Loop: Header=BB229_121 Depth=1
	v_mov_b32_e32 v19, s13
	v_add_co_u32_e32 v18, vcc, s12, v2
	v_addc_co_u32_e32 v19, vcc, v3, v19, vcc
	global_load_dwordx2 v[20:21], v[18:19], off
.LBB229_123:                            ;   in Loop: Header=BB229_121 Depth=1
	s_or_b64 exec, exec, s[2:3]
	v_add_co_u32_e32 v18, vcc, s21, v0
	v_addc_co_u32_e32 v19, vcc, v33, v1, vcc
	v_cmp_gt_u64_e64 s[2:3], s[16:17], v[18:19]
	v_mov_b32_e32 v18, 0
	v_mov_b32_e32 v22, 0
	;; [unrolled: 1-line block ×3, first 2 shown]
	s_and_saveexec_b64 s[4:5], s[2:3]
	s_cbranch_execz .LBB229_125
; %bb.124:                              ;   in Loop: Header=BB229_121 Depth=1
	v_mov_b32_e32 v19, s13
	v_add_co_u32_e32 v22, vcc, s12, v16
	v_addc_co_u32_e32 v23, vcc, v17, v19, vcc
	global_load_dwordx2 v[22:23], v[22:23], off
.LBB229_125:                            ;   in Loop: Header=BB229_121 Depth=1
	s_or_b64 exec, exec, s[4:5]
	v_mov_b32_e32 v19, s38
	v_add_co_u32_e32 v24, vcc, s33, v0
	v_addc_co_u32_e32 v25, vcc, v19, v1, vcc
	v_cmp_gt_u64_e64 s[4:5], s[16:17], v[24:25]
	v_mov_b32_e32 v19, 0
	s_and_saveexec_b64 s[6:7], s[4:5]
	s_cbranch_execz .LBB229_127
; %bb.126:                              ;   in Loop: Header=BB229_121 Depth=1
	v_mov_b32_e32 v19, s13
	v_add_co_u32_e32 v18, vcc, s12, v10
	v_addc_co_u32_e32 v19, vcc, v11, v19, vcc
	global_load_dwordx2 v[18:19], v[18:19], off
.LBB229_127:                            ;   in Loop: Header=BB229_121 Depth=1
	s_or_b64 exec, exec, s[6:7]
	v_mov_b32_e32 v25, s40
	v_add_co_u32_e32 v24, vcc, s39, v0
	v_addc_co_u32_e32 v25, vcc, v25, v1, vcc
	v_cmp_gt_u64_e64 s[6:7], s[16:17], v[24:25]
	v_mov_b32_e32 v26, 0
	v_mov_b32_e32 v24, 0
	;; [unrolled: 1-line block ×3, first 2 shown]
	s_and_saveexec_b64 s[8:9], s[6:7]
	s_cbranch_execz .LBB229_129
; %bb.128:                              ;   in Loop: Header=BB229_121 Depth=1
	v_mov_b32_e32 v25, s13
	v_add_co_u32_e32 v24, vcc, s12, v6
	v_addc_co_u32_e32 v25, vcc, v7, v25, vcc
	global_load_dwordx2 v[24:25], v[24:25], off
.LBB229_129:                            ;   in Loop: Header=BB229_121 Depth=1
	s_or_b64 exec, exec, s[8:9]
	s_waitcnt vmcnt(0)
	v_cmp_neq_f32_e32 vcc, 0, v20
	v_cmp_neq_f32_e64 s[8:9], 0, v21
	s_or_b64 s[8:9], vcc, s[8:9]
	s_and_saveexec_b64 s[24:25], s[8:9]
	s_cbranch_execz .LBB229_156
; %bb.130:                              ;   in Loop: Header=BB229_121 Depth=1
	v_cmp_neq_f32_e64 s[8:9], |v21|, s43
	v_mov_b32_e32 v26, 0x7f800000
	s_and_saveexec_b64 s[26:27], s[8:9]
	s_cbranch_execz .LBB229_155
; %bb.131:                              ;   in Loop: Header=BB229_121 Depth=1
	v_cmp_o_f32_e32 vcc, v20, v20
	s_and_saveexec_b64 s[8:9], vcc
	s_xor_b64 s[28:29], exec, s[8:9]
	s_cbranch_execz .LBB229_152
; %bb.132:                              ;   in Loop: Header=BB229_121 Depth=1
	v_cmp_neq_f32_e64 s[8:9], |v20|, s43
	s_and_saveexec_b64 s[10:11], s[8:9]
	s_xor_b64 s[30:31], exec, s[10:11]
	s_cbranch_execz .LBB229_146
; %bb.133:                              ;   in Loop: Header=BB229_121 Depth=1
	v_max_f32_e64 v26, |v20|, |v20|
	v_max_f32_e64 v27, |v21|, |v21|
	v_max_f32_e32 v26, v27, v26
	v_cmp_nle_f32_e64 s[8:9], s44, v26
                                        ; implicit-def: $sgpr34_sgpr35
                                        ; implicit-def: $vgpr26_vgpr27
	s_and_saveexec_b64 s[10:11], s[8:9]
	s_xor_b64 s[10:11], exec, s[10:11]
; %bb.134:                              ;   in Loop: Header=BB229_121 Depth=1
	v_cmp_nle_f32_e64 s[34:35], |v20|, s45
	v_cmp_nle_f32_e64 s[36:37], |v21|, s45
	s_or_b64 vcc, s[36:37], s[34:35]
	v_pk_mul_f32 v[26:27], v[20:21], 4.0 op_sel_hi:[1,0]
	s_xor_b64 s[34:35], vcc, -1
	v_cndmask_b32_e32 v27, v27, v21, vcc
	v_cndmask_b32_e32 v26, v26, v20, vcc
	s_and_b64 s[34:35], s[34:35], exec
                                        ; implicit-def: $vgpr20_vgpr21
; %bb.135:                              ;   in Loop: Header=BB229_121 Depth=1
	s_andn2_saveexec_b64 s[10:11], s[10:11]
; %bb.136:                              ;   in Loop: Header=BB229_121 Depth=1
	v_pk_mul_f32 v[26:27], v[20:21], s[20:21] op_sel_hi:[1,0]
	s_andn2_b64 s[34:35], s[34:35], exec
; %bb.137:                              ;   in Loop: Header=BB229_121 Depth=1
	s_or_b64 exec, exec, s[10:11]
	v_max_f32_e64 v20, |v27|, |v27|
	v_max_f32_e64 v21, |v26|, |v26|
	v_max_f32_e32 v28, v21, v20
	v_cvt_f64_f32_e32 v[20:21], v28
	v_frexp_exp_i32_f64_e32 v20, v[20:21]
	v_sub_u32_e32 v21, 0, v20
	v_ldexp_f32 v29, |v26|, v21
	v_ldexp_f32 v21, |v27|, v21
	v_mul_f32_e32 v21, v21, v21
	v_fmac_f32_e32 v21, v29, v29
	v_sqrt_f32_e32 v21, v21
	v_cmp_neq_f32_e64 s[10:11], s43, v28
	v_cmp_le_f32_e32 vcc, 0, v26
                                        ; implicit-def: $vgpr29
                                        ; implicit-def: $vgpr28
	v_ldexp_f32 v20, v21, v20
	v_cndmask_b32_e64 v20, v34, v20, s[10:11]
	s_and_saveexec_b64 s[10:11], vcc
	s_xor_b64 s[36:37], exec, s[10:11]
	s_cbranch_execz .LBB229_139
; %bb.138:                              ;   in Loop: Header=BB229_121 Depth=1
	v_add_f32_e32 v20, v26, v20
	v_mul_f32_e32 v20, 0.5, v20
	v_mul_f32_e32 v21, 0x4f800000, v20
	v_cmp_gt_f32_e32 vcc, s46, v20
	v_cndmask_b32_e32 v20, v20, v21, vcc
	v_sqrt_f32_e32 v21, v20
	v_add_u32_e32 v26, -1, v21
	v_fma_f32 v29, -v26, v21, v20
	v_add_u32_e32 v28, 1, v21
	v_cmp_ge_f32_e64 s[10:11], 0, v29
	v_cndmask_b32_e64 v26, v21, v26, s[10:11]
	v_fma_f32 v21, -v28, v21, v20
	v_cmp_lt_f32_e64 s[10:11], 0, v21
	v_cndmask_b32_e64 v21, v26, v28, s[10:11]
	v_mul_f32_e32 v26, 0x37800000, v21
	v_cndmask_b32_e32 v21, v21, v26, vcc
	v_cmp_class_f32_e32 vcc, v20, v32
	v_cndmask_b32_e32 v28, v21, v20, vcc
	v_add_f32_e32 v20, v28, v28
	v_div_scale_f32 v21, s[10:11], v20, v20, v27
	v_rcp_f32_e32 v26, v21
	v_fma_f32 v29, -v21, v26, 1.0
	v_fmac_f32_e32 v26, v29, v26
	v_div_scale_f32 v29, vcc, v27, v20, v27
	v_mul_f32_e32 v30, v29, v26
	v_fma_f32 v31, -v21, v30, v29
	v_fmac_f32_e32 v30, v31, v26
	v_fma_f32 v21, -v21, v30, v29
	v_div_fmas_f32 v21, v21, v26, v30
	v_div_fixup_f32 v29, v21, v20, v27
                                        ; implicit-def: $vgpr20
                                        ; implicit-def: $vgpr26_vgpr27
	s_andn2_saveexec_b64 s[36:37], s[36:37]
	s_cbranch_execz .LBB229_141
	s_branch .LBB229_140
.LBB229_139:                            ;   in Loop: Header=BB229_121 Depth=1
	s_andn2_saveexec_b64 s[36:37], s[36:37]
	s_cbranch_execz .LBB229_141
.LBB229_140:                            ;   in Loop: Header=BB229_121 Depth=1
	v_sub_f32_e32 v20, v20, v26
	v_mul_f32_e32 v20, 0.5, v20
	v_mul_f32_e32 v21, 0x4f800000, v20
	v_cmp_gt_f32_e32 vcc, s46, v20
	v_cndmask_b32_e32 v20, v20, v21, vcc
	v_sqrt_f32_e32 v21, v20
	v_add_u32_e32 v26, -1, v21
	v_fma_f32 v29, -v26, v21, v20
	v_add_u32_e32 v28, 1, v21
	v_cmp_ge_f32_e64 s[10:11], 0, v29
	v_cndmask_b32_e64 v26, v21, v26, s[10:11]
	v_fma_f32 v21, -v28, v21, v20
	v_cmp_lt_f32_e64 s[10:11], 0, v21
	v_cndmask_b32_e64 v21, v26, v28, s[10:11]
	v_mul_f32_e32 v26, 0x37800000, v21
	v_cndmask_b32_e32 v21, v21, v26, vcc
	v_cmp_class_f32_e32 vcc, v20, v32
	v_cndmask_b32_e32 v20, v21, v20, vcc
	v_add_f32_e32 v21, v20, v20
	v_and_b32_e32 v26, 0x7fffffff, v27
	v_div_scale_f32 v28, s[10:11], v21, v21, v26
	v_rcp_f32_e32 v29, v28
	v_div_scale_f32 v26, vcc, v26, v21, v26
	v_fma_f32 v30, -v28, v29, 1.0
	v_fmac_f32_e32 v29, v30, v29
	v_mul_f32_e32 v30, v26, v29
	v_fma_f32 v31, -v28, v30, v26
	v_fmac_f32_e32 v30, v31, v29
	v_fma_f32 v26, -v28, v30, v26
	v_div_fmas_f32 v26, v26, v29, v30
	v_div_fixup_f32 v28, v26, v21, |v27|
	v_bfi_b32 v29, s47, v20, v27
.LBB229_141:                            ;   in Loop: Header=BB229_121 Depth=1
	s_or_b64 exec, exec, s[36:37]
                                        ; implicit-def: $vgpr21
	s_and_saveexec_b64 s[10:11], s[8:9]
	s_xor_b64 s[8:9], exec, s[10:11]
	s_cbranch_execz .LBB229_143
; %bb.142:                              ;   in Loop: Header=BB229_121 Depth=1
	v_mul_f32_e32 v20, 0.5, v28
	v_mul_f32_e32 v21, 0.5, v29
	v_cndmask_b32_e64 v20, v28, v20, s[34:35]
	v_cndmask_b32_e64 v21, v29, v21, s[34:35]
                                        ; implicit-def: $vgpr28
                                        ; implicit-def: $vgpr29
	s_andn2_saveexec_b64 s[8:9], s[8:9]
	s_cbranch_execnz .LBB229_144
	s_branch .LBB229_145
.LBB229_143:                            ;   in Loop: Header=BB229_121 Depth=1
	s_andn2_saveexec_b64 s[8:9], s[8:9]
.LBB229_144:                            ;   in Loop: Header=BB229_121 Depth=1
	v_add_f32_e32 v20, v28, v28
	v_add_f32_e32 v21, v29, v29
.LBB229_145:                            ;   in Loop: Header=BB229_121 Depth=1
	s_or_b64 exec, exec, s[8:9]
.LBB229_146:                            ;   in Loop: Header=BB229_121 Depth=1
	s_andn2_saveexec_b64 s[8:9], s[30:31]
	s_cbranch_execz .LBB229_166
; %bb.147:                              ;   in Loop: Header=BB229_121 Depth=1
	v_cmp_lt_i32_e32 vcc, -1, v20
	v_sub_f32_e32 v26, v21, v21
	s_and_saveexec_b64 s[10:11], vcc
	s_xor_b64 s[10:11], exec, s[10:11]
; %bb.148:                              ;   in Loop: Header=BB229_121 Depth=1
	v_bfi_b32 v21, s47, v26, v21
                                        ; implicit-def: $vgpr26
; %bb.149:                              ;   in Loop: Header=BB229_121 Depth=1
	s_andn2_saveexec_b64 s[10:11], s[10:11]
; %bb.150:                              ;   in Loop: Header=BB229_121 Depth=1
	v_and_b32_e32 v26, 0x7fffffff, v26
	v_bfi_b32 v21, s47, v20, v21
	v_mov_b32_e32 v20, v26
; %bb.151:                              ;   in Loop: Header=BB229_121 Depth=1
	s_or_b64 exec, exec, s[10:11]
	s_or_b64 exec, exec, s[8:9]
.LBB229_152:                            ;   in Loop: Header=BB229_121 Depth=1
	s_andn2_saveexec_b64 s[8:9], s[28:29]
.LBB229_153:                            ;   in Loop: Header=BB229_121 Depth=1
	v_sub_f32_e32 v21, v21, v21
	v_div_scale_f32 v26, vcc, v21, v21, v21
	v_rcp_f32_e32 v27, v26
	v_fma_f32 v28, -v26, v27, 1.0
	v_fmac_f32_e32 v27, v28, v27
	v_mul_f32_e32 v28, v26, v27
	v_fma_f32 v29, -v26, v28, v26
	v_fmac_f32_e32 v28, v29, v27
	v_fma_f32 v26, -v26, v28, v26
	v_div_fmas_f32 v26, v26, v27, v28
	v_div_fixup_f32 v21, v26, v21, v21
.LBB229_154:                            ;   in Loop: Header=BB229_121 Depth=1
	s_or_b64 exec, exec, s[8:9]
	v_mov_b32_e32 v26, v20
.LBB229_155:                            ;   in Loop: Header=BB229_121 Depth=1
	s_or_b64 exec, exec, s[26:27]
.LBB229_156:                            ;   in Loop: Header=BB229_121 Depth=1
	s_or_b64 exec, exec, s[24:25]
	v_cmp_neq_f32_e32 vcc, 0, v22
	v_cmp_neq_f32_e64 s[8:9], 0, v23
	s_or_b64 s[8:9], vcc, s[8:9]
	v_mov_b32_e32 v20, 0
	v_mov_b32_e32 v28, 0
	s_and_saveexec_b64 s[24:25], s[8:9]
	s_cbranch_execz .LBB229_185
; %bb.157:                              ;   in Loop: Header=BB229_121 Depth=1
	v_cmp_neq_f32_e64 s[8:9], |v23|, s43
	v_mov_b32_e32 v28, 0x7f800000
	s_and_saveexec_b64 s[26:27], s[8:9]
	s_cbranch_execz .LBB229_184
; %bb.158:                              ;   in Loop: Header=BB229_121 Depth=1
	v_cmp_o_f32_e32 vcc, v22, v22
	s_and_saveexec_b64 s[8:9], vcc
	s_xor_b64 s[28:29], exec, s[8:9]
	s_cbranch_execz .LBB229_181
; %bb.159:                              ;   in Loop: Header=BB229_121 Depth=1
	v_cmp_neq_f32_e64 s[8:9], |v22|, s43
	s_and_saveexec_b64 s[10:11], s[8:9]
	s_xor_b64 s[30:31], exec, s[10:11]
	s_cbranch_execz .LBB229_174
; %bb.160:                              ;   in Loop: Header=BB229_121 Depth=1
	v_max_f32_e64 v27, |v22|, |v22|
	v_max_f32_e64 v28, |v23|, |v23|
	v_max_f32_e32 v27, v28, v27
	v_cmp_nle_f32_e64 s[8:9], s44, v27
                                        ; implicit-def: $sgpr34_sgpr35
                                        ; implicit-def: $vgpr28_vgpr29
	s_and_saveexec_b64 s[10:11], s[8:9]
	s_xor_b64 s[10:11], exec, s[10:11]
; %bb.161:                              ;   in Loop: Header=BB229_121 Depth=1
	v_cmp_nle_f32_e64 s[34:35], |v22|, s45
	v_cmp_nle_f32_e64 s[36:37], |v23|, s45
	s_or_b64 vcc, s[36:37], s[34:35]
	v_pk_mul_f32 v[28:29], v[22:23], 4.0 op_sel_hi:[1,0]
	s_xor_b64 s[34:35], vcc, -1
	v_cndmask_b32_e32 v29, v29, v23, vcc
	v_cndmask_b32_e32 v28, v28, v22, vcc
	s_and_b64 s[34:35], s[34:35], exec
                                        ; implicit-def: $vgpr22_vgpr23
; %bb.162:                              ;   in Loop: Header=BB229_121 Depth=1
	s_andn2_saveexec_b64 s[10:11], s[10:11]
; %bb.163:                              ;   in Loop: Header=BB229_121 Depth=1
	v_pk_mul_f32 v[28:29], v[22:23], s[20:21] op_sel_hi:[1,0]
	s_andn2_b64 s[34:35], s[34:35], exec
; %bb.164:                              ;   in Loop: Header=BB229_121 Depth=1
	s_or_b64 exec, exec, s[10:11]
	v_max_f32_e64 v22, |v29|, |v29|
	v_max_f32_e64 v23, |v28|, |v28|
	v_max_f32_e32 v27, v23, v22
	v_cvt_f64_f32_e32 v[22:23], v27
	v_frexp_exp_i32_f64_e32 v22, v[22:23]
	v_sub_u32_e32 v23, 0, v22
	v_ldexp_f32 v30, |v28|, v23
	v_ldexp_f32 v23, |v29|, v23
	v_mul_f32_e32 v23, v23, v23
	v_fmac_f32_e32 v23, v30, v30
	v_sqrt_f32_e32 v23, v23
	v_cmp_neq_f32_e64 s[10:11], s43, v27
	v_cmp_le_f32_e32 vcc, 0, v28
                                        ; implicit-def: $vgpr30
                                        ; implicit-def: $vgpr27
	v_ldexp_f32 v22, v23, v22
	v_cndmask_b32_e64 v22, v34, v22, s[10:11]
	s_and_saveexec_b64 s[10:11], vcc
	s_xor_b64 s[36:37], exec, s[10:11]
	s_cbranch_execz .LBB229_167
; %bb.165:                              ;   in Loop: Header=BB229_121 Depth=1
	v_add_f32_e32 v22, v28, v22
	v_mul_f32_e32 v22, 0.5, v22
	v_mul_f32_e32 v23, 0x4f800000, v22
	v_cmp_gt_f32_e32 vcc, s46, v22
	v_cndmask_b32_e32 v22, v22, v23, vcc
	v_sqrt_f32_e32 v23, v22
	v_add_u32_e32 v27, -1, v23
	v_fma_f32 v30, -v27, v23, v22
	v_add_u32_e32 v28, 1, v23
	v_cmp_ge_f32_e64 s[10:11], 0, v30
	v_cndmask_b32_e64 v27, v23, v27, s[10:11]
	v_fma_f32 v23, -v28, v23, v22
	v_cmp_lt_f32_e64 s[10:11], 0, v23
	v_cndmask_b32_e64 v23, v27, v28, s[10:11]
	v_mul_f32_e32 v27, 0x37800000, v23
	v_cndmask_b32_e32 v23, v23, v27, vcc
	v_cmp_class_f32_e32 vcc, v22, v32
	v_cndmask_b32_e32 v27, v23, v22, vcc
	v_add_f32_e32 v22, v27, v27
	v_div_scale_f32 v23, s[10:11], v22, v22, v29
	v_rcp_f32_e32 v28, v23
	v_fma_f32 v30, -v23, v28, 1.0
	v_fmac_f32_e32 v28, v30, v28
	v_div_scale_f32 v30, vcc, v29, v22, v29
	v_mul_f32_e32 v31, v30, v28
	v_fma_f32 v35, -v23, v31, v30
	v_fmac_f32_e32 v31, v35, v28
	v_fma_f32 v23, -v23, v31, v30
	v_div_fmas_f32 v23, v23, v28, v31
	v_div_fixup_f32 v30, v23, v22, v29
                                        ; implicit-def: $vgpr22
                                        ; implicit-def: $vgpr28_vgpr29
	s_andn2_saveexec_b64 s[36:37], s[36:37]
	s_cbranch_execz .LBB229_169
	s_branch .LBB229_168
.LBB229_166:                            ;   in Loop: Header=BB229_121 Depth=1
	s_or_b64 exec, exec, s[8:9]
	s_andn2_saveexec_b64 s[8:9], s[28:29]
	s_cbranch_execnz .LBB229_153
	s_branch .LBB229_154
.LBB229_167:                            ;   in Loop: Header=BB229_121 Depth=1
	s_andn2_saveexec_b64 s[36:37], s[36:37]
	s_cbranch_execz .LBB229_169
.LBB229_168:                            ;   in Loop: Header=BB229_121 Depth=1
	v_sub_f32_e32 v22, v22, v28
	v_mul_f32_e32 v22, 0.5, v22
	v_mul_f32_e32 v23, 0x4f800000, v22
	v_cmp_gt_f32_e32 vcc, s46, v22
	v_cndmask_b32_e32 v22, v22, v23, vcc
	v_sqrt_f32_e32 v23, v22
	v_add_u32_e32 v27, -1, v23
	v_fma_f32 v30, -v27, v23, v22
	v_add_u32_e32 v28, 1, v23
	v_cmp_ge_f32_e64 s[10:11], 0, v30
	v_cndmask_b32_e64 v27, v23, v27, s[10:11]
	v_fma_f32 v23, -v28, v23, v22
	v_cmp_lt_f32_e64 s[10:11], 0, v23
	v_cndmask_b32_e64 v23, v27, v28, s[10:11]
	v_mul_f32_e32 v27, 0x37800000, v23
	v_cndmask_b32_e32 v23, v23, v27, vcc
	v_cmp_class_f32_e32 vcc, v22, v32
	v_cndmask_b32_e32 v22, v23, v22, vcc
	v_add_f32_e32 v23, v22, v22
	v_and_b32_e32 v27, 0x7fffffff, v29
	v_div_scale_f32 v28, s[10:11], v23, v23, v27
	v_rcp_f32_e32 v30, v28
	v_div_scale_f32 v27, vcc, v27, v23, v27
	v_fma_f32 v31, -v28, v30, 1.0
	v_fmac_f32_e32 v30, v31, v30
	v_mul_f32_e32 v31, v27, v30
	v_fma_f32 v35, -v28, v31, v27
	v_fmac_f32_e32 v31, v35, v30
	v_fma_f32 v27, -v28, v31, v27
	v_div_fmas_f32 v27, v27, v30, v31
	v_div_fixup_f32 v27, v27, v23, |v29|
	v_bfi_b32 v30, s47, v22, v29
.LBB229_169:                            ;   in Loop: Header=BB229_121 Depth=1
	s_or_b64 exec, exec, s[36:37]
                                        ; implicit-def: $vgpr23
	s_and_saveexec_b64 s[10:11], s[8:9]
	s_xor_b64 s[8:9], exec, s[10:11]
	s_cbranch_execz .LBB229_171
; %bb.170:                              ;   in Loop: Header=BB229_121 Depth=1
	v_mul_f32_e32 v22, 0.5, v27
	v_mul_f32_e32 v23, 0.5, v30
	v_cndmask_b32_e64 v22, v27, v22, s[34:35]
	v_cndmask_b32_e64 v23, v30, v23, s[34:35]
                                        ; implicit-def: $vgpr27
                                        ; implicit-def: $vgpr30
	s_andn2_saveexec_b64 s[8:9], s[8:9]
	s_cbranch_execnz .LBB229_172
	s_branch .LBB229_173
.LBB229_171:                            ;   in Loop: Header=BB229_121 Depth=1
	s_andn2_saveexec_b64 s[8:9], s[8:9]
.LBB229_172:                            ;   in Loop: Header=BB229_121 Depth=1
	v_add_f32_e32 v22, v27, v27
	v_add_f32_e32 v23, v30, v30
.LBB229_173:                            ;   in Loop: Header=BB229_121 Depth=1
	s_or_b64 exec, exec, s[8:9]
.LBB229_174:                            ;   in Loop: Header=BB229_121 Depth=1
	s_andn2_saveexec_b64 s[8:9], s[30:31]
	s_cbranch_execz .LBB229_180
; %bb.175:                              ;   in Loop: Header=BB229_121 Depth=1
	v_cmp_lt_i32_e32 vcc, -1, v22
	v_sub_f32_e32 v27, v23, v23
	s_and_saveexec_b64 s[10:11], vcc
	s_xor_b64 s[10:11], exec, s[10:11]
; %bb.176:                              ;   in Loop: Header=BB229_121 Depth=1
	v_bfi_b32 v23, s47, v27, v23
                                        ; implicit-def: $vgpr27
; %bb.177:                              ;   in Loop: Header=BB229_121 Depth=1
	s_andn2_saveexec_b64 s[10:11], s[10:11]
; %bb.178:                              ;   in Loop: Header=BB229_121 Depth=1
	v_and_b32_e32 v27, 0x7fffffff, v27
	v_bfi_b32 v23, s47, v22, v23
	v_mov_b32_e32 v22, v27
; %bb.179:                              ;   in Loop: Header=BB229_121 Depth=1
	s_or_b64 exec, exec, s[10:11]
.LBB229_180:                            ;   in Loop: Header=BB229_121 Depth=1
	s_or_b64 exec, exec, s[8:9]
.LBB229_181:                            ;   in Loop: Header=BB229_121 Depth=1
	s_andn2_saveexec_b64 s[8:9], s[28:29]
; %bb.182:                              ;   in Loop: Header=BB229_121 Depth=1
	v_sub_f32_e32 v23, v23, v23
	v_div_scale_f32 v27, vcc, v23, v23, v23
	v_rcp_f32_e32 v28, v27
	v_fma_f32 v29, -v27, v28, 1.0
	v_fmac_f32_e32 v28, v29, v28
	v_mul_f32_e32 v29, v27, v28
	v_fma_f32 v30, -v27, v29, v27
	v_fmac_f32_e32 v29, v30, v28
	v_fma_f32 v27, -v27, v29, v27
	v_div_fmas_f32 v27, v27, v28, v29
	v_div_fixup_f32 v23, v27, v23, v23
; %bb.183:                              ;   in Loop: Header=BB229_121 Depth=1
	s_or_b64 exec, exec, s[8:9]
	v_mov_b32_e32 v28, v22
.LBB229_184:                            ;   in Loop: Header=BB229_121 Depth=1
	s_or_b64 exec, exec, s[26:27]
.LBB229_185:                            ;   in Loop: Header=BB229_121 Depth=1
	s_or_b64 exec, exec, s[24:25]
	v_cmp_neq_f32_e32 vcc, 0, v18
	v_cmp_neq_f32_e64 s[8:9], 0, v19
	s_or_b64 s[8:9], vcc, s[8:9]
	s_and_saveexec_b64 s[24:25], s[8:9]
	s_cbranch_execz .LBB229_213
; %bb.186:                              ;   in Loop: Header=BB229_121 Depth=1
	v_cmp_neq_f32_e64 s[8:9], |v19|, s43
	v_mov_b32_e32 v20, 0x7f800000
	s_and_saveexec_b64 s[26:27], s[8:9]
	s_cbranch_execz .LBB229_212
; %bb.187:                              ;   in Loop: Header=BB229_121 Depth=1
	v_cmp_o_f32_e32 vcc, v18, v18
	s_and_saveexec_b64 s[8:9], vcc
	s_xor_b64 s[28:29], exec, s[8:9]
	s_cbranch_execz .LBB229_209
; %bb.188:                              ;   in Loop: Header=BB229_121 Depth=1
	v_cmp_neq_f32_e64 s[8:9], |v18|, s43
	s_and_saveexec_b64 s[10:11], s[8:9]
	s_xor_b64 s[30:31], exec, s[10:11]
	s_cbranch_execz .LBB229_202
; %bb.189:                              ;   in Loop: Header=BB229_121 Depth=1
	v_max_f32_e64 v20, |v18|, |v18|
	v_max_f32_e64 v22, |v19|, |v19|
	v_max_f32_e32 v20, v22, v20
	v_cmp_nle_f32_e64 s[8:9], s44, v20
                                        ; implicit-def: $sgpr34_sgpr35
                                        ; implicit-def: $vgpr30_vgpr31
	s_and_saveexec_b64 s[10:11], s[8:9]
	s_xor_b64 s[10:11], exec, s[10:11]
; %bb.190:                              ;   in Loop: Header=BB229_121 Depth=1
	v_cmp_nle_f32_e64 s[34:35], |v18|, s45
	v_cmp_nle_f32_e64 s[36:37], |v19|, s45
	s_or_b64 vcc, s[36:37], s[34:35]
	v_pk_mul_f32 v[30:31], v[18:19], 4.0 op_sel_hi:[1,0]
	s_xor_b64 s[34:35], vcc, -1
	v_cndmask_b32_e32 v31, v31, v19, vcc
	v_cndmask_b32_e32 v30, v30, v18, vcc
	s_and_b64 s[34:35], s[34:35], exec
                                        ; implicit-def: $vgpr18_vgpr19
; %bb.191:                              ;   in Loop: Header=BB229_121 Depth=1
	s_andn2_saveexec_b64 s[10:11], s[10:11]
; %bb.192:                              ;   in Loop: Header=BB229_121 Depth=1
	v_pk_mul_f32 v[30:31], v[18:19], s[20:21] op_sel_hi:[1,0]
	s_andn2_b64 s[34:35], s[34:35], exec
; %bb.193:                              ;   in Loop: Header=BB229_121 Depth=1
	s_or_b64 exec, exec, s[10:11]
	v_max_f32_e64 v18, |v31|, |v31|
	v_max_f32_e64 v19, |v30|, |v30|
	v_max_f32_e32 v20, v19, v18
	v_cvt_f64_f32_e32 v[18:19], v20
	v_frexp_exp_i32_f64_e32 v18, v[18:19]
	v_sub_u32_e32 v19, 0, v18
	v_ldexp_f32 v22, |v30|, v19
	v_ldexp_f32 v19, |v31|, v19
	v_mul_f32_e32 v19, v19, v19
	v_fmac_f32_e32 v19, v22, v22
	v_sqrt_f32_e32 v19, v19
	v_cmp_neq_f32_e64 s[10:11], s43, v20
	v_cmp_le_f32_e32 vcc, 0, v30
                                        ; implicit-def: $vgpr22
                                        ; implicit-def: $vgpr20
	v_ldexp_f32 v18, v19, v18
	v_cndmask_b32_e64 v18, v34, v18, s[10:11]
	s_and_saveexec_b64 s[10:11], vcc
	s_xor_b64 s[36:37], exec, s[10:11]
	s_cbranch_execz .LBB229_195
; %bb.194:                              ;   in Loop: Header=BB229_121 Depth=1
	v_add_f32_e32 v18, v30, v18
	v_mul_f32_e32 v18, 0.5, v18
	v_mul_f32_e32 v19, 0x4f800000, v18
	v_cmp_gt_f32_e32 vcc, s46, v18
	v_cndmask_b32_e32 v18, v18, v19, vcc
	v_sqrt_f32_e32 v19, v18
	v_add_u32_e32 v20, -1, v19
	v_fma_f32 v27, -v20, v19, v18
	v_add_u32_e32 v22, 1, v19
	v_cmp_ge_f32_e64 s[10:11], 0, v27
	v_cndmask_b32_e64 v20, v19, v20, s[10:11]
	v_fma_f32 v19, -v22, v19, v18
	v_cmp_lt_f32_e64 s[10:11], 0, v19
	v_cndmask_b32_e64 v19, v20, v22, s[10:11]
	v_mul_f32_e32 v20, 0x37800000, v19
	v_cndmask_b32_e32 v19, v19, v20, vcc
	v_cmp_class_f32_e32 vcc, v18, v32
	v_cndmask_b32_e32 v20, v19, v18, vcc
	v_add_f32_e32 v18, v20, v20
	v_div_scale_f32 v19, s[10:11], v18, v18, v31
	v_rcp_f32_e32 v22, v19
	v_fma_f32 v27, -v19, v22, 1.0
	v_fmac_f32_e32 v22, v27, v22
	v_div_scale_f32 v27, vcc, v31, v18, v31
	v_mul_f32_e32 v29, v27, v22
	v_fma_f32 v30, -v19, v29, v27
	v_fmac_f32_e32 v29, v30, v22
	v_fma_f32 v19, -v19, v29, v27
	v_div_fmas_f32 v19, v19, v22, v29
	v_div_fixup_f32 v22, v19, v18, v31
                                        ; implicit-def: $vgpr18
                                        ; implicit-def: $vgpr30_vgpr31
	s_andn2_saveexec_b64 s[36:37], s[36:37]
	s_cbranch_execz .LBB229_197
	s_branch .LBB229_196
.LBB229_195:                            ;   in Loop: Header=BB229_121 Depth=1
	s_andn2_saveexec_b64 s[36:37], s[36:37]
	s_cbranch_execz .LBB229_197
.LBB229_196:                            ;   in Loop: Header=BB229_121 Depth=1
	v_sub_f32_e32 v18, v18, v30
	v_mul_f32_e32 v18, 0.5, v18
	v_mul_f32_e32 v19, 0x4f800000, v18
	v_cmp_gt_f32_e32 vcc, s46, v18
	v_cndmask_b32_e32 v18, v18, v19, vcc
	v_sqrt_f32_e32 v19, v18
	v_add_u32_e32 v20, -1, v19
	v_fma_f32 v27, -v20, v19, v18
	v_add_u32_e32 v22, 1, v19
	v_cmp_ge_f32_e64 s[10:11], 0, v27
	v_cndmask_b32_e64 v20, v19, v20, s[10:11]
	v_fma_f32 v19, -v22, v19, v18
	v_cmp_lt_f32_e64 s[10:11], 0, v19
	v_cndmask_b32_e64 v19, v20, v22, s[10:11]
	v_mul_f32_e32 v20, 0x37800000, v19
	v_cndmask_b32_e32 v19, v19, v20, vcc
	v_cmp_class_f32_e32 vcc, v18, v32
	v_cndmask_b32_e32 v18, v19, v18, vcc
	v_add_f32_e32 v19, v18, v18
	v_and_b32_e32 v20, 0x7fffffff, v31
	v_div_scale_f32 v22, s[10:11], v19, v19, v20
	v_rcp_f32_e32 v27, v22
	v_div_scale_f32 v20, vcc, v20, v19, v20
	v_fma_f32 v29, -v22, v27, 1.0
	v_fmac_f32_e32 v27, v29, v27
	v_mul_f32_e32 v29, v20, v27
	v_fma_f32 v30, -v22, v29, v20
	v_fmac_f32_e32 v29, v30, v27
	v_fma_f32 v20, -v22, v29, v20
	v_div_fmas_f32 v20, v20, v27, v29
	v_div_fixup_f32 v20, v20, v19, |v31|
	v_bfi_b32 v22, s47, v18, v31
.LBB229_197:                            ;   in Loop: Header=BB229_121 Depth=1
	s_or_b64 exec, exec, s[36:37]
                                        ; implicit-def: $vgpr19
	s_and_saveexec_b64 s[10:11], s[8:9]
	s_xor_b64 s[8:9], exec, s[10:11]
	s_cbranch_execz .LBB229_199
; %bb.198:                              ;   in Loop: Header=BB229_121 Depth=1
	v_mul_f32_e32 v18, 0.5, v20
	v_mul_f32_e32 v19, 0.5, v22
	v_cndmask_b32_e64 v18, v20, v18, s[34:35]
	v_cndmask_b32_e64 v19, v22, v19, s[34:35]
                                        ; implicit-def: $vgpr20
                                        ; implicit-def: $vgpr22
	s_andn2_saveexec_b64 s[8:9], s[8:9]
	s_cbranch_execnz .LBB229_200
	s_branch .LBB229_201
.LBB229_199:                            ;   in Loop: Header=BB229_121 Depth=1
	s_andn2_saveexec_b64 s[8:9], s[8:9]
.LBB229_200:                            ;   in Loop: Header=BB229_121 Depth=1
	v_add_f32_e32 v18, v20, v20
	v_add_f32_e32 v19, v22, v22
.LBB229_201:                            ;   in Loop: Header=BB229_121 Depth=1
	s_or_b64 exec, exec, s[8:9]
.LBB229_202:                            ;   in Loop: Header=BB229_121 Depth=1
	s_andn2_saveexec_b64 s[8:9], s[30:31]
	s_cbranch_execz .LBB229_208
; %bb.203:                              ;   in Loop: Header=BB229_121 Depth=1
	v_cmp_lt_i32_e32 vcc, -1, v18
	v_sub_f32_e32 v20, v19, v19
	s_and_saveexec_b64 s[10:11], vcc
	s_xor_b64 s[10:11], exec, s[10:11]
; %bb.204:                              ;   in Loop: Header=BB229_121 Depth=1
	v_bfi_b32 v19, s47, v20, v19
                                        ; implicit-def: $vgpr20
; %bb.205:                              ;   in Loop: Header=BB229_121 Depth=1
	s_andn2_saveexec_b64 s[10:11], s[10:11]
; %bb.206:                              ;   in Loop: Header=BB229_121 Depth=1
	v_and_b32_e32 v20, 0x7fffffff, v20
	v_bfi_b32 v19, s47, v18, v19
	v_mov_b32_e32 v18, v20
; %bb.207:                              ;   in Loop: Header=BB229_121 Depth=1
	s_or_b64 exec, exec, s[10:11]
.LBB229_208:                            ;   in Loop: Header=BB229_121 Depth=1
	s_or_b64 exec, exec, s[8:9]
.LBB229_209:                            ;   in Loop: Header=BB229_121 Depth=1
	s_andn2_saveexec_b64 s[8:9], s[28:29]
; %bb.210:                              ;   in Loop: Header=BB229_121 Depth=1
	v_sub_f32_e32 v19, v19, v19
	v_div_scale_f32 v20, vcc, v19, v19, v19
	v_rcp_f32_e32 v22, v20
	v_fma_f32 v27, -v20, v22, 1.0
	v_fmac_f32_e32 v22, v27, v22
	v_mul_f32_e32 v27, v20, v22
	v_fma_f32 v29, -v20, v27, v20
	v_fmac_f32_e32 v27, v29, v22
	v_fma_f32 v20, -v20, v27, v20
	v_div_fmas_f32 v20, v20, v22, v27
	v_div_fixup_f32 v19, v20, v19, v19
; %bb.211:                              ;   in Loop: Header=BB229_121 Depth=1
	s_or_b64 exec, exec, s[8:9]
	v_mov_b32_e32 v20, v18
.LBB229_212:                            ;   in Loop: Header=BB229_121 Depth=1
	s_or_b64 exec, exec, s[26:27]
.LBB229_213:                            ;   in Loop: Header=BB229_121 Depth=1
	s_or_b64 exec, exec, s[24:25]
	v_cmp_neq_f32_e32 vcc, 0, v24
	v_cmp_neq_f32_e64 s[8:9], 0, v25
	s_or_b64 s[8:9], vcc, s[8:9]
	v_mov_b32_e32 v18, 0
	s_and_saveexec_b64 s[24:25], s[8:9]
	s_cbranch_execz .LBB229_223
; %bb.214:                              ;   in Loop: Header=BB229_121 Depth=1
	v_cmp_neq_f32_e64 s[8:9], |v25|, s43
	v_mov_b32_e32 v18, 0x7f800000
	s_and_saveexec_b64 s[26:27], s[8:9]
	s_cbranch_execz .LBB229_244
; %bb.215:                              ;   in Loop: Header=BB229_121 Depth=1
	v_cmp_o_f32_e32 vcc, v24, v24
	s_and_saveexec_b64 s[8:9], vcc
	s_xor_b64 s[28:29], exec, s[8:9]
	s_cbranch_execz .LBB229_241
; %bb.216:                              ;   in Loop: Header=BB229_121 Depth=1
	v_cmp_neq_f32_e64 s[8:9], |v24|, s43
	s_and_saveexec_b64 s[10:11], s[8:9]
	s_xor_b64 s[30:31], exec, s[10:11]
	s_cbranch_execz .LBB229_234
; %bb.217:                              ;   in Loop: Header=BB229_121 Depth=1
	v_max_f32_e64 v18, |v24|, |v24|
	v_max_f32_e64 v22, |v25|, |v25|
	v_max_f32_e32 v18, v22, v18
	v_cmp_nle_f32_e64 s[8:9], s44, v18
                                        ; implicit-def: $sgpr34_sgpr35
                                        ; implicit-def: $vgpr30_vgpr31
	s_and_saveexec_b64 s[10:11], s[8:9]
	s_xor_b64 s[10:11], exec, s[10:11]
; %bb.218:                              ;   in Loop: Header=BB229_121 Depth=1
	v_cmp_nle_f32_e64 s[34:35], |v24|, s45
	v_cmp_nle_f32_e64 s[36:37], |v25|, s45
	s_or_b64 vcc, s[36:37], s[34:35]
	v_pk_mul_f32 v[30:31], v[24:25], 4.0 op_sel_hi:[1,0]
	s_xor_b64 s[34:35], vcc, -1
	v_cndmask_b32_e32 v31, v31, v25, vcc
	v_cndmask_b32_e32 v30, v30, v24, vcc
	s_and_b64 s[34:35], s[34:35], exec
                                        ; implicit-def: $vgpr24_vgpr25
; %bb.219:                              ;   in Loop: Header=BB229_121 Depth=1
	s_andn2_saveexec_b64 s[10:11], s[10:11]
; %bb.220:                              ;   in Loop: Header=BB229_121 Depth=1
	v_pk_mul_f32 v[30:31], v[24:25], s[20:21] op_sel_hi:[1,0]
	s_andn2_b64 s[34:35], s[34:35], exec
; %bb.221:                              ;   in Loop: Header=BB229_121 Depth=1
	s_or_b64 exec, exec, s[10:11]
	v_max_f32_e64 v18, |v31|, |v31|
	v_max_f32_e64 v22, |v30|, |v30|
	v_max_f32_e32 v18, v22, v18
	v_cvt_f64_f32_e32 v[24:25], v18
	v_frexp_exp_i32_f64_e32 v22, v[24:25]
	v_sub_u32_e32 v24, 0, v22
	v_ldexp_f32 v25, |v30|, v24
	v_ldexp_f32 v24, |v31|, v24
	v_mul_f32_e32 v24, v24, v24
	v_fmac_f32_e32 v24, v25, v25
	v_sqrt_f32_e32 v24, v24
	v_cmp_neq_f32_e64 s[10:11], s43, v18
	v_cmp_le_f32_e32 vcc, 0, v30
                                        ; implicit-def: $vgpr18
	v_ldexp_f32 v22, v24, v22
	v_cndmask_b32_e64 v24, v34, v22, s[10:11]
                                        ; implicit-def: $vgpr22
	s_and_saveexec_b64 s[10:11], vcc
	s_xor_b64 s[36:37], exec, s[10:11]
	s_cbranch_execz .LBB229_227
; %bb.222:                              ;   in Loop: Header=BB229_121 Depth=1
	v_add_f32_e32 v18, v30, v24
	v_mul_f32_e32 v18, 0.5, v18
	v_mul_f32_e32 v22, 0x4f800000, v18
	v_cmp_gt_f32_e32 vcc, s46, v18
	v_cndmask_b32_e32 v18, v18, v22, vcc
	v_sqrt_f32_e32 v22, v18
	v_add_u32_e32 v24, -1, v22
	v_fma_f32 v27, -v24, v22, v18
	v_add_u32_e32 v25, 1, v22
	v_cmp_ge_f32_e64 s[10:11], 0, v27
	v_cndmask_b32_e64 v24, v22, v24, s[10:11]
	v_fma_f32 v22, -v25, v22, v18
	v_cmp_lt_f32_e64 s[10:11], 0, v22
	v_cndmask_b32_e64 v22, v24, v25, s[10:11]
	v_mul_f32_e32 v24, 0x37800000, v22
	v_cndmask_b32_e32 v22, v22, v24, vcc
	v_cmp_class_f32_e32 vcc, v18, v32
	v_cndmask_b32_e32 v18, v22, v18, vcc
	v_add_f32_e32 v22, v18, v18
	v_div_scale_f32 v24, s[10:11], v22, v22, v31
	v_rcp_f32_e32 v25, v24
	v_fma_f32 v27, -v24, v25, 1.0
	v_fmac_f32_e32 v25, v27, v25
	v_div_scale_f32 v27, vcc, v31, v22, v31
	v_mul_f32_e32 v29, v27, v25
	v_fma_f32 v30, -v24, v29, v27
	v_fmac_f32_e32 v29, v30, v25
	v_fma_f32 v24, -v24, v29, v27
	v_div_fmas_f32 v24, v24, v25, v29
	v_div_fixup_f32 v22, v24, v22, v31
                                        ; implicit-def: $vgpr24
                                        ; implicit-def: $vgpr30_vgpr31
	s_andn2_saveexec_b64 s[36:37], s[36:37]
	s_cbranch_execz .LBB229_229
	s_branch .LBB229_228
.LBB229_223:                            ;   in Loop: Header=BB229_121 Depth=1
	s_or_b64 exec, exec, s[24:25]
	s_and_saveexec_b64 s[8:9], s[0:1]
	s_xor_b64 s[0:1], exec, s[8:9]
	s_cbranch_execz .LBB229_245
.LBB229_224:                            ;   in Loop: Header=BB229_121 Depth=1
	v_mov_b32_e32 v22, s13
	v_add_co_u32_e32 v30, vcc, s12, v4
	v_addc_co_u32_e32 v31, vcc, v5, v22, vcc
	v_mov_b32_e32 v27, v21
	global_store_dwordx2 v[30:31], v[26:27], off offset:-4
	s_or_b64 exec, exec, s[0:1]
	s_and_saveexec_b64 s[0:1], s[2:3]
	s_cbranch_execnz .LBB229_246
.LBB229_225:                            ;   in Loop: Header=BB229_121 Depth=1
	s_or_b64 exec, exec, s[0:1]
	s_and_saveexec_b64 s[0:1], s[4:5]
	s_cbranch_execz .LBB229_247
.LBB229_226:                            ;   in Loop: Header=BB229_121 Depth=1
	v_mov_b32_e32 v21, s13
	v_add_co_u32_e32 v22, vcc, s12, v14
	v_addc_co_u32_e32 v23, vcc, v15, v21, vcc
	v_mov_b32_e32 v21, v19
	global_store_dwordx2 v[22:23], v[20:21], off offset:-4
	s_or_b64 exec, exec, s[0:1]
	s_and_saveexec_b64 s[0:1], s[6:7]
	s_cbranch_execz .LBB229_120
	s_branch .LBB229_248
.LBB229_227:                            ;   in Loop: Header=BB229_121 Depth=1
	s_andn2_saveexec_b64 s[36:37], s[36:37]
	s_cbranch_execz .LBB229_229
.LBB229_228:                            ;   in Loop: Header=BB229_121 Depth=1
	v_sub_f32_e32 v18, v24, v30
	v_mul_f32_e32 v18, 0.5, v18
	v_mul_f32_e32 v22, 0x4f800000, v18
	v_cmp_gt_f32_e32 vcc, s46, v18
	v_cndmask_b32_e32 v18, v18, v22, vcc
	v_sqrt_f32_e32 v22, v18
	v_add_u32_e32 v24, -1, v22
	v_fma_f32 v27, -v24, v22, v18
	v_add_u32_e32 v25, 1, v22
	v_cmp_ge_f32_e64 s[10:11], 0, v27
	v_cndmask_b32_e64 v24, v22, v24, s[10:11]
	v_fma_f32 v22, -v25, v22, v18
	v_cmp_lt_f32_e64 s[10:11], 0, v22
	v_cndmask_b32_e64 v22, v24, v25, s[10:11]
	v_mul_f32_e32 v24, 0x37800000, v22
	v_cndmask_b32_e32 v22, v22, v24, vcc
	v_cmp_class_f32_e32 vcc, v18, v32
	v_cndmask_b32_e32 v22, v22, v18, vcc
	v_add_f32_e32 v18, v22, v22
	v_and_b32_e32 v24, 0x7fffffff, v31
	v_div_scale_f32 v25, s[10:11], v18, v18, v24
	v_rcp_f32_e32 v27, v25
	v_div_scale_f32 v24, vcc, v24, v18, v24
	v_bfi_b32 v22, s47, v22, v31
	v_fma_f32 v29, -v25, v27, 1.0
	v_fmac_f32_e32 v27, v29, v27
	v_mul_f32_e32 v29, v24, v27
	v_fma_f32 v30, -v25, v29, v24
	v_fmac_f32_e32 v29, v30, v27
	v_fma_f32 v24, -v25, v29, v24
	v_div_fmas_f32 v24, v24, v27, v29
	v_div_fixup_f32 v18, v24, v18, |v31|
.LBB229_229:                            ;   in Loop: Header=BB229_121 Depth=1
	s_or_b64 exec, exec, s[36:37]
                                        ; implicit-def: $vgpr25
	s_and_saveexec_b64 s[10:11], s[8:9]
	s_xor_b64 s[8:9], exec, s[10:11]
	s_cbranch_execz .LBB229_231
; %bb.230:                              ;   in Loop: Header=BB229_121 Depth=1
	v_mul_f32_e32 v24, 0.5, v18
	v_mul_f32_e32 v25, 0.5, v22
	v_cndmask_b32_e64 v24, v18, v24, s[34:35]
	v_cndmask_b32_e64 v25, v22, v25, s[34:35]
                                        ; implicit-def: $vgpr18
                                        ; implicit-def: $vgpr22
	s_andn2_saveexec_b64 s[8:9], s[8:9]
	s_cbranch_execnz .LBB229_232
	s_branch .LBB229_233
.LBB229_231:                            ;   in Loop: Header=BB229_121 Depth=1
	s_andn2_saveexec_b64 s[8:9], s[8:9]
.LBB229_232:                            ;   in Loop: Header=BB229_121 Depth=1
	v_add_f32_e32 v24, v18, v18
	v_add_f32_e32 v25, v22, v22
.LBB229_233:                            ;   in Loop: Header=BB229_121 Depth=1
	s_or_b64 exec, exec, s[8:9]
.LBB229_234:                            ;   in Loop: Header=BB229_121 Depth=1
	s_andn2_saveexec_b64 s[8:9], s[30:31]
	s_cbranch_execz .LBB229_240
; %bb.235:                              ;   in Loop: Header=BB229_121 Depth=1
	v_cmp_lt_i32_e32 vcc, -1, v24
	v_sub_f32_e32 v18, v25, v25
	s_and_saveexec_b64 s[10:11], vcc
	s_xor_b64 s[10:11], exec, s[10:11]
; %bb.236:                              ;   in Loop: Header=BB229_121 Depth=1
	v_bfi_b32 v25, s47, v18, v25
                                        ; implicit-def: $vgpr18
; %bb.237:                              ;   in Loop: Header=BB229_121 Depth=1
	s_andn2_saveexec_b64 s[10:11], s[10:11]
; %bb.238:                              ;   in Loop: Header=BB229_121 Depth=1
	v_and_b32_e32 v18, 0x7fffffff, v18
	v_bfi_b32 v25, s47, v24, v25
	v_mov_b32_e32 v24, v18
; %bb.239:                              ;   in Loop: Header=BB229_121 Depth=1
	s_or_b64 exec, exec, s[10:11]
.LBB229_240:                            ;   in Loop: Header=BB229_121 Depth=1
	s_or_b64 exec, exec, s[8:9]
.LBB229_241:                            ;   in Loop: Header=BB229_121 Depth=1
	s_andn2_saveexec_b64 s[8:9], s[28:29]
; %bb.242:                              ;   in Loop: Header=BB229_121 Depth=1
	v_sub_f32_e32 v18, v25, v25
	v_div_scale_f32 v22, vcc, v18, v18, v18
	v_rcp_f32_e32 v25, v22
	v_fma_f32 v27, -v22, v25, 1.0
	v_fmac_f32_e32 v25, v27, v25
	v_mul_f32_e32 v27, v22, v25
	v_fma_f32 v29, -v22, v27, v22
	v_fmac_f32_e32 v27, v29, v25
	v_fma_f32 v22, -v22, v27, v22
	v_div_fmas_f32 v22, v22, v25, v27
	v_div_fixup_f32 v25, v22, v18, v18
; %bb.243:                              ;   in Loop: Header=BB229_121 Depth=1
	s_or_b64 exec, exec, s[8:9]
	v_mov_b32_e32 v18, v24
.LBB229_244:                            ;   in Loop: Header=BB229_121 Depth=1
	s_or_b64 exec, exec, s[26:27]
	s_or_b64 exec, exec, s[24:25]
	s_and_saveexec_b64 s[8:9], s[0:1]
	s_xor_b64 s[0:1], exec, s[8:9]
	s_cbranch_execnz .LBB229_224
.LBB229_245:                            ;   in Loop: Header=BB229_121 Depth=1
	s_or_b64 exec, exec, s[0:1]
	s_and_saveexec_b64 s[0:1], s[2:3]
	s_cbranch_execz .LBB229_225
.LBB229_246:                            ;   in Loop: Header=BB229_121 Depth=1
	v_mov_b32_e32 v21, s13
	v_add_co_u32_e32 v26, vcc, s12, v12
	v_addc_co_u32_e32 v27, vcc, v13, v21, vcc
	v_mov_b32_e32 v29, v23
	global_store_dwordx2 v[26:27], v[28:29], off
	s_or_b64 exec, exec, s[0:1]
	s_and_saveexec_b64 s[0:1], s[4:5]
	s_cbranch_execnz .LBB229_226
.LBB229_247:                            ;   in Loop: Header=BB229_121 Depth=1
	s_or_b64 exec, exec, s[0:1]
	s_and_saveexec_b64 s[0:1], s[6:7]
	s_cbranch_execz .LBB229_120
.LBB229_248:                            ;   in Loop: Header=BB229_121 Depth=1
	v_mov_b32_e32 v19, s13
	v_add_co_u32_e32 v20, vcc, s12, v8
	v_addc_co_u32_e32 v21, vcc, v9, v19, vcc
	v_mov_b32_e32 v19, v25
	global_store_dwordx2 v[20:21], v[18:19], off offset:-4
	s_branch .LBB229_120
.LBB229_249:
	s_endpgm
	.section	.rodata,"a",@progbits
	.p2align	6, 0x0
	.amdhsa_kernel _ZN2at6native12_GLOBAL__N_125multi_tensor_apply_kernelINS1_18TensorListMetadataILi2EEENS1_14UnaryOpFunctorIN3c107complexIfEELi2ELi1ELi1EEEJNS0_4SqrtIS8_EEEEEvT_T0_DpT1_
		.amdhsa_group_segment_fixed_size 0
		.amdhsa_private_segment_fixed_size 0
		.amdhsa_kernarg_size 3408
		.amdhsa_user_sgpr_count 6
		.amdhsa_user_sgpr_private_segment_buffer 1
		.amdhsa_user_sgpr_dispatch_ptr 0
		.amdhsa_user_sgpr_queue_ptr 0
		.amdhsa_user_sgpr_kernarg_segment_ptr 1
		.amdhsa_user_sgpr_dispatch_id 0
		.amdhsa_user_sgpr_flat_scratch_init 0
		.amdhsa_user_sgpr_kernarg_preload_length 0
		.amdhsa_user_sgpr_kernarg_preload_offset 0
		.amdhsa_user_sgpr_private_segment_size 0
		.amdhsa_uses_dynamic_stack 0
		.amdhsa_system_sgpr_private_segment_wavefront_offset 0
		.amdhsa_system_sgpr_workgroup_id_x 1
		.amdhsa_system_sgpr_workgroup_id_y 0
		.amdhsa_system_sgpr_workgroup_id_z 0
		.amdhsa_system_sgpr_workgroup_info 0
		.amdhsa_system_vgpr_workitem_id 0
		.amdhsa_next_free_vgpr 36
		.amdhsa_next_free_sgpr 48
		.amdhsa_accum_offset 36
		.amdhsa_reserve_vcc 1
		.amdhsa_reserve_flat_scratch 0
		.amdhsa_float_round_mode_32 0
		.amdhsa_float_round_mode_16_64 0
		.amdhsa_float_denorm_mode_32 3
		.amdhsa_float_denorm_mode_16_64 3
		.amdhsa_dx10_clamp 1
		.amdhsa_ieee_mode 1
		.amdhsa_fp16_overflow 0
		.amdhsa_tg_split 0
		.amdhsa_exception_fp_ieee_invalid_op 0
		.amdhsa_exception_fp_denorm_src 0
		.amdhsa_exception_fp_ieee_div_zero 0
		.amdhsa_exception_fp_ieee_overflow 0
		.amdhsa_exception_fp_ieee_underflow 0
		.amdhsa_exception_fp_ieee_inexact 0
		.amdhsa_exception_int_div_zero 0
	.end_amdhsa_kernel
	.section	.text._ZN2at6native12_GLOBAL__N_125multi_tensor_apply_kernelINS1_18TensorListMetadataILi2EEENS1_14UnaryOpFunctorIN3c107complexIfEELi2ELi1ELi1EEEJNS0_4SqrtIS8_EEEEEvT_T0_DpT1_,"axG",@progbits,_ZN2at6native12_GLOBAL__N_125multi_tensor_apply_kernelINS1_18TensorListMetadataILi2EEENS1_14UnaryOpFunctorIN3c107complexIfEELi2ELi1ELi1EEEJNS0_4SqrtIS8_EEEEEvT_T0_DpT1_,comdat
.Lfunc_end229:
	.size	_ZN2at6native12_GLOBAL__N_125multi_tensor_apply_kernelINS1_18TensorListMetadataILi2EEENS1_14UnaryOpFunctorIN3c107complexIfEELi2ELi1ELi1EEEJNS0_4SqrtIS8_EEEEEvT_T0_DpT1_, .Lfunc_end229-_ZN2at6native12_GLOBAL__N_125multi_tensor_apply_kernelINS1_18TensorListMetadataILi2EEENS1_14UnaryOpFunctorIN3c107complexIfEELi2ELi1ELi1EEEJNS0_4SqrtIS8_EEEEEvT_T0_DpT1_
                                        ; -- End function
	.section	.AMDGPU.csdata,"",@progbits
; Kernel info:
; codeLenInByte = 8672
; NumSgprs: 52
; NumVgprs: 36
; NumAgprs: 0
; TotalNumVgprs: 36
; ScratchSize: 0
; MemoryBound: 0
; FloatMode: 240
; IeeeMode: 1
; LDSByteSize: 0 bytes/workgroup (compile time only)
; SGPRBlocks: 6
; VGPRBlocks: 4
; NumSGPRsForWavesPerEU: 52
; NumVGPRsForWavesPerEU: 36
; AccumOffset: 36
; Occupancy: 8
; WaveLimiterHint : 0
; COMPUTE_PGM_RSRC2:SCRATCH_EN: 0
; COMPUTE_PGM_RSRC2:USER_SGPR: 6
; COMPUTE_PGM_RSRC2:TRAP_HANDLER: 0
; COMPUTE_PGM_RSRC2:TGID_X_EN: 1
; COMPUTE_PGM_RSRC2:TGID_Y_EN: 0
; COMPUTE_PGM_RSRC2:TGID_Z_EN: 0
; COMPUTE_PGM_RSRC2:TIDIG_COMP_CNT: 0
; COMPUTE_PGM_RSRC3_GFX90A:ACCUM_OFFSET: 8
; COMPUTE_PGM_RSRC3_GFX90A:TG_SPLIT: 0
	.section	.text._ZN2at6native12_GLOBAL__N_125multi_tensor_apply_kernelINS1_18TensorListMetadataILi2EEENS1_14UnaryOpFunctorIN3c104HalfELi2ELi1ELi1EEEJNS0_4SqrtIfEEEEEvT_T0_DpT1_,"axG",@progbits,_ZN2at6native12_GLOBAL__N_125multi_tensor_apply_kernelINS1_18TensorListMetadataILi2EEENS1_14UnaryOpFunctorIN3c104HalfELi2ELi1ELi1EEEJNS0_4SqrtIfEEEEEvT_T0_DpT1_,comdat
	.globl	_ZN2at6native12_GLOBAL__N_125multi_tensor_apply_kernelINS1_18TensorListMetadataILi2EEENS1_14UnaryOpFunctorIN3c104HalfELi2ELi1ELi1EEEJNS0_4SqrtIfEEEEEvT_T0_DpT1_ ; -- Begin function _ZN2at6native12_GLOBAL__N_125multi_tensor_apply_kernelINS1_18TensorListMetadataILi2EEENS1_14UnaryOpFunctorIN3c104HalfELi2ELi1ELi1EEEJNS0_4SqrtIfEEEEEvT_T0_DpT1_
	.p2align	8
	.type	_ZN2at6native12_GLOBAL__N_125multi_tensor_apply_kernelINS1_18TensorListMetadataILi2EEENS1_14UnaryOpFunctorIN3c104HalfELi2ELi1ELi1EEEJNS0_4SqrtIfEEEEEvT_T0_DpT1_,@function
_ZN2at6native12_GLOBAL__N_125multi_tensor_apply_kernelINS1_18TensorListMetadataILi2EEENS1_14UnaryOpFunctorIN3c104HalfELi2ELi1ELi1EEEJNS0_4SqrtIfEEEEEvT_T0_DpT1_: ; @_ZN2at6native12_GLOBAL__N_125multi_tensor_apply_kernelINS1_18TensorListMetadataILi2EEENS1_14UnaryOpFunctorIN3c104HalfELi2ELi1ELi1EEEJNS0_4SqrtIfEEEEEvT_T0_DpT1_
; %bb.0:
	v_mov_b32_e32 v1, s6
	global_load_ubyte v1, v1, s[4:5] offset:1536
	s_add_u32 s0, s4, s6
	s_mul_hi_u32 s2, s6, 3
	s_mul_i32 s6, s6, 3
	s_addc_u32 s9, s5, 0
	s_add_u32 s8, s0, s6
	s_addc_u32 s9, s9, s2
	s_load_dword s10, s[8:9], 0x740
	s_mov_b32 s1, 0
	s_mov_b32 s7, s1
	;; [unrolled: 1-line block ×3, first 2 shown]
	s_waitcnt lgkmcnt(0)
	s_ashr_i32 s11, s10, 31
	s_lshl_b64 s[8:9], s[10:11], 17
	s_waitcnt vmcnt(0)
	v_readfirstlane_b32 s0, v1
	s_lshl_b32 s0, s0, 3
	s_load_dwordx2 s[16:17], s[4:5], s0 offset:0x0
	s_load_dwordx2 s[12:13], s[4:5], s0 offset:0x400
	;; [unrolled: 1-line block ×3, first 2 shown]
	s_waitcnt lgkmcnt(0)
	s_add_u32 s22, s16, s8
	s_addc_u32 s23, s17, s9
	s_and_b32 s0, s22, 7
	s_add_u32 s24, s14, s8
	s_addc_u32 s25, s15, s9
	s_and_b32 s6, s12, 3
	s_and_b32 s2, s24, 7
	s_or_b64 s[6:7], s[0:1], s[6:7]
	s_or_b64 s[2:3], s[2:3], s[6:7]
	s_lshl_b64 s[6:7], s[10:11], 16
	s_sub_u32 s10, s12, s6
	s_subb_u32 s11, s13, s7
	s_cmp_eq_u64 s[2:3], 0
	s_mov_b64 s[2:3], -1
	s_cbranch_scc0 .LBB230_5
; %bb.1:
	v_mov_b32_e32 v3, 0
	v_lshlrev_b32_e32 v2, 2, v0
	v_cmp_gt_i64_e32 vcc, s[10:11], v[2:3]
	s_and_saveexec_b64 s[12:13], vcc
	s_cbranch_execz .LBB230_4
; %bb.2:
	s_load_dword s0, s[4:5], 0xc5c
	v_lshlrev_b32_e32 v4, 3, v0
	s_mov_b64 s[18:19], 0
	s_mov_b32 s28, 0xf800000
	v_mov_b32_e32 v1, 0x260
	s_waitcnt lgkmcnt(0)
	s_and_b32 s0, s0, 0xffff
	v_add_lshl_u32 v2, v0, s0, 2
	s_lshl_b32 s26, s0, 2
	s_lshl_b32 s27, s0, 3
	s_mov_b64 s[20:21], 0xffff
	v_mov_b32_e32 v5, s1
.LBB230_3:                              ; =>This Inner Loop Header: Depth=1
	v_mov_b32_e32 v7, s23
	v_add_co_u32_e32 v6, vcc, s22, v4
	v_addc_co_u32_e32 v7, vcc, 0, v7, vcc
	global_load_dwordx2 v[6:7], v[6:7], off
	v_cmp_le_i64_e32 vcc, s[10:11], v[2:3]
	v_cmp_lt_u64_e64 s[0:1], s[20:21], v[2:3]
	v_add_co_u32_e64 v2, s[2:3], s26, v2
	v_addc_co_u32_e64 v3, s[2:3], v3, v5, s[2:3]
	v_mov_b32_e32 v9, s25
	v_add_co_u32_e64 v8, s[2:3], s24, v4
	v_addc_co_u32_e64 v9, s[2:3], 0, v9, s[2:3]
	s_or_b64 s[30:31], vcc, s[0:1]
	s_add_u32 s22, s22, s27
	s_addc_u32 s23, s23, 0
	s_add_u32 s24, s24, s27
	s_addc_u32 s25, s25, 0
	s_waitcnt vmcnt(0)
	v_cvt_f32_f16_e32 v10, v6
	v_cvt_f32_f16_sdwa v6, v6 dst_sel:DWORD dst_unused:UNUSED_PAD src0_sel:WORD_1
	v_cvt_f32_f16_e32 v11, v7
	v_cvt_f32_f16_sdwa v7, v7 dst_sel:DWORD dst_unused:UNUSED_PAD src0_sel:WORD_1
	v_mul_f32_e32 v12, 0x4f800000, v10
	v_mul_f32_e32 v13, 0x4f800000, v6
	v_cmp_gt_f32_e32 vcc, s28, v6
	v_mul_f32_e32 v14, 0x4f800000, v11
	v_cmp_gt_f32_e64 s[0:1], s28, v11
	v_mul_f32_e32 v15, 0x4f800000, v7
	v_cmp_gt_f32_e64 s[2:3], s28, v7
	v_cmp_gt_f32_e64 s[6:7], s28, v10
	v_cndmask_b32_e64 v10, v10, v12, s[6:7]
	v_cndmask_b32_e32 v6, v6, v13, vcc
	v_cndmask_b32_e64 v11, v11, v14, s[0:1]
	v_cndmask_b32_e64 v7, v7, v15, s[2:3]
	v_rsq_f32_e32 v12, v10
	v_rsq_f32_e32 v13, v6
	;; [unrolled: 1-line block ×4, first 2 shown]
	v_mul_f32_e32 v16, v10, v12
	v_mul_f32_e32 v12, 0.5, v12
	v_mul_f32_e32 v17, v6, v13
	v_mul_f32_e32 v13, 0.5, v13
	v_mul_f32_e32 v18, v11, v14
	v_mul_f32_e32 v14, 0.5, v14
	v_mul_f32_e32 v19, v7, v15
	v_mul_f32_e32 v15, 0.5, v15
	v_fma_f32 v20, -v12, v16, 0.5
	v_fma_f32 v21, -v13, v17, 0.5
	;; [unrolled: 1-line block ×4, first 2 shown]
	v_fmac_f32_e32 v16, v16, v20
	v_fmac_f32_e32 v17, v17, v21
	;; [unrolled: 1-line block ×8, first 2 shown]
	v_fma_f32 v20, -v16, v16, v10
	v_fma_f32 v21, -v17, v17, v6
	;; [unrolled: 1-line block ×4, first 2 shown]
	v_fmac_f32_e32 v16, v20, v12
	v_fmac_f32_e32 v17, v21, v13
	;; [unrolled: 1-line block ×4, first 2 shown]
	v_mul_f32_e32 v12, 0x37800000, v16
	v_mul_f32_e32 v13, 0x37800000, v17
	;; [unrolled: 1-line block ×4, first 2 shown]
	v_cndmask_b32_e64 v12, v16, v12, s[6:7]
	v_cndmask_b32_e32 v13, v17, v13, vcc
	v_cmp_class_f32_e32 vcc, v6, v1
	v_cndmask_b32_e64 v14, v18, v14, s[0:1]
	v_cmp_class_f32_e64 s[0:1], v11, v1
	v_cndmask_b32_e64 v15, v19, v15, s[2:3]
	v_cmp_class_f32_e64 s[2:3], v7, v1
	v_cmp_class_f32_e64 s[6:7], v10, v1
	v_cndmask_b32_e64 v10, v12, v10, s[6:7]
	v_cndmask_b32_e32 v6, v13, v6, vcc
	v_cndmask_b32_e64 v11, v14, v11, s[0:1]
	v_cndmask_b32_e64 v7, v15, v7, s[2:3]
	v_cvt_f16_f32_e32 v10, v10
	v_cvt_f16_f32_e32 v11, v11
	;; [unrolled: 1-line block ×4, first 2 shown]
	s_and_b64 s[0:1], exec, s[30:31]
	s_or_b64 s[18:19], s[0:1], s[18:19]
	v_pack_b32_f16 v7, v11, v7
	v_pack_b32_f16 v6, v10, v6
	global_store_dwordx2 v[8:9], v[6:7], off
	s_andn2_b64 exec, exec, s[18:19]
	s_cbranch_execnz .LBB230_3
.LBB230_4:
	s_or_b64 exec, exec, s[12:13]
	s_mov_b64 s[2:3], 0
.LBB230_5:
	s_andn2_b64 vcc, exec, s[2:3]
	s_cbranch_vccnz .LBB230_25
; %bb.6:
	v_cmp_lt_i64_e64 s[0:1], s[10:11], 1
	s_and_b64 vcc, exec, s[0:1]
	s_cbranch_vccnz .LBB230_25
; %bb.7:
	s_load_dword s0, s[4:5], 0xc5c
	v_mov_b32_e32 v2, 0x10000
	v_mov_b32_e32 v3, 0
	v_cmp_lt_u64_e32 vcc, s[10:11], v[2:3]
	v_lshlrev_b32_e32 v10, 1, v0
	s_waitcnt lgkmcnt(0)
	s_and_b32 s2, s0, 0xffff
	s_and_b64 s[0:1], vcc, exec
	v_mov_b32_e32 v13, s17
	v_add_co_u32_e32 v2, vcc, s16, v10
	v_addc_co_u32_e32 v1, vcc, 0, v13, vcc
	v_mov_b32_e32 v11, 0
	v_mov_b32_e32 v15, s15
	v_add_co_u32_e32 v4, vcc, s14, v10
	v_addc_co_u32_e32 v3, vcc, 0, v15, vcc
	v_mad_u64_u32 v[8:9], s[0:1], s2, 6, v[10:11]
	v_add_co_u32_e32 v6, vcc, s16, v8
	v_addc_co_u32_e32 v5, vcc, v13, v9, vcc
	v_add_co_u32_e32 v8, vcc, s14, v8
	s_mul_i32 s4, s2, 3
	v_addc_co_u32_e32 v7, vcc, v15, v9, vcc
	s_cselect_b32 s13, s11, 0
	s_cselect_b32 s12, s10, 0x10000
	s_lshl_b32 s19, s2, 2
	v_add_co_u32_e32 v17, vcc, s4, v0
	v_addc_co_u32_e64 v18, s[0:1], 0, 0, vcc
	v_add_co_u32_e32 v11, vcc, s19, v10
	v_addc_co_u32_e64 v14, s[0:1], 0, 0, vcc
	v_add_co_u32_e32 v10, vcc, s16, v11
	v_addc_co_u32_e32 v9, vcc, v13, v14, vcc
	v_add_co_u32_e32 v12, vcc, s14, v11
	s_lshl_b32 s3, s2, 1
	v_addc_co_u32_e32 v11, vcc, v15, v14, vcc
	v_add_co_u32_e32 v19, vcc, s3, v0
	v_addc_co_u32_e64 v20, s[0:1], 0, 0, vcc
	v_add_co_u32_e32 v21, vcc, s2, v0
	v_lshlrev_b32_e32 v16, 1, v21
	v_addc_co_u32_e64 v22, s[0:1], 0, 0, vcc
	v_add_co_u32_e32 v14, vcc, s16, v16
	v_addc_co_u32_e32 v13, vcc, 0, v13, vcc
	v_add_co_u32_e32 v16, vcc, s14, v16
	s_mov_b32 s18, 0
	s_lshl_b32 s20, s2, 3
	v_addc_co_u32_e32 v15, vcc, 0, v15, vcc
	s_mov_b64 s[14:15], 0
	s_mov_b32 s21, 0xf800000
	v_mov_b32_e32 v23, 0x260
	s_branch .LBB230_9
.LBB230_8:                              ;   in Loop: Header=BB230_9 Depth=1
	s_or_b64 exec, exec, s[0:1]
	s_add_u32 s14, s14, s19
	s_addc_u32 s15, s15, 0
	s_waitcnt vmcnt(0)
	v_pk_mov_b32 v[24:25], s[10:11], s[10:11] op_sel:[0,1]
	v_cmp_ge_i64_e32 vcc, s[14:15], v[24:25]
	v_mov_b32_e32 v24, 0xffff
	v_mov_b32_e32 v25, 0
	v_cmp_gt_u64_e64 s[0:1], s[14:15], v[24:25]
	s_or_b64 s[0:1], vcc, s[0:1]
	v_mov_b32_e32 v24, s18
	v_add_co_u32_e32 v2, vcc, s20, v2
	v_addc_co_u32_e32 v1, vcc, v1, v24, vcc
	v_add_co_u32_e32 v4, vcc, s20, v4
	v_addc_co_u32_e32 v3, vcc, v3, v24, vcc
	;; [unrolled: 2-line block ×8, first 2 shown]
	s_and_b64 vcc, exec, s[0:1]
	s_cbranch_vccnz .LBB230_25
.LBB230_9:                              ; =>This Inner Loop Header: Depth=1
	v_mov_b32_e32 v25, s15
	v_add_co_u32_e32 v24, vcc, s14, v0
	v_addc_co_u32_e32 v25, vcc, 0, v25, vcc
	v_cmp_gt_u64_e64 s[4:5], s[12:13], v[24:25]
	v_mov_b32_e32 v27, 0
	s_and_saveexec_b64 s[0:1], s[4:5]
	s_cbranch_execz .LBB230_11
; %bb.10:                               ;   in Loop: Header=BB230_9 Depth=1
	v_mov_b32_e32 v25, s9
	v_add_co_u32_e32 v24, vcc, s8, v2
	v_addc_co_u32_e32 v25, vcc, v1, v25, vcc
	global_load_ushort v27, v[24:25], off
.LBB230_11:                             ;   in Loop: Header=BB230_9 Depth=1
	s_or_b64 exec, exec, s[0:1]
	v_mov_b32_e32 v25, s15
	v_add_co_u32_e32 v24, vcc, s14, v21
	v_addc_co_u32_e32 v25, vcc, v22, v25, vcc
	v_cmp_gt_u64_e64 s[2:3], s[12:13], v[24:25]
	v_mov_b32_e32 v26, 0
	s_and_saveexec_b64 s[0:1], s[2:3]
	s_cbranch_execz .LBB230_13
; %bb.12:                               ;   in Loop: Header=BB230_9 Depth=1
	v_mov_b32_e32 v25, s9
	v_add_co_u32_e32 v24, vcc, s8, v14
	v_addc_co_u32_e32 v25, vcc, v13, v25, vcc
	global_load_ushort v26, v[24:25], off
.LBB230_13:                             ;   in Loop: Header=BB230_9 Depth=1
	s_or_b64 exec, exec, s[0:1]
	v_mov_b32_e32 v25, s15
	v_add_co_u32_e32 v24, vcc, s14, v19
	v_addc_co_u32_e32 v25, vcc, v20, v25, vcc
	v_cmp_gt_u64_e64 s[0:1], s[12:13], v[24:25]
	v_mov_b32_e32 v24, 0
	v_mov_b32_e32 v25, 0
	s_and_saveexec_b64 s[6:7], s[0:1]
	s_cbranch_execz .LBB230_15
; %bb.14:                               ;   in Loop: Header=BB230_9 Depth=1
	v_mov_b32_e32 v25, s9
	v_add_co_u32_e32 v28, vcc, s8, v10
	v_addc_co_u32_e32 v29, vcc, v9, v25, vcc
	global_load_ushort v25, v[28:29], off
.LBB230_15:                             ;   in Loop: Header=BB230_9 Depth=1
	s_or_b64 exec, exec, s[6:7]
	v_mov_b32_e32 v29, s15
	v_add_co_u32_e32 v28, vcc, s14, v17
	v_addc_co_u32_e32 v29, vcc, v18, v29, vcc
	v_cmp_gt_u64_e32 vcc, s[12:13], v[28:29]
	s_and_saveexec_b64 s[16:17], vcc
	s_cbranch_execnz .LBB230_20
; %bb.16:                               ;   in Loop: Header=BB230_9 Depth=1
	s_or_b64 exec, exec, s[16:17]
	s_and_saveexec_b64 s[6:7], s[4:5]
	s_cbranch_execnz .LBB230_21
.LBB230_17:                             ;   in Loop: Header=BB230_9 Depth=1
	s_or_b64 exec, exec, s[6:7]
	s_and_saveexec_b64 s[4:5], s[2:3]
	s_cbranch_execnz .LBB230_22
.LBB230_18:                             ;   in Loop: Header=BB230_9 Depth=1
	s_or_b64 exec, exec, s[4:5]
	s_and_saveexec_b64 s[2:3], s[0:1]
	s_cbranch_execnz .LBB230_23
.LBB230_19:                             ;   in Loop: Header=BB230_9 Depth=1
	s_or_b64 exec, exec, s[2:3]
	s_and_saveexec_b64 s[0:1], vcc
	s_cbranch_execz .LBB230_8
	s_branch .LBB230_24
.LBB230_20:                             ;   in Loop: Header=BB230_9 Depth=1
	v_mov_b32_e32 v24, s9
	v_add_co_u32_e64 v28, s[6:7], s8, v6
	v_addc_co_u32_e64 v29, s[6:7], v5, v24, s[6:7]
	global_load_ushort v24, v[28:29], off
	s_or_b64 exec, exec, s[16:17]
	s_and_saveexec_b64 s[6:7], s[4:5]
	s_cbranch_execz .LBB230_17
.LBB230_21:                             ;   in Loop: Header=BB230_9 Depth=1
	s_waitcnt vmcnt(0)
	v_cvt_f32_f16_e32 v27, v27
	v_mov_b32_e32 v29, s9
	v_mul_f32_e32 v28, 0x4f800000, v27
	v_cmp_gt_f32_e64 s[4:5], s21, v27
	v_cndmask_b32_e64 v27, v27, v28, s[4:5]
	v_rsq_f32_e32 v28, v27
	v_mul_f32_e32 v30, v27, v28
	v_mul_f32_e32 v28, 0.5, v28
	v_fma_f32 v31, -v28, v30, 0.5
	v_fmac_f32_e32 v30, v30, v31
	v_fmac_f32_e32 v28, v28, v31
	v_fma_f32 v31, -v30, v30, v27
	v_fmac_f32_e32 v30, v31, v28
	v_mul_f32_e32 v28, 0x37800000, v30
	v_cndmask_b32_e64 v28, v30, v28, s[4:5]
	v_cmp_class_f32_e64 s[4:5], v27, v23
	v_cndmask_b32_e64 v27, v28, v27, s[4:5]
	v_cvt_f16_f32_e32 v27, v27
	v_add_co_u32_e64 v28, s[4:5], s8, v4
	v_addc_co_u32_e64 v29, s[4:5], v3, v29, s[4:5]
	global_store_short v[28:29], v27, off
	s_or_b64 exec, exec, s[6:7]
	s_and_saveexec_b64 s[4:5], s[2:3]
	s_cbranch_execz .LBB230_18
.LBB230_22:                             ;   in Loop: Header=BB230_9 Depth=1
	s_waitcnt vmcnt(0)
	v_cvt_f32_f16_e32 v26, v26
	v_mov_b32_e32 v28, s9
	v_mul_f32_e32 v27, 0x4f800000, v26
	v_cmp_gt_f32_e64 s[2:3], s21, v26
	v_cndmask_b32_e64 v26, v26, v27, s[2:3]
	v_rsq_f32_e32 v27, v26
	v_mul_f32_e32 v29, v26, v27
	v_mul_f32_e32 v27, 0.5, v27
	v_fma_f32 v30, -v27, v29, 0.5
	v_fmac_f32_e32 v29, v29, v30
	v_fmac_f32_e32 v27, v27, v30
	v_fma_f32 v30, -v29, v29, v26
	v_fmac_f32_e32 v29, v30, v27
	v_mul_f32_e32 v27, 0x37800000, v29
	v_cndmask_b32_e64 v27, v29, v27, s[2:3]
	v_cmp_class_f32_e64 s[2:3], v26, v23
	v_cndmask_b32_e64 v26, v27, v26, s[2:3]
	v_cvt_f16_f32_e32 v29, v26
	v_add_co_u32_e64 v26, s[2:3], s8, v16
	v_addc_co_u32_e64 v27, s[2:3], v15, v28, s[2:3]
	global_store_short v[26:27], v29, off
	s_or_b64 exec, exec, s[4:5]
	s_and_saveexec_b64 s[2:3], s[0:1]
	s_cbranch_execz .LBB230_19
.LBB230_23:                             ;   in Loop: Header=BB230_9 Depth=1
	s_waitcnt vmcnt(0)
	v_cvt_f32_f16_e32 v25, v25
	v_mov_b32_e32 v27, s9
	v_mul_f32_e32 v26, 0x4f800000, v25
	v_cmp_gt_f32_e64 s[0:1], s21, v25
	v_cndmask_b32_e64 v25, v25, v26, s[0:1]
	v_rsq_f32_e32 v26, v25
	v_mul_f32_e32 v28, v25, v26
	v_mul_f32_e32 v26, 0.5, v26
	v_fma_f32 v29, -v26, v28, 0.5
	v_fmac_f32_e32 v28, v28, v29
	v_fmac_f32_e32 v26, v26, v29
	v_fma_f32 v29, -v28, v28, v25
	v_fmac_f32_e32 v28, v29, v26
	v_mul_f32_e32 v26, 0x37800000, v28
	v_cndmask_b32_e64 v26, v28, v26, s[0:1]
	v_cmp_class_f32_e64 s[0:1], v25, v23
	v_cndmask_b32_e64 v25, v26, v25, s[0:1]
	v_cvt_f16_f32_e32 v25, v25
	v_add_co_u32_e64 v26, s[0:1], s8, v12
	v_addc_co_u32_e64 v27, s[0:1], v11, v27, s[0:1]
	global_store_short v[26:27], v25, off
	s_or_b64 exec, exec, s[2:3]
	s_and_saveexec_b64 s[0:1], vcc
	s_cbranch_execz .LBB230_8
.LBB230_24:                             ;   in Loop: Header=BB230_9 Depth=1
	s_waitcnt vmcnt(0)
	v_cvt_f32_f16_e32 v24, v24
	v_mov_b32_e32 v26, s9
	v_mul_f32_e32 v25, 0x4f800000, v24
	v_cmp_gt_f32_e32 vcc, s21, v24
	v_cndmask_b32_e32 v24, v24, v25, vcc
	v_rsq_f32_e32 v25, v24
	v_mul_f32_e32 v27, v24, v25
	v_mul_f32_e32 v25, 0.5, v25
	v_fma_f32 v28, -v25, v27, 0.5
	v_fmac_f32_e32 v27, v27, v28
	v_fmac_f32_e32 v25, v25, v28
	v_fma_f32 v28, -v27, v27, v24
	v_fmac_f32_e32 v27, v28, v25
	v_mul_f32_e32 v25, 0x37800000, v27
	v_cndmask_b32_e32 v25, v27, v25, vcc
	v_cmp_class_f32_e32 vcc, v24, v23
	v_cndmask_b32_e32 v24, v25, v24, vcc
	v_cvt_f16_f32_e32 v27, v24
	v_add_co_u32_e32 v24, vcc, s8, v8
	v_addc_co_u32_e32 v25, vcc, v7, v26, vcc
	global_store_short v[24:25], v27, off
	s_branch .LBB230_8
.LBB230_25:
	s_endpgm
	.section	.rodata,"a",@progbits
	.p2align	6, 0x0
	.amdhsa_kernel _ZN2at6native12_GLOBAL__N_125multi_tensor_apply_kernelINS1_18TensorListMetadataILi2EEENS1_14UnaryOpFunctorIN3c104HalfELi2ELi1ELi1EEEJNS0_4SqrtIfEEEEEvT_T0_DpT1_
		.amdhsa_group_segment_fixed_size 0
		.amdhsa_private_segment_fixed_size 0
		.amdhsa_kernarg_size 3408
		.amdhsa_user_sgpr_count 6
		.amdhsa_user_sgpr_private_segment_buffer 1
		.amdhsa_user_sgpr_dispatch_ptr 0
		.amdhsa_user_sgpr_queue_ptr 0
		.amdhsa_user_sgpr_kernarg_segment_ptr 1
		.amdhsa_user_sgpr_dispatch_id 0
		.amdhsa_user_sgpr_flat_scratch_init 0
		.amdhsa_user_sgpr_kernarg_preload_length 0
		.amdhsa_user_sgpr_kernarg_preload_offset 0
		.amdhsa_user_sgpr_private_segment_size 0
		.amdhsa_uses_dynamic_stack 0
		.amdhsa_system_sgpr_private_segment_wavefront_offset 0
		.amdhsa_system_sgpr_workgroup_id_x 1
		.amdhsa_system_sgpr_workgroup_id_y 0
		.amdhsa_system_sgpr_workgroup_id_z 0
		.amdhsa_system_sgpr_workgroup_info 0
		.amdhsa_system_vgpr_workitem_id 0
		.amdhsa_next_free_vgpr 32
		.amdhsa_next_free_sgpr 32
		.amdhsa_accum_offset 32
		.amdhsa_reserve_vcc 1
		.amdhsa_reserve_flat_scratch 0
		.amdhsa_float_round_mode_32 0
		.amdhsa_float_round_mode_16_64 0
		.amdhsa_float_denorm_mode_32 3
		.amdhsa_float_denorm_mode_16_64 3
		.amdhsa_dx10_clamp 1
		.amdhsa_ieee_mode 1
		.amdhsa_fp16_overflow 0
		.amdhsa_tg_split 0
		.amdhsa_exception_fp_ieee_invalid_op 0
		.amdhsa_exception_fp_denorm_src 0
		.amdhsa_exception_fp_ieee_div_zero 0
		.amdhsa_exception_fp_ieee_overflow 0
		.amdhsa_exception_fp_ieee_underflow 0
		.amdhsa_exception_fp_ieee_inexact 0
		.amdhsa_exception_int_div_zero 0
	.end_amdhsa_kernel
	.section	.text._ZN2at6native12_GLOBAL__N_125multi_tensor_apply_kernelINS1_18TensorListMetadataILi2EEENS1_14UnaryOpFunctorIN3c104HalfELi2ELi1ELi1EEEJNS0_4SqrtIfEEEEEvT_T0_DpT1_,"axG",@progbits,_ZN2at6native12_GLOBAL__N_125multi_tensor_apply_kernelINS1_18TensorListMetadataILi2EEENS1_14UnaryOpFunctorIN3c104HalfELi2ELi1ELi1EEEJNS0_4SqrtIfEEEEEvT_T0_DpT1_,comdat
.Lfunc_end230:
	.size	_ZN2at6native12_GLOBAL__N_125multi_tensor_apply_kernelINS1_18TensorListMetadataILi2EEENS1_14UnaryOpFunctorIN3c104HalfELi2ELi1ELi1EEEJNS0_4SqrtIfEEEEEvT_T0_DpT1_, .Lfunc_end230-_ZN2at6native12_GLOBAL__N_125multi_tensor_apply_kernelINS1_18TensorListMetadataILi2EEENS1_14UnaryOpFunctorIN3c104HalfELi2ELi1ELi1EEEJNS0_4SqrtIfEEEEEvT_T0_DpT1_
                                        ; -- End function
	.section	.AMDGPU.csdata,"",@progbits
; Kernel info:
; codeLenInByte = 2040
; NumSgprs: 36
; NumVgprs: 32
; NumAgprs: 0
; TotalNumVgprs: 32
; ScratchSize: 0
; MemoryBound: 0
; FloatMode: 240
; IeeeMode: 1
; LDSByteSize: 0 bytes/workgroup (compile time only)
; SGPRBlocks: 4
; VGPRBlocks: 3
; NumSGPRsForWavesPerEU: 36
; NumVGPRsForWavesPerEU: 32
; AccumOffset: 32
; Occupancy: 8
; WaveLimiterHint : 0
; COMPUTE_PGM_RSRC2:SCRATCH_EN: 0
; COMPUTE_PGM_RSRC2:USER_SGPR: 6
; COMPUTE_PGM_RSRC2:TRAP_HANDLER: 0
; COMPUTE_PGM_RSRC2:TGID_X_EN: 1
; COMPUTE_PGM_RSRC2:TGID_Y_EN: 0
; COMPUTE_PGM_RSRC2:TGID_Z_EN: 0
; COMPUTE_PGM_RSRC2:TIDIG_COMP_CNT: 0
; COMPUTE_PGM_RSRC3_GFX90A:ACCUM_OFFSET: 7
; COMPUTE_PGM_RSRC3_GFX90A:TG_SPLIT: 0
	.section	.text._ZN2at6native12_GLOBAL__N_125multi_tensor_apply_kernelINS1_18TensorListMetadataILi2EEENS1_14UnaryOpFunctorIN3c108BFloat16ELi2ELi1ELi1EEEJNS0_4SqrtIfEEEEEvT_T0_DpT1_,"axG",@progbits,_ZN2at6native12_GLOBAL__N_125multi_tensor_apply_kernelINS1_18TensorListMetadataILi2EEENS1_14UnaryOpFunctorIN3c108BFloat16ELi2ELi1ELi1EEEJNS0_4SqrtIfEEEEEvT_T0_DpT1_,comdat
	.globl	_ZN2at6native12_GLOBAL__N_125multi_tensor_apply_kernelINS1_18TensorListMetadataILi2EEENS1_14UnaryOpFunctorIN3c108BFloat16ELi2ELi1ELi1EEEJNS0_4SqrtIfEEEEEvT_T0_DpT1_ ; -- Begin function _ZN2at6native12_GLOBAL__N_125multi_tensor_apply_kernelINS1_18TensorListMetadataILi2EEENS1_14UnaryOpFunctorIN3c108BFloat16ELi2ELi1ELi1EEEJNS0_4SqrtIfEEEEEvT_T0_DpT1_
	.p2align	8
	.type	_ZN2at6native12_GLOBAL__N_125multi_tensor_apply_kernelINS1_18TensorListMetadataILi2EEENS1_14UnaryOpFunctorIN3c108BFloat16ELi2ELi1ELi1EEEJNS0_4SqrtIfEEEEEvT_T0_DpT1_,@function
_ZN2at6native12_GLOBAL__N_125multi_tensor_apply_kernelINS1_18TensorListMetadataILi2EEENS1_14UnaryOpFunctorIN3c108BFloat16ELi2ELi1ELi1EEEJNS0_4SqrtIfEEEEEvT_T0_DpT1_: ; @_ZN2at6native12_GLOBAL__N_125multi_tensor_apply_kernelINS1_18TensorListMetadataILi2EEENS1_14UnaryOpFunctorIN3c108BFloat16ELi2ELi1ELi1EEEJNS0_4SqrtIfEEEEEvT_T0_DpT1_
; %bb.0:
	v_mov_b32_e32 v1, s6
	global_load_ubyte v1, v1, s[4:5] offset:1536
	s_add_u32 s0, s4, s6
	s_mul_hi_u32 s2, s6, 3
	s_mul_i32 s6, s6, 3
	s_addc_u32 s7, s5, 0
	s_add_u32 s6, s0, s6
	s_addc_u32 s7, s7, s2
	s_mov_b32 s1, 0
	s_mov_b32 s3, s1
	s_waitcnt vmcnt(0)
	v_readfirstlane_b32 s0, v1
	s_lshl_b32 s0, s0, 3
	s_load_dword s8, s[6:7], 0x740
	s_load_dwordx2 s[20:21], s[4:5], s0 offset:0x0
	s_load_dwordx2 s[10:11], s[4:5], s0 offset:0x400
	s_load_dwordx2 s[18:19], s[4:5], s0 offset:0x200
	s_mov_b32 s7, s1
	s_waitcnt lgkmcnt(0)
	s_ashr_i32 s9, s8, 31
	s_and_b32 s0, s20, 7
	s_and_b32 s6, s10, 3
	;; [unrolled: 1-line block ×3, first 2 shown]
	s_or_b64 s[6:7], s[0:1], s[6:7]
	s_lshl_b64 s[14:15], s[8:9], 17
	s_or_b64 s[2:3], s[2:3], s[6:7]
	s_lshl_b64 s[6:7], s[8:9], 16
	s_sub_u32 s16, s10, s6
	s_subb_u32 s17, s11, s7
	s_cmp_eq_u64 s[2:3], 0
	s_mov_b64 s[2:3], -1
	s_cbranch_scc0 .LBB231_5
; %bb.1:
	v_mov_b32_e32 v3, 0
	v_lshlrev_b32_e32 v2, 2, v0
	v_cmp_gt_i64_e32 vcc, s[16:17], v[2:3]
	s_and_saveexec_b64 s[22:23], vcc
	s_cbranch_execz .LBB231_4
; %bb.2:
	s_load_dword s0, s[4:5], 0xc5c
	v_lshlrev_b32_e32 v1, 3, v0
	v_mov_b32_e32 v2, s15
	v_add_co_u32_e32 v4, vcc, s14, v1
	s_waitcnt lgkmcnt(0)
	s_and_b32 s0, s0, 0xffff
	v_addc_co_u32_e32 v1, vcc, 0, v2, vcc
	s_lshl_b32 s28, s0, 3
	v_add_lshl_u32 v2, v0, s0, 2
	s_lshl_b32 s29, s0, 2
	s_mov_b64 s[24:25], 0
	v_mov_b32_e32 v5, s21
	s_mov_b32 s30, 0xf800000
	v_mov_b32_e32 v6, 0x260
	s_movk_i32 s31, 0x7fff
	v_mov_b32_e32 v7, s19
	v_mov_b32_e32 v8, 0x7fc00000
	;; [unrolled: 1-line block ×3, first 2 shown]
	s_mov_b64 s[26:27], 0xffff
	v_mov_b32_e32 v10, s1
	v_mov_b32_e32 v11, s1
.LBB231_3:                              ; =>This Inner Loop Header: Depth=1
	v_add_co_u32_e32 v12, vcc, s20, v4
	v_addc_co_u32_e32 v13, vcc, v5, v1, vcc
	global_load_dwordx2 v[12:13], v[12:13], off
	v_add_co_u32_e32 v14, vcc, s18, v4
	v_add_co_u32_e64 v4, s[2:3], s28, v4
	v_addc_co_u32_e32 v15, vcc, v7, v1, vcc
	v_addc_co_u32_e64 v1, s[2:3], v1, v10, s[2:3]
	v_cmp_le_i64_e32 vcc, s[16:17], v[2:3]
	v_cmp_lt_u64_e64 s[0:1], s[26:27], v[2:3]
	v_add_co_u32_e64 v2, s[2:3], s29, v2
	v_addc_co_u32_e64 v3, s[2:3], v3, v11, s[2:3]
	s_or_b64 s[0:1], vcc, s[0:1]
	s_and_b64 s[0:1], exec, s[0:1]
	s_or_b64 s[24:25], s[0:1], s[24:25]
	s_waitcnt vmcnt(0)
	v_lshlrev_b32_e32 v17, 16, v12
	v_and_b32_e32 v16, 0xffff0000, v12
	v_mul_f32_e32 v18, 0x4f800000, v17
	v_cmp_gt_f32_e64 s[2:3], s30, v17
	v_alignbit_b32 v12, v13, v12, 16
	v_and_b32_e32 v13, 0xffff0000, v13
	v_mul_f32_e32 v19, 0x4f800000, v16
	v_cmp_gt_f32_e32 vcc, s30, v16
	v_cndmask_b32_e64 v17, v17, v18, s[2:3]
	v_and_b32_e32 v12, 0xffff0000, v12
	v_mul_f32_e32 v20, 0x4f800000, v13
	v_cmp_gt_f32_e64 s[0:1], s30, v13
	v_cndmask_b32_e32 v16, v16, v19, vcc
	v_sqrt_f32_e32 v19, v17
	v_mul_f32_e32 v18, 0x4f800000, v12
	v_cndmask_b32_e64 v13, v13, v20, s[0:1]
	v_cmp_gt_f32_e64 s[6:7], s30, v12
	v_sqrt_f32_e32 v20, v16
	v_cndmask_b32_e64 v12, v12, v18, s[6:7]
	v_sqrt_f32_e32 v18, v13
	v_sqrt_f32_e32 v21, v12
	v_add_u32_e32 v22, -1, v19
	v_add_u32_e32 v24, -1, v20
	v_fma_f32 v28, -v22, v19, v17
	v_add_u32_e32 v23, 1, v19
	v_add_u32_e32 v25, 1, v20
	v_fma_f32 v30, -v24, v20, v16
	v_cmp_ge_f32_e64 s[8:9], 0, v28
	v_add_u32_e32 v26, -1, v18
	v_fma_f32 v29, -v23, v19, v17
	v_fma_f32 v31, -v25, v20, v16
	v_add_u32_e32 v32, -1, v21
	v_cndmask_b32_e64 v19, v19, v22, s[8:9]
	v_cmp_ge_f32_e64 s[8:9], 0, v30
	v_add_u32_e32 v27, 1, v18
	v_add_u32_e32 v33, 1, v21
	v_fma_f32 v34, -v26, v18, v13
	v_cndmask_b32_e64 v20, v20, v24, s[8:9]
	v_cmp_lt_f32_e64 s[8:9], 0, v31
	v_fma_f32 v22, -v32, v21, v12
	v_fma_f32 v35, -v27, v18, v13
	;; [unrolled: 1-line block ×3, first 2 shown]
	v_cmp_ge_f32_e64 s[10:11], 0, v34
	v_cmp_lt_f32_e64 s[12:13], 0, v29
	v_cndmask_b32_e64 v20, v20, v25, s[8:9]
	v_cmp_ge_f32_e64 s[8:9], 0, v22
	v_cndmask_b32_e64 v18, v18, v26, s[10:11]
	v_cmp_lt_f32_e64 s[10:11], 0, v35
	v_cndmask_b32_e64 v19, v19, v23, s[12:13]
	v_cndmask_b32_e64 v21, v21, v32, s[8:9]
	v_cmp_lt_f32_e64 s[8:9], 0, v24
	v_cndmask_b32_e64 v18, v18, v27, s[10:11]
	v_mul_f32_e32 v22, 0x37800000, v19
	v_mul_f32_e32 v23, 0x37800000, v20
	v_cndmask_b32_e64 v21, v21, v33, s[8:9]
	v_mul_f32_e32 v24, 0x37800000, v18
	v_cndmask_b32_e64 v19, v19, v22, s[2:3]
	v_cndmask_b32_e32 v20, v20, v23, vcc
	v_cmp_class_f32_e32 vcc, v16, v6
	v_mul_f32_e32 v22, 0x37800000, v21
	v_cmp_class_f32_e64 s[2:3], v17, v6
	v_cndmask_b32_e64 v18, v18, v24, s[0:1]
	v_cmp_class_f32_e64 s[0:1], v13, v6
	v_cndmask_b32_e64 v17, v19, v17, s[2:3]
	v_cndmask_b32_e32 v16, v20, v16, vcc
	v_cndmask_b32_e64 v19, v21, v22, s[6:7]
	v_cmp_class_f32_e32 vcc, v12, v6
	v_cndmask_b32_e64 v13, v18, v13, s[0:1]
	v_bfe_u32 v18, v17, 16, 1
	v_bfe_u32 v20, v16, 16, 1
	v_cndmask_b32_e32 v12, v19, v12, vcc
	v_bfe_u32 v19, v13, 16, 1
	v_add3_u32 v18, v17, v18, s31
	v_add3_u32 v20, v16, v20, s31
	v_bfe_u32 v21, v12, 16, 1
	v_add3_u32 v19, v13, v19, s31
	v_lshrrev_b32_e32 v18, 16, v18
	v_and_b32_e32 v20, 0xffff0000, v20
	v_add3_u32 v21, v12, v21, s31
	v_cmp_o_f32_e32 vcc, v16, v16
	v_cmp_o_f32_e64 s[0:1], v17, v17
	v_and_b32_e32 v19, 0xffff0000, v19
	v_cmp_o_f32_e64 s[2:3], v13, v13
	v_lshrrev_b32_e32 v13, 16, v21
	v_cndmask_b32_e32 v17, v8, v20, vcc
	v_cndmask_b32_e64 v18, v9, v18, s[0:1]
	v_cmp_o_f32_e32 vcc, v12, v12
	v_cndmask_b32_e64 v16, v8, v19, s[2:3]
	v_cndmask_b32_e32 v12, v9, v13, vcc
	v_or_b32_e32 v17, v18, v17
	v_or3_b32 v13, 0, v12, v16
	v_or3_b32 v12, v17, 0, 0
	global_store_dwordx2 v[14:15], v[12:13], off
	s_andn2_b64 exec, exec, s[24:25]
	s_cbranch_execnz .LBB231_3
.LBB231_4:
	s_or_b64 exec, exec, s[22:23]
	s_mov_b64 s[2:3], 0
.LBB231_5:
	s_andn2_b64 vcc, exec, s[2:3]
	s_cbranch_vccnz .LBB231_25
; %bb.6:
	v_cmp_lt_i64_e64 s[0:1], s[16:17], 1
	s_and_b64 vcc, exec, s[0:1]
	s_cbranch_vccnz .LBB231_25
; %bb.7:
	s_load_dword s0, s[4:5], 0xc5c
	v_mov_b32_e32 v2, 0x10000
	v_mov_b32_e32 v3, 0
	v_cmp_lt_u64_e32 vcc, s[16:17], v[2:3]
	v_lshlrev_b32_e32 v10, 1, v0
	s_waitcnt lgkmcnt(0)
	s_and_b32 s2, s0, 0xffff
	s_and_b64 s[0:1], vcc, exec
	v_mov_b32_e32 v13, s21
	v_add_co_u32_e32 v2, vcc, s20, v10
	v_addc_co_u32_e32 v1, vcc, 0, v13, vcc
	v_mov_b32_e32 v11, 0
	v_mov_b32_e32 v15, s19
	v_add_co_u32_e32 v4, vcc, s18, v10
	v_addc_co_u32_e32 v3, vcc, 0, v15, vcc
	v_mad_u64_u32 v[8:9], s[0:1], s2, 6, v[10:11]
	v_add_co_u32_e32 v6, vcc, s20, v8
	v_addc_co_u32_e32 v5, vcc, v13, v9, vcc
	v_add_co_u32_e32 v8, vcc, s18, v8
	s_mul_i32 s4, s2, 3
	v_addc_co_u32_e32 v7, vcc, v15, v9, vcc
	s_cselect_b32 s9, s17, 0
	s_cselect_b32 s8, s16, 0x10000
	s_lshl_b32 s23, s2, 2
	v_add_co_u32_e32 v17, vcc, s4, v0
	v_addc_co_u32_e64 v18, s[0:1], 0, 0, vcc
	v_add_co_u32_e32 v11, vcc, s23, v10
	v_addc_co_u32_e64 v14, s[0:1], 0, 0, vcc
	v_add_co_u32_e32 v10, vcc, s20, v11
	v_addc_co_u32_e32 v9, vcc, v13, v14, vcc
	v_add_co_u32_e32 v12, vcc, s18, v11
	s_lshl_b32 s3, s2, 1
	v_addc_co_u32_e32 v11, vcc, v15, v14, vcc
	v_add_co_u32_e32 v19, vcc, s3, v0
	v_addc_co_u32_e64 v20, s[0:1], 0, 0, vcc
	v_add_co_u32_e32 v21, vcc, s2, v0
	v_lshlrev_b32_e32 v16, 1, v21
	v_addc_co_u32_e64 v22, s[0:1], 0, 0, vcc
	v_add_co_u32_e32 v14, vcc, s20, v16
	v_addc_co_u32_e32 v13, vcc, 0, v13, vcc
	v_add_co_u32_e32 v16, vcc, s18, v16
	s_mov_b32 s22, 0
	s_lshl_b32 s21, s2, 3
	v_addc_co_u32_e32 v15, vcc, 0, v15, vcc
	s_mov_b64 s[10:11], 0
	s_mov_b32 s18, 0xf800000
	v_mov_b32_e32 v23, 0x260
	s_movk_i32 s19, 0x7fff
	v_mov_b32_e32 v24, 0x7fc0
	s_branch .LBB231_9
.LBB231_8:                              ;   in Loop: Header=BB231_9 Depth=1
	s_or_b64 exec, exec, s[2:3]
	s_add_u32 s10, s10, s23
	s_addc_u32 s11, s11, 0
	s_waitcnt vmcnt(0)
	v_pk_mov_b32 v[26:27], s[16:17], s[16:17] op_sel:[0,1]
	v_cmp_ge_i64_e32 vcc, s[10:11], v[26:27]
	v_mov_b32_e32 v26, 0xffff
	v_mov_b32_e32 v27, 0
	v_cmp_gt_u64_e64 s[0:1], s[10:11], v[26:27]
	s_or_b64 s[0:1], vcc, s[0:1]
	v_mov_b32_e32 v25, s22
	v_add_co_u32_e32 v2, vcc, s21, v2
	v_addc_co_u32_e32 v1, vcc, v1, v25, vcc
	v_add_co_u32_e32 v4, vcc, s21, v4
	v_addc_co_u32_e32 v3, vcc, v3, v25, vcc
	;; [unrolled: 2-line block ×8, first 2 shown]
	s_and_b64 vcc, exec, s[0:1]
	s_cbranch_vccnz .LBB231_25
.LBB231_9:                              ; =>This Inner Loop Header: Depth=1
	v_mov_b32_e32 v25, s11
	v_add_co_u32_e32 v26, vcc, s10, v0
	v_addc_co_u32_e32 v27, vcc, 0, v25, vcc
	v_cmp_gt_u64_e64 s[4:5], s[8:9], v[26:27]
	v_mov_b32_e32 v28, 0
	s_and_saveexec_b64 s[0:1], s[4:5]
	s_cbranch_execz .LBB231_11
; %bb.10:                               ;   in Loop: Header=BB231_9 Depth=1
	v_mov_b32_e32 v25, s15
	v_add_co_u32_e32 v26, vcc, s14, v2
	v_addc_co_u32_e32 v27, vcc, v1, v25, vcc
	global_load_ushort v28, v[26:27], off
.LBB231_11:                             ;   in Loop: Header=BB231_9 Depth=1
	s_or_b64 exec, exec, s[0:1]
	v_mov_b32_e32 v25, s11
	v_add_co_u32_e32 v26, vcc, s10, v21
	v_addc_co_u32_e32 v27, vcc, v22, v25, vcc
	v_cmp_gt_u64_e64 s[2:3], s[8:9], v[26:27]
	v_mov_b32_e32 v27, 0
	s_and_saveexec_b64 s[0:1], s[2:3]
	s_cbranch_execz .LBB231_13
; %bb.12:                               ;   in Loop: Header=BB231_9 Depth=1
	v_mov_b32_e32 v25, s15
	v_add_co_u32_e32 v26, vcc, s14, v14
	v_addc_co_u32_e32 v27, vcc, v13, v25, vcc
	global_load_ushort v27, v[26:27], off
.LBB231_13:                             ;   in Loop: Header=BB231_9 Depth=1
	s_or_b64 exec, exec, s[0:1]
	v_mov_b32_e32 v25, s11
	v_add_co_u32_e32 v30, vcc, s10, v19
	v_addc_co_u32_e32 v31, vcc, v20, v25, vcc
	v_cmp_gt_u64_e64 s[0:1], s[8:9], v[30:31]
	v_mov_b32_e32 v25, 0
	v_mov_b32_e32 v26, 0
	s_and_saveexec_b64 s[6:7], s[0:1]
	s_cbranch_execz .LBB231_15
; %bb.14:                               ;   in Loop: Header=BB231_9 Depth=1
	v_mov_b32_e32 v26, s15
	v_add_co_u32_e32 v30, vcc, s14, v10
	v_addc_co_u32_e32 v31, vcc, v9, v26, vcc
	global_load_ushort v26, v[30:31], off
.LBB231_15:                             ;   in Loop: Header=BB231_9 Depth=1
	s_or_b64 exec, exec, s[6:7]
	v_mov_b32_e32 v29, s11
	v_add_co_u32_e32 v30, vcc, s10, v17
	v_addc_co_u32_e32 v31, vcc, v18, v29, vcc
	v_cmp_gt_u64_e32 vcc, s[8:9], v[30:31]
	s_and_saveexec_b64 s[12:13], vcc
	s_cbranch_execnz .LBB231_20
; %bb.16:                               ;   in Loop: Header=BB231_9 Depth=1
	s_or_b64 exec, exec, s[12:13]
	s_and_saveexec_b64 s[12:13], s[4:5]
	s_cbranch_execnz .LBB231_21
.LBB231_17:                             ;   in Loop: Header=BB231_9 Depth=1
	s_or_b64 exec, exec, s[12:13]
	s_and_saveexec_b64 s[6:7], s[2:3]
	s_cbranch_execnz .LBB231_22
.LBB231_18:                             ;   in Loop: Header=BB231_9 Depth=1
	s_or_b64 exec, exec, s[6:7]
	s_and_saveexec_b64 s[4:5], s[0:1]
	s_cbranch_execnz .LBB231_23
.LBB231_19:                             ;   in Loop: Header=BB231_9 Depth=1
	s_or_b64 exec, exec, s[4:5]
	s_and_saveexec_b64 s[2:3], vcc
	s_cbranch_execz .LBB231_8
	s_branch .LBB231_24
.LBB231_20:                             ;   in Loop: Header=BB231_9 Depth=1
	v_mov_b32_e32 v25, s15
	v_add_co_u32_e64 v30, s[6:7], s14, v6
	v_addc_co_u32_e64 v31, s[6:7], v5, v25, s[6:7]
	global_load_ushort v25, v[30:31], off
	s_or_b64 exec, exec, s[12:13]
	s_and_saveexec_b64 s[12:13], s[4:5]
	s_cbranch_execz .LBB231_17
.LBB231_21:                             ;   in Loop: Header=BB231_9 Depth=1
	s_waitcnt vmcnt(0)
	v_lshlrev_b32_e32 v28, 16, v28
	v_mul_f32_e32 v29, 0x4f800000, v28
	v_cmp_gt_f32_e64 s[4:5], s18, v28
	v_cndmask_b32_e64 v28, v28, v29, s[4:5]
	v_sqrt_f32_e32 v29, v28
	v_add_u32_e32 v30, -1, v29
	v_fma_f32 v32, -v30, v29, v28
	v_add_u32_e32 v31, 1, v29
	v_cmp_ge_f32_e64 s[6:7], 0, v32
	v_cndmask_b32_e64 v30, v29, v30, s[6:7]
	v_fma_f32 v29, -v31, v29, v28
	v_cmp_lt_f32_e64 s[6:7], 0, v29
	v_cndmask_b32_e64 v29, v30, v31, s[6:7]
	v_mul_f32_e32 v30, 0x37800000, v29
	v_cndmask_b32_e64 v29, v29, v30, s[4:5]
	v_cmp_class_f32_e64 s[4:5], v28, v23
	v_cndmask_b32_e64 v28, v29, v28, s[4:5]
	v_bfe_u32 v29, v28, 16, 1
	v_add3_u32 v29, v28, v29, s19
	v_lshrrev_b32_e32 v29, 16, v29
	v_cmp_o_f32_e64 s[4:5], v28, v28
	v_cndmask_b32_e64 v30, v24, v29, s[4:5]
	v_mov_b32_e32 v29, s15
	v_add_co_u32_e64 v28, s[4:5], s14, v4
	v_addc_co_u32_e64 v29, s[4:5], v3, v29, s[4:5]
	global_store_short v[28:29], v30, off
	s_or_b64 exec, exec, s[12:13]
	s_and_saveexec_b64 s[6:7], s[2:3]
	s_cbranch_execz .LBB231_18
.LBB231_22:                             ;   in Loop: Header=BB231_9 Depth=1
	s_waitcnt vmcnt(0)
	v_lshlrev_b32_e32 v27, 16, v27
	v_mul_f32_e32 v28, 0x4f800000, v27
	v_cmp_gt_f32_e64 s[2:3], s18, v27
	v_cndmask_b32_e64 v27, v27, v28, s[2:3]
	v_sqrt_f32_e32 v28, v27
	v_add_u32_e32 v29, -1, v28
	v_fma_f32 v31, -v29, v28, v27
	v_add_u32_e32 v30, 1, v28
	v_cmp_ge_f32_e64 s[4:5], 0, v31
	v_cndmask_b32_e64 v29, v28, v29, s[4:5]
	v_fma_f32 v28, -v30, v28, v27
	v_cmp_lt_f32_e64 s[4:5], 0, v28
	v_cndmask_b32_e64 v28, v29, v30, s[4:5]
	v_mul_f32_e32 v29, 0x37800000, v28
	v_cndmask_b32_e64 v28, v28, v29, s[2:3]
	v_cmp_class_f32_e64 s[2:3], v27, v23
	v_cndmask_b32_e64 v27, v28, v27, s[2:3]
	v_bfe_u32 v28, v27, 16, 1
	v_add3_u32 v28, v27, v28, s19
	v_lshrrev_b32_e32 v28, 16, v28
	v_cmp_o_f32_e64 s[2:3], v27, v27
	v_cndmask_b32_e64 v27, v24, v28, s[2:3]
	v_mov_b32_e32 v29, s15
	v_add_co_u32_e64 v28, s[2:3], s14, v16
	v_addc_co_u32_e64 v29, s[2:3], v15, v29, s[2:3]
	global_store_short v[28:29], v27, off
	s_or_b64 exec, exec, s[6:7]
	s_and_saveexec_b64 s[4:5], s[0:1]
	s_cbranch_execz .LBB231_19
.LBB231_23:                             ;   in Loop: Header=BB231_9 Depth=1
	s_waitcnt vmcnt(0)
	v_lshlrev_b32_e32 v26, 16, v26
	v_mul_f32_e32 v27, 0x4f800000, v26
	v_cmp_gt_f32_e64 s[0:1], s18, v26
	v_cndmask_b32_e64 v26, v26, v27, s[0:1]
	v_sqrt_f32_e32 v27, v26
	v_add_u32_e32 v28, -1, v27
	v_fma_f32 v30, -v28, v27, v26
	v_add_u32_e32 v29, 1, v27
	v_cmp_ge_f32_e64 s[2:3], 0, v30
	v_cndmask_b32_e64 v28, v27, v28, s[2:3]
	v_fma_f32 v27, -v29, v27, v26
	v_cmp_lt_f32_e64 s[2:3], 0, v27
	v_cndmask_b32_e64 v27, v28, v29, s[2:3]
	v_mul_f32_e32 v28, 0x37800000, v27
	v_cndmask_b32_e64 v27, v27, v28, s[0:1]
	v_cmp_class_f32_e64 s[0:1], v26, v23
	v_cndmask_b32_e64 v26, v27, v26, s[0:1]
	v_bfe_u32 v27, v26, 16, 1
	v_add3_u32 v27, v26, v27, s19
	v_lshrrev_b32_e32 v27, 16, v27
	v_cmp_o_f32_e64 s[0:1], v26, v26
	v_cndmask_b32_e64 v28, v24, v27, s[0:1]
	v_mov_b32_e32 v27, s15
	v_add_co_u32_e64 v26, s[0:1], s14, v12
	v_addc_co_u32_e64 v27, s[0:1], v11, v27, s[0:1]
	global_store_short v[26:27], v28, off
	s_or_b64 exec, exec, s[4:5]
	s_and_saveexec_b64 s[2:3], vcc
	s_cbranch_execz .LBB231_8
.LBB231_24:                             ;   in Loop: Header=BB231_9 Depth=1
	s_waitcnt vmcnt(0)
	v_lshlrev_b32_e32 v25, 16, v25
	v_mul_f32_e32 v26, 0x4f800000, v25
	v_cmp_gt_f32_e32 vcc, s18, v25
	v_cndmask_b32_e32 v25, v25, v26, vcc
	v_sqrt_f32_e32 v26, v25
	v_add_u32_e32 v27, -1, v26
	v_fma_f32 v29, -v27, v26, v25
	v_add_u32_e32 v28, 1, v26
	v_cmp_ge_f32_e64 s[0:1], 0, v29
	v_cndmask_b32_e64 v27, v26, v27, s[0:1]
	v_fma_f32 v26, -v28, v26, v25
	v_cmp_lt_f32_e64 s[0:1], 0, v26
	v_cndmask_b32_e64 v26, v27, v28, s[0:1]
	v_mul_f32_e32 v27, 0x37800000, v26
	v_cndmask_b32_e32 v26, v26, v27, vcc
	v_cmp_class_f32_e32 vcc, v25, v23
	v_cndmask_b32_e32 v25, v26, v25, vcc
	v_bfe_u32 v26, v25, 16, 1
	v_add3_u32 v26, v25, v26, s19
	v_lshrrev_b32_e32 v26, 16, v26
	v_cmp_o_f32_e32 vcc, v25, v25
	v_cndmask_b32_e32 v25, v24, v26, vcc
	v_mov_b32_e32 v27, s15
	v_add_co_u32_e32 v26, vcc, s14, v8
	v_addc_co_u32_e32 v27, vcc, v7, v27, vcc
	global_store_short v[26:27], v25, off
	s_branch .LBB231_8
.LBB231_25:
	s_endpgm
	.section	.rodata,"a",@progbits
	.p2align	6, 0x0
	.amdhsa_kernel _ZN2at6native12_GLOBAL__N_125multi_tensor_apply_kernelINS1_18TensorListMetadataILi2EEENS1_14UnaryOpFunctorIN3c108BFloat16ELi2ELi1ELi1EEEJNS0_4SqrtIfEEEEEvT_T0_DpT1_
		.amdhsa_group_segment_fixed_size 0
		.amdhsa_private_segment_fixed_size 0
		.amdhsa_kernarg_size 3408
		.amdhsa_user_sgpr_count 6
		.amdhsa_user_sgpr_private_segment_buffer 1
		.amdhsa_user_sgpr_dispatch_ptr 0
		.amdhsa_user_sgpr_queue_ptr 0
		.amdhsa_user_sgpr_kernarg_segment_ptr 1
		.amdhsa_user_sgpr_dispatch_id 0
		.amdhsa_user_sgpr_flat_scratch_init 0
		.amdhsa_user_sgpr_kernarg_preload_length 0
		.amdhsa_user_sgpr_kernarg_preload_offset 0
		.amdhsa_user_sgpr_private_segment_size 0
		.amdhsa_uses_dynamic_stack 0
		.amdhsa_system_sgpr_private_segment_wavefront_offset 0
		.amdhsa_system_sgpr_workgroup_id_x 1
		.amdhsa_system_sgpr_workgroup_id_y 0
		.amdhsa_system_sgpr_workgroup_id_z 0
		.amdhsa_system_sgpr_workgroup_info 0
		.amdhsa_system_vgpr_workitem_id 0
		.amdhsa_next_free_vgpr 36
		.amdhsa_next_free_sgpr 32
		.amdhsa_accum_offset 36
		.amdhsa_reserve_vcc 1
		.amdhsa_reserve_flat_scratch 0
		.amdhsa_float_round_mode_32 0
		.amdhsa_float_round_mode_16_64 0
		.amdhsa_float_denorm_mode_32 3
		.amdhsa_float_denorm_mode_16_64 3
		.amdhsa_dx10_clamp 1
		.amdhsa_ieee_mode 1
		.amdhsa_fp16_overflow 0
		.amdhsa_tg_split 0
		.amdhsa_exception_fp_ieee_invalid_op 0
		.amdhsa_exception_fp_denorm_src 0
		.amdhsa_exception_fp_ieee_div_zero 0
		.amdhsa_exception_fp_ieee_overflow 0
		.amdhsa_exception_fp_ieee_underflow 0
		.amdhsa_exception_fp_ieee_inexact 0
		.amdhsa_exception_int_div_zero 0
	.end_amdhsa_kernel
	.section	.text._ZN2at6native12_GLOBAL__N_125multi_tensor_apply_kernelINS1_18TensorListMetadataILi2EEENS1_14UnaryOpFunctorIN3c108BFloat16ELi2ELi1ELi1EEEJNS0_4SqrtIfEEEEEvT_T0_DpT1_,"axG",@progbits,_ZN2at6native12_GLOBAL__N_125multi_tensor_apply_kernelINS1_18TensorListMetadataILi2EEENS1_14UnaryOpFunctorIN3c108BFloat16ELi2ELi1ELi1EEEJNS0_4SqrtIfEEEEEvT_T0_DpT1_,comdat
.Lfunc_end231:
	.size	_ZN2at6native12_GLOBAL__N_125multi_tensor_apply_kernelINS1_18TensorListMetadataILi2EEENS1_14UnaryOpFunctorIN3c108BFloat16ELi2ELi1ELi1EEEJNS0_4SqrtIfEEEEEvT_T0_DpT1_, .Lfunc_end231-_ZN2at6native12_GLOBAL__N_125multi_tensor_apply_kernelINS1_18TensorListMetadataILi2EEENS1_14UnaryOpFunctorIN3c108BFloat16ELi2ELi1ELi1EEEJNS0_4SqrtIfEEEEEvT_T0_DpT1_
                                        ; -- End function
	.section	.AMDGPU.csdata,"",@progbits
; Kernel info:
; codeLenInByte = 2468
; NumSgprs: 36
; NumVgprs: 36
; NumAgprs: 0
; TotalNumVgprs: 36
; ScratchSize: 0
; MemoryBound: 0
; FloatMode: 240
; IeeeMode: 1
; LDSByteSize: 0 bytes/workgroup (compile time only)
; SGPRBlocks: 4
; VGPRBlocks: 4
; NumSGPRsForWavesPerEU: 36
; NumVGPRsForWavesPerEU: 36
; AccumOffset: 36
; Occupancy: 8
; WaveLimiterHint : 0
; COMPUTE_PGM_RSRC2:SCRATCH_EN: 0
; COMPUTE_PGM_RSRC2:USER_SGPR: 6
; COMPUTE_PGM_RSRC2:TRAP_HANDLER: 0
; COMPUTE_PGM_RSRC2:TGID_X_EN: 1
; COMPUTE_PGM_RSRC2:TGID_Y_EN: 0
; COMPUTE_PGM_RSRC2:TGID_Z_EN: 0
; COMPUTE_PGM_RSRC2:TIDIG_COMP_CNT: 0
; COMPUTE_PGM_RSRC3_GFX90A:ACCUM_OFFSET: 8
; COMPUTE_PGM_RSRC3_GFX90A:TG_SPLIT: 0
	.section	.text._ZN2at6native12_GLOBAL__N_125multi_tensor_apply_kernelINS1_18TensorListMetadataILi1EEENS1_14UnaryOpFunctorIdLi1ELi1ELi0EEEJNS0_4SqrtIdEEEEEvT_T0_DpT1_,"axG",@progbits,_ZN2at6native12_GLOBAL__N_125multi_tensor_apply_kernelINS1_18TensorListMetadataILi1EEENS1_14UnaryOpFunctorIdLi1ELi1ELi0EEEJNS0_4SqrtIdEEEEEvT_T0_DpT1_,comdat
	.globl	_ZN2at6native12_GLOBAL__N_125multi_tensor_apply_kernelINS1_18TensorListMetadataILi1EEENS1_14UnaryOpFunctorIdLi1ELi1ELi0EEEJNS0_4SqrtIdEEEEEvT_T0_DpT1_ ; -- Begin function _ZN2at6native12_GLOBAL__N_125multi_tensor_apply_kernelINS1_18TensorListMetadataILi1EEENS1_14UnaryOpFunctorIdLi1ELi1ELi0EEEJNS0_4SqrtIdEEEEEvT_T0_DpT1_
	.p2align	8
	.type	_ZN2at6native12_GLOBAL__N_125multi_tensor_apply_kernelINS1_18TensorListMetadataILi1EEENS1_14UnaryOpFunctorIdLi1ELi1ELi0EEEJNS0_4SqrtIdEEEEEvT_T0_DpT1_,@function
_ZN2at6native12_GLOBAL__N_125multi_tensor_apply_kernelINS1_18TensorListMetadataILi1EEENS1_14UnaryOpFunctorIdLi1ELi1ELi0EEEJNS0_4SqrtIdEEEEEvT_T0_DpT1_: ; @_ZN2at6native12_GLOBAL__N_125multi_tensor_apply_kernelINS1_18TensorListMetadataILi1EEENS1_14UnaryOpFunctorIdLi1ELi1ELi0EEEJNS0_4SqrtIdEEEEEvT_T0_DpT1_
; %bb.0:
	v_mov_b32_e32 v1, s6
	global_load_ubyte v1, v1, s[4:5] offset:1760
	s_add_u32 s0, s4, s6
	s_mul_hi_u32 s1, s6, 3
	s_mul_i32 s6, s6, 3
	s_addc_u32 s2, s5, 0
	s_add_u32 s0, s0, s6
	s_addc_u32 s1, s2, s1
	s_load_dword s0, s[0:1], 0x820
	s_mov_b32 s7, 0
	s_waitcnt vmcnt(0)
	v_readfirstlane_b32 s2, v1
	s_lshl_b32 s1, s2, 3
	s_load_dwordx2 s[2:3], s[4:5], s1 offset:0x370
	s_load_dwordx2 s[12:13], s[4:5], s1 offset:0x0
	s_waitcnt lgkmcnt(0)
	s_ashr_i32 s1, s0, 31
	s_lshl_b64 s[14:15], s[0:1], 19
	s_lshl_b64 s[0:1], s[0:1], 16
	s_and_b32 s6, s12, 31
	s_sub_u32 s10, s2, s0
	s_subb_u32 s11, s3, s1
	s_and_b32 s0, s2, 3
	s_mov_b32 s1, s7
	s_or_b64 s[0:1], s[6:7], s[0:1]
	s_cmp_eq_u64 s[0:1], 0
	s_cbranch_scc1 .LBB232_21
; %bb.1:
	v_cmp_lt_i64_e64 s[0:1], s[10:11], 1
	s_and_b64 vcc, exec, s[0:1]
	s_cbranch_vccnz .LBB232_20
; %bb.2:
	s_load_dword s0, s[4:5], 0xd3c
	v_mov_b32_e32 v2, 0x10000
	v_mov_b32_e32 v3, 0
	v_cmp_lt_u64_e32 vcc, s[10:11], v[2:3]
	v_lshlrev_b32_e32 v1, 3, v0
	s_waitcnt lgkmcnt(0)
	s_and_b32 s2, s0, 0xffff
	s_and_b64 s[0:1], vcc, exec
	s_cselect_b32 s17, s11, 0
	s_cselect_b32 s16, s10, 0x10000
	s_lshl_b32 s3, s2, 1
	s_lshl_b32 s25, s2, 2
	s_add_u32 s6, s12, s14
	s_addc_u32 s7, s13, s15
	v_mov_b32_e32 v3, s7
	v_add_co_u32_e32 v2, vcc, s6, v1
	s_mul_i32 s0, s2, 3
	v_addc_co_u32_e32 v3, vcc, 0, v3, vcc
	v_add_co_u32_e32 v1, vcc, s0, v0
	v_addc_co_u32_e64 v14, s[0:1], 0, 0, vcc
	v_add_co_u32_e32 v15, vcc, s3, v0
	v_addc_co_u32_e64 v16, s[0:1], 0, 0, vcc
	v_add_co_u32_e32 v17, vcc, s2, v0
	v_lshlrev_b32_e32 v4, 3, v17
	s_mov_b32 s24, 0
	v_addc_co_u32_e64 v18, s[0:1], 0, 0, vcc
	v_mov_b32_e32 v5, s7
	v_add_co_u32_e32 v4, vcc, s6, v4
	s_mov_b32 s20, 0
	s_lshl_b32 s26, s2, 5
	s_mul_i32 s27, s2, 24
	s_mov_b32 s28, s24
	s_lshl_b32 s29, s2, 4
	s_mov_b32 s30, s24
	v_addc_co_u32_e32 v5, vcc, 0, v5, vcc
	s_mov_b64 s[18:19], 0
	s_brev_b32 s21, 8
	v_mov_b32_e32 v19, 0x260
	v_mov_b32_e32 v20, 0xffffff80
	s_branch .LBB232_4
.LBB232_3:                              ;   in Loop: Header=BB232_4 Depth=1
	s_or_b64 exec, exec, s[0:1]
	s_add_u32 s18, s18, s25
	s_addc_u32 s19, s19, 0
	s_waitcnt vmcnt(0)
	v_pk_mov_b32 v[6:7], s[10:11], s[10:11] op_sel:[0,1]
	v_cmp_lt_i64_e32 vcc, s[18:19], v[6:7]
	v_mov_b32_e32 v6, 0x10000
	v_mov_b32_e32 v7, 0
	v_cmp_lt_u64_e64 s[0:1], s[18:19], v[6:7]
	s_and_b64 s[0:1], vcc, s[0:1]
	v_mov_b32_e32 v6, s24
	v_add_co_u32_e32 v2, vcc, s26, v2
	v_addc_co_u32_e32 v3, vcc, v3, v6, vcc
	v_add_co_u32_e32 v4, vcc, s26, v4
	v_addc_co_u32_e32 v5, vcc, v5, v6, vcc
	s_and_b64 vcc, exec, s[0:1]
	s_cbranch_vccz .LBB232_20
.LBB232_4:                              ; =>This Inner Loop Header: Depth=1
	v_mov_b32_e32 v7, s19
	v_add_co_u32_e32 v6, vcc, s18, v0
	v_addc_co_u32_e32 v7, vcc, 0, v7, vcc
	v_pk_mov_b32 v[8:9], 0, 0
	v_cmp_gt_u64_e64 s[6:7], s[16:17], v[6:7]
	v_pk_mov_b32 v[12:13], v[8:9], v[8:9] op_sel:[0,1]
	s_and_saveexec_b64 s[0:1], s[6:7]
	s_cbranch_execz .LBB232_6
; %bb.5:                                ;   in Loop: Header=BB232_4 Depth=1
	global_load_dwordx2 v[12:13], v[2:3], off
.LBB232_6:                              ;   in Loop: Header=BB232_4 Depth=1
	s_or_b64 exec, exec, s[0:1]
	v_mov_b32_e32 v7, s19
	v_add_co_u32_e32 v6, vcc, s18, v17
	v_addc_co_u32_e32 v7, vcc, v18, v7, vcc
	v_cmp_gt_u64_e64 s[2:3], s[16:17], v[6:7]
	s_and_saveexec_b64 s[0:1], s[2:3]
	s_cbranch_execz .LBB232_8
; %bb.7:                                ;   in Loop: Header=BB232_4 Depth=1
	global_load_dwordx2 v[8:9], v[4:5], off
.LBB232_8:                              ;   in Loop: Header=BB232_4 Depth=1
	s_or_b64 exec, exec, s[0:1]
	v_mov_b32_e32 v7, s19
	v_add_co_u32_e32 v6, vcc, s18, v15
	v_addc_co_u32_e32 v7, vcc, v16, v7, vcc
	v_cmp_gt_u64_e64 s[0:1], s[16:17], v[6:7]
	v_pk_mov_b32 v[6:7], 0, 0
	v_pk_mov_b32 v[10:11], v[6:7], v[6:7] op_sel:[0,1]
	s_and_saveexec_b64 s[8:9], s[0:1]
	s_cbranch_execz .LBB232_10
; %bb.9:                                ;   in Loop: Header=BB232_4 Depth=1
	v_mov_b32_e32 v11, s30
	v_add_co_u32_e32 v10, vcc, s29, v2
	v_addc_co_u32_e32 v11, vcc, v3, v11, vcc
	global_load_dwordx2 v[10:11], v[10:11], off
.LBB232_10:                             ;   in Loop: Header=BB232_4 Depth=1
	s_or_b64 exec, exec, s[8:9]
	v_mov_b32_e32 v21, s19
	v_add_co_u32_e32 v22, vcc, s18, v1
	v_addc_co_u32_e32 v23, vcc, v14, v21, vcc
	v_cmp_gt_u64_e32 vcc, s[16:17], v[22:23]
	s_and_saveexec_b64 s[22:23], vcc
	s_cbranch_execnz .LBB232_15
; %bb.11:                               ;   in Loop: Header=BB232_4 Depth=1
	s_or_b64 exec, exec, s[22:23]
	s_and_saveexec_b64 s[8:9], s[6:7]
	s_cbranch_execnz .LBB232_16
.LBB232_12:                             ;   in Loop: Header=BB232_4 Depth=1
	s_or_b64 exec, exec, s[8:9]
	s_and_saveexec_b64 s[6:7], s[2:3]
	s_cbranch_execnz .LBB232_17
.LBB232_13:                             ;   in Loop: Header=BB232_4 Depth=1
	s_or_b64 exec, exec, s[6:7]
	s_and_saveexec_b64 s[2:3], s[0:1]
	s_cbranch_execnz .LBB232_18
.LBB232_14:                             ;   in Loop: Header=BB232_4 Depth=1
	s_or_b64 exec, exec, s[2:3]
	s_and_saveexec_b64 s[0:1], vcc
	s_cbranch_execz .LBB232_3
	s_branch .LBB232_19
.LBB232_15:                             ;   in Loop: Header=BB232_4 Depth=1
	v_mov_b32_e32 v7, s28
	v_add_co_u32_e64 v6, s[8:9], s27, v2
	v_addc_co_u32_e64 v7, s[8:9], v3, v7, s[8:9]
	global_load_dwordx2 v[6:7], v[6:7], off
	s_or_b64 exec, exec, s[22:23]
	s_and_saveexec_b64 s[8:9], s[6:7]
	s_cbranch_execz .LBB232_12
.LBB232_16:                             ;   in Loop: Header=BB232_4 Depth=1
	s_waitcnt vmcnt(0)
	v_cmp_gt_f64_e64 s[6:7], s[20:21], v[12:13]
	v_cndmask_b32_e64 v21, 0, 1, s[6:7]
	v_lshlrev_b32_e32 v21, 8, v21
	v_ldexp_f64 v[12:13], v[12:13], v21
	v_rsq_f64_e32 v[22:23], v[12:13]
	v_cndmask_b32_e64 v21, 0, v20, s[6:7]
	v_cmp_class_f64_e64 s[6:7], v[12:13], v19
	v_mul_f64 v[24:25], v[12:13], v[22:23]
	v_mul_f64 v[22:23], v[22:23], 0.5
	v_fma_f64 v[26:27], -v[22:23], v[24:25], 0.5
	v_fmac_f64_e32 v[24:25], v[24:25], v[26:27]
	v_fmac_f64_e32 v[22:23], v[22:23], v[26:27]
	v_fma_f64 v[26:27], -v[24:25], v[24:25], v[12:13]
	v_fmac_f64_e32 v[24:25], v[26:27], v[22:23]
	v_fma_f64 v[26:27], -v[24:25], v[24:25], v[12:13]
	v_fmac_f64_e32 v[24:25], v[26:27], v[22:23]
	v_ldexp_f64 v[22:23], v[24:25], v21
	v_cndmask_b32_e64 v13, v23, v13, s[6:7]
	v_cndmask_b32_e64 v12, v22, v12, s[6:7]
	global_store_dwordx2 v[2:3], v[12:13], off
	s_or_b64 exec, exec, s[8:9]
	s_and_saveexec_b64 s[6:7], s[2:3]
	s_cbranch_execz .LBB232_13
.LBB232_17:                             ;   in Loop: Header=BB232_4 Depth=1
	s_waitcnt vmcnt(0)
	v_cmp_gt_f64_e64 s[2:3], s[20:21], v[8:9]
	v_cndmask_b32_e64 v12, 0, 1, s[2:3]
	v_lshlrev_b32_e32 v12, 8, v12
	v_ldexp_f64 v[8:9], v[8:9], v12
	v_rsq_f64_e32 v[12:13], v[8:9]
	v_mul_f64 v[22:23], v[8:9], v[12:13]
	v_mul_f64 v[12:13], v[12:13], 0.5
	v_fma_f64 v[24:25], -v[12:13], v[22:23], 0.5
	v_fmac_f64_e32 v[22:23], v[22:23], v[24:25]
	v_fmac_f64_e32 v[12:13], v[12:13], v[24:25]
	v_fma_f64 v[24:25], -v[22:23], v[22:23], v[8:9]
	v_fmac_f64_e32 v[22:23], v[24:25], v[12:13]
	v_fma_f64 v[24:25], -v[22:23], v[22:23], v[8:9]
	v_fmac_f64_e32 v[22:23], v[24:25], v[12:13]
	v_cndmask_b32_e64 v12, 0, v20, s[2:3]
	v_ldexp_f64 v[12:13], v[22:23], v12
	v_cmp_class_f64_e64 s[2:3], v[8:9], v19
	v_cndmask_b32_e64 v9, v13, v9, s[2:3]
	v_cndmask_b32_e64 v8, v12, v8, s[2:3]
	global_store_dwordx2 v[4:5], v[8:9], off
	s_or_b64 exec, exec, s[6:7]
	s_and_saveexec_b64 s[2:3], s[0:1]
	s_cbranch_execz .LBB232_14
.LBB232_18:                             ;   in Loop: Header=BB232_4 Depth=1
	s_waitcnt vmcnt(0)
	v_cmp_gt_f64_e64 s[0:1], s[20:21], v[10:11]
	v_cndmask_b32_e64 v8, 0, 1, s[0:1]
	v_lshlrev_b32_e32 v8, 8, v8
	v_ldexp_f64 v[8:9], v[10:11], v8
	v_rsq_f64_e32 v[10:11], v[8:9]
	v_mul_f64 v[12:13], v[8:9], v[10:11]
	v_mul_f64 v[10:11], v[10:11], 0.5
	v_fma_f64 v[22:23], -v[10:11], v[12:13], 0.5
	v_fmac_f64_e32 v[12:13], v[12:13], v[22:23]
	v_fmac_f64_e32 v[10:11], v[10:11], v[22:23]
	v_fma_f64 v[22:23], -v[12:13], v[12:13], v[8:9]
	v_fmac_f64_e32 v[12:13], v[22:23], v[10:11]
	v_fma_f64 v[22:23], -v[12:13], v[12:13], v[8:9]
	v_fmac_f64_e32 v[12:13], v[22:23], v[10:11]
	v_cndmask_b32_e64 v10, 0, v20, s[0:1]
	v_ldexp_f64 v[10:11], v[12:13], v10
	v_cmp_class_f64_e64 s[0:1], v[8:9], v19
	v_cndmask_b32_e64 v9, v11, v9, s[0:1]
	v_cndmask_b32_e64 v8, v10, v8, s[0:1]
	v_mov_b32_e32 v11, s30
	v_add_co_u32_e64 v10, s[0:1], s29, v2
	v_addc_co_u32_e64 v11, s[0:1], v3, v11, s[0:1]
	global_store_dwordx2 v[10:11], v[8:9], off
	s_or_b64 exec, exec, s[2:3]
	s_and_saveexec_b64 s[0:1], vcc
	s_cbranch_execz .LBB232_3
.LBB232_19:                             ;   in Loop: Header=BB232_4 Depth=1
	s_waitcnt vmcnt(0)
	v_cmp_gt_f64_e32 vcc, s[20:21], v[6:7]
	v_cndmask_b32_e64 v8, 0, 1, vcc
	v_lshlrev_b32_e32 v8, 8, v8
	v_ldexp_f64 v[6:7], v[6:7], v8
	v_rsq_f64_e32 v[8:9], v[6:7]
	v_mul_f64 v[10:11], v[6:7], v[8:9]
	v_mul_f64 v[8:9], v[8:9], 0.5
	v_fma_f64 v[12:13], -v[8:9], v[10:11], 0.5
	v_fmac_f64_e32 v[10:11], v[10:11], v[12:13]
	v_fmac_f64_e32 v[8:9], v[8:9], v[12:13]
	v_fma_f64 v[12:13], -v[10:11], v[10:11], v[6:7]
	v_fmac_f64_e32 v[10:11], v[12:13], v[8:9]
	v_fma_f64 v[12:13], -v[10:11], v[10:11], v[6:7]
	v_fmac_f64_e32 v[10:11], v[12:13], v[8:9]
	v_cndmask_b32_e32 v8, 0, v20, vcc
	v_ldexp_f64 v[8:9], v[10:11], v8
	v_cmp_class_f64_e32 vcc, v[6:7], v19
	v_cndmask_b32_e32 v7, v9, v7, vcc
	v_cndmask_b32_e32 v6, v8, v6, vcc
	v_mov_b32_e32 v9, s28
	v_add_co_u32_e32 v8, vcc, s27, v2
	v_addc_co_u32_e32 v9, vcc, v3, v9, vcc
	global_store_dwordx2 v[8:9], v[6:7], off
	s_branch .LBB232_3
.LBB232_20:
	s_cbranch_execz .LBB232_22
	s_branch .LBB232_25
.LBB232_21:
.LBB232_22:
	v_mov_b32_e32 v3, 0
	v_lshlrev_b32_e32 v2, 2, v0
	s_mov_b32 s0, 0
	v_cmp_gt_i64_e32 vcc, s[10:11], v[2:3]
	s_and_saveexec_b64 s[2:3], vcc
	s_cbranch_execz .LBB232_25
; %bb.23:
	s_load_dword s1, s[4:5], 0xd3c
	v_lshlrev_b32_e32 v1, 5, v0
	s_mov_b32 s8, 0
	s_mov_b64 s[6:7], 0
	s_brev_b32 s9, 8
	s_waitcnt lgkmcnt(0)
	s_and_b32 s1, s1, 0xffff
	s_lshl_b32 s16, s1, 2
	s_add_u32 s2, s12, s14
	s_addc_u32 s3, s13, s15
	v_add_lshl_u32 v2, v0, s1, 2
	v_mov_b32_e32 v0, s3
	v_add_co_u32_e32 v1, vcc, s2, v1
	v_addc_co_u32_e32 v4, vcc, 0, v0, vcc
	v_add_co_u32_e32 v0, vcc, 16, v1
	v_addc_co_u32_e32 v1, vcc, 0, v4, vcc
	s_lshl_b32 s14, s1, 5
	v_mov_b32_e32 v4, 0xffffff80
	v_mov_b32_e32 v5, 0x260
	s_mov_b64 s[12:13], 0xffff
	v_mov_b32_e32 v6, s0
	v_mov_b32_e32 v7, s0
.LBB232_24:                             ; =>This Inner Loop Header: Depth=1
	global_load_dwordx4 v[8:11], v[0:1], off offset:-16
	global_load_dwordx4 v[12:15], v[0:1], off
	v_cmp_le_i64_e32 vcc, s[10:11], v[2:3]
	v_cmp_lt_u64_e64 s[0:1], s[12:13], v[2:3]
	s_or_b64 s[0:1], vcc, s[0:1]
	v_add_co_u32_e64 v2, s[2:3], s16, v2
	s_and_b64 s[0:1], exec, s[0:1]
	v_addc_co_u32_e64 v3, s[2:3], v3, v6, s[2:3]
	s_or_b64 s[6:7], s[0:1], s[6:7]
	s_waitcnt vmcnt(1)
	v_cmp_gt_f64_e32 vcc, s[8:9], v[8:9]
	v_cndmask_b32_e64 v16, 0, 1, vcc
	v_cmp_gt_f64_e64 s[0:1], s[8:9], v[10:11]
	v_cndmask_b32_e64 v17, 0, 1, s[0:1]
	s_waitcnt vmcnt(0)
	v_cmp_gt_f64_e64 s[2:3], s[8:9], v[12:13]
	v_cmp_gt_f64_e64 s[4:5], s[8:9], v[14:15]
	v_lshlrev_b32_e32 v16, 8, v16
	v_cndmask_b32_e64 v18, 0, 1, s[2:3]
	v_cndmask_b32_e64 v19, 0, 1, s[4:5]
	v_lshlrev_b32_e32 v17, 8, v17
	v_ldexp_f64 v[8:9], v[8:9], v16
	v_lshlrev_b32_e32 v18, 8, v18
	v_lshlrev_b32_e32 v19, 8, v19
	v_ldexp_f64 v[10:11], v[10:11], v17
	v_rsq_f64_e32 v[16:17], v[8:9]
	v_ldexp_f64 v[12:13], v[12:13], v18
	v_ldexp_f64 v[14:15], v[14:15], v19
	v_rsq_f64_e32 v[18:19], v[10:11]
	v_rsq_f64_e32 v[20:21], v[12:13]
	;; [unrolled: 1-line block ×3, first 2 shown]
	v_mul_f64 v[24:25], v[8:9], v[16:17]
	v_mul_f64 v[16:17], v[16:17], 0.5
	v_mul_f64 v[26:27], v[10:11], v[18:19]
	v_mul_f64 v[18:19], v[18:19], 0.5
	v_fma_f64 v[32:33], -v[16:17], v[24:25], 0.5
	v_mul_f64 v[28:29], v[12:13], v[20:21]
	v_mul_f64 v[20:21], v[20:21], 0.5
	v_fma_f64 v[34:35], -v[18:19], v[26:27], 0.5
	v_fmac_f64_e32 v[24:25], v[24:25], v[32:33]
	v_mul_f64 v[30:31], v[14:15], v[22:23]
	v_mul_f64 v[22:23], v[22:23], 0.5
	v_fma_f64 v[36:37], -v[20:21], v[28:29], 0.5
	v_fmac_f64_e32 v[16:17], v[16:17], v[32:33]
	v_fmac_f64_e32 v[26:27], v[26:27], v[34:35]
	v_fma_f64 v[32:33], -v[24:25], v[24:25], v[8:9]
	v_fma_f64 v[38:39], -v[22:23], v[30:31], 0.5
	v_fmac_f64_e32 v[18:19], v[18:19], v[34:35]
	v_fmac_f64_e32 v[28:29], v[28:29], v[36:37]
	v_fma_f64 v[34:35], -v[26:27], v[26:27], v[10:11]
	v_fmac_f64_e32 v[24:25], v[32:33], v[16:17]
	v_fmac_f64_e32 v[20:21], v[20:21], v[36:37]
	;; [unrolled: 1-line block ×3, first 2 shown]
	v_fma_f64 v[36:37], -v[28:29], v[28:29], v[12:13]
	v_fmac_f64_e32 v[26:27], v[34:35], v[18:19]
	v_fma_f64 v[32:33], -v[24:25], v[24:25], v[8:9]
	v_cndmask_b32_e32 v40, 0, v4, vcc
	v_fmac_f64_e32 v[22:23], v[22:23], v[38:39]
	v_fma_f64 v[38:39], -v[30:31], v[30:31], v[14:15]
	v_fmac_f64_e32 v[28:29], v[36:37], v[20:21]
	v_fma_f64 v[34:35], -v[26:27], v[26:27], v[10:11]
	v_fmac_f64_e32 v[24:25], v[32:33], v[16:17]
	v_cndmask_b32_e64 v41, 0, v4, s[0:1]
	v_fmac_f64_e32 v[30:31], v[38:39], v[22:23]
	v_fma_f64 v[36:37], -v[28:29], v[28:29], v[12:13]
	v_fmac_f64_e32 v[26:27], v[34:35], v[18:19]
	v_ldexp_f64 v[16:17], v[24:25], v40
	v_cmp_class_f64_e32 vcc, v[8:9], v5
	v_cndmask_b32_e64 v42, 0, v4, s[2:3]
	v_fma_f64 v[38:39], -v[30:31], v[30:31], v[14:15]
	v_fmac_f64_e32 v[28:29], v[36:37], v[20:21]
	v_ldexp_f64 v[18:19], v[26:27], v41
	v_cndmask_b32_e32 v9, v17, v9, vcc
	v_cndmask_b32_e32 v8, v16, v8, vcc
	v_cmp_class_f64_e32 vcc, v[10:11], v5
	v_cndmask_b32_e64 v43, 0, v4, s[4:5]
	v_fmac_f64_e32 v[30:31], v[38:39], v[22:23]
	v_ldexp_f64 v[20:21], v[28:29], v42
	v_cndmask_b32_e32 v11, v19, v11, vcc
	v_cndmask_b32_e32 v10, v18, v10, vcc
	v_cmp_class_f64_e32 vcc, v[12:13], v5
	v_ldexp_f64 v[22:23], v[30:31], v43
	v_cndmask_b32_e32 v13, v21, v13, vcc
	v_cndmask_b32_e32 v12, v20, v12, vcc
	v_cmp_class_f64_e32 vcc, v[14:15], v5
	v_cndmask_b32_e32 v15, v23, v15, vcc
	v_cndmask_b32_e32 v14, v22, v14, vcc
	global_store_dwordx4 v[0:1], v[8:11], off offset:-16
	global_store_dwordx4 v[0:1], v[12:15], off
	v_add_co_u32_e32 v0, vcc, s14, v0
	v_addc_co_u32_e32 v1, vcc, v1, v7, vcc
	s_andn2_b64 exec, exec, s[6:7]
	s_cbranch_execnz .LBB232_24
.LBB232_25:
	s_endpgm
	.section	.rodata,"a",@progbits
	.p2align	6, 0x0
	.amdhsa_kernel _ZN2at6native12_GLOBAL__N_125multi_tensor_apply_kernelINS1_18TensorListMetadataILi1EEENS1_14UnaryOpFunctorIdLi1ELi1ELi0EEEJNS0_4SqrtIdEEEEEvT_T0_DpT1_
		.amdhsa_group_segment_fixed_size 0
		.amdhsa_private_segment_fixed_size 0
		.amdhsa_kernarg_size 3632
		.amdhsa_user_sgpr_count 6
		.amdhsa_user_sgpr_private_segment_buffer 1
		.amdhsa_user_sgpr_dispatch_ptr 0
		.amdhsa_user_sgpr_queue_ptr 0
		.amdhsa_user_sgpr_kernarg_segment_ptr 1
		.amdhsa_user_sgpr_dispatch_id 0
		.amdhsa_user_sgpr_flat_scratch_init 0
		.amdhsa_user_sgpr_kernarg_preload_length 0
		.amdhsa_user_sgpr_kernarg_preload_offset 0
		.amdhsa_user_sgpr_private_segment_size 0
		.amdhsa_uses_dynamic_stack 0
		.amdhsa_system_sgpr_private_segment_wavefront_offset 0
		.amdhsa_system_sgpr_workgroup_id_x 1
		.amdhsa_system_sgpr_workgroup_id_y 0
		.amdhsa_system_sgpr_workgroup_id_z 0
		.amdhsa_system_sgpr_workgroup_info 0
		.amdhsa_system_vgpr_workitem_id 0
		.amdhsa_next_free_vgpr 44
		.amdhsa_next_free_sgpr 31
		.amdhsa_accum_offset 44
		.amdhsa_reserve_vcc 1
		.amdhsa_reserve_flat_scratch 0
		.amdhsa_float_round_mode_32 0
		.amdhsa_float_round_mode_16_64 0
		.amdhsa_float_denorm_mode_32 3
		.amdhsa_float_denorm_mode_16_64 3
		.amdhsa_dx10_clamp 1
		.amdhsa_ieee_mode 1
		.amdhsa_fp16_overflow 0
		.amdhsa_tg_split 0
		.amdhsa_exception_fp_ieee_invalid_op 0
		.amdhsa_exception_fp_denorm_src 0
		.amdhsa_exception_fp_ieee_div_zero 0
		.amdhsa_exception_fp_ieee_overflow 0
		.amdhsa_exception_fp_ieee_underflow 0
		.amdhsa_exception_fp_ieee_inexact 0
		.amdhsa_exception_int_div_zero 0
	.end_amdhsa_kernel
	.section	.text._ZN2at6native12_GLOBAL__N_125multi_tensor_apply_kernelINS1_18TensorListMetadataILi1EEENS1_14UnaryOpFunctorIdLi1ELi1ELi0EEEJNS0_4SqrtIdEEEEEvT_T0_DpT1_,"axG",@progbits,_ZN2at6native12_GLOBAL__N_125multi_tensor_apply_kernelINS1_18TensorListMetadataILi1EEENS1_14UnaryOpFunctorIdLi1ELi1ELi0EEEJNS0_4SqrtIdEEEEEvT_T0_DpT1_,comdat
.Lfunc_end232:
	.size	_ZN2at6native12_GLOBAL__N_125multi_tensor_apply_kernelINS1_18TensorListMetadataILi1EEENS1_14UnaryOpFunctorIdLi1ELi1ELi0EEEJNS0_4SqrtIdEEEEEvT_T0_DpT1_, .Lfunc_end232-_ZN2at6native12_GLOBAL__N_125multi_tensor_apply_kernelINS1_18TensorListMetadataILi1EEENS1_14UnaryOpFunctorIdLi1ELi1ELi0EEEJNS0_4SqrtIdEEEEEvT_T0_DpT1_
                                        ; -- End function
	.section	.AMDGPU.csdata,"",@progbits
; Kernel info:
; codeLenInByte = 2008
; NumSgprs: 35
; NumVgprs: 44
; NumAgprs: 0
; TotalNumVgprs: 44
; ScratchSize: 0
; MemoryBound: 0
; FloatMode: 240
; IeeeMode: 1
; LDSByteSize: 0 bytes/workgroup (compile time only)
; SGPRBlocks: 4
; VGPRBlocks: 5
; NumSGPRsForWavesPerEU: 35
; NumVGPRsForWavesPerEU: 44
; AccumOffset: 44
; Occupancy: 8
; WaveLimiterHint : 0
; COMPUTE_PGM_RSRC2:SCRATCH_EN: 0
; COMPUTE_PGM_RSRC2:USER_SGPR: 6
; COMPUTE_PGM_RSRC2:TRAP_HANDLER: 0
; COMPUTE_PGM_RSRC2:TGID_X_EN: 1
; COMPUTE_PGM_RSRC2:TGID_Y_EN: 0
; COMPUTE_PGM_RSRC2:TGID_Z_EN: 0
; COMPUTE_PGM_RSRC2:TIDIG_COMP_CNT: 0
; COMPUTE_PGM_RSRC3_GFX90A:ACCUM_OFFSET: 10
; COMPUTE_PGM_RSRC3_GFX90A:TG_SPLIT: 0
	.section	.text._ZN2at6native12_GLOBAL__N_125multi_tensor_apply_kernelINS1_18TensorListMetadataILi1EEENS1_14UnaryOpFunctorIfLi1ELi1ELi0EEEJNS0_4SqrtIfEEEEEvT_T0_DpT1_,"axG",@progbits,_ZN2at6native12_GLOBAL__N_125multi_tensor_apply_kernelINS1_18TensorListMetadataILi1EEENS1_14UnaryOpFunctorIfLi1ELi1ELi0EEEJNS0_4SqrtIfEEEEEvT_T0_DpT1_,comdat
	.globl	_ZN2at6native12_GLOBAL__N_125multi_tensor_apply_kernelINS1_18TensorListMetadataILi1EEENS1_14UnaryOpFunctorIfLi1ELi1ELi0EEEJNS0_4SqrtIfEEEEEvT_T0_DpT1_ ; -- Begin function _ZN2at6native12_GLOBAL__N_125multi_tensor_apply_kernelINS1_18TensorListMetadataILi1EEENS1_14UnaryOpFunctorIfLi1ELi1ELi0EEEJNS0_4SqrtIfEEEEEvT_T0_DpT1_
	.p2align	8
	.type	_ZN2at6native12_GLOBAL__N_125multi_tensor_apply_kernelINS1_18TensorListMetadataILi1EEENS1_14UnaryOpFunctorIfLi1ELi1ELi0EEEJNS0_4SqrtIfEEEEEvT_T0_DpT1_,@function
_ZN2at6native12_GLOBAL__N_125multi_tensor_apply_kernelINS1_18TensorListMetadataILi1EEENS1_14UnaryOpFunctorIfLi1ELi1ELi0EEEJNS0_4SqrtIfEEEEEvT_T0_DpT1_: ; @_ZN2at6native12_GLOBAL__N_125multi_tensor_apply_kernelINS1_18TensorListMetadataILi1EEENS1_14UnaryOpFunctorIfLi1ELi1ELi0EEEJNS0_4SqrtIfEEEEEvT_T0_DpT1_
; %bb.0:
	v_mov_b32_e32 v1, s6
	global_load_ubyte v1, v1, s[4:5] offset:1760
	s_add_u32 s0, s4, s6
	s_mul_hi_u32 s1, s6, 3
	s_mul_i32 s6, s6, 3
	s_addc_u32 s2, s5, 0
	s_add_u32 s0, s0, s6
	s_addc_u32 s1, s2, s1
	s_load_dword s0, s[0:1], 0x820
	s_mov_b32 s7, 0
	s_waitcnt vmcnt(0)
	v_readfirstlane_b32 s2, v1
	s_lshl_b32 s1, s2, 3
	s_load_dwordx2 s[2:3], s[4:5], s1 offset:0x370
	s_load_dwordx2 s[12:13], s[4:5], s1 offset:0x0
	s_waitcnt lgkmcnt(0)
	s_ashr_i32 s1, s0, 31
	s_lshl_b64 s[14:15], s[0:1], 18
	s_lshl_b64 s[0:1], s[0:1], 16
	s_and_b32 s6, s12, 15
	s_sub_u32 s10, s2, s0
	s_subb_u32 s11, s3, s1
	s_and_b32 s0, s2, 3
	s_mov_b32 s1, s7
	s_or_b64 s[0:1], s[6:7], s[0:1]
	s_cmp_eq_u64 s[0:1], 0
	s_cbranch_scc1 .LBB233_21
; %bb.1:
	v_cmp_lt_i64_e64 s[0:1], s[10:11], 1
	s_and_b64 vcc, exec, s[0:1]
	s_cbranch_vccnz .LBB233_20
; %bb.2:
	s_load_dword s0, s[4:5], 0xd3c
	v_mov_b32_e32 v2, 0x10000
	v_mov_b32_e32 v3, 0
	v_cmp_lt_u64_e32 vcc, s[10:11], v[2:3]
	v_lshlrev_b32_e32 v1, 2, v0
	s_waitcnt lgkmcnt(0)
	s_and_b32 s3, s0, 0xffff
	s_and_b64 s[0:1], vcc, exec
	s_cselect_b32 s17, s11, 0
	s_cselect_b32 s16, s10, 0x10000
	s_lshl_b32 s6, s3, 1
	s_lshl_b32 s22, s3, 2
	s_add_u32 s7, s12, s14
	s_addc_u32 s8, s13, s15
	v_mov_b32_e32 v3, s8
	v_add_co_u32_e32 v2, vcc, s7, v1
	s_mul_i32 s0, s3, 3
	v_addc_co_u32_e32 v3, vcc, 0, v3, vcc
	v_add_co_u32_e32 v1, vcc, s0, v0
	v_addc_co_u32_e64 v8, s[0:1], 0, 0, vcc
	v_add_co_u32_e32 v9, vcc, s6, v0
	v_addc_co_u32_e64 v10, s[0:1], 0, 0, vcc
	v_add_co_u32_e32 v11, vcc, s3, v0
	v_lshlrev_b32_e32 v4, 2, v11
	s_mov_b32 s2, 0
	v_addc_co_u32_e64 v12, s[0:1], 0, 0, vcc
	v_mov_b32_e32 v5, s8
	v_add_co_u32_e32 v4, vcc, s7, v4
	s_lshl_b32 s23, s3, 4
	s_mul_i32 s24, s3, 12
	s_mov_b32 s25, s2
	s_lshl_b32 s26, s3, 3
	s_mov_b32 s27, s2
	v_addc_co_u32_e32 v5, vcc, 0, v5, vcc
	s_mov_b64 s[18:19], 0
	s_mov_b32 s28, 0xf800000
	v_mov_b32_e32 v13, 0x260
	v_pk_mov_b32 v[6:7], s[10:11], s[10:11] op_sel:[0,1]
	v_mov_b32_e32 v14, s2
	s_branch .LBB233_4
.LBB233_3:                              ;   in Loop: Header=BB233_4 Depth=1
	s_or_b64 exec, exec, s[2:3]
	s_add_u32 s18, s18, s22
	s_waitcnt vmcnt(0)
	v_mov_b32_e32 v16, 0x10000
	s_addc_u32 s19, s19, 0
	v_mov_b32_e32 v17, 0
	v_cmp_lt_i64_e32 vcc, s[18:19], v[6:7]
	v_cmp_lt_u64_e64 s[0:1], s[18:19], v[16:17]
	s_and_b64 s[0:1], vcc, s[0:1]
	v_add_co_u32_e32 v2, vcc, s23, v2
	v_addc_co_u32_e32 v3, vcc, v3, v14, vcc
	v_add_co_u32_e32 v4, vcc, s23, v4
	v_addc_co_u32_e32 v5, vcc, v5, v14, vcc
	s_and_b64 vcc, exec, s[0:1]
	s_cbranch_vccz .LBB233_20
.LBB233_4:                              ; =>This Inner Loop Header: Depth=1
	v_mov_b32_e32 v15, s19
	v_add_co_u32_e32 v16, vcc, s18, v0
	v_addc_co_u32_e32 v17, vcc, 0, v15, vcc
	v_cmp_gt_u64_e64 s[6:7], s[16:17], v[16:17]
	v_mov_b32_e32 v18, 0
	s_and_saveexec_b64 s[0:1], s[6:7]
	s_cbranch_execz .LBB233_6
; %bb.5:                                ;   in Loop: Header=BB233_4 Depth=1
	global_load_dword v18, v[2:3], off
.LBB233_6:                              ;   in Loop: Header=BB233_4 Depth=1
	s_or_b64 exec, exec, s[0:1]
	v_mov_b32_e32 v15, s19
	v_add_co_u32_e32 v16, vcc, s18, v11
	v_addc_co_u32_e32 v17, vcc, v12, v15, vcc
	v_cmp_gt_u64_e64 s[2:3], s[16:17], v[16:17]
	v_mov_b32_e32 v17, 0
	s_and_saveexec_b64 s[0:1], s[2:3]
	s_cbranch_execz .LBB233_8
; %bb.7:                                ;   in Loop: Header=BB233_4 Depth=1
	global_load_dword v17, v[4:5], off
.LBB233_8:                              ;   in Loop: Header=BB233_4 Depth=1
	s_or_b64 exec, exec, s[0:1]
	v_mov_b32_e32 v15, s19
	v_add_co_u32_e32 v20, vcc, s18, v9
	v_addc_co_u32_e32 v21, vcc, v10, v15, vcc
	v_cmp_gt_u64_e64 s[0:1], s[16:17], v[20:21]
	v_mov_b32_e32 v15, 0
	v_mov_b32_e32 v16, 0
	s_and_saveexec_b64 s[8:9], s[0:1]
	s_cbranch_execz .LBB233_10
; %bb.9:                                ;   in Loop: Header=BB233_4 Depth=1
	v_mov_b32_e32 v16, s27
	v_add_co_u32_e32 v20, vcc, s26, v2
	v_addc_co_u32_e32 v21, vcc, v3, v16, vcc
	global_load_dword v16, v[20:21], off
.LBB233_10:                             ;   in Loop: Header=BB233_4 Depth=1
	s_or_b64 exec, exec, s[8:9]
	v_mov_b32_e32 v19, s19
	v_add_co_u32_e32 v20, vcc, s18, v1
	v_addc_co_u32_e32 v21, vcc, v8, v19, vcc
	v_cmp_gt_u64_e32 vcc, s[16:17], v[20:21]
	s_and_saveexec_b64 s[20:21], vcc
	s_cbranch_execnz .LBB233_15
; %bb.11:                               ;   in Loop: Header=BB233_4 Depth=1
	s_or_b64 exec, exec, s[20:21]
	s_and_saveexec_b64 s[20:21], s[6:7]
	s_cbranch_execnz .LBB233_16
.LBB233_12:                             ;   in Loop: Header=BB233_4 Depth=1
	s_or_b64 exec, exec, s[20:21]
	s_and_saveexec_b64 s[8:9], s[2:3]
	s_cbranch_execnz .LBB233_17
.LBB233_13:                             ;   in Loop: Header=BB233_4 Depth=1
	s_or_b64 exec, exec, s[8:9]
	s_and_saveexec_b64 s[6:7], s[0:1]
	s_cbranch_execnz .LBB233_18
.LBB233_14:                             ;   in Loop: Header=BB233_4 Depth=1
	s_or_b64 exec, exec, s[6:7]
	s_and_saveexec_b64 s[2:3], vcc
	s_cbranch_execz .LBB233_3
	s_branch .LBB233_19
.LBB233_15:                             ;   in Loop: Header=BB233_4 Depth=1
	v_mov_b32_e32 v15, s25
	v_add_co_u32_e64 v20, s[8:9], s24, v2
	v_addc_co_u32_e64 v21, s[8:9], v3, v15, s[8:9]
	global_load_dword v15, v[20:21], off
	s_or_b64 exec, exec, s[20:21]
	s_and_saveexec_b64 s[20:21], s[6:7]
	s_cbranch_execz .LBB233_12
.LBB233_16:                             ;   in Loop: Header=BB233_4 Depth=1
	s_waitcnt vmcnt(0)
	v_mul_f32_e32 v19, 0x4f800000, v18
	v_cmp_gt_f32_e64 s[6:7], s28, v18
	v_cndmask_b32_e64 v18, v18, v19, s[6:7]
	v_sqrt_f32_e32 v19, v18
	v_add_u32_e32 v20, -1, v19
	v_fma_f32 v22, -v20, v19, v18
	v_add_u32_e32 v21, 1, v19
	v_cmp_ge_f32_e64 s[8:9], 0, v22
	v_cndmask_b32_e64 v20, v19, v20, s[8:9]
	v_fma_f32 v19, -v21, v19, v18
	v_cmp_lt_f32_e64 s[8:9], 0, v19
	v_cndmask_b32_e64 v19, v20, v21, s[8:9]
	v_mul_f32_e32 v20, 0x37800000, v19
	v_cndmask_b32_e64 v19, v19, v20, s[6:7]
	v_cmp_class_f32_e64 s[6:7], v18, v13
	v_cndmask_b32_e64 v18, v19, v18, s[6:7]
	global_store_dword v[2:3], v18, off
	s_or_b64 exec, exec, s[20:21]
	s_and_saveexec_b64 s[8:9], s[2:3]
	s_cbranch_execz .LBB233_13
.LBB233_17:                             ;   in Loop: Header=BB233_4 Depth=1
	s_waitcnt vmcnt(0)
	v_mul_f32_e32 v18, 0x4f800000, v17
	v_cmp_gt_f32_e64 s[2:3], s28, v17
	v_cndmask_b32_e64 v17, v17, v18, s[2:3]
	v_sqrt_f32_e32 v18, v17
	v_add_u32_e32 v19, -1, v18
	v_fma_f32 v21, -v19, v18, v17
	v_add_u32_e32 v20, 1, v18
	v_cmp_ge_f32_e64 s[6:7], 0, v21
	v_cndmask_b32_e64 v19, v18, v19, s[6:7]
	v_fma_f32 v18, -v20, v18, v17
	v_cmp_lt_f32_e64 s[6:7], 0, v18
	v_cndmask_b32_e64 v18, v19, v20, s[6:7]
	v_mul_f32_e32 v19, 0x37800000, v18
	v_cndmask_b32_e64 v18, v18, v19, s[2:3]
	v_cmp_class_f32_e64 s[2:3], v17, v13
	v_cndmask_b32_e64 v17, v18, v17, s[2:3]
	global_store_dword v[4:5], v17, off
	s_or_b64 exec, exec, s[8:9]
	s_and_saveexec_b64 s[6:7], s[0:1]
	s_cbranch_execz .LBB233_14
.LBB233_18:                             ;   in Loop: Header=BB233_4 Depth=1
	s_waitcnt vmcnt(0)
	v_mul_f32_e32 v17, 0x4f800000, v16
	v_cmp_gt_f32_e64 s[0:1], s28, v16
	v_cndmask_b32_e64 v16, v16, v17, s[0:1]
	v_sqrt_f32_e32 v17, v16
	v_add_u32_e32 v18, -1, v17
	v_fma_f32 v20, -v18, v17, v16
	v_add_u32_e32 v19, 1, v17
	v_cmp_ge_f32_e64 s[2:3], 0, v20
	v_cndmask_b32_e64 v18, v17, v18, s[2:3]
	v_fma_f32 v17, -v19, v17, v16
	v_cmp_lt_f32_e64 s[2:3], 0, v17
	v_cndmask_b32_e64 v17, v18, v19, s[2:3]
	v_mul_f32_e32 v18, 0x37800000, v17
	v_cndmask_b32_e64 v17, v17, v18, s[0:1]
	v_cmp_class_f32_e64 s[0:1], v16, v13
	v_cndmask_b32_e64 v18, v17, v16, s[0:1]
	v_mov_b32_e32 v17, s27
	v_add_co_u32_e64 v16, s[0:1], s26, v2
	v_addc_co_u32_e64 v17, s[0:1], v3, v17, s[0:1]
	global_store_dword v[16:17], v18, off
	s_or_b64 exec, exec, s[6:7]
	s_and_saveexec_b64 s[2:3], vcc
	s_cbranch_execz .LBB233_3
.LBB233_19:                             ;   in Loop: Header=BB233_4 Depth=1
	s_waitcnt vmcnt(0)
	v_mul_f32_e32 v16, 0x4f800000, v15
	v_cmp_gt_f32_e32 vcc, s28, v15
	v_cndmask_b32_e32 v15, v15, v16, vcc
	v_sqrt_f32_e32 v16, v15
	v_add_u32_e32 v17, -1, v16
	v_fma_f32 v19, -v17, v16, v15
	v_add_u32_e32 v18, 1, v16
	v_cmp_ge_f32_e64 s[0:1], 0, v19
	v_cndmask_b32_e64 v17, v16, v17, s[0:1]
	v_fma_f32 v16, -v18, v16, v15
	v_cmp_lt_f32_e64 s[0:1], 0, v16
	v_cndmask_b32_e64 v16, v17, v18, s[0:1]
	v_mul_f32_e32 v17, 0x37800000, v16
	v_cndmask_b32_e32 v16, v16, v17, vcc
	v_cmp_class_f32_e32 vcc, v15, v13
	v_cndmask_b32_e32 v15, v16, v15, vcc
	v_mov_b32_e32 v17, s25
	v_add_co_u32_e32 v16, vcc, s24, v2
	v_addc_co_u32_e32 v17, vcc, v3, v17, vcc
	global_store_dword v[16:17], v15, off
	s_branch .LBB233_3
.LBB233_20:
	s_cbranch_execz .LBB233_22
	s_branch .LBB233_25
.LBB233_21:
.LBB233_22:
	v_mov_b32_e32 v3, 0
	v_lshlrev_b32_e32 v2, 2, v0
	s_mov_b32 s0, 0
	v_cmp_gt_i64_e32 vcc, s[10:11], v[2:3]
	s_and_saveexec_b64 s[2:3], vcc
	s_cbranch_execz .LBB233_25
; %bb.23:
	s_load_dword s1, s[4:5], 0xd3c
	v_lshlrev_b32_e32 v1, 4, v0
	s_mov_b64 s[8:9], 0
	s_mov_b32 s16, 0xf800000
	v_mov_b32_e32 v6, s0
	s_waitcnt lgkmcnt(0)
	s_and_b32 s1, s1, 0xffff
	s_add_u32 s2, s12, s14
	s_addc_u32 s3, s13, s15
	v_mov_b32_e32 v2, s3
	v_add_co_u32_e32 v1, vcc, s2, v1
	v_addc_co_u32_e32 v2, vcc, 0, v2, vcc
	v_add_co_u32_e32 v4, vcc, 8, v1
	v_addc_co_u32_e32 v5, vcc, 0, v2, vcc
	s_lshl_b32 s14, s1, 4
	v_add_lshl_u32 v2, v0, s1, 2
	s_lshl_b32 s15, s1, 2
	v_mov_b32_e32 v0, 0x260
	s_mov_b64 s[12:13], 0xffff
	v_mov_b32_e32 v1, s0
.LBB233_24:                             ; =>This Inner Loop Header: Depth=1
	global_load_dwordx4 v[8:11], v[4:5], off offset:-8
	v_cmp_le_i64_e32 vcc, s[10:11], v[2:3]
	v_cmp_lt_u64_e64 s[0:1], s[12:13], v[2:3]
	s_or_b64 s[0:1], vcc, s[0:1]
	s_and_b64 s[0:1], exec, s[0:1]
	s_or_b64 s[8:9], s[0:1], s[8:9]
	s_waitcnt vmcnt(0)
	v_mul_f32_e32 v7, 0x4f800000, v9
	v_cmp_gt_f32_e32 vcc, s16, v9
	v_mul_f32_e32 v12, 0x4f800000, v8
	v_cndmask_b32_e32 v7, v9, v7, vcc
	v_cmp_gt_f32_e64 s[0:1], s16, v8
	v_mul_f32_e32 v13, 0x4f800000, v11
	v_cndmask_b32_e64 v8, v8, v12, s[0:1]
	v_cmp_gt_f32_e64 s[2:3], s16, v11
	v_sqrt_f32_e32 v9, v7
	v_mul_f32_e32 v14, 0x4f800000, v10
	v_cndmask_b32_e64 v11, v11, v13, s[2:3]
	v_cmp_gt_f32_e64 s[4:5], s16, v10
	v_sqrt_f32_e32 v12, v8
	v_cndmask_b32_e64 v10, v10, v14, s[4:5]
	v_sqrt_f32_e32 v13, v11
	v_sqrt_f32_e32 v14, v10
	v_add_u32_e32 v15, -1, v9
	v_add_u32_e32 v17, -1, v12
	v_fma_f32 v23, -v15, v9, v7
	v_add_u32_e32 v16, 1, v9
	v_add_u32_e32 v19, -1, v13
	v_fma_f32 v25, -v17, v12, v8
	v_cmp_ge_f32_e64 s[6:7], 0, v23
	v_add_u32_e32 v18, 1, v12
	v_add_u32_e32 v21, -1, v14
	v_fma_f32 v24, -v16, v9, v7
	v_fma_f32 v27, -v19, v13, v11
	v_cndmask_b32_e64 v9, v9, v15, s[6:7]
	v_cmp_ge_f32_e64 s[6:7], 0, v25
	v_add_u32_e32 v20, 1, v13
	v_fma_f32 v26, -v18, v12, v8
	v_fma_f32 v29, -v21, v14, v10
	v_cndmask_b32_e64 v12, v12, v17, s[6:7]
	v_cmp_ge_f32_e64 s[6:7], 0, v27
	v_add_u32_e32 v22, 1, v14
	v_fma_f32 v28, -v20, v13, v11
	v_cndmask_b32_e64 v13, v13, v19, s[6:7]
	v_cmp_ge_f32_e64 s[6:7], 0, v29
	v_fma_f32 v30, -v22, v14, v10
	v_cndmask_b32_e64 v14, v14, v21, s[6:7]
	v_cmp_lt_f32_e64 s[6:7], 0, v24
	v_cndmask_b32_e64 v9, v9, v16, s[6:7]
	v_cmp_lt_f32_e64 s[6:7], 0, v26
	;; [unrolled: 2-line block ×3, first 2 shown]
	v_mul_f32_e32 v15, 0x37800000, v9
	v_cndmask_b32_e64 v13, v13, v20, s[6:7]
	v_cmp_lt_f32_e64 s[6:7], 0, v30
	v_mul_f32_e32 v16, 0x37800000, v12
	v_cndmask_b32_e32 v9, v9, v15, vcc
	v_cmp_class_f32_e32 vcc, v7, v0
	v_cndmask_b32_e64 v14, v14, v22, s[6:7]
	v_mul_f32_e32 v17, 0x37800000, v13
	v_cndmask_b32_e64 v12, v12, v16, s[0:1]
	v_cndmask_b32_e32 v9, v9, v7, vcc
	v_cmp_class_f32_e32 vcc, v8, v0
	v_mul_f32_e32 v18, 0x37800000, v14
	v_cndmask_b32_e64 v13, v13, v17, s[2:3]
	v_cndmask_b32_e32 v8, v12, v8, vcc
	v_cmp_class_f32_e32 vcc, v11, v0
	v_cndmask_b32_e64 v14, v14, v18, s[4:5]
	v_cndmask_b32_e32 v11, v13, v11, vcc
	v_cmp_class_f32_e32 vcc, v10, v0
	v_cndmask_b32_e32 v10, v14, v10, vcc
	global_store_dwordx4 v[4:5], v[8:11], off offset:-8
	v_add_co_u32_e32 v4, vcc, s14, v4
	v_addc_co_u32_e32 v5, vcc, v5, v1, vcc
	v_add_co_u32_e32 v2, vcc, s15, v2
	v_addc_co_u32_e32 v3, vcc, v3, v6, vcc
	s_andn2_b64 exec, exec, s[8:9]
	s_cbranch_execnz .LBB233_24
.LBB233_25:
	s_endpgm
	.section	.rodata,"a",@progbits
	.p2align	6, 0x0
	.amdhsa_kernel _ZN2at6native12_GLOBAL__N_125multi_tensor_apply_kernelINS1_18TensorListMetadataILi1EEENS1_14UnaryOpFunctorIfLi1ELi1ELi0EEEJNS0_4SqrtIfEEEEEvT_T0_DpT1_
		.amdhsa_group_segment_fixed_size 0
		.amdhsa_private_segment_fixed_size 0
		.amdhsa_kernarg_size 3632
		.amdhsa_user_sgpr_count 6
		.amdhsa_user_sgpr_private_segment_buffer 1
		.amdhsa_user_sgpr_dispatch_ptr 0
		.amdhsa_user_sgpr_queue_ptr 0
		.amdhsa_user_sgpr_kernarg_segment_ptr 1
		.amdhsa_user_sgpr_dispatch_id 0
		.amdhsa_user_sgpr_flat_scratch_init 0
		.amdhsa_user_sgpr_kernarg_preload_length 0
		.amdhsa_user_sgpr_kernarg_preload_offset 0
		.amdhsa_user_sgpr_private_segment_size 0
		.amdhsa_uses_dynamic_stack 0
		.amdhsa_system_sgpr_private_segment_wavefront_offset 0
		.amdhsa_system_sgpr_workgroup_id_x 1
		.amdhsa_system_sgpr_workgroup_id_y 0
		.amdhsa_system_sgpr_workgroup_id_z 0
		.amdhsa_system_sgpr_workgroup_info 0
		.amdhsa_system_vgpr_workitem_id 0
		.amdhsa_next_free_vgpr 31
		.amdhsa_next_free_sgpr 29
		.amdhsa_accum_offset 32
		.amdhsa_reserve_vcc 1
		.amdhsa_reserve_flat_scratch 0
		.amdhsa_float_round_mode_32 0
		.amdhsa_float_round_mode_16_64 0
		.amdhsa_float_denorm_mode_32 3
		.amdhsa_float_denorm_mode_16_64 3
		.amdhsa_dx10_clamp 1
		.amdhsa_ieee_mode 1
		.amdhsa_fp16_overflow 0
		.amdhsa_tg_split 0
		.amdhsa_exception_fp_ieee_invalid_op 0
		.amdhsa_exception_fp_denorm_src 0
		.amdhsa_exception_fp_ieee_div_zero 0
		.amdhsa_exception_fp_ieee_overflow 0
		.amdhsa_exception_fp_ieee_underflow 0
		.amdhsa_exception_fp_ieee_inexact 0
		.amdhsa_exception_int_div_zero 0
	.end_amdhsa_kernel
	.section	.text._ZN2at6native12_GLOBAL__N_125multi_tensor_apply_kernelINS1_18TensorListMetadataILi1EEENS1_14UnaryOpFunctorIfLi1ELi1ELi0EEEJNS0_4SqrtIfEEEEEvT_T0_DpT1_,"axG",@progbits,_ZN2at6native12_GLOBAL__N_125multi_tensor_apply_kernelINS1_18TensorListMetadataILi1EEENS1_14UnaryOpFunctorIfLi1ELi1ELi0EEEJNS0_4SqrtIfEEEEEvT_T0_DpT1_,comdat
.Lfunc_end233:
	.size	_ZN2at6native12_GLOBAL__N_125multi_tensor_apply_kernelINS1_18TensorListMetadataILi1EEENS1_14UnaryOpFunctorIfLi1ELi1ELi0EEEJNS0_4SqrtIfEEEEEvT_T0_DpT1_, .Lfunc_end233-_ZN2at6native12_GLOBAL__N_125multi_tensor_apply_kernelINS1_18TensorListMetadataILi1EEENS1_14UnaryOpFunctorIfLi1ELi1ELi0EEEJNS0_4SqrtIfEEEEEvT_T0_DpT1_
                                        ; -- End function
	.section	.AMDGPU.csdata,"",@progbits
; Kernel info:
; codeLenInByte = 1864
; NumSgprs: 33
; NumVgprs: 31
; NumAgprs: 0
; TotalNumVgprs: 31
; ScratchSize: 0
; MemoryBound: 0
; FloatMode: 240
; IeeeMode: 1
; LDSByteSize: 0 bytes/workgroup (compile time only)
; SGPRBlocks: 4
; VGPRBlocks: 3
; NumSGPRsForWavesPerEU: 33
; NumVGPRsForWavesPerEU: 31
; AccumOffset: 32
; Occupancy: 8
; WaveLimiterHint : 0
; COMPUTE_PGM_RSRC2:SCRATCH_EN: 0
; COMPUTE_PGM_RSRC2:USER_SGPR: 6
; COMPUTE_PGM_RSRC2:TRAP_HANDLER: 0
; COMPUTE_PGM_RSRC2:TGID_X_EN: 1
; COMPUTE_PGM_RSRC2:TGID_Y_EN: 0
; COMPUTE_PGM_RSRC2:TGID_Z_EN: 0
; COMPUTE_PGM_RSRC2:TIDIG_COMP_CNT: 0
; COMPUTE_PGM_RSRC3_GFX90A:ACCUM_OFFSET: 7
; COMPUTE_PGM_RSRC3_GFX90A:TG_SPLIT: 0
	.section	.text._ZN2at6native12_GLOBAL__N_125multi_tensor_apply_kernelINS1_18TensorListMetadataILi1EEENS1_14UnaryOpFunctorIN3c107complexIdEELi1ELi1ELi0EEEJNS0_4SqrtIS8_EEEEEvT_T0_DpT1_,"axG",@progbits,_ZN2at6native12_GLOBAL__N_125multi_tensor_apply_kernelINS1_18TensorListMetadataILi1EEENS1_14UnaryOpFunctorIN3c107complexIdEELi1ELi1ELi0EEEJNS0_4SqrtIS8_EEEEEvT_T0_DpT1_,comdat
	.globl	_ZN2at6native12_GLOBAL__N_125multi_tensor_apply_kernelINS1_18TensorListMetadataILi1EEENS1_14UnaryOpFunctorIN3c107complexIdEELi1ELi1ELi0EEEJNS0_4SqrtIS8_EEEEEvT_T0_DpT1_ ; -- Begin function _ZN2at6native12_GLOBAL__N_125multi_tensor_apply_kernelINS1_18TensorListMetadataILi1EEENS1_14UnaryOpFunctorIN3c107complexIdEELi1ELi1ELi0EEEJNS0_4SqrtIS8_EEEEEvT_T0_DpT1_
	.p2align	8
	.type	_ZN2at6native12_GLOBAL__N_125multi_tensor_apply_kernelINS1_18TensorListMetadataILi1EEENS1_14UnaryOpFunctorIN3c107complexIdEELi1ELi1ELi0EEEJNS0_4SqrtIS8_EEEEEvT_T0_DpT1_,@function
_ZN2at6native12_GLOBAL__N_125multi_tensor_apply_kernelINS1_18TensorListMetadataILi1EEENS1_14UnaryOpFunctorIN3c107complexIdEELi1ELi1ELi0EEEJNS0_4SqrtIS8_EEEEEvT_T0_DpT1_: ; @_ZN2at6native12_GLOBAL__N_125multi_tensor_apply_kernelINS1_18TensorListMetadataILi1EEENS1_14UnaryOpFunctorIN3c107complexIdEELi1ELi1ELi0EEEJNS0_4SqrtIS8_EEEEEvT_T0_DpT1_
; %bb.0:
	v_mov_b32_e32 v1, s6
	global_load_ubyte v1, v1, s[4:5] offset:1760
	s_add_u32 s0, s4, s6
	s_mul_hi_u32 s1, s6, 3
	s_mul_i32 s6, s6, 3
	s_addc_u32 s2, s5, 0
	s_add_u32 s0, s0, s6
	s_addc_u32 s1, s2, s1
	s_load_dword s0, s[0:1], 0x820
	s_mov_b32 s7, 0
	s_waitcnt vmcnt(0)
	v_readfirstlane_b32 s1, v1
	s_lshl_b32 s1, s1, 3
	s_load_dwordx2 s[16:17], s[4:5], s1 offset:0x0
	s_load_dwordx2 s[2:3], s[4:5], s1 offset:0x370
	s_waitcnt lgkmcnt(0)
	s_ashr_i32 s1, s0, 31
	s_lshl_b64 s[18:19], s[0:1], 20
	s_add_u32 s33, s16, s18
	s_addc_u32 s46, s17, s19
	s_lshl_b64 s[0:1], s[0:1], 16
	s_and_b32 s6, s33, 63
	s_sub_u32 s14, s2, s0
	s_subb_u32 s15, s3, s1
	s_and_b32 s0, s2, 3
	s_mov_b32 s1, s7
	s_or_b64 s[0:1], s[6:7], s[0:1]
	s_cmp_eq_u64 s[0:1], 0
	s_cbranch_scc1 .LBB234_141
; %bb.1:
	v_cmp_lt_i64_e64 s[0:1], s[14:15], 1
	s_and_b64 vcc, exec, s[0:1]
	s_cbranch_vccnz .LBB234_140
; %bb.2:
	s_load_dword s0, s[4:5], 0xd3c
	v_mov_b32_e32 v2, 0x10000
	v_mov_b32_e32 v3, 0
	v_cmp_lt_u64_e32 vcc, s[14:15], v[2:3]
	v_mov_b32_e32 v25, 0
	s_waitcnt lgkmcnt(0)
	s_and_b32 s2, s0, 0xffff
	s_and_b64 s[0:1], vcc, exec
	s_mul_i32 s6, s2, 3
	v_lshlrev_b32_e32 v24, 4, v0
	v_add_co_u32_e32 v29, vcc, s2, v0
	v_addc_co_u32_e64 v31, s[0:1], 0, 0, vcc
	v_mad_u64_u32 v[26:27], s[0:1], s2, 48, v[24:25]
	v_add_co_u32_e32 v25, vcc, s6, v0
	v_addc_co_u32_e64 v34, s[0:1], 0, 0, vcc
	s_cselect_b32 s21, s15, 0
	s_cselect_b32 s20, s14, 0x10000
	s_lshl_b32 s0, s2, 5
	s_lshl_b32 s3, s2, 1
	v_add_co_u32_e32 v2, vcc, s0, v24
	v_addc_co_u32_e64 v1, s[0:1], 0, 0, vcc
	v_add_co_u32_e32 v35, vcc, s3, v0
	s_mov_b32 s24, 0
	s_mov_b32 s26, 0x99fcef32
	;; [unrolled: 1-line block ×4, first 2 shown]
	s_lshl_b32 s47, s2, 2
	s_lshl_b32 s48, s2, 6
	v_or_b32_e32 v26, 8, v26
	v_lshlrev_b32_e32 v28, 4, v29
	v_or_b32_e32 v30, 8, v2
	v_addc_co_u32_e64 v36, s[0:1], 0, 0, vcc
	s_mov_b64 s[22:23], 0
	s_mov_b32 s25, 0x7ff00000
	s_mov_b32 s27, 0x7fda8279
	;; [unrolled: 1-line block ×3, first 2 shown]
	s_movk_i32 s49, 0x204
	s_brev_b32 s31, 8
	v_mov_b32_e32 v37, 0x260
	s_brev_b32 s50, -2
	v_mov_b32_e32 v38, 0x7ff80000
	v_mov_b32_e32 v39, 0x7ff00000
	;; [unrolled: 1-line block ×3, first 2 shown]
	s_branch .LBB234_4
.LBB234_3:                              ;   in Loop: Header=BB234_4 Depth=1
	s_or_b64 exec, exec, s[0:1]
	s_add_u32 s22, s22, s47
	s_addc_u32 s23, s23, 0
	v_pk_mov_b32 v[2:3], s[14:15], s[14:15] op_sel:[0,1]
	v_cmp_ge_i64_e32 vcc, s[22:23], v[2:3]
	v_mov_b32_e32 v2, 0xffff
	v_mov_b32_e32 v3, 0
	v_cmp_gt_u64_e64 s[0:1], s[22:23], v[2:3]
	s_or_b64 s[0:1], vcc, s[0:1]
	s_add_u32 s33, s33, s48
	s_addc_u32 s46, s46, 0
	s_and_b64 vcc, exec, s[0:1]
	s_cbranch_vccnz .LBB234_140
.LBB234_4:                              ; =>This Inner Loop Header: Depth=1
	v_mov_b32_e32 v3, s23
	v_add_co_u32_e32 v2, vcc, s22, v0
	v_addc_co_u32_e32 v3, vcc, 0, v3, vcc
	v_pk_mov_b32 v[4:5], 0, 0
	v_cmp_gt_u64_e64 s[0:1], s[20:21], v[2:3]
	v_pk_mov_b32 v[8:9], v[4:5], v[4:5] op_sel:[0,1]
	v_pk_mov_b32 v[6:7], v[4:5], v[4:5] op_sel:[0,1]
	s_and_saveexec_b64 s[2:3], s[0:1]
	s_cbranch_execz .LBB234_6
; %bb.5:                                ;   in Loop: Header=BB234_4 Depth=1
	v_mov_b32_e32 v3, s46
	v_add_co_u32_e32 v2, vcc, s33, v24
	v_addc_co_u32_e32 v3, vcc, 0, v3, vcc
	global_load_dwordx4 v[6:9], v[2:3], off
.LBB234_6:                              ;   in Loop: Header=BB234_4 Depth=1
	s_or_b64 exec, exec, s[2:3]
	v_mov_b32_e32 v3, s23
	v_add_co_u32_e32 v2, vcc, s22, v29
	v_addc_co_u32_e32 v3, vcc, v31, v3, vcc
	v_cmp_gt_u64_e64 s[2:3], s[20:21], v[2:3]
	v_pk_mov_b32 v[2:3], v[4:5], v[4:5] op_sel:[0,1]
	s_and_saveexec_b64 s[6:7], s[2:3]
	s_cbranch_execz .LBB234_8
; %bb.7:                                ;   in Loop: Header=BB234_4 Depth=1
	v_mov_b32_e32 v3, s46
	v_add_co_u32_e32 v2, vcc, s33, v28
	v_addc_co_u32_e32 v3, vcc, 0, v3, vcc
	global_load_dwordx4 v[2:5], v[2:3], off
.LBB234_8:                              ;   in Loop: Header=BB234_4 Depth=1
	s_or_b64 exec, exec, s[6:7]
	v_mov_b32_e32 v11, s23
	v_add_co_u32_e32 v10, vcc, s22, v35
	v_addc_co_u32_e32 v11, vcc, v36, v11, vcc
	v_pk_mov_b32 v[12:13], 0, 0
	v_cmp_gt_u64_e64 s[6:7], s[20:21], v[10:11]
	v_pk_mov_b32 v[16:17], v[12:13], v[12:13] op_sel:[0,1]
	v_pk_mov_b32 v[14:15], v[12:13], v[12:13] op_sel:[0,1]
	s_and_saveexec_b64 s[8:9], s[6:7]
	s_cbranch_execz .LBB234_10
; %bb.9:                                ;   in Loop: Header=BB234_4 Depth=1
	v_mov_b32_e32 v11, s46
	v_add_co_u32_e32 v10, vcc, s33, v30
	v_addc_co_u32_e32 v11, vcc, v11, v1, vcc
	global_load_dwordx4 v[14:17], v[10:11], off offset:-8
.LBB234_10:                             ;   in Loop: Header=BB234_4 Depth=1
	s_or_b64 exec, exec, s[8:9]
	v_mov_b32_e32 v11, s23
	v_add_co_u32_e32 v10, vcc, s22, v25
	v_addc_co_u32_e32 v11, vcc, v34, v11, vcc
	v_cmp_gt_u64_e64 s[8:9], s[20:21], v[10:11]
	v_pk_mov_b32 v[10:11], v[12:13], v[12:13] op_sel:[0,1]
	s_and_saveexec_b64 s[10:11], s[8:9]
	s_cbranch_execz .LBB234_12
; %bb.11:                               ;   in Loop: Header=BB234_4 Depth=1
	v_mov_b32_e32 v11, s46
	v_add_co_u32_e32 v10, vcc, s33, v26
	v_addc_co_u32_e32 v11, vcc, v11, v27, vcc
	global_load_dwordx4 v[10:13], v[10:11], off offset:-8
.LBB234_12:                             ;   in Loop: Header=BB234_4 Depth=1
	s_or_b64 exec, exec, s[10:11]
	s_waitcnt vmcnt(0)
	v_cmp_neq_f64_e32 vcc, 0, v[6:7]
	v_cmp_neq_f64_e64 s[10:11], 0, v[8:9]
	v_pk_mov_b32 v[18:19], 0, 0
	s_or_b64 s[10:11], vcc, s[10:11]
	v_pk_mov_b32 v[20:21], v[18:19], v[18:19] op_sel:[0,1]
	s_and_saveexec_b64 s[34:35], s[10:11]
	s_cbranch_execz .LBB234_41
; %bb.13:                               ;   in Loop: Header=BB234_4 Depth=1
	v_cmp_neq_f64_e64 s[10:11], |v[8:9]|, s[24:25]
	v_pk_mov_b32 v[20:21], s[24:25], s[24:25] op_sel:[0,1]
	s_and_saveexec_b64 s[36:37], s[10:11]
	s_cbranch_execz .LBB234_40
; %bb.14:                               ;   in Loop: Header=BB234_4 Depth=1
	v_cmp_o_f64_e32 vcc, v[6:7], v[6:7]
	s_and_saveexec_b64 s[10:11], vcc
	s_xor_b64 s[38:39], exec, s[10:11]
	s_cbranch_execz .LBB234_37
; %bb.15:                               ;   in Loop: Header=BB234_4 Depth=1
	v_cmp_neq_f64_e64 s[10:11], |v[6:7]|, s[24:25]
	s_and_saveexec_b64 s[12:13], s[10:11]
	s_xor_b64 s[40:41], exec, s[12:13]
	s_cbranch_execz .LBB234_31
; %bb.16:                               ;   in Loop: Header=BB234_4 Depth=1
	v_max_f64 v[20:21], |v[6:7]|, |v[6:7]|
	v_max_f64 v[22:23], |v[8:9]|, |v[8:9]|
	v_max_f64 v[20:21], v[22:23], v[20:21]
	v_cmp_nle_f64_e64 s[10:11], s[26:27], v[20:21]
                                        ; implicit-def: $sgpr42_sgpr43
	s_and_saveexec_b64 s[12:13], s[10:11]
	s_xor_b64 s[12:13], exec, s[12:13]
	s_cbranch_execz .LBB234_20
; %bb.17:                               ;   in Loop: Header=BB234_4 Depth=1
	v_cmp_le_f64_e64 s[42:43], |v[6:7]|, s[28:29]
	v_cmp_le_f64_e64 s[44:45], |v[8:9]|, s[28:29]
	s_and_b64 s[52:53], s[44:45], s[42:43]
	s_mov_b64 s[42:43], 0
	s_and_saveexec_b64 s[44:45], s[52:53]
; %bb.18:                               ;   in Loop: Header=BB234_4 Depth=1
	s_mov_b64 s[42:43], exec
	v_mul_f64 v[6:7], v[6:7], 4.0
	v_mul_f64 v[8:9], v[8:9], 4.0
; %bb.19:                               ;   in Loop: Header=BB234_4 Depth=1
	s_or_b64 exec, exec, s[44:45]
	s_and_b64 s[42:43], s[42:43], exec
.LBB234_20:                             ;   in Loop: Header=BB234_4 Depth=1
	s_andn2_saveexec_b64 s[12:13], s[12:13]
; %bb.21:                               ;   in Loop: Header=BB234_4 Depth=1
	v_ldexp_f64 v[6:7], v[6:7], -2
	v_ldexp_f64 v[8:9], v[8:9], -2
	s_andn2_b64 s[42:43], s[42:43], exec
; %bb.22:                               ;   in Loop: Header=BB234_4 Depth=1
	s_or_b64 exec, exec, s[12:13]
	v_max_f64 v[20:21], |v[8:9]|, |v[8:9]|
	v_max_f64 v[22:23], |v[6:7]|, |v[6:7]|
	v_max_f64 v[20:21], v[22:23], v[20:21]
	v_frexp_exp_i32_f64_e32 v41, v[20:21]
	v_sub_u32_e32 v22, 0, v41
	v_ldexp_f64 v[20:21], |v[6:7]|, v22
	v_ldexp_f64 v[22:23], |v[8:9]|, v22
	v_mul_f64 v[22:23], v[22:23], v[22:23]
	v_fmac_f64_e32 v[22:23], v[20:21], v[20:21]
	v_rsq_f64_e32 v[20:21], v[22:23]
	v_cmp_eq_f64_e64 s[12:13], 0, v[22:23]
	v_cmp_class_f64_e64 s[44:45], v[8:9], s49
	v_cmp_le_f64_e32 vcc, 0, v[6:7]
	v_mul_f64 v[32:33], v[22:23], v[20:21]
	v_mul_f64 v[20:21], v[20:21], 0.5
	v_fma_f64 v[42:43], -v[20:21], v[32:33], 0.5
	v_fmac_f64_e32 v[32:33], v[32:33], v[42:43]
	v_fmac_f64_e32 v[20:21], v[20:21], v[42:43]
	v_fma_f64 v[42:43], -v[32:33], v[32:33], v[22:23]
	v_fmac_f64_e32 v[32:33], v[42:43], v[20:21]
	v_cndmask_b32_e64 v21, v33, v23, s[12:13]
	v_cndmask_b32_e64 v20, v32, v22, s[12:13]
	v_ldexp_f64 v[20:21], v[20:21], v41
	v_cmp_o_f64_e64 s[12:13], v[8:9], v[8:9]
	v_cndmask_b32_e64 v20, 0, v20, s[12:13]
	v_cndmask_b32_e64 v21, v38, v21, s[12:13]
	v_cmp_class_f64_e64 s[12:13], v[6:7], s49
	s_or_b64 s[12:13], s[44:45], s[12:13]
	v_cndmask_b32_e64 v33, v21, v39, s[12:13]
	v_cndmask_b32_e64 v32, v20, 0, s[12:13]
                                        ; implicit-def: $vgpr20_vgpr21
                                        ; implicit-def: $vgpr22_vgpr23
	s_and_saveexec_b64 s[12:13], vcc
	s_xor_b64 s[12:13], exec, s[12:13]
	s_cbranch_execz .LBB234_24
; %bb.23:                               ;   in Loop: Header=BB234_4 Depth=1
	v_add_f64 v[6:7], v[6:7], v[32:33]
	v_mul_f64 v[6:7], v[6:7], 0.5
	v_cmp_gt_f64_e32 vcc, s[30:31], v[6:7]
	v_cndmask_b32_e64 v20, 0, 1, vcc
	v_lshlrev_b32_e32 v20, 8, v20
	v_ldexp_f64 v[6:7], v[6:7], v20
	v_rsq_f64_e32 v[20:21], v[6:7]
	v_mul_f64 v[22:23], v[6:7], v[20:21]
	v_mul_f64 v[20:21], v[20:21], 0.5
	v_fma_f64 v[32:33], -v[20:21], v[22:23], 0.5
	v_fmac_f64_e32 v[22:23], v[22:23], v[32:33]
	v_fmac_f64_e32 v[20:21], v[20:21], v[32:33]
	v_fma_f64 v[32:33], -v[22:23], v[22:23], v[6:7]
	v_fmac_f64_e32 v[22:23], v[32:33], v[20:21]
	v_fma_f64 v[32:33], -v[22:23], v[22:23], v[6:7]
	v_fmac_f64_e32 v[22:23], v[32:33], v[20:21]
	v_cndmask_b32_e32 v20, 0, v40, vcc
	v_ldexp_f64 v[20:21], v[22:23], v20
	v_cmp_class_f64_e32 vcc, v[6:7], v37
	v_cndmask_b32_e32 v23, v21, v7, vcc
	v_cndmask_b32_e32 v22, v20, v6, vcc
	v_add_f64 v[6:7], v[22:23], v[22:23]
	v_div_scale_f64 v[20:21], s[44:45], v[6:7], v[6:7], v[8:9]
	v_rcp_f64_e32 v[32:33], v[20:21]
	v_fma_f64 v[42:43], -v[20:21], v[32:33], 1.0
	v_fmac_f64_e32 v[32:33], v[32:33], v[42:43]
	v_fma_f64 v[42:43], -v[20:21], v[32:33], 1.0
	v_fmac_f64_e32 v[32:33], v[32:33], v[42:43]
	v_div_scale_f64 v[42:43], vcc, v[8:9], v[6:7], v[8:9]
	v_mul_f64 v[44:45], v[42:43], v[32:33]
	v_fma_f64 v[20:21], -v[20:21], v[44:45], v[42:43]
	s_nop 1
	v_div_fmas_f64 v[20:21], v[20:21], v[32:33], v[44:45]
	v_div_fixup_f64 v[20:21], v[20:21], v[6:7], v[8:9]
                                        ; implicit-def: $vgpr32_vgpr33
                                        ; implicit-def: $vgpr6_vgpr7
	s_andn2_saveexec_b64 s[12:13], s[12:13]
	s_cbranch_execz .LBB234_26
	s_branch .LBB234_25
.LBB234_24:                             ;   in Loop: Header=BB234_4 Depth=1
	s_andn2_saveexec_b64 s[12:13], s[12:13]
	s_cbranch_execz .LBB234_26
.LBB234_25:                             ;   in Loop: Header=BB234_4 Depth=1
	v_add_f64 v[6:7], v[32:33], -v[6:7]
	v_mul_f64 v[6:7], v[6:7], 0.5
	v_cmp_gt_f64_e32 vcc, s[30:31], v[6:7]
	v_cndmask_b32_e64 v20, 0, 1, vcc
	v_lshlrev_b32_e32 v20, 8, v20
	v_ldexp_f64 v[6:7], v[6:7], v20
	v_rsq_f64_e32 v[20:21], v[6:7]
	v_mul_f64 v[22:23], v[6:7], v[20:21]
	v_mul_f64 v[20:21], v[20:21], 0.5
	v_fma_f64 v[32:33], -v[20:21], v[22:23], 0.5
	v_fmac_f64_e32 v[22:23], v[22:23], v[32:33]
	v_fmac_f64_e32 v[20:21], v[20:21], v[32:33]
	v_fma_f64 v[32:33], -v[22:23], v[22:23], v[6:7]
	v_fmac_f64_e32 v[22:23], v[32:33], v[20:21]
	v_fma_f64 v[32:33], -v[22:23], v[22:23], v[6:7]
	v_fmac_f64_e32 v[22:23], v[32:33], v[20:21]
	v_cndmask_b32_e32 v20, 0, v40, vcc
	v_ldexp_f64 v[20:21], v[22:23], v20
	v_cmp_class_f64_e32 vcc, v[6:7], v37
	v_cndmask_b32_e32 v21, v21, v7, vcc
	v_cndmask_b32_e32 v20, v20, v6, vcc
	v_add_f64 v[6:7], v[20:21], v[20:21]
	v_and_b32_e32 v23, 0x7fffffff, v9
	v_mov_b32_e32 v22, v8
	v_div_scale_f64 v[32:33], s[44:45], v[6:7], v[6:7], v[22:23]
	v_rcp_f64_e32 v[42:43], v[32:33]
	v_div_scale_f64 v[22:23], vcc, v[22:23], v[6:7], v[22:23]
	v_bfi_b32 v21, s50, v21, v9
	v_fma_f64 v[44:45], -v[32:33], v[42:43], 1.0
	v_fmac_f64_e32 v[42:43], v[42:43], v[44:45]
	v_fma_f64 v[44:45], -v[32:33], v[42:43], 1.0
	v_fmac_f64_e32 v[42:43], v[42:43], v[44:45]
	v_mul_f64 v[44:45], v[22:23], v[42:43]
	v_fma_f64 v[22:23], -v[32:33], v[44:45], v[22:23]
	v_div_fmas_f64 v[22:23], v[22:23], v[42:43], v[44:45]
	v_div_fixup_f64 v[22:23], v[22:23], v[6:7], |v[8:9]|
.LBB234_26:                             ;   in Loop: Header=BB234_4 Depth=1
	s_or_b64 exec, exec, s[12:13]
                                        ; implicit-def: $vgpr8_vgpr9
	s_and_saveexec_b64 s[12:13], s[10:11]
	s_xor_b64 s[10:11], exec, s[12:13]
	s_cbranch_execz .LBB234_28
; %bb.27:                               ;   in Loop: Header=BB234_4 Depth=1
	v_mul_f64 v[6:7], v[22:23], 0.5
	v_mul_f64 v[8:9], v[20:21], 0.5
	v_cndmask_b32_e64 v7, v23, v7, s[42:43]
	v_cndmask_b32_e64 v6, v22, v6, s[42:43]
	;; [unrolled: 1-line block ×4, first 2 shown]
                                        ; implicit-def: $vgpr22_vgpr23
                                        ; implicit-def: $vgpr20_vgpr21
	s_andn2_saveexec_b64 s[10:11], s[10:11]
	s_cbranch_execnz .LBB234_29
	s_branch .LBB234_30
.LBB234_28:                             ;   in Loop: Header=BB234_4 Depth=1
	s_andn2_saveexec_b64 s[10:11], s[10:11]
.LBB234_29:                             ;   in Loop: Header=BB234_4 Depth=1
	v_add_f64 v[6:7], v[22:23], v[22:23]
	v_add_f64 v[8:9], v[20:21], v[20:21]
.LBB234_30:                             ;   in Loop: Header=BB234_4 Depth=1
	s_or_b64 exec, exec, s[10:11]
.LBB234_31:                             ;   in Loop: Header=BB234_4 Depth=1
	s_andn2_saveexec_b64 s[10:11], s[40:41]
	s_cbranch_execz .LBB234_53
; %bb.32:                               ;   in Loop: Header=BB234_4 Depth=1
	v_cmp_lt_i64_e32 vcc, -1, v[6:7]
	v_add_f64 v[20:21], v[8:9], -v[8:9]
	s_and_saveexec_b64 s[12:13], vcc
	s_xor_b64 s[12:13], exec, s[12:13]
; %bb.33:                               ;   in Loop: Header=BB234_4 Depth=1
	v_bfi_b32 v21, s50, v21, v9
	v_pk_mov_b32 v[8:9], v[20:21], v[20:21] op_sel:[0,1]
                                        ; implicit-def: $vgpr20_vgpr21
; %bb.34:                               ;   in Loop: Header=BB234_4 Depth=1
	s_andn2_saveexec_b64 s[12:13], s[12:13]
; %bb.35:                               ;   in Loop: Header=BB234_4 Depth=1
	v_and_b32_e32 v21, 0x7fffffff, v21
	v_bfi_b32 v7, s50, v7, v9
	v_pk_mov_b32 v[8:9], v[6:7], v[6:7] op_sel:[0,1]
	v_pk_mov_b32 v[6:7], v[20:21], v[20:21] op_sel:[0,1]
; %bb.36:                               ;   in Loop: Header=BB234_4 Depth=1
	s_or_b64 exec, exec, s[12:13]
	s_or_b64 exec, exec, s[10:11]
.LBB234_37:                             ;   in Loop: Header=BB234_4 Depth=1
	s_andn2_saveexec_b64 s[10:11], s[38:39]
.LBB234_38:                             ;   in Loop: Header=BB234_4 Depth=1
	v_add_f64 v[8:9], v[8:9], -v[8:9]
	v_div_scale_f64 v[20:21], vcc, v[8:9], v[8:9], v[8:9]
	v_rcp_f64_e32 v[22:23], v[20:21]
	v_fma_f64 v[32:33], -v[20:21], v[22:23], 1.0
	v_fmac_f64_e32 v[22:23], v[22:23], v[32:33]
	v_fma_f64 v[32:33], -v[20:21], v[22:23], 1.0
	v_fmac_f64_e32 v[22:23], v[22:23], v[32:33]
	v_mul_f64 v[32:33], v[20:21], v[22:23]
	v_fma_f64 v[20:21], -v[20:21], v[32:33], v[20:21]
	v_div_fmas_f64 v[20:21], v[20:21], v[22:23], v[32:33]
	v_div_fixup_f64 v[8:9], v[20:21], v[8:9], v[8:9]
.LBB234_39:                             ;   in Loop: Header=BB234_4 Depth=1
	s_or_b64 exec, exec, s[10:11]
	v_pk_mov_b32 v[20:21], v[6:7], v[6:7] op_sel:[0,1]
.LBB234_40:                             ;   in Loop: Header=BB234_4 Depth=1
	s_or_b64 exec, exec, s[36:37]
.LBB234_41:                             ;   in Loop: Header=BB234_4 Depth=1
	s_or_b64 exec, exec, s[34:35]
	v_cmp_neq_f64_e32 vcc, 0, v[2:3]
	v_cmp_neq_f64_e64 s[10:11], 0, v[4:5]
	s_or_b64 s[10:11], vcc, s[10:11]
	s_and_saveexec_b64 s[34:35], s[10:11]
	s_cbranch_execz .LBB234_72
; %bb.42:                               ;   in Loop: Header=BB234_4 Depth=1
	v_cmp_neq_f64_e64 s[10:11], |v[4:5]|, s[24:25]
	v_pk_mov_b32 v[18:19], s[24:25], s[24:25] op_sel:[0,1]
	s_and_saveexec_b64 s[36:37], s[10:11]
	s_cbranch_execz .LBB234_71
; %bb.43:                               ;   in Loop: Header=BB234_4 Depth=1
	v_cmp_o_f64_e32 vcc, v[2:3], v[2:3]
	s_and_saveexec_b64 s[10:11], vcc
	s_xor_b64 s[38:39], exec, s[10:11]
	s_cbranch_execz .LBB234_68
; %bb.44:                               ;   in Loop: Header=BB234_4 Depth=1
	v_cmp_neq_f64_e64 s[10:11], |v[2:3]|, s[24:25]
	s_and_saveexec_b64 s[12:13], s[10:11]
	s_xor_b64 s[40:41], exec, s[12:13]
	s_cbranch_execz .LBB234_61
; %bb.45:                               ;   in Loop: Header=BB234_4 Depth=1
	v_max_f64 v[6:7], |v[2:3]|, |v[2:3]|
	v_max_f64 v[18:19], |v[4:5]|, |v[4:5]|
	v_max_f64 v[6:7], v[18:19], v[6:7]
	v_cmp_nle_f64_e64 s[10:11], s[26:27], v[6:7]
                                        ; implicit-def: $sgpr42_sgpr43
	s_and_saveexec_b64 s[12:13], s[10:11]
	s_xor_b64 s[12:13], exec, s[12:13]
	s_cbranch_execz .LBB234_49
; %bb.46:                               ;   in Loop: Header=BB234_4 Depth=1
	v_cmp_le_f64_e64 s[42:43], |v[2:3]|, s[28:29]
	v_cmp_le_f64_e64 s[44:45], |v[4:5]|, s[28:29]
	s_and_b64 s[52:53], s[44:45], s[42:43]
	s_mov_b64 s[42:43], 0
	s_and_saveexec_b64 s[44:45], s[52:53]
; %bb.47:                               ;   in Loop: Header=BB234_4 Depth=1
	s_mov_b64 s[42:43], exec
	v_mul_f64 v[2:3], v[2:3], 4.0
	v_mul_f64 v[4:5], v[4:5], 4.0
; %bb.48:                               ;   in Loop: Header=BB234_4 Depth=1
	s_or_b64 exec, exec, s[44:45]
	s_and_b64 s[42:43], s[42:43], exec
.LBB234_49:                             ;   in Loop: Header=BB234_4 Depth=1
	s_andn2_saveexec_b64 s[12:13], s[12:13]
; %bb.50:                               ;   in Loop: Header=BB234_4 Depth=1
	v_ldexp_f64 v[2:3], v[2:3], -2
	v_ldexp_f64 v[4:5], v[4:5], -2
	s_andn2_b64 s[42:43], s[42:43], exec
; %bb.51:                               ;   in Loop: Header=BB234_4 Depth=1
	s_or_b64 exec, exec, s[12:13]
	v_max_f64 v[6:7], |v[4:5]|, |v[4:5]|
	v_max_f64 v[18:19], |v[2:3]|, |v[2:3]|
	v_max_f64 v[6:7], v[18:19], v[6:7]
	v_frexp_exp_i32_f64_e32 v41, v[6:7]
	v_sub_u32_e32 v18, 0, v41
	v_ldexp_f64 v[6:7], |v[2:3]|, v18
	v_ldexp_f64 v[18:19], |v[4:5]|, v18
	v_mul_f64 v[18:19], v[18:19], v[18:19]
	v_fmac_f64_e32 v[18:19], v[6:7], v[6:7]
	v_rsq_f64_e32 v[6:7], v[18:19]
	v_cmp_eq_f64_e64 s[12:13], 0, v[18:19]
	v_cmp_class_f64_e64 s[44:45], v[4:5], s49
	v_cmp_le_f64_e32 vcc, 0, v[2:3]
	v_mul_f64 v[22:23], v[18:19], v[6:7]
	v_mul_f64 v[6:7], v[6:7], 0.5
	v_fma_f64 v[32:33], -v[6:7], v[22:23], 0.5
	v_fmac_f64_e32 v[22:23], v[22:23], v[32:33]
	v_fmac_f64_e32 v[6:7], v[6:7], v[32:33]
	v_fma_f64 v[32:33], -v[22:23], v[22:23], v[18:19]
	v_fmac_f64_e32 v[22:23], v[32:33], v[6:7]
	v_cndmask_b32_e64 v7, v23, v19, s[12:13]
	v_cndmask_b32_e64 v6, v22, v18, s[12:13]
	v_ldexp_f64 v[6:7], v[6:7], v41
	v_cmp_o_f64_e64 s[12:13], v[4:5], v[4:5]
	v_cndmask_b32_e64 v6, 0, v6, s[12:13]
	v_cndmask_b32_e64 v7, v38, v7, s[12:13]
	v_cmp_class_f64_e64 s[12:13], v[2:3], s49
	s_or_b64 s[12:13], s[44:45], s[12:13]
	v_cndmask_b32_e64 v23, v7, v39, s[12:13]
	v_cndmask_b32_e64 v22, v6, 0, s[12:13]
                                        ; implicit-def: $vgpr6_vgpr7
                                        ; implicit-def: $vgpr18_vgpr19
	s_and_saveexec_b64 s[12:13], vcc
	s_xor_b64 s[12:13], exec, s[12:13]
	s_cbranch_execz .LBB234_54
; %bb.52:                               ;   in Loop: Header=BB234_4 Depth=1
	v_add_f64 v[2:3], v[2:3], v[22:23]
	v_mul_f64 v[2:3], v[2:3], 0.5
	v_cmp_gt_f64_e32 vcc, s[30:31], v[2:3]
	v_cndmask_b32_e64 v6, 0, 1, vcc
	v_lshlrev_b32_e32 v6, 8, v6
	v_ldexp_f64 v[2:3], v[2:3], v6
	v_rsq_f64_e32 v[6:7], v[2:3]
	v_mul_f64 v[18:19], v[2:3], v[6:7]
	v_mul_f64 v[6:7], v[6:7], 0.5
	v_fma_f64 v[22:23], -v[6:7], v[18:19], 0.5
	v_fmac_f64_e32 v[18:19], v[18:19], v[22:23]
	v_fmac_f64_e32 v[6:7], v[6:7], v[22:23]
	v_fma_f64 v[22:23], -v[18:19], v[18:19], v[2:3]
	v_fmac_f64_e32 v[18:19], v[22:23], v[6:7]
	v_fma_f64 v[22:23], -v[18:19], v[18:19], v[2:3]
	v_fmac_f64_e32 v[18:19], v[22:23], v[6:7]
	v_cndmask_b32_e32 v6, 0, v40, vcc
	v_ldexp_f64 v[6:7], v[18:19], v6
	v_cmp_class_f64_e32 vcc, v[2:3], v37
	v_cndmask_b32_e32 v19, v7, v3, vcc
	v_cndmask_b32_e32 v18, v6, v2, vcc
	v_add_f64 v[2:3], v[18:19], v[18:19]
	v_div_scale_f64 v[6:7], s[44:45], v[2:3], v[2:3], v[4:5]
	v_rcp_f64_e32 v[22:23], v[6:7]
	v_fma_f64 v[32:33], -v[6:7], v[22:23], 1.0
	v_fmac_f64_e32 v[22:23], v[22:23], v[32:33]
	v_fma_f64 v[32:33], -v[6:7], v[22:23], 1.0
	v_fmac_f64_e32 v[22:23], v[22:23], v[32:33]
	v_div_scale_f64 v[32:33], vcc, v[4:5], v[2:3], v[4:5]
	v_mul_f64 v[42:43], v[32:33], v[22:23]
	v_fma_f64 v[6:7], -v[6:7], v[42:43], v[32:33]
	s_nop 1
	v_div_fmas_f64 v[6:7], v[6:7], v[22:23], v[42:43]
	v_div_fixup_f64 v[6:7], v[6:7], v[2:3], v[4:5]
                                        ; implicit-def: $vgpr22_vgpr23
                                        ; implicit-def: $vgpr2_vgpr3
	s_andn2_saveexec_b64 s[12:13], s[12:13]
	s_cbranch_execz .LBB234_56
	s_branch .LBB234_55
.LBB234_53:                             ;   in Loop: Header=BB234_4 Depth=1
	s_or_b64 exec, exec, s[10:11]
	s_andn2_saveexec_b64 s[10:11], s[38:39]
	s_cbranch_execnz .LBB234_38
	s_branch .LBB234_39
.LBB234_54:                             ;   in Loop: Header=BB234_4 Depth=1
	s_andn2_saveexec_b64 s[12:13], s[12:13]
	s_cbranch_execz .LBB234_56
.LBB234_55:                             ;   in Loop: Header=BB234_4 Depth=1
	v_add_f64 v[2:3], v[22:23], -v[2:3]
	v_mul_f64 v[2:3], v[2:3], 0.5
	v_cmp_gt_f64_e32 vcc, s[30:31], v[2:3]
	v_cndmask_b32_e64 v6, 0, 1, vcc
	v_lshlrev_b32_e32 v6, 8, v6
	v_ldexp_f64 v[2:3], v[2:3], v6
	v_rsq_f64_e32 v[6:7], v[2:3]
	v_mul_f64 v[18:19], v[2:3], v[6:7]
	v_mul_f64 v[6:7], v[6:7], 0.5
	v_fma_f64 v[22:23], -v[6:7], v[18:19], 0.5
	v_fmac_f64_e32 v[18:19], v[18:19], v[22:23]
	v_fmac_f64_e32 v[6:7], v[6:7], v[22:23]
	v_fma_f64 v[22:23], -v[18:19], v[18:19], v[2:3]
	v_fmac_f64_e32 v[18:19], v[22:23], v[6:7]
	v_fma_f64 v[22:23], -v[18:19], v[18:19], v[2:3]
	v_fmac_f64_e32 v[18:19], v[22:23], v[6:7]
	v_cndmask_b32_e32 v6, 0, v40, vcc
	v_ldexp_f64 v[6:7], v[18:19], v6
	v_cmp_class_f64_e32 vcc, v[2:3], v37
	v_cndmask_b32_e32 v7, v7, v3, vcc
	v_cndmask_b32_e32 v6, v6, v2, vcc
	v_add_f64 v[2:3], v[6:7], v[6:7]
	v_and_b32_e32 v19, 0x7fffffff, v5
	v_mov_b32_e32 v18, v4
	v_div_scale_f64 v[22:23], s[44:45], v[2:3], v[2:3], v[18:19]
	v_rcp_f64_e32 v[32:33], v[22:23]
	v_div_scale_f64 v[18:19], vcc, v[18:19], v[2:3], v[18:19]
	v_bfi_b32 v7, s50, v7, v5
	v_fma_f64 v[42:43], -v[22:23], v[32:33], 1.0
	v_fmac_f64_e32 v[32:33], v[32:33], v[42:43]
	v_fma_f64 v[42:43], -v[22:23], v[32:33], 1.0
	v_fmac_f64_e32 v[32:33], v[32:33], v[42:43]
	v_mul_f64 v[42:43], v[18:19], v[32:33]
	v_fma_f64 v[18:19], -v[22:23], v[42:43], v[18:19]
	v_div_fmas_f64 v[18:19], v[18:19], v[32:33], v[42:43]
	v_div_fixup_f64 v[18:19], v[18:19], v[2:3], |v[4:5]|
.LBB234_56:                             ;   in Loop: Header=BB234_4 Depth=1
	s_or_b64 exec, exec, s[12:13]
                                        ; implicit-def: $vgpr4_vgpr5
	s_and_saveexec_b64 s[12:13], s[10:11]
	s_xor_b64 s[10:11], exec, s[12:13]
	s_cbranch_execz .LBB234_58
; %bb.57:                               ;   in Loop: Header=BB234_4 Depth=1
	v_mul_f64 v[2:3], v[18:19], 0.5
	v_mul_f64 v[4:5], v[6:7], 0.5
	v_cndmask_b32_e64 v3, v19, v3, s[42:43]
	v_cndmask_b32_e64 v2, v18, v2, s[42:43]
	;; [unrolled: 1-line block ×4, first 2 shown]
                                        ; implicit-def: $vgpr18_vgpr19
                                        ; implicit-def: $vgpr6_vgpr7
	s_andn2_saveexec_b64 s[10:11], s[10:11]
	s_cbranch_execnz .LBB234_59
	s_branch .LBB234_60
.LBB234_58:                             ;   in Loop: Header=BB234_4 Depth=1
	s_andn2_saveexec_b64 s[10:11], s[10:11]
.LBB234_59:                             ;   in Loop: Header=BB234_4 Depth=1
	v_add_f64 v[2:3], v[18:19], v[18:19]
	v_add_f64 v[4:5], v[6:7], v[6:7]
.LBB234_60:                             ;   in Loop: Header=BB234_4 Depth=1
	s_or_b64 exec, exec, s[10:11]
.LBB234_61:                             ;   in Loop: Header=BB234_4 Depth=1
	s_andn2_saveexec_b64 s[10:11], s[40:41]
	s_cbranch_execz .LBB234_67
; %bb.62:                               ;   in Loop: Header=BB234_4 Depth=1
	v_cmp_lt_i64_e32 vcc, -1, v[2:3]
	v_add_f64 v[6:7], v[4:5], -v[4:5]
	s_and_saveexec_b64 s[12:13], vcc
	s_xor_b64 s[12:13], exec, s[12:13]
; %bb.63:                               ;   in Loop: Header=BB234_4 Depth=1
	v_bfi_b32 v7, s50, v7, v5
	v_pk_mov_b32 v[4:5], v[6:7], v[6:7] op_sel:[0,1]
                                        ; implicit-def: $vgpr6_vgpr7
; %bb.64:                               ;   in Loop: Header=BB234_4 Depth=1
	s_andn2_saveexec_b64 s[12:13], s[12:13]
; %bb.65:                               ;   in Loop: Header=BB234_4 Depth=1
	v_and_b32_e32 v7, 0x7fffffff, v7
	v_bfi_b32 v3, s50, v3, v5
	v_pk_mov_b32 v[4:5], v[2:3], v[2:3] op_sel:[0,1]
	v_pk_mov_b32 v[2:3], v[6:7], v[6:7] op_sel:[0,1]
; %bb.66:                               ;   in Loop: Header=BB234_4 Depth=1
	s_or_b64 exec, exec, s[12:13]
.LBB234_67:                             ;   in Loop: Header=BB234_4 Depth=1
	s_or_b64 exec, exec, s[10:11]
.LBB234_68:                             ;   in Loop: Header=BB234_4 Depth=1
	s_andn2_saveexec_b64 s[10:11], s[38:39]
; %bb.69:                               ;   in Loop: Header=BB234_4 Depth=1
	v_add_f64 v[4:5], v[4:5], -v[4:5]
	v_div_scale_f64 v[6:7], vcc, v[4:5], v[4:5], v[4:5]
	v_rcp_f64_e32 v[18:19], v[6:7]
	v_fma_f64 v[22:23], -v[6:7], v[18:19], 1.0
	v_fmac_f64_e32 v[18:19], v[18:19], v[22:23]
	v_fma_f64 v[22:23], -v[6:7], v[18:19], 1.0
	v_fmac_f64_e32 v[18:19], v[18:19], v[22:23]
	v_mul_f64 v[22:23], v[6:7], v[18:19]
	v_fma_f64 v[6:7], -v[6:7], v[22:23], v[6:7]
	v_div_fmas_f64 v[6:7], v[6:7], v[18:19], v[22:23]
	v_div_fixup_f64 v[4:5], v[6:7], v[4:5], v[4:5]
; %bb.70:                               ;   in Loop: Header=BB234_4 Depth=1
	s_or_b64 exec, exec, s[10:11]
	v_pk_mov_b32 v[18:19], v[2:3], v[2:3] op_sel:[0,1]
.LBB234_71:                             ;   in Loop: Header=BB234_4 Depth=1
	s_or_b64 exec, exec, s[36:37]
.LBB234_72:                             ;   in Loop: Header=BB234_4 Depth=1
	s_or_b64 exec, exec, s[34:35]
	v_cmp_neq_f64_e32 vcc, 0, v[14:15]
	v_cmp_neq_f64_e64 s[10:11], 0, v[16:17]
	v_pk_mov_b32 v[2:3], 0, 0
	s_or_b64 s[10:11], vcc, s[10:11]
	v_pk_mov_b32 v[6:7], v[2:3], v[2:3] op_sel:[0,1]
	s_and_saveexec_b64 s[34:35], s[10:11]
	s_cbranch_execz .LBB234_102
; %bb.73:                               ;   in Loop: Header=BB234_4 Depth=1
	v_cmp_neq_f64_e64 s[10:11], |v[16:17]|, s[24:25]
	v_pk_mov_b32 v[6:7], s[24:25], s[24:25] op_sel:[0,1]
	s_and_saveexec_b64 s[36:37], s[10:11]
	s_cbranch_execz .LBB234_101
; %bb.74:                               ;   in Loop: Header=BB234_4 Depth=1
	v_cmp_o_f64_e32 vcc, v[14:15], v[14:15]
	s_and_saveexec_b64 s[10:11], vcc
	s_xor_b64 s[38:39], exec, s[10:11]
	s_cbranch_execz .LBB234_98
; %bb.75:                               ;   in Loop: Header=BB234_4 Depth=1
	v_cmp_neq_f64_e64 s[10:11], |v[14:15]|, s[24:25]
	s_and_saveexec_b64 s[12:13], s[10:11]
	s_xor_b64 s[40:41], exec, s[12:13]
	s_cbranch_execz .LBB234_91
; %bb.76:                               ;   in Loop: Header=BB234_4 Depth=1
	v_max_f64 v[6:7], |v[14:15]|, |v[14:15]|
	v_max_f64 v[22:23], |v[16:17]|, |v[16:17]|
	v_max_f64 v[6:7], v[22:23], v[6:7]
	v_cmp_nle_f64_e64 s[10:11], s[26:27], v[6:7]
                                        ; implicit-def: $sgpr42_sgpr43
	s_and_saveexec_b64 s[12:13], s[10:11]
	s_xor_b64 s[12:13], exec, s[12:13]
	s_cbranch_execz .LBB234_80
; %bb.77:                               ;   in Loop: Header=BB234_4 Depth=1
	v_cmp_le_f64_e64 s[42:43], |v[14:15]|, s[28:29]
	v_cmp_le_f64_e64 s[44:45], |v[16:17]|, s[28:29]
	s_and_b64 s[52:53], s[44:45], s[42:43]
	s_mov_b64 s[42:43], 0
	s_and_saveexec_b64 s[44:45], s[52:53]
; %bb.78:                               ;   in Loop: Header=BB234_4 Depth=1
	s_mov_b64 s[42:43], exec
	v_mul_f64 v[14:15], v[14:15], 4.0
	v_mul_f64 v[16:17], v[16:17], 4.0
; %bb.79:                               ;   in Loop: Header=BB234_4 Depth=1
	s_or_b64 exec, exec, s[44:45]
	s_and_b64 s[42:43], s[42:43], exec
.LBB234_80:                             ;   in Loop: Header=BB234_4 Depth=1
	s_andn2_saveexec_b64 s[12:13], s[12:13]
; %bb.81:                               ;   in Loop: Header=BB234_4 Depth=1
	v_ldexp_f64 v[14:15], v[14:15], -2
	v_ldexp_f64 v[16:17], v[16:17], -2
	s_andn2_b64 s[42:43], s[42:43], exec
; %bb.82:                               ;   in Loop: Header=BB234_4 Depth=1
	s_or_b64 exec, exec, s[12:13]
	v_max_f64 v[6:7], |v[16:17]|, |v[16:17]|
	v_max_f64 v[22:23], |v[14:15]|, |v[14:15]|
	v_max_f64 v[6:7], v[22:23], v[6:7]
	v_frexp_exp_i32_f64_e32 v41, v[6:7]
	v_sub_u32_e32 v22, 0, v41
	v_ldexp_f64 v[6:7], |v[14:15]|, v22
	v_ldexp_f64 v[22:23], |v[16:17]|, v22
	v_mul_f64 v[22:23], v[22:23], v[22:23]
	v_fmac_f64_e32 v[22:23], v[6:7], v[6:7]
	v_rsq_f64_e32 v[6:7], v[22:23]
	v_cmp_eq_f64_e64 s[12:13], 0, v[22:23]
	v_cmp_class_f64_e64 s[44:45], v[16:17], s49
	v_cmp_le_f64_e32 vcc, 0, v[14:15]
	v_mul_f64 v[32:33], v[22:23], v[6:7]
	v_mul_f64 v[6:7], v[6:7], 0.5
	v_fma_f64 v[42:43], -v[6:7], v[32:33], 0.5
	v_fmac_f64_e32 v[32:33], v[32:33], v[42:43]
	v_fmac_f64_e32 v[6:7], v[6:7], v[42:43]
	v_fma_f64 v[42:43], -v[32:33], v[32:33], v[22:23]
	v_fmac_f64_e32 v[32:33], v[42:43], v[6:7]
	v_cndmask_b32_e64 v7, v33, v23, s[12:13]
	v_cndmask_b32_e64 v6, v32, v22, s[12:13]
	v_ldexp_f64 v[6:7], v[6:7], v41
	v_cmp_o_f64_e64 s[12:13], v[16:17], v[16:17]
	v_cndmask_b32_e64 v6, 0, v6, s[12:13]
	v_cndmask_b32_e64 v7, v38, v7, s[12:13]
	v_cmp_class_f64_e64 s[12:13], v[14:15], s49
	s_or_b64 s[12:13], s[44:45], s[12:13]
	v_cndmask_b32_e64 v33, v7, v39, s[12:13]
	v_cndmask_b32_e64 v32, v6, 0, s[12:13]
                                        ; implicit-def: $vgpr6_vgpr7
                                        ; implicit-def: $vgpr22_vgpr23
	s_and_saveexec_b64 s[12:13], vcc
	s_xor_b64 s[12:13], exec, s[12:13]
	s_cbranch_execz .LBB234_84
; %bb.83:                               ;   in Loop: Header=BB234_4 Depth=1
	v_add_f64 v[6:7], v[14:15], v[32:33]
	v_mul_f64 v[6:7], v[6:7], 0.5
	v_cmp_gt_f64_e32 vcc, s[30:31], v[6:7]
	v_cndmask_b32_e64 v14, 0, 1, vcc
	v_lshlrev_b32_e32 v14, 8, v14
	v_ldexp_f64 v[6:7], v[6:7], v14
	v_rsq_f64_e32 v[14:15], v[6:7]
	v_mul_f64 v[22:23], v[6:7], v[14:15]
	v_mul_f64 v[14:15], v[14:15], 0.5
	v_fma_f64 v[32:33], -v[14:15], v[22:23], 0.5
	v_fmac_f64_e32 v[22:23], v[22:23], v[32:33]
	v_fmac_f64_e32 v[14:15], v[14:15], v[32:33]
	v_fma_f64 v[32:33], -v[22:23], v[22:23], v[6:7]
	v_fmac_f64_e32 v[22:23], v[32:33], v[14:15]
	v_fma_f64 v[32:33], -v[22:23], v[22:23], v[6:7]
	v_fmac_f64_e32 v[22:23], v[32:33], v[14:15]
	v_cndmask_b32_e32 v14, 0, v40, vcc
	v_ldexp_f64 v[14:15], v[22:23], v14
	v_cmp_class_f64_e32 vcc, v[6:7], v37
	v_cndmask_b32_e32 v23, v15, v7, vcc
	v_cndmask_b32_e32 v22, v14, v6, vcc
	v_add_f64 v[6:7], v[22:23], v[22:23]
	v_div_scale_f64 v[14:15], s[44:45], v[6:7], v[6:7], v[16:17]
	v_rcp_f64_e32 v[32:33], v[14:15]
	v_fma_f64 v[42:43], -v[14:15], v[32:33], 1.0
	v_fmac_f64_e32 v[32:33], v[32:33], v[42:43]
	v_fma_f64 v[42:43], -v[14:15], v[32:33], 1.0
	v_fmac_f64_e32 v[32:33], v[32:33], v[42:43]
	v_div_scale_f64 v[42:43], vcc, v[16:17], v[6:7], v[16:17]
	v_mul_f64 v[44:45], v[42:43], v[32:33]
	v_fma_f64 v[14:15], -v[14:15], v[44:45], v[42:43]
	s_nop 1
	v_div_fmas_f64 v[14:15], v[14:15], v[32:33], v[44:45]
	v_div_fixup_f64 v[6:7], v[14:15], v[6:7], v[16:17]
                                        ; implicit-def: $vgpr32_vgpr33
                                        ; implicit-def: $vgpr14_vgpr15
	s_andn2_saveexec_b64 s[12:13], s[12:13]
	s_cbranch_execz .LBB234_86
	s_branch .LBB234_85
.LBB234_84:                             ;   in Loop: Header=BB234_4 Depth=1
	s_andn2_saveexec_b64 s[12:13], s[12:13]
	s_cbranch_execz .LBB234_86
.LBB234_85:                             ;   in Loop: Header=BB234_4 Depth=1
	v_add_f64 v[6:7], v[32:33], -v[14:15]
	v_mul_f64 v[6:7], v[6:7], 0.5
	v_cmp_gt_f64_e32 vcc, s[30:31], v[6:7]
	v_cndmask_b32_e64 v14, 0, 1, vcc
	v_lshlrev_b32_e32 v14, 8, v14
	v_ldexp_f64 v[6:7], v[6:7], v14
	v_rsq_f64_e32 v[14:15], v[6:7]
	v_mul_f64 v[22:23], v[6:7], v[14:15]
	v_mul_f64 v[14:15], v[14:15], 0.5
	v_fma_f64 v[32:33], -v[14:15], v[22:23], 0.5
	v_fmac_f64_e32 v[22:23], v[22:23], v[32:33]
	v_fmac_f64_e32 v[14:15], v[14:15], v[32:33]
	v_fma_f64 v[32:33], -v[22:23], v[22:23], v[6:7]
	v_fmac_f64_e32 v[22:23], v[32:33], v[14:15]
	v_fma_f64 v[32:33], -v[22:23], v[22:23], v[6:7]
	v_fmac_f64_e32 v[22:23], v[32:33], v[14:15]
	v_cndmask_b32_e32 v14, 0, v40, vcc
	v_ldexp_f64 v[14:15], v[22:23], v14
	v_cmp_class_f64_e32 vcc, v[6:7], v37
	v_cndmask_b32_e32 v7, v15, v7, vcc
	v_cndmask_b32_e32 v6, v14, v6, vcc
	v_add_f64 v[14:15], v[6:7], v[6:7]
	v_and_b32_e32 v23, 0x7fffffff, v17
	v_mov_b32_e32 v22, v16
	v_div_scale_f64 v[32:33], s[44:45], v[14:15], v[14:15], v[22:23]
	v_rcp_f64_e32 v[42:43], v[32:33]
	v_div_scale_f64 v[22:23], vcc, v[22:23], v[14:15], v[22:23]
	v_bfi_b32 v7, s50, v7, v17
	v_fma_f64 v[44:45], -v[32:33], v[42:43], 1.0
	v_fmac_f64_e32 v[42:43], v[42:43], v[44:45]
	v_fma_f64 v[44:45], -v[32:33], v[42:43], 1.0
	v_fmac_f64_e32 v[42:43], v[42:43], v[44:45]
	v_mul_f64 v[44:45], v[22:23], v[42:43]
	v_fma_f64 v[22:23], -v[32:33], v[44:45], v[22:23]
	v_div_fmas_f64 v[22:23], v[22:23], v[42:43], v[44:45]
	v_div_fixup_f64 v[22:23], v[22:23], v[14:15], |v[16:17]|
.LBB234_86:                             ;   in Loop: Header=BB234_4 Depth=1
	s_or_b64 exec, exec, s[12:13]
                                        ; implicit-def: $vgpr16_vgpr17
	s_and_saveexec_b64 s[12:13], s[10:11]
	s_xor_b64 s[10:11], exec, s[12:13]
	s_cbranch_execz .LBB234_88
; %bb.87:                               ;   in Loop: Header=BB234_4 Depth=1
	v_mul_f64 v[14:15], v[22:23], 0.5
	v_mul_f64 v[16:17], v[6:7], 0.5
	v_cndmask_b32_e64 v15, v23, v15, s[42:43]
	v_cndmask_b32_e64 v14, v22, v14, s[42:43]
	;; [unrolled: 1-line block ×4, first 2 shown]
                                        ; implicit-def: $vgpr22_vgpr23
                                        ; implicit-def: $vgpr6_vgpr7
	s_andn2_saveexec_b64 s[10:11], s[10:11]
	s_cbranch_execnz .LBB234_89
	s_branch .LBB234_90
.LBB234_88:                             ;   in Loop: Header=BB234_4 Depth=1
	s_andn2_saveexec_b64 s[10:11], s[10:11]
.LBB234_89:                             ;   in Loop: Header=BB234_4 Depth=1
	v_add_f64 v[14:15], v[22:23], v[22:23]
	v_add_f64 v[16:17], v[6:7], v[6:7]
.LBB234_90:                             ;   in Loop: Header=BB234_4 Depth=1
	s_or_b64 exec, exec, s[10:11]
.LBB234_91:                             ;   in Loop: Header=BB234_4 Depth=1
	s_andn2_saveexec_b64 s[10:11], s[40:41]
	s_cbranch_execz .LBB234_97
; %bb.92:                               ;   in Loop: Header=BB234_4 Depth=1
	v_cmp_lt_i64_e32 vcc, -1, v[14:15]
	v_add_f64 v[6:7], v[16:17], -v[16:17]
	s_and_saveexec_b64 s[12:13], vcc
	s_xor_b64 s[12:13], exec, s[12:13]
; %bb.93:                               ;   in Loop: Header=BB234_4 Depth=1
	v_bfi_b32 v7, s50, v7, v17
	v_pk_mov_b32 v[16:17], v[6:7], v[6:7] op_sel:[0,1]
                                        ; implicit-def: $vgpr6_vgpr7
; %bb.94:                               ;   in Loop: Header=BB234_4 Depth=1
	s_andn2_saveexec_b64 s[12:13], s[12:13]
; %bb.95:                               ;   in Loop: Header=BB234_4 Depth=1
	v_and_b32_e32 v7, 0x7fffffff, v7
	v_bfi_b32 v15, s50, v15, v17
	v_pk_mov_b32 v[16:17], v[14:15], v[14:15] op_sel:[0,1]
	v_pk_mov_b32 v[14:15], v[6:7], v[6:7] op_sel:[0,1]
; %bb.96:                               ;   in Loop: Header=BB234_4 Depth=1
	s_or_b64 exec, exec, s[12:13]
.LBB234_97:                             ;   in Loop: Header=BB234_4 Depth=1
	s_or_b64 exec, exec, s[10:11]
.LBB234_98:                             ;   in Loop: Header=BB234_4 Depth=1
	s_andn2_saveexec_b64 s[10:11], s[38:39]
; %bb.99:                               ;   in Loop: Header=BB234_4 Depth=1
	v_add_f64 v[6:7], v[16:17], -v[16:17]
	v_div_scale_f64 v[16:17], vcc, v[6:7], v[6:7], v[6:7]
	v_rcp_f64_e32 v[22:23], v[16:17]
	v_fma_f64 v[32:33], -v[16:17], v[22:23], 1.0
	v_fmac_f64_e32 v[22:23], v[22:23], v[32:33]
	v_fma_f64 v[32:33], -v[16:17], v[22:23], 1.0
	v_fmac_f64_e32 v[22:23], v[22:23], v[32:33]
	v_mul_f64 v[32:33], v[16:17], v[22:23]
	v_fma_f64 v[16:17], -v[16:17], v[32:33], v[16:17]
	v_div_fmas_f64 v[16:17], v[16:17], v[22:23], v[32:33]
	v_div_fixup_f64 v[16:17], v[16:17], v[6:7], v[6:7]
; %bb.100:                              ;   in Loop: Header=BB234_4 Depth=1
	s_or_b64 exec, exec, s[10:11]
	v_pk_mov_b32 v[6:7], v[14:15], v[14:15] op_sel:[0,1]
.LBB234_101:                            ;   in Loop: Header=BB234_4 Depth=1
	s_or_b64 exec, exec, s[36:37]
.LBB234_102:                            ;   in Loop: Header=BB234_4 Depth=1
	s_or_b64 exec, exec, s[34:35]
	v_cmp_neq_f64_e32 vcc, 0, v[10:11]
	v_cmp_neq_f64_e64 s[10:11], 0, v[12:13]
	s_or_b64 s[10:11], vcc, s[10:11]
	s_and_saveexec_b64 s[34:35], s[10:11]
	s_cbranch_execz .LBB234_114
; %bb.103:                              ;   in Loop: Header=BB234_4 Depth=1
	v_cmp_neq_f64_e64 s[10:11], |v[12:13]|, s[24:25]
	v_pk_mov_b32 v[2:3], s[24:25], s[24:25] op_sel:[0,1]
	s_and_saveexec_b64 s[36:37], s[10:11]
	s_cbranch_execz .LBB234_135
; %bb.104:                              ;   in Loop: Header=BB234_4 Depth=1
	v_cmp_o_f64_e32 vcc, v[10:11], v[10:11]
	s_and_saveexec_b64 s[10:11], vcc
	s_xor_b64 s[38:39], exec, s[10:11]
	s_cbranch_execz .LBB234_132
; %bb.105:                              ;   in Loop: Header=BB234_4 Depth=1
	v_cmp_neq_f64_e64 s[10:11], |v[10:11]|, s[24:25]
	s_and_saveexec_b64 s[12:13], s[10:11]
	s_xor_b64 s[40:41], exec, s[12:13]
	s_cbranch_execz .LBB234_125
; %bb.106:                              ;   in Loop: Header=BB234_4 Depth=1
	v_max_f64 v[2:3], |v[10:11]|, |v[10:11]|
	v_max_f64 v[14:15], |v[12:13]|, |v[12:13]|
	v_max_f64 v[2:3], v[14:15], v[2:3]
	v_cmp_nle_f64_e64 s[10:11], s[26:27], v[2:3]
                                        ; implicit-def: $sgpr42_sgpr43
	s_and_saveexec_b64 s[12:13], s[10:11]
	s_xor_b64 s[12:13], exec, s[12:13]
	s_cbranch_execz .LBB234_110
; %bb.107:                              ;   in Loop: Header=BB234_4 Depth=1
	v_cmp_le_f64_e64 s[42:43], |v[10:11]|, s[28:29]
	v_cmp_le_f64_e64 s[44:45], |v[12:13]|, s[28:29]
	s_and_b64 s[52:53], s[44:45], s[42:43]
	s_mov_b64 s[42:43], 0
	s_and_saveexec_b64 s[44:45], s[52:53]
; %bb.108:                              ;   in Loop: Header=BB234_4 Depth=1
	s_mov_b64 s[42:43], exec
	v_mul_f64 v[10:11], v[10:11], 4.0
	v_mul_f64 v[12:13], v[12:13], 4.0
; %bb.109:                              ;   in Loop: Header=BB234_4 Depth=1
	s_or_b64 exec, exec, s[44:45]
	s_and_b64 s[42:43], s[42:43], exec
.LBB234_110:                            ;   in Loop: Header=BB234_4 Depth=1
	s_andn2_saveexec_b64 s[12:13], s[12:13]
; %bb.111:                              ;   in Loop: Header=BB234_4 Depth=1
	v_ldexp_f64 v[10:11], v[10:11], -2
	v_ldexp_f64 v[12:13], v[12:13], -2
	s_andn2_b64 s[42:43], s[42:43], exec
; %bb.112:                              ;   in Loop: Header=BB234_4 Depth=1
	s_or_b64 exec, exec, s[12:13]
	v_max_f64 v[2:3], |v[12:13]|, |v[12:13]|
	v_max_f64 v[14:15], |v[10:11]|, |v[10:11]|
	v_max_f64 v[2:3], v[14:15], v[2:3]
	v_frexp_exp_i32_f64_e32 v41, v[2:3]
	v_sub_u32_e32 v14, 0, v41
	v_ldexp_f64 v[2:3], |v[10:11]|, v14
	v_ldexp_f64 v[14:15], |v[12:13]|, v14
	v_mul_f64 v[14:15], v[14:15], v[14:15]
	v_fmac_f64_e32 v[14:15], v[2:3], v[2:3]
	v_rsq_f64_e32 v[2:3], v[14:15]
	v_cmp_eq_f64_e64 s[12:13], 0, v[14:15]
	v_cmp_class_f64_e64 s[44:45], v[12:13], s49
	v_cmp_le_f64_e32 vcc, 0, v[10:11]
	v_mul_f64 v[22:23], v[14:15], v[2:3]
	v_mul_f64 v[2:3], v[2:3], 0.5
	v_fma_f64 v[32:33], -v[2:3], v[22:23], 0.5
	v_fmac_f64_e32 v[22:23], v[22:23], v[32:33]
	v_fmac_f64_e32 v[2:3], v[2:3], v[32:33]
	v_fma_f64 v[32:33], -v[22:23], v[22:23], v[14:15]
	v_fmac_f64_e32 v[22:23], v[32:33], v[2:3]
	v_cndmask_b32_e64 v3, v23, v15, s[12:13]
	v_cndmask_b32_e64 v2, v22, v14, s[12:13]
	v_ldexp_f64 v[2:3], v[2:3], v41
	v_cmp_o_f64_e64 s[12:13], v[12:13], v[12:13]
	v_cndmask_b32_e64 v2, 0, v2, s[12:13]
	v_cndmask_b32_e64 v3, v38, v3, s[12:13]
	v_cmp_class_f64_e64 s[12:13], v[10:11], s49
	s_or_b64 s[12:13], s[44:45], s[12:13]
	v_cndmask_b32_e64 v23, v3, v39, s[12:13]
	v_cndmask_b32_e64 v22, v2, 0, s[12:13]
                                        ; implicit-def: $vgpr2_vgpr3
                                        ; implicit-def: $vgpr14_vgpr15
	s_and_saveexec_b64 s[12:13], vcc
	s_xor_b64 s[12:13], exec, s[12:13]
	s_cbranch_execz .LBB234_118
; %bb.113:                              ;   in Loop: Header=BB234_4 Depth=1
	v_add_f64 v[2:3], v[10:11], v[22:23]
	v_mul_f64 v[2:3], v[2:3], 0.5
	v_cmp_gt_f64_e32 vcc, s[30:31], v[2:3]
	v_cndmask_b32_e64 v10, 0, 1, vcc
	v_lshlrev_b32_e32 v10, 8, v10
	v_ldexp_f64 v[2:3], v[2:3], v10
	v_rsq_f64_e32 v[10:11], v[2:3]
	v_mul_f64 v[14:15], v[2:3], v[10:11]
	v_mul_f64 v[10:11], v[10:11], 0.5
	v_fma_f64 v[22:23], -v[10:11], v[14:15], 0.5
	v_fmac_f64_e32 v[14:15], v[14:15], v[22:23]
	v_fmac_f64_e32 v[10:11], v[10:11], v[22:23]
	v_fma_f64 v[22:23], -v[14:15], v[14:15], v[2:3]
	v_fmac_f64_e32 v[14:15], v[22:23], v[10:11]
	v_fma_f64 v[22:23], -v[14:15], v[14:15], v[2:3]
	v_fmac_f64_e32 v[14:15], v[22:23], v[10:11]
	v_cndmask_b32_e32 v10, 0, v40, vcc
	v_ldexp_f64 v[10:11], v[14:15], v10
	v_cmp_class_f64_e32 vcc, v[2:3], v37
	v_cndmask_b32_e32 v15, v11, v3, vcc
	v_cndmask_b32_e32 v14, v10, v2, vcc
	v_add_f64 v[2:3], v[14:15], v[14:15]
	v_div_scale_f64 v[10:11], s[44:45], v[2:3], v[2:3], v[12:13]
	v_rcp_f64_e32 v[22:23], v[10:11]
	v_fma_f64 v[32:33], -v[10:11], v[22:23], 1.0
	v_fmac_f64_e32 v[22:23], v[22:23], v[32:33]
	v_fma_f64 v[32:33], -v[10:11], v[22:23], 1.0
	v_fmac_f64_e32 v[22:23], v[22:23], v[32:33]
	v_div_scale_f64 v[32:33], vcc, v[12:13], v[2:3], v[12:13]
	v_mul_f64 v[42:43], v[32:33], v[22:23]
	v_fma_f64 v[10:11], -v[10:11], v[42:43], v[32:33]
	s_nop 1
	v_div_fmas_f64 v[10:11], v[10:11], v[22:23], v[42:43]
	v_div_fixup_f64 v[2:3], v[10:11], v[2:3], v[12:13]
                                        ; implicit-def: $vgpr22_vgpr23
                                        ; implicit-def: $vgpr10_vgpr11
	s_andn2_saveexec_b64 s[12:13], s[12:13]
	s_cbranch_execz .LBB234_120
	s_branch .LBB234_119
.LBB234_114:                            ;   in Loop: Header=BB234_4 Depth=1
	s_or_b64 exec, exec, s[34:35]
	s_and_saveexec_b64 s[10:11], s[0:1]
	s_xor_b64 s[0:1], exec, s[10:11]
	s_cbranch_execz .LBB234_136
.LBB234_115:                            ;   in Loop: Header=BB234_4 Depth=1
	v_mov_b32_e32 v11, s46
	v_add_co_u32_e32 v10, vcc, s33, v24
	v_addc_co_u32_e32 v11, vcc, 0, v11, vcc
	v_mov_b32_e32 v22, v8
	v_mov_b32_e32 v23, v9
	global_store_dwordx4 v[10:11], v[20:23], off
	s_or_b64 exec, exec, s[0:1]
	s_and_saveexec_b64 s[0:1], s[2:3]
	s_cbranch_execnz .LBB234_137
.LBB234_116:                            ;   in Loop: Header=BB234_4 Depth=1
	s_or_b64 exec, exec, s[0:1]
	s_and_saveexec_b64 s[0:1], s[6:7]
	s_cbranch_execz .LBB234_138
.LBB234_117:                            ;   in Loop: Header=BB234_4 Depth=1
	v_mov_b32_e32 v5, s46
	v_add_co_u32_e32 v4, vcc, s33, v30
	v_addc_co_u32_e32 v5, vcc, v5, v1, vcc
	v_mov_b32_e32 v8, v16
	v_mov_b32_e32 v9, v17
	global_store_dwordx4 v[4:5], v[6:9], off offset:-8
	s_or_b64 exec, exec, s[0:1]
	s_and_saveexec_b64 s[0:1], s[8:9]
	s_cbranch_execz .LBB234_3
	s_branch .LBB234_139
.LBB234_118:                            ;   in Loop: Header=BB234_4 Depth=1
	s_andn2_saveexec_b64 s[12:13], s[12:13]
	s_cbranch_execz .LBB234_120
.LBB234_119:                            ;   in Loop: Header=BB234_4 Depth=1
	v_add_f64 v[2:3], v[22:23], -v[10:11]
	v_mul_f64 v[2:3], v[2:3], 0.5
	v_cmp_gt_f64_e32 vcc, s[30:31], v[2:3]
	v_cndmask_b32_e64 v10, 0, 1, vcc
	v_lshlrev_b32_e32 v10, 8, v10
	v_ldexp_f64 v[2:3], v[2:3], v10
	v_rsq_f64_e32 v[10:11], v[2:3]
	v_mul_f64 v[14:15], v[2:3], v[10:11]
	v_mul_f64 v[10:11], v[10:11], 0.5
	v_fma_f64 v[22:23], -v[10:11], v[14:15], 0.5
	v_fmac_f64_e32 v[14:15], v[14:15], v[22:23]
	v_fmac_f64_e32 v[10:11], v[10:11], v[22:23]
	v_fma_f64 v[22:23], -v[14:15], v[14:15], v[2:3]
	v_fmac_f64_e32 v[14:15], v[22:23], v[10:11]
	v_fma_f64 v[22:23], -v[14:15], v[14:15], v[2:3]
	v_fmac_f64_e32 v[14:15], v[22:23], v[10:11]
	v_cndmask_b32_e32 v10, 0, v40, vcc
	v_ldexp_f64 v[10:11], v[14:15], v10
	v_cmp_class_f64_e32 vcc, v[2:3], v37
	v_cndmask_b32_e32 v3, v11, v3, vcc
	v_cndmask_b32_e32 v2, v10, v2, vcc
	v_add_f64 v[10:11], v[2:3], v[2:3]
	v_and_b32_e32 v15, 0x7fffffff, v13
	v_mov_b32_e32 v14, v12
	v_div_scale_f64 v[22:23], s[44:45], v[10:11], v[10:11], v[14:15]
	v_rcp_f64_e32 v[32:33], v[22:23]
	v_div_scale_f64 v[14:15], vcc, v[14:15], v[10:11], v[14:15]
	v_bfi_b32 v3, s50, v3, v13
	v_fma_f64 v[42:43], -v[22:23], v[32:33], 1.0
	v_fmac_f64_e32 v[32:33], v[32:33], v[42:43]
	v_fma_f64 v[42:43], -v[22:23], v[32:33], 1.0
	v_fmac_f64_e32 v[32:33], v[32:33], v[42:43]
	v_mul_f64 v[42:43], v[14:15], v[32:33]
	v_fma_f64 v[14:15], -v[22:23], v[42:43], v[14:15]
	v_div_fmas_f64 v[14:15], v[14:15], v[32:33], v[42:43]
	v_div_fixup_f64 v[14:15], v[14:15], v[10:11], |v[12:13]|
.LBB234_120:                            ;   in Loop: Header=BB234_4 Depth=1
	s_or_b64 exec, exec, s[12:13]
                                        ; implicit-def: $vgpr12_vgpr13
	s_and_saveexec_b64 s[12:13], s[10:11]
	s_xor_b64 s[10:11], exec, s[12:13]
	s_cbranch_execz .LBB234_122
; %bb.121:                              ;   in Loop: Header=BB234_4 Depth=1
	v_mul_f64 v[10:11], v[14:15], 0.5
	v_mul_f64 v[12:13], v[2:3], 0.5
	v_cndmask_b32_e64 v11, v15, v11, s[42:43]
	v_cndmask_b32_e64 v10, v14, v10, s[42:43]
	;; [unrolled: 1-line block ×4, first 2 shown]
                                        ; implicit-def: $vgpr14_vgpr15
                                        ; implicit-def: $vgpr2_vgpr3
	s_andn2_saveexec_b64 s[10:11], s[10:11]
	s_cbranch_execnz .LBB234_123
	s_branch .LBB234_124
.LBB234_122:                            ;   in Loop: Header=BB234_4 Depth=1
	s_andn2_saveexec_b64 s[10:11], s[10:11]
.LBB234_123:                            ;   in Loop: Header=BB234_4 Depth=1
	v_add_f64 v[10:11], v[14:15], v[14:15]
	v_add_f64 v[12:13], v[2:3], v[2:3]
.LBB234_124:                            ;   in Loop: Header=BB234_4 Depth=1
	s_or_b64 exec, exec, s[10:11]
.LBB234_125:                            ;   in Loop: Header=BB234_4 Depth=1
	s_andn2_saveexec_b64 s[10:11], s[40:41]
	s_cbranch_execz .LBB234_131
; %bb.126:                              ;   in Loop: Header=BB234_4 Depth=1
	v_cmp_lt_i64_e32 vcc, -1, v[10:11]
	v_add_f64 v[2:3], v[12:13], -v[12:13]
	s_and_saveexec_b64 s[12:13], vcc
	s_xor_b64 s[12:13], exec, s[12:13]
; %bb.127:                              ;   in Loop: Header=BB234_4 Depth=1
	v_bfi_b32 v3, s50, v3, v13
	v_pk_mov_b32 v[12:13], v[2:3], v[2:3] op_sel:[0,1]
                                        ; implicit-def: $vgpr2_vgpr3
; %bb.128:                              ;   in Loop: Header=BB234_4 Depth=1
	s_andn2_saveexec_b64 s[12:13], s[12:13]
; %bb.129:                              ;   in Loop: Header=BB234_4 Depth=1
	v_and_b32_e32 v3, 0x7fffffff, v3
	v_bfi_b32 v11, s50, v11, v13
	v_pk_mov_b32 v[12:13], v[10:11], v[10:11] op_sel:[0,1]
	v_pk_mov_b32 v[10:11], v[2:3], v[2:3] op_sel:[0,1]
; %bb.130:                              ;   in Loop: Header=BB234_4 Depth=1
	s_or_b64 exec, exec, s[12:13]
.LBB234_131:                            ;   in Loop: Header=BB234_4 Depth=1
	s_or_b64 exec, exec, s[10:11]
.LBB234_132:                            ;   in Loop: Header=BB234_4 Depth=1
	s_andn2_saveexec_b64 s[10:11], s[38:39]
; %bb.133:                              ;   in Loop: Header=BB234_4 Depth=1
	v_add_f64 v[2:3], v[12:13], -v[12:13]
	v_div_scale_f64 v[12:13], vcc, v[2:3], v[2:3], v[2:3]
	v_rcp_f64_e32 v[14:15], v[12:13]
	v_fma_f64 v[22:23], -v[12:13], v[14:15], 1.0
	v_fmac_f64_e32 v[14:15], v[14:15], v[22:23]
	v_fma_f64 v[22:23], -v[12:13], v[14:15], 1.0
	v_fmac_f64_e32 v[14:15], v[14:15], v[22:23]
	v_mul_f64 v[22:23], v[12:13], v[14:15]
	v_fma_f64 v[12:13], -v[12:13], v[22:23], v[12:13]
	v_div_fmas_f64 v[12:13], v[12:13], v[14:15], v[22:23]
	v_div_fixup_f64 v[12:13], v[12:13], v[2:3], v[2:3]
; %bb.134:                              ;   in Loop: Header=BB234_4 Depth=1
	s_or_b64 exec, exec, s[10:11]
	v_pk_mov_b32 v[2:3], v[10:11], v[10:11] op_sel:[0,1]
.LBB234_135:                            ;   in Loop: Header=BB234_4 Depth=1
	s_or_b64 exec, exec, s[36:37]
	s_or_b64 exec, exec, s[34:35]
	s_and_saveexec_b64 s[10:11], s[0:1]
	s_xor_b64 s[0:1], exec, s[10:11]
	s_cbranch_execnz .LBB234_115
.LBB234_136:                            ;   in Loop: Header=BB234_4 Depth=1
	s_or_b64 exec, exec, s[0:1]
	s_and_saveexec_b64 s[0:1], s[2:3]
	s_cbranch_execz .LBB234_116
.LBB234_137:                            ;   in Loop: Header=BB234_4 Depth=1
	v_mov_b32_e32 v9, s46
	v_add_co_u32_e32 v8, vcc, s33, v28
	v_addc_co_u32_e32 v9, vcc, 0, v9, vcc
	v_mov_b32_e32 v20, v4
	v_mov_b32_e32 v21, v5
	global_store_dwordx4 v[8:9], v[18:21], off
	s_or_b64 exec, exec, s[0:1]
	s_and_saveexec_b64 s[0:1], s[6:7]
	s_cbranch_execnz .LBB234_117
.LBB234_138:                            ;   in Loop: Header=BB234_4 Depth=1
	s_or_b64 exec, exec, s[0:1]
	s_and_saveexec_b64 s[0:1], s[8:9]
	s_cbranch_execz .LBB234_3
.LBB234_139:                            ;   in Loop: Header=BB234_4 Depth=1
	v_mov_b32_e32 v4, s46
	v_add_co_u32_e32 v6, vcc, s33, v26
	v_addc_co_u32_e32 v7, vcc, v4, v27, vcc
	v_mov_b32_e32 v4, v12
	v_mov_b32_e32 v5, v13
	global_store_dwordx4 v[6:7], v[2:5], off offset:-8
	s_branch .LBB234_3
.LBB234_140:
	s_cbranch_execz .LBB234_142
	s_branch .LBB234_265
.LBB234_141:
.LBB234_142:
	v_mov_b32_e32 v23, 0
	v_lshlrev_b32_e32 v22, 2, v0
	s_mov_b32 s30, 0
	v_cmp_gt_i64_e32 vcc, s[14:15], v[22:23]
	s_and_saveexec_b64 s[0:1], vcc
	s_cbranch_execz .LBB234_265
; %bb.143:
	s_load_dword s0, s[4:5], 0xd3c
	v_lshlrev_b32_e32 v1, 6, v0
	s_mov_b32 s6, 0
	s_mov_b32 s8, 0x99fcef32
	s_mov_b32 s10, 0
	s_waitcnt lgkmcnt(0)
	s_and_b32 s0, s0, 0xffff
	s_lshl_b32 s31, s0, 2
	s_add_u32 s1, s16, s18
	s_addc_u32 s2, s17, s19
	v_add_lshl_u32 v22, v0, s0, 2
	v_mov_b32_e32 v0, s2
	v_add_co_u32_e32 v24, vcc, s1, v1
	s_mov_b32 s12, 0
	v_addc_co_u32_e32 v25, vcc, 0, v0, vcc
	s_lshl_b32 s33, s0, 6
	s_mov_b32 s34, s30
	s_mov_b64 s[4:5], 0
	s_mov_b32 s7, 0x7ff00000
	s_mov_b32 s9, 0x7fda8279
	;; [unrolled: 1-line block ×3, first 2 shown]
	s_movk_i32 s35, 0x204
	s_brev_b32 s13, 8
	v_mov_b32_e32 v28, 0x260
	s_brev_b32 s36, -2
	s_mov_b64 s[16:17], 0xffff
	v_mov_b32_e32 v29, 0x7ff80000
	v_mov_b32_e32 v30, 0x7ff00000
	v_mov_b32_e32 v31, 0xffffff80
	s_branch .LBB234_147
.LBB234_144:                            ;   in Loop: Header=BB234_147 Depth=1
	s_or_b64 exec, exec, s[0:1]
	v_pk_mov_b32 v[8:9], v[0:1], v[0:1] op_sel:[0,1]
.LBB234_145:                            ;   in Loop: Header=BB234_147 Depth=1
	s_or_b64 exec, exec, s[20:21]
.LBB234_146:                            ;   in Loop: Header=BB234_147 Depth=1
	s_or_b64 exec, exec, s[18:19]
	v_cmp_le_i64_e32 vcc, s[14:15], v[22:23]
	v_cmp_lt_u64_e64 s[0:1], s[16:17], v[22:23]
	v_mov_b32_e32 v20, v14
	v_mov_b32_e32 v21, v15
	s_or_b64 s[0:1], vcc, s[0:1]
	v_mov_b32_e32 v0, s30
	v_add_co_u32_e32 v22, vcc, s31, v22
	global_store_dwordx4 v[24:25], v[18:21], off
	v_mov_b32_e32 v14, v6
	v_mov_b32_e32 v18, v10
	;; [unrolled: 1-line block ×6, first 2 shown]
	v_addc_co_u32_e32 v23, vcc, v23, v0, vcc
	global_store_dwordx4 v[24:25], v[16:19], off offset:16
	global_store_dwordx4 v[24:25], v[12:15], off offset:32
	;; [unrolled: 1-line block ×3, first 2 shown]
	v_mov_b32_e32 v0, s34
	s_and_b64 s[0:1], exec, s[0:1]
	v_add_co_u32_e32 v24, vcc, s33, v24
	s_or_b64 s[4:5], s[0:1], s[4:5]
	v_addc_co_u32_e32 v25, vcc, v25, v0, vcc
	s_andn2_b64 exec, exec, s[4:5]
	s_cbranch_execz .LBB234_265
.LBB234_147:                            ; =>This Inner Loop Header: Depth=1
	global_load_dwordx4 v[12:15], v[24:25], off
	global_load_dwordx4 v[8:11], v[24:25], off offset:16
	global_load_dwordx4 v[0:3], v[24:25], off offset:48
	;; [unrolled: 1-line block ×3, first 2 shown]
	v_pk_mov_b32 v[16:17], 0, 0
	v_pk_mov_b32 v[18:19], v[16:17], v[16:17] op_sel:[0,1]
	s_waitcnt vmcnt(3)
	v_cmp_neq_f64_e32 vcc, 0, v[12:13]
	v_cmp_neq_f64_e64 s[0:1], 0, v[14:15]
	s_or_b64 s[0:1], vcc, s[0:1]
	s_and_saveexec_b64 s[18:19], s[0:1]
	s_cbranch_execz .LBB234_176
; %bb.148:                              ;   in Loop: Header=BB234_147 Depth=1
	v_cmp_neq_f64_e64 s[0:1], |v[14:15]|, s[6:7]
	v_pk_mov_b32 v[18:19], s[6:7], s[6:7] op_sel:[0,1]
	s_and_saveexec_b64 s[20:21], s[0:1]
	s_cbranch_execz .LBB234_175
; %bb.149:                              ;   in Loop: Header=BB234_147 Depth=1
	v_cmp_o_f64_e32 vcc, v[12:13], v[12:13]
	s_and_saveexec_b64 s[0:1], vcc
	s_xor_b64 s[22:23], exec, s[0:1]
	s_cbranch_execz .LBB234_172
; %bb.150:                              ;   in Loop: Header=BB234_147 Depth=1
	v_cmp_neq_f64_e64 s[0:1], |v[12:13]|, s[6:7]
	s_and_saveexec_b64 s[2:3], s[0:1]
	s_xor_b64 s[24:25], exec, s[2:3]
	s_cbranch_execz .LBB234_166
; %bb.151:                              ;   in Loop: Header=BB234_147 Depth=1
	v_max_f64 v[18:19], |v[14:15]|, |v[14:15]|
	v_max_f64 v[20:21], |v[12:13]|, |v[12:13]|
	v_max_f64 v[18:19], v[20:21], v[18:19]
	v_cmp_nle_f64_e64 s[0:1], s[8:9], v[18:19]
                                        ; implicit-def: $sgpr26_sgpr27
	s_and_saveexec_b64 s[2:3], s[0:1]
	s_xor_b64 s[2:3], exec, s[2:3]
	s_cbranch_execz .LBB234_155
; %bb.152:                              ;   in Loop: Header=BB234_147 Depth=1
	v_cmp_le_f64_e64 s[26:27], |v[12:13]|, s[10:11]
	v_cmp_le_f64_e64 s[28:29], |v[14:15]|, s[10:11]
	s_and_b64 s[38:39], s[26:27], s[28:29]
	s_mov_b64 s[26:27], 0
	s_and_saveexec_b64 s[28:29], s[38:39]
; %bb.153:                              ;   in Loop: Header=BB234_147 Depth=1
	s_mov_b64 s[26:27], exec
	v_mul_f64 v[12:13], v[12:13], 4.0
	v_mul_f64 v[14:15], v[14:15], 4.0
; %bb.154:                              ;   in Loop: Header=BB234_147 Depth=1
	s_or_b64 exec, exec, s[28:29]
	s_and_b64 s[26:27], s[26:27], exec
.LBB234_155:                            ;   in Loop: Header=BB234_147 Depth=1
	s_andn2_saveexec_b64 s[2:3], s[2:3]
; %bb.156:                              ;   in Loop: Header=BB234_147 Depth=1
	v_ldexp_f64 v[12:13], v[12:13], -2
	v_ldexp_f64 v[14:15], v[14:15], -2
	s_andn2_b64 s[26:27], s[26:27], exec
; %bb.157:                              ;   in Loop: Header=BB234_147 Depth=1
	s_or_b64 exec, exec, s[2:3]
	v_max_f64 v[18:19], |v[14:15]|, |v[14:15]|
	v_max_f64 v[20:21], |v[12:13]|, |v[12:13]|
	v_max_f64 v[18:19], v[20:21], v[18:19]
	v_frexp_exp_i32_f64_e32 v34, v[18:19]
	v_sub_u32_e32 v20, 0, v34
	v_ldexp_f64 v[18:19], |v[12:13]|, v20
	v_ldexp_f64 v[20:21], |v[14:15]|, v20
	v_mul_f64 v[20:21], v[20:21], v[20:21]
	v_fmac_f64_e32 v[20:21], v[18:19], v[18:19]
	v_rsq_f64_e32 v[18:19], v[20:21]
	v_cmp_eq_f64_e64 s[2:3], 0, v[20:21]
	v_cmp_class_f64_e64 s[28:29], v[14:15], s35
	v_cmp_le_f64_e32 vcc, 0, v[12:13]
	v_mul_f64 v[26:27], v[20:21], v[18:19]
	v_mul_f64 v[18:19], v[18:19], 0.5
	v_fma_f64 v[32:33], -v[18:19], v[26:27], 0.5
	v_fmac_f64_e32 v[26:27], v[26:27], v[32:33]
	v_fmac_f64_e32 v[18:19], v[18:19], v[32:33]
	v_fma_f64 v[32:33], -v[26:27], v[26:27], v[20:21]
	v_fmac_f64_e32 v[26:27], v[32:33], v[18:19]
	v_cndmask_b32_e64 v19, v27, v21, s[2:3]
	v_cndmask_b32_e64 v18, v26, v20, s[2:3]
	v_ldexp_f64 v[18:19], v[18:19], v34
	v_cmp_o_f64_e64 s[2:3], v[14:15], v[14:15]
	v_cndmask_b32_e64 v18, 0, v18, s[2:3]
	v_cndmask_b32_e64 v19, v29, v19, s[2:3]
	v_cmp_class_f64_e64 s[2:3], v[12:13], s35
	s_or_b64 s[2:3], s[28:29], s[2:3]
	v_cndmask_b32_e64 v27, v19, v30, s[2:3]
	v_cndmask_b32_e64 v26, v18, 0, s[2:3]
                                        ; implicit-def: $vgpr18_vgpr19
                                        ; implicit-def: $vgpr20_vgpr21
	s_and_saveexec_b64 s[2:3], vcc
	s_xor_b64 s[2:3], exec, s[2:3]
	s_cbranch_execz .LBB234_159
; %bb.158:                              ;   in Loop: Header=BB234_147 Depth=1
	v_add_f64 v[12:13], v[12:13], v[26:27]
	v_mul_f64 v[12:13], v[12:13], 0.5
	v_cmp_gt_f64_e32 vcc, s[12:13], v[12:13]
	v_cndmask_b32_e64 v18, 0, 1, vcc
	v_lshlrev_b32_e32 v18, 8, v18
	v_ldexp_f64 v[12:13], v[12:13], v18
	v_rsq_f64_e32 v[18:19], v[12:13]
	v_mul_f64 v[20:21], v[12:13], v[18:19]
	v_mul_f64 v[18:19], v[18:19], 0.5
	v_fma_f64 v[26:27], -v[18:19], v[20:21], 0.5
	v_fmac_f64_e32 v[20:21], v[20:21], v[26:27]
	v_fmac_f64_e32 v[18:19], v[18:19], v[26:27]
	v_fma_f64 v[26:27], -v[20:21], v[20:21], v[12:13]
	v_fmac_f64_e32 v[20:21], v[26:27], v[18:19]
	v_fma_f64 v[26:27], -v[20:21], v[20:21], v[12:13]
	v_fmac_f64_e32 v[20:21], v[26:27], v[18:19]
	v_cndmask_b32_e32 v18, 0, v31, vcc
	v_ldexp_f64 v[18:19], v[20:21], v18
	v_cmp_class_f64_e32 vcc, v[12:13], v28
	v_cndmask_b32_e32 v21, v19, v13, vcc
	v_cndmask_b32_e32 v20, v18, v12, vcc
	v_add_f64 v[12:13], v[20:21], v[20:21]
	v_div_scale_f64 v[18:19], s[28:29], v[12:13], v[12:13], v[14:15]
	v_rcp_f64_e32 v[26:27], v[18:19]
	v_fma_f64 v[32:33], -v[18:19], v[26:27], 1.0
	v_fmac_f64_e32 v[26:27], v[26:27], v[32:33]
	v_fma_f64 v[32:33], -v[18:19], v[26:27], 1.0
	v_fmac_f64_e32 v[26:27], v[26:27], v[32:33]
	v_div_scale_f64 v[32:33], vcc, v[14:15], v[12:13], v[14:15]
	v_mul_f64 v[34:35], v[32:33], v[26:27]
	v_fma_f64 v[18:19], -v[18:19], v[34:35], v[32:33]
	s_nop 1
	v_div_fmas_f64 v[18:19], v[18:19], v[26:27], v[34:35]
	v_div_fixup_f64 v[18:19], v[18:19], v[12:13], v[14:15]
                                        ; implicit-def: $vgpr26_vgpr27
                                        ; implicit-def: $vgpr12_vgpr13
	s_andn2_saveexec_b64 s[2:3], s[2:3]
	s_cbranch_execz .LBB234_161
	s_branch .LBB234_160
.LBB234_159:                            ;   in Loop: Header=BB234_147 Depth=1
	s_andn2_saveexec_b64 s[2:3], s[2:3]
	s_cbranch_execz .LBB234_161
.LBB234_160:                            ;   in Loop: Header=BB234_147 Depth=1
	v_add_f64 v[12:13], v[26:27], -v[12:13]
	v_mul_f64 v[12:13], v[12:13], 0.5
	v_cmp_gt_f64_e32 vcc, s[12:13], v[12:13]
	v_cndmask_b32_e64 v18, 0, 1, vcc
	v_lshlrev_b32_e32 v18, 8, v18
	v_ldexp_f64 v[12:13], v[12:13], v18
	v_rsq_f64_e32 v[18:19], v[12:13]
	v_mul_f64 v[20:21], v[12:13], v[18:19]
	v_mul_f64 v[18:19], v[18:19], 0.5
	v_fma_f64 v[26:27], -v[18:19], v[20:21], 0.5
	v_fmac_f64_e32 v[20:21], v[20:21], v[26:27]
	v_fmac_f64_e32 v[18:19], v[18:19], v[26:27]
	v_fma_f64 v[26:27], -v[20:21], v[20:21], v[12:13]
	v_fmac_f64_e32 v[20:21], v[26:27], v[18:19]
	v_fma_f64 v[26:27], -v[20:21], v[20:21], v[12:13]
	v_fmac_f64_e32 v[20:21], v[26:27], v[18:19]
	v_cndmask_b32_e32 v18, 0, v31, vcc
	v_ldexp_f64 v[18:19], v[20:21], v18
	v_cmp_class_f64_e32 vcc, v[12:13], v28
	v_cndmask_b32_e32 v19, v19, v13, vcc
	v_cndmask_b32_e32 v18, v18, v12, vcc
	v_add_f64 v[12:13], v[18:19], v[18:19]
	v_and_b32_e32 v21, 0x7fffffff, v15
	v_mov_b32_e32 v20, v14
	v_div_scale_f64 v[26:27], s[28:29], v[12:13], v[12:13], v[20:21]
	v_rcp_f64_e32 v[32:33], v[26:27]
	v_div_scale_f64 v[20:21], vcc, v[20:21], v[12:13], v[20:21]
	v_bfi_b32 v19, s36, v19, v15
	v_fma_f64 v[34:35], -v[26:27], v[32:33], 1.0
	v_fmac_f64_e32 v[32:33], v[32:33], v[34:35]
	v_fma_f64 v[34:35], -v[26:27], v[32:33], 1.0
	v_fmac_f64_e32 v[32:33], v[32:33], v[34:35]
	v_mul_f64 v[34:35], v[20:21], v[32:33]
	v_fma_f64 v[20:21], -v[26:27], v[34:35], v[20:21]
	v_div_fmas_f64 v[20:21], v[20:21], v[32:33], v[34:35]
	v_div_fixup_f64 v[20:21], v[20:21], v[12:13], |v[14:15]|
.LBB234_161:                            ;   in Loop: Header=BB234_147 Depth=1
	s_or_b64 exec, exec, s[2:3]
                                        ; implicit-def: $vgpr14_vgpr15
	s_and_saveexec_b64 s[2:3], s[0:1]
	s_xor_b64 s[0:1], exec, s[2:3]
	s_cbranch_execz .LBB234_163
; %bb.162:                              ;   in Loop: Header=BB234_147 Depth=1
	v_mul_f64 v[12:13], v[20:21], 0.5
	v_mul_f64 v[14:15], v[18:19], 0.5
	v_cndmask_b32_e64 v13, v21, v13, s[26:27]
	v_cndmask_b32_e64 v12, v20, v12, s[26:27]
	;; [unrolled: 1-line block ×4, first 2 shown]
                                        ; implicit-def: $vgpr20_vgpr21
                                        ; implicit-def: $vgpr18_vgpr19
	s_andn2_saveexec_b64 s[0:1], s[0:1]
	s_cbranch_execnz .LBB234_164
	s_branch .LBB234_165
.LBB234_163:                            ;   in Loop: Header=BB234_147 Depth=1
	s_andn2_saveexec_b64 s[0:1], s[0:1]
.LBB234_164:                            ;   in Loop: Header=BB234_147 Depth=1
	v_add_f64 v[12:13], v[20:21], v[20:21]
	v_add_f64 v[14:15], v[18:19], v[18:19]
.LBB234_165:                            ;   in Loop: Header=BB234_147 Depth=1
	s_or_b64 exec, exec, s[0:1]
.LBB234_166:                            ;   in Loop: Header=BB234_147 Depth=1
	s_andn2_saveexec_b64 s[0:1], s[24:25]
	s_cbranch_execz .LBB234_188
; %bb.167:                              ;   in Loop: Header=BB234_147 Depth=1
	v_cmp_lt_i64_e32 vcc, -1, v[12:13]
	v_add_f64 v[18:19], v[14:15], -v[14:15]
	s_and_saveexec_b64 s[2:3], vcc
	s_xor_b64 s[2:3], exec, s[2:3]
; %bb.168:                              ;   in Loop: Header=BB234_147 Depth=1
	v_bfi_b32 v19, s36, v19, v15
	v_pk_mov_b32 v[14:15], v[18:19], v[18:19] op_sel:[0,1]
                                        ; implicit-def: $vgpr18_vgpr19
; %bb.169:                              ;   in Loop: Header=BB234_147 Depth=1
	s_andn2_saveexec_b64 s[2:3], s[2:3]
; %bb.170:                              ;   in Loop: Header=BB234_147 Depth=1
	v_and_b32_e32 v19, 0x7fffffff, v19
	v_bfi_b32 v13, s36, v13, v15
	v_pk_mov_b32 v[14:15], v[12:13], v[12:13] op_sel:[0,1]
	v_pk_mov_b32 v[12:13], v[18:19], v[18:19] op_sel:[0,1]
; %bb.171:                              ;   in Loop: Header=BB234_147 Depth=1
	s_or_b64 exec, exec, s[2:3]
	s_or_b64 exec, exec, s[0:1]
.LBB234_172:                            ;   in Loop: Header=BB234_147 Depth=1
	s_andn2_saveexec_b64 s[0:1], s[22:23]
.LBB234_173:                            ;   in Loop: Header=BB234_147 Depth=1
	v_add_f64 v[14:15], v[14:15], -v[14:15]
	v_div_scale_f64 v[18:19], vcc, v[14:15], v[14:15], v[14:15]
	v_rcp_f64_e32 v[20:21], v[18:19]
	v_fma_f64 v[26:27], -v[18:19], v[20:21], 1.0
	v_fmac_f64_e32 v[20:21], v[20:21], v[26:27]
	v_fma_f64 v[26:27], -v[18:19], v[20:21], 1.0
	v_fmac_f64_e32 v[20:21], v[20:21], v[26:27]
	v_mul_f64 v[26:27], v[18:19], v[20:21]
	v_fma_f64 v[18:19], -v[18:19], v[26:27], v[18:19]
	v_div_fmas_f64 v[18:19], v[18:19], v[20:21], v[26:27]
	v_div_fixup_f64 v[14:15], v[18:19], v[14:15], v[14:15]
.LBB234_174:                            ;   in Loop: Header=BB234_147 Depth=1
	s_or_b64 exec, exec, s[0:1]
	v_pk_mov_b32 v[18:19], v[12:13], v[12:13] op_sel:[0,1]
.LBB234_175:                            ;   in Loop: Header=BB234_147 Depth=1
	s_or_b64 exec, exec, s[20:21]
.LBB234_176:                            ;   in Loop: Header=BB234_147 Depth=1
	s_or_b64 exec, exec, s[18:19]
	s_waitcnt vmcnt(2)
	v_cmp_neq_f64_e32 vcc, 0, v[8:9]
	v_cmp_neq_f64_e64 s[0:1], 0, v[10:11]
	s_or_b64 s[0:1], vcc, s[0:1]
	s_and_saveexec_b64 s[18:19], s[0:1]
	s_cbranch_execz .LBB234_207
; %bb.177:                              ;   in Loop: Header=BB234_147 Depth=1
	v_cmp_neq_f64_e64 s[0:1], |v[10:11]|, s[6:7]
	v_pk_mov_b32 v[16:17], s[6:7], s[6:7] op_sel:[0,1]
	s_and_saveexec_b64 s[20:21], s[0:1]
	s_cbranch_execz .LBB234_206
; %bb.178:                              ;   in Loop: Header=BB234_147 Depth=1
	v_cmp_o_f64_e32 vcc, v[8:9], v[8:9]
	s_and_saveexec_b64 s[0:1], vcc
	s_xor_b64 s[22:23], exec, s[0:1]
	s_cbranch_execz .LBB234_203
; %bb.179:                              ;   in Loop: Header=BB234_147 Depth=1
	v_cmp_neq_f64_e64 s[0:1], |v[8:9]|, s[6:7]
	s_and_saveexec_b64 s[2:3], s[0:1]
	s_xor_b64 s[24:25], exec, s[2:3]
	s_cbranch_execz .LBB234_196
; %bb.180:                              ;   in Loop: Header=BB234_147 Depth=1
	v_max_f64 v[12:13], |v[10:11]|, |v[10:11]|
	v_max_f64 v[16:17], |v[8:9]|, |v[8:9]|
	v_max_f64 v[12:13], v[16:17], v[12:13]
	v_cmp_nle_f64_e64 s[0:1], s[8:9], v[12:13]
                                        ; implicit-def: $sgpr26_sgpr27
	s_and_saveexec_b64 s[2:3], s[0:1]
	s_xor_b64 s[2:3], exec, s[2:3]
	s_cbranch_execz .LBB234_184
; %bb.181:                              ;   in Loop: Header=BB234_147 Depth=1
	v_cmp_le_f64_e64 s[26:27], |v[8:9]|, s[10:11]
	v_cmp_le_f64_e64 s[28:29], |v[10:11]|, s[10:11]
	s_and_b64 s[38:39], s[26:27], s[28:29]
	s_mov_b64 s[26:27], 0
	s_and_saveexec_b64 s[28:29], s[38:39]
; %bb.182:                              ;   in Loop: Header=BB234_147 Depth=1
	s_mov_b64 s[26:27], exec
	v_mul_f64 v[8:9], v[8:9], 4.0
	v_mul_f64 v[10:11], v[10:11], 4.0
; %bb.183:                              ;   in Loop: Header=BB234_147 Depth=1
	s_or_b64 exec, exec, s[28:29]
	s_and_b64 s[26:27], s[26:27], exec
.LBB234_184:                            ;   in Loop: Header=BB234_147 Depth=1
	s_andn2_saveexec_b64 s[2:3], s[2:3]
; %bb.185:                              ;   in Loop: Header=BB234_147 Depth=1
	v_ldexp_f64 v[8:9], v[8:9], -2
	v_ldexp_f64 v[10:11], v[10:11], -2
	s_andn2_b64 s[26:27], s[26:27], exec
; %bb.186:                              ;   in Loop: Header=BB234_147 Depth=1
	s_or_b64 exec, exec, s[2:3]
	v_max_f64 v[12:13], |v[10:11]|, |v[10:11]|
	v_max_f64 v[16:17], |v[8:9]|, |v[8:9]|
	v_max_f64 v[12:13], v[16:17], v[12:13]
	v_frexp_exp_i32_f64_e32 v32, v[12:13]
	v_sub_u32_e32 v16, 0, v32
	v_ldexp_f64 v[12:13], |v[8:9]|, v16
	v_ldexp_f64 v[16:17], |v[10:11]|, v16
	v_mul_f64 v[16:17], v[16:17], v[16:17]
	v_fmac_f64_e32 v[16:17], v[12:13], v[12:13]
	v_rsq_f64_e32 v[12:13], v[16:17]
	v_cmp_eq_f64_e64 s[2:3], 0, v[16:17]
	v_cmp_class_f64_e64 s[28:29], v[10:11], s35
	v_cmp_le_f64_e32 vcc, 0, v[8:9]
	v_mul_f64 v[20:21], v[16:17], v[12:13]
	v_mul_f64 v[12:13], v[12:13], 0.5
	v_fma_f64 v[26:27], -v[12:13], v[20:21], 0.5
	v_fmac_f64_e32 v[20:21], v[20:21], v[26:27]
	v_fmac_f64_e32 v[12:13], v[12:13], v[26:27]
	v_fma_f64 v[26:27], -v[20:21], v[20:21], v[16:17]
	v_fmac_f64_e32 v[20:21], v[26:27], v[12:13]
	v_cndmask_b32_e64 v13, v21, v17, s[2:3]
	v_cndmask_b32_e64 v12, v20, v16, s[2:3]
	v_ldexp_f64 v[12:13], v[12:13], v32
	v_cmp_o_f64_e64 s[2:3], v[10:11], v[10:11]
	v_cndmask_b32_e64 v12, 0, v12, s[2:3]
	v_cndmask_b32_e64 v13, v29, v13, s[2:3]
	v_cmp_class_f64_e64 s[2:3], v[8:9], s35
	s_or_b64 s[2:3], s[28:29], s[2:3]
	v_cndmask_b32_e64 v21, v13, v30, s[2:3]
	v_cndmask_b32_e64 v20, v12, 0, s[2:3]
                                        ; implicit-def: $vgpr12_vgpr13
                                        ; implicit-def: $vgpr16_vgpr17
	s_and_saveexec_b64 s[2:3], vcc
	s_xor_b64 s[2:3], exec, s[2:3]
	s_cbranch_execz .LBB234_189
; %bb.187:                              ;   in Loop: Header=BB234_147 Depth=1
	v_add_f64 v[8:9], v[8:9], v[20:21]
	v_mul_f64 v[8:9], v[8:9], 0.5
	v_cmp_gt_f64_e32 vcc, s[12:13], v[8:9]
	v_cndmask_b32_e64 v12, 0, 1, vcc
	v_lshlrev_b32_e32 v12, 8, v12
	v_ldexp_f64 v[8:9], v[8:9], v12
	v_rsq_f64_e32 v[12:13], v[8:9]
	v_mul_f64 v[16:17], v[8:9], v[12:13]
	v_mul_f64 v[12:13], v[12:13], 0.5
	v_fma_f64 v[20:21], -v[12:13], v[16:17], 0.5
	v_fmac_f64_e32 v[16:17], v[16:17], v[20:21]
	v_fmac_f64_e32 v[12:13], v[12:13], v[20:21]
	v_fma_f64 v[20:21], -v[16:17], v[16:17], v[8:9]
	v_fmac_f64_e32 v[16:17], v[20:21], v[12:13]
	v_fma_f64 v[20:21], -v[16:17], v[16:17], v[8:9]
	v_fmac_f64_e32 v[16:17], v[20:21], v[12:13]
	v_cndmask_b32_e32 v12, 0, v31, vcc
	v_ldexp_f64 v[12:13], v[16:17], v12
	v_cmp_class_f64_e32 vcc, v[8:9], v28
	v_cndmask_b32_e32 v17, v13, v9, vcc
	v_cndmask_b32_e32 v16, v12, v8, vcc
	v_add_f64 v[8:9], v[16:17], v[16:17]
	v_div_scale_f64 v[12:13], s[28:29], v[8:9], v[8:9], v[10:11]
	v_rcp_f64_e32 v[20:21], v[12:13]
	v_fma_f64 v[26:27], -v[12:13], v[20:21], 1.0
	v_fmac_f64_e32 v[20:21], v[20:21], v[26:27]
	v_fma_f64 v[26:27], -v[12:13], v[20:21], 1.0
	v_fmac_f64_e32 v[20:21], v[20:21], v[26:27]
	v_div_scale_f64 v[26:27], vcc, v[10:11], v[8:9], v[10:11]
	v_mul_f64 v[32:33], v[26:27], v[20:21]
	v_fma_f64 v[12:13], -v[12:13], v[32:33], v[26:27]
	s_nop 1
	v_div_fmas_f64 v[12:13], v[12:13], v[20:21], v[32:33]
	v_div_fixup_f64 v[12:13], v[12:13], v[8:9], v[10:11]
                                        ; implicit-def: $vgpr20_vgpr21
                                        ; implicit-def: $vgpr8_vgpr9
	s_andn2_saveexec_b64 s[2:3], s[2:3]
	s_cbranch_execz .LBB234_191
	s_branch .LBB234_190
.LBB234_188:                            ;   in Loop: Header=BB234_147 Depth=1
	s_or_b64 exec, exec, s[0:1]
	s_andn2_saveexec_b64 s[0:1], s[22:23]
	s_cbranch_execnz .LBB234_173
	s_branch .LBB234_174
.LBB234_189:                            ;   in Loop: Header=BB234_147 Depth=1
	s_andn2_saveexec_b64 s[2:3], s[2:3]
	s_cbranch_execz .LBB234_191
.LBB234_190:                            ;   in Loop: Header=BB234_147 Depth=1
	v_add_f64 v[8:9], v[20:21], -v[8:9]
	v_mul_f64 v[8:9], v[8:9], 0.5
	v_cmp_gt_f64_e32 vcc, s[12:13], v[8:9]
	v_cndmask_b32_e64 v12, 0, 1, vcc
	v_lshlrev_b32_e32 v12, 8, v12
	v_ldexp_f64 v[8:9], v[8:9], v12
	v_rsq_f64_e32 v[12:13], v[8:9]
	v_mul_f64 v[16:17], v[8:9], v[12:13]
	v_mul_f64 v[12:13], v[12:13], 0.5
	v_fma_f64 v[20:21], -v[12:13], v[16:17], 0.5
	v_fmac_f64_e32 v[16:17], v[16:17], v[20:21]
	v_fmac_f64_e32 v[12:13], v[12:13], v[20:21]
	v_fma_f64 v[20:21], -v[16:17], v[16:17], v[8:9]
	v_fmac_f64_e32 v[16:17], v[20:21], v[12:13]
	v_fma_f64 v[20:21], -v[16:17], v[16:17], v[8:9]
	v_fmac_f64_e32 v[16:17], v[20:21], v[12:13]
	v_cndmask_b32_e32 v12, 0, v31, vcc
	v_ldexp_f64 v[12:13], v[16:17], v12
	v_cmp_class_f64_e32 vcc, v[8:9], v28
	v_cndmask_b32_e32 v13, v13, v9, vcc
	v_cndmask_b32_e32 v12, v12, v8, vcc
	v_add_f64 v[8:9], v[12:13], v[12:13]
	v_and_b32_e32 v17, 0x7fffffff, v11
	v_mov_b32_e32 v16, v10
	v_div_scale_f64 v[20:21], s[28:29], v[8:9], v[8:9], v[16:17]
	v_rcp_f64_e32 v[26:27], v[20:21]
	v_div_scale_f64 v[16:17], vcc, v[16:17], v[8:9], v[16:17]
	v_bfi_b32 v13, s36, v13, v11
	v_fma_f64 v[32:33], -v[20:21], v[26:27], 1.0
	v_fmac_f64_e32 v[26:27], v[26:27], v[32:33]
	v_fma_f64 v[32:33], -v[20:21], v[26:27], 1.0
	v_fmac_f64_e32 v[26:27], v[26:27], v[32:33]
	v_mul_f64 v[32:33], v[16:17], v[26:27]
	v_fma_f64 v[16:17], -v[20:21], v[32:33], v[16:17]
	v_div_fmas_f64 v[16:17], v[16:17], v[26:27], v[32:33]
	v_div_fixup_f64 v[16:17], v[16:17], v[8:9], |v[10:11]|
.LBB234_191:                            ;   in Loop: Header=BB234_147 Depth=1
	s_or_b64 exec, exec, s[2:3]
                                        ; implicit-def: $vgpr10_vgpr11
	s_and_saveexec_b64 s[2:3], s[0:1]
	s_xor_b64 s[0:1], exec, s[2:3]
	s_cbranch_execz .LBB234_193
; %bb.192:                              ;   in Loop: Header=BB234_147 Depth=1
	v_mul_f64 v[8:9], v[16:17], 0.5
	v_mul_f64 v[10:11], v[12:13], 0.5
	v_cndmask_b32_e64 v9, v17, v9, s[26:27]
	v_cndmask_b32_e64 v8, v16, v8, s[26:27]
	;; [unrolled: 1-line block ×4, first 2 shown]
                                        ; implicit-def: $vgpr16_vgpr17
                                        ; implicit-def: $vgpr12_vgpr13
	s_andn2_saveexec_b64 s[0:1], s[0:1]
	s_cbranch_execnz .LBB234_194
	s_branch .LBB234_195
.LBB234_193:                            ;   in Loop: Header=BB234_147 Depth=1
	s_andn2_saveexec_b64 s[0:1], s[0:1]
.LBB234_194:                            ;   in Loop: Header=BB234_147 Depth=1
	v_add_f64 v[8:9], v[16:17], v[16:17]
	v_add_f64 v[10:11], v[12:13], v[12:13]
.LBB234_195:                            ;   in Loop: Header=BB234_147 Depth=1
	s_or_b64 exec, exec, s[0:1]
.LBB234_196:                            ;   in Loop: Header=BB234_147 Depth=1
	s_andn2_saveexec_b64 s[0:1], s[24:25]
	s_cbranch_execz .LBB234_202
; %bb.197:                              ;   in Loop: Header=BB234_147 Depth=1
	v_cmp_lt_i64_e32 vcc, -1, v[8:9]
	v_add_f64 v[12:13], v[10:11], -v[10:11]
	s_and_saveexec_b64 s[2:3], vcc
	s_xor_b64 s[2:3], exec, s[2:3]
; %bb.198:                              ;   in Loop: Header=BB234_147 Depth=1
	v_bfi_b32 v13, s36, v13, v11
	v_pk_mov_b32 v[10:11], v[12:13], v[12:13] op_sel:[0,1]
                                        ; implicit-def: $vgpr12_vgpr13
; %bb.199:                              ;   in Loop: Header=BB234_147 Depth=1
	s_andn2_saveexec_b64 s[2:3], s[2:3]
; %bb.200:                              ;   in Loop: Header=BB234_147 Depth=1
	v_and_b32_e32 v13, 0x7fffffff, v13
	v_bfi_b32 v9, s36, v9, v11
	v_pk_mov_b32 v[10:11], v[8:9], v[8:9] op_sel:[0,1]
	v_pk_mov_b32 v[8:9], v[12:13], v[12:13] op_sel:[0,1]
; %bb.201:                              ;   in Loop: Header=BB234_147 Depth=1
	s_or_b64 exec, exec, s[2:3]
.LBB234_202:                            ;   in Loop: Header=BB234_147 Depth=1
	s_or_b64 exec, exec, s[0:1]
.LBB234_203:                            ;   in Loop: Header=BB234_147 Depth=1
	s_andn2_saveexec_b64 s[0:1], s[22:23]
; %bb.204:                              ;   in Loop: Header=BB234_147 Depth=1
	v_add_f64 v[10:11], v[10:11], -v[10:11]
	v_div_scale_f64 v[12:13], vcc, v[10:11], v[10:11], v[10:11]
	v_rcp_f64_e32 v[16:17], v[12:13]
	v_fma_f64 v[20:21], -v[12:13], v[16:17], 1.0
	v_fmac_f64_e32 v[16:17], v[16:17], v[20:21]
	v_fma_f64 v[20:21], -v[12:13], v[16:17], 1.0
	v_fmac_f64_e32 v[16:17], v[16:17], v[20:21]
	v_mul_f64 v[20:21], v[12:13], v[16:17]
	v_fma_f64 v[12:13], -v[12:13], v[20:21], v[12:13]
	v_div_fmas_f64 v[12:13], v[12:13], v[16:17], v[20:21]
	v_div_fixup_f64 v[10:11], v[12:13], v[10:11], v[10:11]
; %bb.205:                              ;   in Loop: Header=BB234_147 Depth=1
	s_or_b64 exec, exec, s[0:1]
	v_pk_mov_b32 v[16:17], v[8:9], v[8:9] op_sel:[0,1]
.LBB234_206:                            ;   in Loop: Header=BB234_147 Depth=1
	s_or_b64 exec, exec, s[20:21]
.LBB234_207:                            ;   in Loop: Header=BB234_147 Depth=1
	s_or_b64 exec, exec, s[18:19]
	s_waitcnt vmcnt(0)
	v_cmp_neq_f64_e32 vcc, 0, v[4:5]
	v_cmp_neq_f64_e64 s[0:1], 0, v[6:7]
	v_pk_mov_b32 v[8:9], 0, 0
	s_or_b64 s[0:1], vcc, s[0:1]
	v_pk_mov_b32 v[12:13], v[8:9], v[8:9] op_sel:[0,1]
	s_and_saveexec_b64 s[18:19], s[0:1]
	s_cbranch_execz .LBB234_237
; %bb.208:                              ;   in Loop: Header=BB234_147 Depth=1
	v_cmp_neq_f64_e64 s[0:1], |v[6:7]|, s[6:7]
	v_pk_mov_b32 v[12:13], s[6:7], s[6:7] op_sel:[0,1]
	s_and_saveexec_b64 s[20:21], s[0:1]
	s_cbranch_execz .LBB234_236
; %bb.209:                              ;   in Loop: Header=BB234_147 Depth=1
	v_cmp_o_f64_e32 vcc, v[4:5], v[4:5]
	s_and_saveexec_b64 s[0:1], vcc
	s_xor_b64 s[22:23], exec, s[0:1]
	s_cbranch_execz .LBB234_233
; %bb.210:                              ;   in Loop: Header=BB234_147 Depth=1
	v_cmp_neq_f64_e64 s[0:1], |v[4:5]|, s[6:7]
	s_and_saveexec_b64 s[2:3], s[0:1]
	s_xor_b64 s[24:25], exec, s[2:3]
	s_cbranch_execz .LBB234_226
; %bb.211:                              ;   in Loop: Header=BB234_147 Depth=1
	v_max_f64 v[12:13], |v[6:7]|, |v[6:7]|
	v_max_f64 v[20:21], |v[4:5]|, |v[4:5]|
	v_max_f64 v[12:13], v[20:21], v[12:13]
	v_cmp_nle_f64_e64 s[0:1], s[8:9], v[12:13]
                                        ; implicit-def: $sgpr26_sgpr27
	s_and_saveexec_b64 s[2:3], s[0:1]
	s_xor_b64 s[2:3], exec, s[2:3]
	s_cbranch_execz .LBB234_215
; %bb.212:                              ;   in Loop: Header=BB234_147 Depth=1
	v_cmp_le_f64_e64 s[26:27], |v[4:5]|, s[10:11]
	v_cmp_le_f64_e64 s[28:29], |v[6:7]|, s[10:11]
	s_and_b64 s[38:39], s[26:27], s[28:29]
	s_mov_b64 s[26:27], 0
	s_and_saveexec_b64 s[28:29], s[38:39]
; %bb.213:                              ;   in Loop: Header=BB234_147 Depth=1
	s_mov_b64 s[26:27], exec
	v_mul_f64 v[4:5], v[4:5], 4.0
	v_mul_f64 v[6:7], v[6:7], 4.0
; %bb.214:                              ;   in Loop: Header=BB234_147 Depth=1
	s_or_b64 exec, exec, s[28:29]
	s_and_b64 s[26:27], s[26:27], exec
.LBB234_215:                            ;   in Loop: Header=BB234_147 Depth=1
	s_andn2_saveexec_b64 s[2:3], s[2:3]
; %bb.216:                              ;   in Loop: Header=BB234_147 Depth=1
	v_ldexp_f64 v[4:5], v[4:5], -2
	v_ldexp_f64 v[6:7], v[6:7], -2
	s_andn2_b64 s[26:27], s[26:27], exec
; %bb.217:                              ;   in Loop: Header=BB234_147 Depth=1
	s_or_b64 exec, exec, s[2:3]
	v_max_f64 v[12:13], |v[6:7]|, |v[6:7]|
	v_max_f64 v[20:21], |v[4:5]|, |v[4:5]|
	v_max_f64 v[12:13], v[20:21], v[12:13]
	v_frexp_exp_i32_f64_e32 v34, v[12:13]
	v_sub_u32_e32 v20, 0, v34
	v_ldexp_f64 v[12:13], |v[4:5]|, v20
	v_ldexp_f64 v[20:21], |v[6:7]|, v20
	v_mul_f64 v[20:21], v[20:21], v[20:21]
	v_fmac_f64_e32 v[20:21], v[12:13], v[12:13]
	v_rsq_f64_e32 v[12:13], v[20:21]
	v_cmp_eq_f64_e64 s[2:3], 0, v[20:21]
	v_cmp_class_f64_e64 s[28:29], v[6:7], s35
	v_cmp_le_f64_e32 vcc, 0, v[4:5]
	v_mul_f64 v[26:27], v[20:21], v[12:13]
	v_mul_f64 v[12:13], v[12:13], 0.5
	v_fma_f64 v[32:33], -v[12:13], v[26:27], 0.5
	v_fmac_f64_e32 v[26:27], v[26:27], v[32:33]
	v_fmac_f64_e32 v[12:13], v[12:13], v[32:33]
	v_fma_f64 v[32:33], -v[26:27], v[26:27], v[20:21]
	v_fmac_f64_e32 v[26:27], v[32:33], v[12:13]
	v_cndmask_b32_e64 v13, v27, v21, s[2:3]
	v_cndmask_b32_e64 v12, v26, v20, s[2:3]
	v_ldexp_f64 v[12:13], v[12:13], v34
	v_cmp_o_f64_e64 s[2:3], v[6:7], v[6:7]
	v_cndmask_b32_e64 v12, 0, v12, s[2:3]
	v_cndmask_b32_e64 v13, v29, v13, s[2:3]
	v_cmp_class_f64_e64 s[2:3], v[4:5], s35
	s_or_b64 s[2:3], s[28:29], s[2:3]
	v_cndmask_b32_e64 v27, v13, v30, s[2:3]
	v_cndmask_b32_e64 v26, v12, 0, s[2:3]
                                        ; implicit-def: $vgpr12_vgpr13
                                        ; implicit-def: $vgpr20_vgpr21
	s_and_saveexec_b64 s[2:3], vcc
	s_xor_b64 s[2:3], exec, s[2:3]
	s_cbranch_execz .LBB234_219
; %bb.218:                              ;   in Loop: Header=BB234_147 Depth=1
	v_add_f64 v[4:5], v[4:5], v[26:27]
	v_mul_f64 v[4:5], v[4:5], 0.5
	v_cmp_gt_f64_e32 vcc, s[12:13], v[4:5]
	v_cndmask_b32_e64 v12, 0, 1, vcc
	v_lshlrev_b32_e32 v12, 8, v12
	v_ldexp_f64 v[4:5], v[4:5], v12
	v_rsq_f64_e32 v[12:13], v[4:5]
	v_mul_f64 v[20:21], v[4:5], v[12:13]
	v_mul_f64 v[12:13], v[12:13], 0.5
	v_fma_f64 v[26:27], -v[12:13], v[20:21], 0.5
	v_fmac_f64_e32 v[20:21], v[20:21], v[26:27]
	v_fmac_f64_e32 v[12:13], v[12:13], v[26:27]
	v_fma_f64 v[26:27], -v[20:21], v[20:21], v[4:5]
	v_fmac_f64_e32 v[20:21], v[26:27], v[12:13]
	v_fma_f64 v[26:27], -v[20:21], v[20:21], v[4:5]
	v_fmac_f64_e32 v[20:21], v[26:27], v[12:13]
	v_cndmask_b32_e32 v12, 0, v31, vcc
	v_ldexp_f64 v[12:13], v[20:21], v12
	v_cmp_class_f64_e32 vcc, v[4:5], v28
	v_cndmask_b32_e32 v21, v13, v5, vcc
	v_cndmask_b32_e32 v20, v12, v4, vcc
	v_add_f64 v[4:5], v[20:21], v[20:21]
	v_div_scale_f64 v[12:13], s[28:29], v[4:5], v[4:5], v[6:7]
	v_rcp_f64_e32 v[26:27], v[12:13]
	v_fma_f64 v[32:33], -v[12:13], v[26:27], 1.0
	v_fmac_f64_e32 v[26:27], v[26:27], v[32:33]
	v_fma_f64 v[32:33], -v[12:13], v[26:27], 1.0
	v_fmac_f64_e32 v[26:27], v[26:27], v[32:33]
	v_div_scale_f64 v[32:33], vcc, v[6:7], v[4:5], v[6:7]
	v_mul_f64 v[34:35], v[32:33], v[26:27]
	v_fma_f64 v[12:13], -v[12:13], v[34:35], v[32:33]
	s_nop 1
	v_div_fmas_f64 v[12:13], v[12:13], v[26:27], v[34:35]
	v_div_fixup_f64 v[12:13], v[12:13], v[4:5], v[6:7]
                                        ; implicit-def: $vgpr26_vgpr27
                                        ; implicit-def: $vgpr4_vgpr5
	s_andn2_saveexec_b64 s[2:3], s[2:3]
	s_cbranch_execz .LBB234_221
	s_branch .LBB234_220
.LBB234_219:                            ;   in Loop: Header=BB234_147 Depth=1
	s_andn2_saveexec_b64 s[2:3], s[2:3]
	s_cbranch_execz .LBB234_221
.LBB234_220:                            ;   in Loop: Header=BB234_147 Depth=1
	v_add_f64 v[4:5], v[26:27], -v[4:5]
	v_mul_f64 v[4:5], v[4:5], 0.5
	v_cmp_gt_f64_e32 vcc, s[12:13], v[4:5]
	v_cndmask_b32_e64 v12, 0, 1, vcc
	v_lshlrev_b32_e32 v12, 8, v12
	v_ldexp_f64 v[4:5], v[4:5], v12
	v_rsq_f64_e32 v[12:13], v[4:5]
	v_mul_f64 v[20:21], v[4:5], v[12:13]
	v_mul_f64 v[12:13], v[12:13], 0.5
	v_fma_f64 v[26:27], -v[12:13], v[20:21], 0.5
	v_fmac_f64_e32 v[20:21], v[20:21], v[26:27]
	v_fmac_f64_e32 v[12:13], v[12:13], v[26:27]
	v_fma_f64 v[26:27], -v[20:21], v[20:21], v[4:5]
	v_fmac_f64_e32 v[20:21], v[26:27], v[12:13]
	v_fma_f64 v[26:27], -v[20:21], v[20:21], v[4:5]
	v_fmac_f64_e32 v[20:21], v[26:27], v[12:13]
	v_cndmask_b32_e32 v12, 0, v31, vcc
	v_ldexp_f64 v[12:13], v[20:21], v12
	v_cmp_class_f64_e32 vcc, v[4:5], v28
	v_cndmask_b32_e32 v13, v13, v5, vcc
	v_cndmask_b32_e32 v12, v12, v4, vcc
	v_add_f64 v[4:5], v[12:13], v[12:13]
	v_and_b32_e32 v21, 0x7fffffff, v7
	v_mov_b32_e32 v20, v6
	v_div_scale_f64 v[26:27], s[28:29], v[4:5], v[4:5], v[20:21]
	v_rcp_f64_e32 v[32:33], v[26:27]
	v_div_scale_f64 v[20:21], vcc, v[20:21], v[4:5], v[20:21]
	v_bfi_b32 v13, s36, v13, v7
	v_fma_f64 v[34:35], -v[26:27], v[32:33], 1.0
	v_fmac_f64_e32 v[32:33], v[32:33], v[34:35]
	v_fma_f64 v[34:35], -v[26:27], v[32:33], 1.0
	v_fmac_f64_e32 v[32:33], v[32:33], v[34:35]
	v_mul_f64 v[34:35], v[20:21], v[32:33]
	v_fma_f64 v[20:21], -v[26:27], v[34:35], v[20:21]
	v_div_fmas_f64 v[20:21], v[20:21], v[32:33], v[34:35]
	v_div_fixup_f64 v[20:21], v[20:21], v[4:5], |v[6:7]|
.LBB234_221:                            ;   in Loop: Header=BB234_147 Depth=1
	s_or_b64 exec, exec, s[2:3]
                                        ; implicit-def: $vgpr6_vgpr7
	s_and_saveexec_b64 s[2:3], s[0:1]
	s_xor_b64 s[0:1], exec, s[2:3]
	s_cbranch_execz .LBB234_223
; %bb.222:                              ;   in Loop: Header=BB234_147 Depth=1
	v_mul_f64 v[4:5], v[20:21], 0.5
	v_mul_f64 v[6:7], v[12:13], 0.5
	v_cndmask_b32_e64 v5, v21, v5, s[26:27]
	v_cndmask_b32_e64 v4, v20, v4, s[26:27]
	;; [unrolled: 1-line block ×4, first 2 shown]
                                        ; implicit-def: $vgpr20_vgpr21
                                        ; implicit-def: $vgpr12_vgpr13
	s_andn2_saveexec_b64 s[0:1], s[0:1]
	s_cbranch_execnz .LBB234_224
	s_branch .LBB234_225
.LBB234_223:                            ;   in Loop: Header=BB234_147 Depth=1
	s_andn2_saveexec_b64 s[0:1], s[0:1]
.LBB234_224:                            ;   in Loop: Header=BB234_147 Depth=1
	v_add_f64 v[4:5], v[20:21], v[20:21]
	v_add_f64 v[6:7], v[12:13], v[12:13]
.LBB234_225:                            ;   in Loop: Header=BB234_147 Depth=1
	s_or_b64 exec, exec, s[0:1]
.LBB234_226:                            ;   in Loop: Header=BB234_147 Depth=1
	s_andn2_saveexec_b64 s[0:1], s[24:25]
	s_cbranch_execz .LBB234_232
; %bb.227:                              ;   in Loop: Header=BB234_147 Depth=1
	v_cmp_lt_i64_e32 vcc, -1, v[4:5]
	v_add_f64 v[12:13], v[6:7], -v[6:7]
	s_and_saveexec_b64 s[2:3], vcc
	s_xor_b64 s[2:3], exec, s[2:3]
; %bb.228:                              ;   in Loop: Header=BB234_147 Depth=1
	v_bfi_b32 v13, s36, v13, v7
	v_pk_mov_b32 v[6:7], v[12:13], v[12:13] op_sel:[0,1]
                                        ; implicit-def: $vgpr12_vgpr13
; %bb.229:                              ;   in Loop: Header=BB234_147 Depth=1
	s_andn2_saveexec_b64 s[2:3], s[2:3]
; %bb.230:                              ;   in Loop: Header=BB234_147 Depth=1
	v_and_b32_e32 v13, 0x7fffffff, v13
	v_bfi_b32 v5, s36, v5, v7
	v_pk_mov_b32 v[6:7], v[4:5], v[4:5] op_sel:[0,1]
	v_pk_mov_b32 v[4:5], v[12:13], v[12:13] op_sel:[0,1]
; %bb.231:                              ;   in Loop: Header=BB234_147 Depth=1
	s_or_b64 exec, exec, s[2:3]
.LBB234_232:                            ;   in Loop: Header=BB234_147 Depth=1
	s_or_b64 exec, exec, s[0:1]
.LBB234_233:                            ;   in Loop: Header=BB234_147 Depth=1
	s_andn2_saveexec_b64 s[0:1], s[22:23]
; %bb.234:                              ;   in Loop: Header=BB234_147 Depth=1
	v_add_f64 v[6:7], v[6:7], -v[6:7]
	v_div_scale_f64 v[12:13], vcc, v[6:7], v[6:7], v[6:7]
	v_rcp_f64_e32 v[20:21], v[12:13]
	v_fma_f64 v[26:27], -v[12:13], v[20:21], 1.0
	v_fmac_f64_e32 v[20:21], v[20:21], v[26:27]
	v_fma_f64 v[26:27], -v[12:13], v[20:21], 1.0
	v_fmac_f64_e32 v[20:21], v[20:21], v[26:27]
	v_mul_f64 v[26:27], v[12:13], v[20:21]
	v_fma_f64 v[12:13], -v[12:13], v[26:27], v[12:13]
	v_div_fmas_f64 v[12:13], v[12:13], v[20:21], v[26:27]
	v_div_fixup_f64 v[6:7], v[12:13], v[6:7], v[6:7]
; %bb.235:                              ;   in Loop: Header=BB234_147 Depth=1
	s_or_b64 exec, exec, s[0:1]
	v_pk_mov_b32 v[12:13], v[4:5], v[4:5] op_sel:[0,1]
.LBB234_236:                            ;   in Loop: Header=BB234_147 Depth=1
	s_or_b64 exec, exec, s[20:21]
.LBB234_237:                            ;   in Loop: Header=BB234_147 Depth=1
	s_or_b64 exec, exec, s[18:19]
	v_cmp_neq_f64_e32 vcc, 0, v[0:1]
	v_cmp_neq_f64_e64 s[0:1], 0, v[2:3]
	s_or_b64 s[0:1], vcc, s[0:1]
	s_and_saveexec_b64 s[18:19], s[0:1]
	s_cbranch_execz .LBB234_146
; %bb.238:                              ;   in Loop: Header=BB234_147 Depth=1
	v_cmp_neq_f64_e64 s[0:1], |v[2:3]|, s[6:7]
	v_pk_mov_b32 v[8:9], s[6:7], s[6:7] op_sel:[0,1]
	s_and_saveexec_b64 s[20:21], s[0:1]
	s_cbranch_execz .LBB234_145
; %bb.239:                              ;   in Loop: Header=BB234_147 Depth=1
	v_cmp_o_f64_e32 vcc, v[0:1], v[0:1]
	s_and_saveexec_b64 s[0:1], vcc
	s_xor_b64 s[22:23], exec, s[0:1]
	s_cbranch_execz .LBB234_263
; %bb.240:                              ;   in Loop: Header=BB234_147 Depth=1
	v_cmp_neq_f64_e64 s[0:1], |v[0:1]|, s[6:7]
	s_and_saveexec_b64 s[2:3], s[0:1]
	s_xor_b64 s[24:25], exec, s[2:3]
	s_cbranch_execz .LBB234_256
; %bb.241:                              ;   in Loop: Header=BB234_147 Depth=1
	v_max_f64 v[4:5], |v[2:3]|, |v[2:3]|
	v_max_f64 v[8:9], |v[0:1]|, |v[0:1]|
	v_max_f64 v[4:5], v[8:9], v[4:5]
	v_cmp_nle_f64_e64 s[0:1], s[8:9], v[4:5]
                                        ; implicit-def: $sgpr26_sgpr27
	s_and_saveexec_b64 s[2:3], s[0:1]
	s_xor_b64 s[2:3], exec, s[2:3]
	s_cbranch_execz .LBB234_245
; %bb.242:                              ;   in Loop: Header=BB234_147 Depth=1
	v_cmp_le_f64_e64 s[26:27], |v[0:1]|, s[10:11]
	v_cmp_le_f64_e64 s[28:29], |v[2:3]|, s[10:11]
	s_and_b64 s[38:39], s[26:27], s[28:29]
	s_mov_b64 s[26:27], 0
	s_and_saveexec_b64 s[28:29], s[38:39]
; %bb.243:                              ;   in Loop: Header=BB234_147 Depth=1
	s_mov_b64 s[26:27], exec
	v_mul_f64 v[0:1], v[0:1], 4.0
	v_mul_f64 v[2:3], v[2:3], 4.0
; %bb.244:                              ;   in Loop: Header=BB234_147 Depth=1
	s_or_b64 exec, exec, s[28:29]
	s_and_b64 s[26:27], s[26:27], exec
.LBB234_245:                            ;   in Loop: Header=BB234_147 Depth=1
	s_andn2_saveexec_b64 s[2:3], s[2:3]
; %bb.246:                              ;   in Loop: Header=BB234_147 Depth=1
	v_ldexp_f64 v[0:1], v[0:1], -2
	v_ldexp_f64 v[2:3], v[2:3], -2
	s_andn2_b64 s[26:27], s[26:27], exec
; %bb.247:                              ;   in Loop: Header=BB234_147 Depth=1
	s_or_b64 exec, exec, s[2:3]
	v_max_f64 v[4:5], |v[2:3]|, |v[2:3]|
	v_max_f64 v[8:9], |v[0:1]|, |v[0:1]|
	v_max_f64 v[4:5], v[8:9], v[4:5]
	v_frexp_exp_i32_f64_e32 v32, v[4:5]
	v_sub_u32_e32 v8, 0, v32
	v_ldexp_f64 v[4:5], |v[0:1]|, v8
	v_ldexp_f64 v[8:9], |v[2:3]|, v8
	v_mul_f64 v[8:9], v[8:9], v[8:9]
	v_fmac_f64_e32 v[8:9], v[4:5], v[4:5]
	v_rsq_f64_e32 v[4:5], v[8:9]
	v_cmp_eq_f64_e64 s[2:3], 0, v[8:9]
	v_cmp_class_f64_e64 s[28:29], v[2:3], s35
	v_cmp_le_f64_e32 vcc, 0, v[0:1]
	v_mul_f64 v[20:21], v[8:9], v[4:5]
	v_mul_f64 v[4:5], v[4:5], 0.5
	v_fma_f64 v[26:27], -v[4:5], v[20:21], 0.5
	v_fmac_f64_e32 v[20:21], v[20:21], v[26:27]
	v_fmac_f64_e32 v[4:5], v[4:5], v[26:27]
	v_fma_f64 v[26:27], -v[20:21], v[20:21], v[8:9]
	v_fmac_f64_e32 v[20:21], v[26:27], v[4:5]
	v_cndmask_b32_e64 v5, v21, v9, s[2:3]
	v_cndmask_b32_e64 v4, v20, v8, s[2:3]
	v_ldexp_f64 v[4:5], v[4:5], v32
	v_cmp_o_f64_e64 s[2:3], v[2:3], v[2:3]
	v_cndmask_b32_e64 v4, 0, v4, s[2:3]
	v_cndmask_b32_e64 v5, v29, v5, s[2:3]
	v_cmp_class_f64_e64 s[2:3], v[0:1], s35
	s_or_b64 s[2:3], s[28:29], s[2:3]
	v_cndmask_b32_e64 v21, v5, v30, s[2:3]
	v_cndmask_b32_e64 v20, v4, 0, s[2:3]
                                        ; implicit-def: $vgpr4_vgpr5
                                        ; implicit-def: $vgpr8_vgpr9
	s_and_saveexec_b64 s[2:3], vcc
	s_xor_b64 s[2:3], exec, s[2:3]
	s_cbranch_execz .LBB234_249
; %bb.248:                              ;   in Loop: Header=BB234_147 Depth=1
	v_add_f64 v[0:1], v[0:1], v[20:21]
	v_mul_f64 v[0:1], v[0:1], 0.5
	v_cmp_gt_f64_e32 vcc, s[12:13], v[0:1]
	v_cndmask_b32_e64 v4, 0, 1, vcc
	v_lshlrev_b32_e32 v4, 8, v4
	v_ldexp_f64 v[0:1], v[0:1], v4
	v_rsq_f64_e32 v[4:5], v[0:1]
	v_mul_f64 v[8:9], v[0:1], v[4:5]
	v_mul_f64 v[4:5], v[4:5], 0.5
	v_fma_f64 v[20:21], -v[4:5], v[8:9], 0.5
	v_fmac_f64_e32 v[8:9], v[8:9], v[20:21]
	v_fmac_f64_e32 v[4:5], v[4:5], v[20:21]
	v_fma_f64 v[20:21], -v[8:9], v[8:9], v[0:1]
	v_fmac_f64_e32 v[8:9], v[20:21], v[4:5]
	v_fma_f64 v[20:21], -v[8:9], v[8:9], v[0:1]
	v_fmac_f64_e32 v[8:9], v[20:21], v[4:5]
	v_cndmask_b32_e32 v4, 0, v31, vcc
	v_ldexp_f64 v[4:5], v[8:9], v4
	v_cmp_class_f64_e32 vcc, v[0:1], v28
	v_cndmask_b32_e32 v9, v5, v1, vcc
	v_cndmask_b32_e32 v8, v4, v0, vcc
	v_add_f64 v[0:1], v[8:9], v[8:9]
	v_div_scale_f64 v[4:5], s[28:29], v[0:1], v[0:1], v[2:3]
	v_rcp_f64_e32 v[20:21], v[4:5]
	v_fma_f64 v[26:27], -v[4:5], v[20:21], 1.0
	v_fmac_f64_e32 v[20:21], v[20:21], v[26:27]
	v_fma_f64 v[26:27], -v[4:5], v[20:21], 1.0
	v_fmac_f64_e32 v[20:21], v[20:21], v[26:27]
	v_div_scale_f64 v[26:27], vcc, v[2:3], v[0:1], v[2:3]
	v_mul_f64 v[32:33], v[26:27], v[20:21]
	v_fma_f64 v[4:5], -v[4:5], v[32:33], v[26:27]
	s_nop 1
	v_div_fmas_f64 v[4:5], v[4:5], v[20:21], v[32:33]
	v_div_fixup_f64 v[4:5], v[4:5], v[0:1], v[2:3]
                                        ; implicit-def: $vgpr20_vgpr21
                                        ; implicit-def: $vgpr0_vgpr1
	s_andn2_saveexec_b64 s[2:3], s[2:3]
	s_cbranch_execz .LBB234_251
	s_branch .LBB234_250
.LBB234_249:                            ;   in Loop: Header=BB234_147 Depth=1
	s_andn2_saveexec_b64 s[2:3], s[2:3]
	s_cbranch_execz .LBB234_251
.LBB234_250:                            ;   in Loop: Header=BB234_147 Depth=1
	v_add_f64 v[0:1], v[20:21], -v[0:1]
	v_mul_f64 v[0:1], v[0:1], 0.5
	v_cmp_gt_f64_e32 vcc, s[12:13], v[0:1]
	v_cndmask_b32_e64 v4, 0, 1, vcc
	v_lshlrev_b32_e32 v4, 8, v4
	v_ldexp_f64 v[0:1], v[0:1], v4
	v_rsq_f64_e32 v[4:5], v[0:1]
	v_mul_f64 v[8:9], v[0:1], v[4:5]
	v_mul_f64 v[4:5], v[4:5], 0.5
	v_fma_f64 v[20:21], -v[4:5], v[8:9], 0.5
	v_fmac_f64_e32 v[8:9], v[8:9], v[20:21]
	v_fmac_f64_e32 v[4:5], v[4:5], v[20:21]
	v_fma_f64 v[20:21], -v[8:9], v[8:9], v[0:1]
	v_fmac_f64_e32 v[8:9], v[20:21], v[4:5]
	v_fma_f64 v[20:21], -v[8:9], v[8:9], v[0:1]
	v_fmac_f64_e32 v[8:9], v[20:21], v[4:5]
	v_cndmask_b32_e32 v4, 0, v31, vcc
	v_ldexp_f64 v[4:5], v[8:9], v4
	v_cmp_class_f64_e32 vcc, v[0:1], v28
	v_cndmask_b32_e32 v5, v5, v1, vcc
	v_cndmask_b32_e32 v4, v4, v0, vcc
	v_add_f64 v[0:1], v[4:5], v[4:5]
	v_and_b32_e32 v9, 0x7fffffff, v3
	v_mov_b32_e32 v8, v2
	v_div_scale_f64 v[20:21], s[28:29], v[0:1], v[0:1], v[8:9]
	v_rcp_f64_e32 v[26:27], v[20:21]
	v_div_scale_f64 v[8:9], vcc, v[8:9], v[0:1], v[8:9]
	v_bfi_b32 v5, s36, v5, v3
	v_fma_f64 v[32:33], -v[20:21], v[26:27], 1.0
	v_fmac_f64_e32 v[26:27], v[26:27], v[32:33]
	v_fma_f64 v[32:33], -v[20:21], v[26:27], 1.0
	v_fmac_f64_e32 v[26:27], v[26:27], v[32:33]
	v_mul_f64 v[32:33], v[8:9], v[26:27]
	v_fma_f64 v[8:9], -v[20:21], v[32:33], v[8:9]
	v_div_fmas_f64 v[8:9], v[8:9], v[26:27], v[32:33]
	v_div_fixup_f64 v[8:9], v[8:9], v[0:1], |v[2:3]|
.LBB234_251:                            ;   in Loop: Header=BB234_147 Depth=1
	s_or_b64 exec, exec, s[2:3]
                                        ; implicit-def: $vgpr2_vgpr3
	s_and_saveexec_b64 s[2:3], s[0:1]
	s_xor_b64 s[0:1], exec, s[2:3]
	s_cbranch_execz .LBB234_253
; %bb.252:                              ;   in Loop: Header=BB234_147 Depth=1
	v_mul_f64 v[0:1], v[8:9], 0.5
	v_mul_f64 v[2:3], v[4:5], 0.5
	v_cndmask_b32_e64 v1, v9, v1, s[26:27]
	v_cndmask_b32_e64 v0, v8, v0, s[26:27]
	;; [unrolled: 1-line block ×4, first 2 shown]
                                        ; implicit-def: $vgpr8_vgpr9
                                        ; implicit-def: $vgpr4_vgpr5
	s_andn2_saveexec_b64 s[0:1], s[0:1]
	s_cbranch_execnz .LBB234_254
	s_branch .LBB234_255
.LBB234_253:                            ;   in Loop: Header=BB234_147 Depth=1
	s_andn2_saveexec_b64 s[0:1], s[0:1]
.LBB234_254:                            ;   in Loop: Header=BB234_147 Depth=1
	v_add_f64 v[0:1], v[8:9], v[8:9]
	v_add_f64 v[2:3], v[4:5], v[4:5]
.LBB234_255:                            ;   in Loop: Header=BB234_147 Depth=1
	s_or_b64 exec, exec, s[0:1]
.LBB234_256:                            ;   in Loop: Header=BB234_147 Depth=1
	s_andn2_saveexec_b64 s[0:1], s[24:25]
	s_cbranch_execz .LBB234_262
; %bb.257:                              ;   in Loop: Header=BB234_147 Depth=1
	v_cmp_lt_i64_e32 vcc, -1, v[0:1]
	v_add_f64 v[4:5], v[2:3], -v[2:3]
	s_and_saveexec_b64 s[2:3], vcc
	s_xor_b64 s[2:3], exec, s[2:3]
; %bb.258:                              ;   in Loop: Header=BB234_147 Depth=1
	v_bfi_b32 v5, s36, v5, v3
	v_pk_mov_b32 v[2:3], v[4:5], v[4:5] op_sel:[0,1]
                                        ; implicit-def: $vgpr4_vgpr5
; %bb.259:                              ;   in Loop: Header=BB234_147 Depth=1
	s_andn2_saveexec_b64 s[2:3], s[2:3]
; %bb.260:                              ;   in Loop: Header=BB234_147 Depth=1
	v_and_b32_e32 v5, 0x7fffffff, v5
	v_bfi_b32 v1, s36, v1, v3
	v_pk_mov_b32 v[2:3], v[0:1], v[0:1] op_sel:[0,1]
	v_pk_mov_b32 v[0:1], v[4:5], v[4:5] op_sel:[0,1]
; %bb.261:                              ;   in Loop: Header=BB234_147 Depth=1
	s_or_b64 exec, exec, s[2:3]
.LBB234_262:                            ;   in Loop: Header=BB234_147 Depth=1
	s_or_b64 exec, exec, s[0:1]
.LBB234_263:                            ;   in Loop: Header=BB234_147 Depth=1
	s_andn2_saveexec_b64 s[0:1], s[22:23]
	s_cbranch_execz .LBB234_144
; %bb.264:                              ;   in Loop: Header=BB234_147 Depth=1
	v_add_f64 v[2:3], v[2:3], -v[2:3]
	v_div_scale_f64 v[4:5], vcc, v[2:3], v[2:3], v[2:3]
	v_rcp_f64_e32 v[8:9], v[4:5]
	v_fma_f64 v[20:21], -v[4:5], v[8:9], 1.0
	v_fmac_f64_e32 v[8:9], v[8:9], v[20:21]
	v_fma_f64 v[20:21], -v[4:5], v[8:9], 1.0
	v_fmac_f64_e32 v[8:9], v[8:9], v[20:21]
	v_mul_f64 v[20:21], v[4:5], v[8:9]
	v_fma_f64 v[4:5], -v[4:5], v[20:21], v[4:5]
	v_div_fmas_f64 v[4:5], v[4:5], v[8:9], v[20:21]
	v_div_fixup_f64 v[2:3], v[4:5], v[2:3], v[2:3]
	s_branch .LBB234_144
.LBB234_265:
	s_endpgm
	.section	.rodata,"a",@progbits
	.p2align	6, 0x0
	.amdhsa_kernel _ZN2at6native12_GLOBAL__N_125multi_tensor_apply_kernelINS1_18TensorListMetadataILi1EEENS1_14UnaryOpFunctorIN3c107complexIdEELi1ELi1ELi0EEEJNS0_4SqrtIS8_EEEEEvT_T0_DpT1_
		.amdhsa_group_segment_fixed_size 0
		.amdhsa_private_segment_fixed_size 0
		.amdhsa_kernarg_size 3632
		.amdhsa_user_sgpr_count 6
		.amdhsa_user_sgpr_private_segment_buffer 1
		.amdhsa_user_sgpr_dispatch_ptr 0
		.amdhsa_user_sgpr_queue_ptr 0
		.amdhsa_user_sgpr_kernarg_segment_ptr 1
		.amdhsa_user_sgpr_dispatch_id 0
		.amdhsa_user_sgpr_flat_scratch_init 0
		.amdhsa_user_sgpr_kernarg_preload_length 0
		.amdhsa_user_sgpr_kernarg_preload_offset 0
		.amdhsa_user_sgpr_private_segment_size 0
		.amdhsa_uses_dynamic_stack 0
		.amdhsa_system_sgpr_private_segment_wavefront_offset 0
		.amdhsa_system_sgpr_workgroup_id_x 1
		.amdhsa_system_sgpr_workgroup_id_y 0
		.amdhsa_system_sgpr_workgroup_id_z 0
		.amdhsa_system_sgpr_workgroup_info 0
		.amdhsa_system_vgpr_workitem_id 0
		.amdhsa_next_free_vgpr 46
		.amdhsa_next_free_sgpr 54
		.amdhsa_accum_offset 48
		.amdhsa_reserve_vcc 1
		.amdhsa_reserve_flat_scratch 0
		.amdhsa_float_round_mode_32 0
		.amdhsa_float_round_mode_16_64 0
		.amdhsa_float_denorm_mode_32 3
		.amdhsa_float_denorm_mode_16_64 3
		.amdhsa_dx10_clamp 1
		.amdhsa_ieee_mode 1
		.amdhsa_fp16_overflow 0
		.amdhsa_tg_split 0
		.amdhsa_exception_fp_ieee_invalid_op 0
		.amdhsa_exception_fp_denorm_src 0
		.amdhsa_exception_fp_ieee_div_zero 0
		.amdhsa_exception_fp_ieee_overflow 0
		.amdhsa_exception_fp_ieee_underflow 0
		.amdhsa_exception_fp_ieee_inexact 0
		.amdhsa_exception_int_div_zero 0
	.end_amdhsa_kernel
	.section	.text._ZN2at6native12_GLOBAL__N_125multi_tensor_apply_kernelINS1_18TensorListMetadataILi1EEENS1_14UnaryOpFunctorIN3c107complexIdEELi1ELi1ELi0EEEJNS0_4SqrtIS8_EEEEEvT_T0_DpT1_,"axG",@progbits,_ZN2at6native12_GLOBAL__N_125multi_tensor_apply_kernelINS1_18TensorListMetadataILi1EEENS1_14UnaryOpFunctorIN3c107complexIdEELi1ELi1ELi0EEEJNS0_4SqrtIS8_EEEEEvT_T0_DpT1_,comdat
.Lfunc_end234:
	.size	_ZN2at6native12_GLOBAL__N_125multi_tensor_apply_kernelINS1_18TensorListMetadataILi1EEENS1_14UnaryOpFunctorIN3c107complexIdEELi1ELi1ELi0EEEJNS0_4SqrtIS8_EEEEEvT_T0_DpT1_, .Lfunc_end234-_ZN2at6native12_GLOBAL__N_125multi_tensor_apply_kernelINS1_18TensorListMetadataILi1EEENS1_14UnaryOpFunctorIN3c107complexIdEELi1ELi1ELi0EEEJNS0_4SqrtIS8_EEEEEvT_T0_DpT1_
                                        ; -- End function
	.section	.AMDGPU.csdata,"",@progbits
; Kernel info:
; codeLenInByte = 10832
; NumSgprs: 58
; NumVgprs: 46
; NumAgprs: 0
; TotalNumVgprs: 46
; ScratchSize: 0
; MemoryBound: 1
; FloatMode: 240
; IeeeMode: 1
; LDSByteSize: 0 bytes/workgroup (compile time only)
; SGPRBlocks: 7
; VGPRBlocks: 5
; NumSGPRsForWavesPerEU: 58
; NumVGPRsForWavesPerEU: 46
; AccumOffset: 48
; Occupancy: 8
; WaveLimiterHint : 0
; COMPUTE_PGM_RSRC2:SCRATCH_EN: 0
; COMPUTE_PGM_RSRC2:USER_SGPR: 6
; COMPUTE_PGM_RSRC2:TRAP_HANDLER: 0
; COMPUTE_PGM_RSRC2:TGID_X_EN: 1
; COMPUTE_PGM_RSRC2:TGID_Y_EN: 0
; COMPUTE_PGM_RSRC2:TGID_Z_EN: 0
; COMPUTE_PGM_RSRC2:TIDIG_COMP_CNT: 0
; COMPUTE_PGM_RSRC3_GFX90A:ACCUM_OFFSET: 11
; COMPUTE_PGM_RSRC3_GFX90A:TG_SPLIT: 0
	.section	.text._ZN2at6native12_GLOBAL__N_125multi_tensor_apply_kernelINS1_18TensorListMetadataILi1EEENS1_14UnaryOpFunctorIN3c107complexIfEELi1ELi1ELi0EEEJNS0_4SqrtIS8_EEEEEvT_T0_DpT1_,"axG",@progbits,_ZN2at6native12_GLOBAL__N_125multi_tensor_apply_kernelINS1_18TensorListMetadataILi1EEENS1_14UnaryOpFunctorIN3c107complexIfEELi1ELi1ELi0EEEJNS0_4SqrtIS8_EEEEEvT_T0_DpT1_,comdat
	.globl	_ZN2at6native12_GLOBAL__N_125multi_tensor_apply_kernelINS1_18TensorListMetadataILi1EEENS1_14UnaryOpFunctorIN3c107complexIfEELi1ELi1ELi0EEEJNS0_4SqrtIS8_EEEEEvT_T0_DpT1_ ; -- Begin function _ZN2at6native12_GLOBAL__N_125multi_tensor_apply_kernelINS1_18TensorListMetadataILi1EEENS1_14UnaryOpFunctorIN3c107complexIfEELi1ELi1ELi0EEEJNS0_4SqrtIS8_EEEEEvT_T0_DpT1_
	.p2align	8
	.type	_ZN2at6native12_GLOBAL__N_125multi_tensor_apply_kernelINS1_18TensorListMetadataILi1EEENS1_14UnaryOpFunctorIN3c107complexIfEELi1ELi1ELi0EEEJNS0_4SqrtIS8_EEEEEvT_T0_DpT1_,@function
_ZN2at6native12_GLOBAL__N_125multi_tensor_apply_kernelINS1_18TensorListMetadataILi1EEENS1_14UnaryOpFunctorIN3c107complexIfEELi1ELi1ELi0EEEJNS0_4SqrtIS8_EEEEEvT_T0_DpT1_: ; @_ZN2at6native12_GLOBAL__N_125multi_tensor_apply_kernelINS1_18TensorListMetadataILi1EEENS1_14UnaryOpFunctorIN3c107complexIfEELi1ELi1ELi0EEEJNS0_4SqrtIS8_EEEEEvT_T0_DpT1_
; %bb.0:
	v_mov_b32_e32 v1, s6
	global_load_ubyte v1, v1, s[4:5] offset:1760
	s_add_u32 s0, s4, s6
	s_mul_hi_u32 s1, s6, 3
	s_mul_i32 s6, s6, 3
	s_addc_u32 s2, s5, 0
	s_add_u32 s0, s0, s6
	s_addc_u32 s1, s2, s1
	s_load_dword s0, s[0:1], 0x820
	s_mov_b32 s7, 0
	s_waitcnt vmcnt(0)
	v_readfirstlane_b32 s1, v1
	s_lshl_b32 s1, s1, 3
	s_load_dwordx2 s[16:17], s[4:5], s1 offset:0x0
	s_load_dwordx2 s[2:3], s[4:5], s1 offset:0x370
	s_waitcnt lgkmcnt(0)
	s_ashr_i32 s1, s0, 31
	s_lshl_b64 s[18:19], s[0:1], 19
	s_add_u32 s25, s16, s18
	s_addc_u32 s33, s17, s19
	s_lshl_b64 s[0:1], s[0:1], 16
	s_and_b32 s6, s25, 31
	s_sub_u32 s14, s2, s0
	s_subb_u32 s15, s3, s1
	s_and_b32 s0, s2, 3
	s_mov_b32 s1, s7
	s_or_b64 s[0:1], s[6:7], s[0:1]
	s_cmp_eq_u64 s[0:1], 0
	s_cbranch_scc1 .LBB235_133
; %bb.1:
	v_cmp_lt_i64_e64 s[0:1], s[14:15], 1
	s_and_b64 vcc, exec, s[0:1]
	s_cbranch_vccnz .LBB235_132
; %bb.2:
	s_load_dword s0, s[4:5], 0xd3c
	v_mov_b32_e32 v4, 0x10000
	v_mov_b32_e32 v5, 0
	v_cmp_lt_u64_e32 vcc, s[14:15], v[4:5]
	v_mov_b32_e32 v3, 0
	s_waitcnt lgkmcnt(0)
	s_and_b32 s2, s0, 0xffff
	s_mul_i32 s6, s2, 3
	s_and_b64 s[0:1], vcc, exec
	v_lshlrev_b32_e32 v2, 3, v0
	v_add_co_u32_e32 v1, vcc, s6, v0
	v_mad_u64_u32 v[4:5], s[0:1], s2, 24, v[2:3]
	v_addc_co_u32_e64 v3, s[0:1], 0, 0, vcc
	s_cselect_b32 s21, s15, 0
	s_cselect_b32 s20, s14, 0x10000
	s_lshl_b32 s0, s2, 4
	s_lshl_b32 s3, s2, 1
	v_add_co_u32_e32 v7, vcc, s0, v2
	v_addc_co_u32_e64 v22, s[0:1], 0, 0, vcc
	v_add_co_u32_e32 v23, vcc, s3, v0
	v_addc_co_u32_e64 v24, s[0:1], 0, 0, vcc
	v_add_co_u32_e32 v25, vcc, s2, v0
	s_lshl_b32 s40, s2, 2
	s_lshl_b32 s41, s2, 5
	v_addc_co_u32_e64 v26, s[0:1], 0, 0, vcc
	v_lshlrev_b32_e32 v6, 3, v25
	s_mov_b64 s[22:23], 0
	s_mov_b32 s42, 0x7f800000
	s_mov_b32 s43, 0x7ed413cb
	;; [unrolled: 1-line block ×5, first 2 shown]
	v_mov_b32_e32 v27, 0x260
	s_brev_b32 s46, -2
	v_mov_b32_e32 v28, 0x7f800000
	s_branch .LBB235_4
.LBB235_3:                              ;   in Loop: Header=BB235_4 Depth=1
	s_or_b64 exec, exec, s[0:1]
	s_add_u32 s22, s22, s40
	s_addc_u32 s23, s23, 0
	v_pk_mov_b32 v[8:9], s[14:15], s[14:15] op_sel:[0,1]
	v_cmp_ge_i64_e32 vcc, s[22:23], v[8:9]
	v_mov_b32_e32 v8, 0xffff
	v_mov_b32_e32 v9, 0
	v_cmp_gt_u64_e64 s[0:1], s[22:23], v[8:9]
	s_or_b64 s[0:1], vcc, s[0:1]
	s_add_u32 s25, s25, s41
	s_addc_u32 s33, s33, 0
	s_and_b64 vcc, exec, s[0:1]
	s_cbranch_vccnz .LBB235_132
.LBB235_4:                              ; =>This Inner Loop Header: Depth=1
	v_mov_b32_e32 v9, s23
	v_add_co_u32_e32 v8, vcc, s22, v0
	v_addc_co_u32_e32 v9, vcc, 0, v9, vcc
	v_cmp_gt_u64_e64 s[0:1], s[20:21], v[8:9]
	v_mov_b32_e32 v10, 0
	v_mov_b32_e32 v11, 0
	s_and_saveexec_b64 s[2:3], s[0:1]
	s_cbranch_execz .LBB235_6
; %bb.5:                                ;   in Loop: Header=BB235_4 Depth=1
	v_mov_b32_e32 v9, s33
	v_add_co_u32_e32 v8, vcc, s25, v2
	v_addc_co_u32_e32 v9, vcc, 0, v9, vcc
	global_load_dwordx2 v[10:11], v[8:9], off
.LBB235_6:                              ;   in Loop: Header=BB235_4 Depth=1
	s_or_b64 exec, exec, s[2:3]
	v_mov_b32_e32 v9, s23
	v_add_co_u32_e32 v8, vcc, s22, v25
	v_addc_co_u32_e32 v9, vcc, v26, v9, vcc
	v_cmp_gt_u64_e64 s[2:3], s[20:21], v[8:9]
	v_mov_b32_e32 v8, 0
	v_mov_b32_e32 v12, 0
	;; [unrolled: 1-line block ×3, first 2 shown]
	s_and_saveexec_b64 s[6:7], s[2:3]
	s_cbranch_execz .LBB235_8
; %bb.7:                                ;   in Loop: Header=BB235_4 Depth=1
	v_mov_b32_e32 v9, s33
	v_add_co_u32_e32 v12, vcc, s25, v6
	v_addc_co_u32_e32 v13, vcc, 0, v9, vcc
	global_load_dwordx2 v[12:13], v[12:13], off
.LBB235_8:                              ;   in Loop: Header=BB235_4 Depth=1
	s_or_b64 exec, exec, s[6:7]
	v_mov_b32_e32 v9, s23
	v_add_co_u32_e32 v14, vcc, s22, v23
	v_addc_co_u32_e32 v15, vcc, v24, v9, vcc
	v_cmp_gt_u64_e64 s[6:7], s[20:21], v[14:15]
	v_mov_b32_e32 v9, 0
	s_and_saveexec_b64 s[8:9], s[6:7]
	s_cbranch_execz .LBB235_10
; %bb.9:                                ;   in Loop: Header=BB235_4 Depth=1
	v_mov_b32_e32 v9, s33
	v_add_co_u32_e32 v8, vcc, s25, v7
	v_addc_co_u32_e32 v9, vcc, v9, v22, vcc
	global_load_dwordx2 v[8:9], v[8:9], off
.LBB235_10:                             ;   in Loop: Header=BB235_4 Depth=1
	s_or_b64 exec, exec, s[8:9]
	v_mov_b32_e32 v15, s23
	v_add_co_u32_e32 v14, vcc, s22, v1
	v_addc_co_u32_e32 v15, vcc, v3, v15, vcc
	v_cmp_gt_u64_e64 s[8:9], s[20:21], v[14:15]
	v_mov_b32_e32 v16, 0
	v_mov_b32_e32 v14, 0
	;; [unrolled: 1-line block ×3, first 2 shown]
	s_and_saveexec_b64 s[10:11], s[8:9]
	s_cbranch_execz .LBB235_12
; %bb.11:                               ;   in Loop: Header=BB235_4 Depth=1
	v_mov_b32_e32 v15, s33
	v_add_co_u32_e32 v14, vcc, s25, v4
	v_addc_co_u32_e32 v15, vcc, v15, v5, vcc
	global_load_dwordx2 v[14:15], v[14:15], off
.LBB235_12:                             ;   in Loop: Header=BB235_4 Depth=1
	s_or_b64 exec, exec, s[10:11]
	s_waitcnt vmcnt(0)
	v_cmp_neq_f32_e32 vcc, 0, v10
	v_cmp_neq_f32_e64 s[10:11], 0, v11
	s_or_b64 s[10:11], vcc, s[10:11]
	s_and_saveexec_b64 s[26:27], s[10:11]
	s_cbranch_execz .LBB235_39
; %bb.13:                               ;   in Loop: Header=BB235_4 Depth=1
	v_cmp_neq_f32_e64 s[10:11], |v11|, s42
	v_mov_b32_e32 v16, 0x7f800000
	s_and_saveexec_b64 s[28:29], s[10:11]
	s_cbranch_execz .LBB235_38
; %bb.14:                               ;   in Loop: Header=BB235_4 Depth=1
	v_cmp_o_f32_e32 vcc, v10, v10
	s_and_saveexec_b64 s[10:11], vcc
	s_xor_b64 s[30:31], exec, s[10:11]
	s_cbranch_execz .LBB235_35
; %bb.15:                               ;   in Loop: Header=BB235_4 Depth=1
	v_cmp_neq_f32_e64 s[10:11], |v10|, s42
	s_and_saveexec_b64 s[12:13], s[10:11]
	s_xor_b64 s[34:35], exec, s[12:13]
	s_cbranch_execz .LBB235_29
; %bb.16:                               ;   in Loop: Header=BB235_4 Depth=1
	v_max_f32_e64 v16, |v10|, |v10|
	v_max_f32_e64 v17, |v11|, |v11|
	v_max_f32_e32 v16, v17, v16
	v_cmp_nle_f32_e64 s[10:11], s43, v16
                                        ; implicit-def: $sgpr36_sgpr37
                                        ; implicit-def: $vgpr16_vgpr17
	s_and_saveexec_b64 s[12:13], s[10:11]
	s_xor_b64 s[12:13], exec, s[12:13]
; %bb.17:                               ;   in Loop: Header=BB235_4 Depth=1
	v_cmp_nle_f32_e64 s[36:37], |v10|, s44
	v_cmp_nle_f32_e64 s[38:39], |v11|, s44
	s_or_b64 vcc, s[38:39], s[36:37]
	v_pk_mul_f32 v[16:17], v[10:11], 4.0 op_sel_hi:[1,0]
	s_xor_b64 s[36:37], vcc, -1
	v_cndmask_b32_e32 v17, v17, v11, vcc
	v_cndmask_b32_e32 v16, v16, v10, vcc
	s_and_b64 s[36:37], s[36:37], exec
                                        ; implicit-def: $vgpr10_vgpr11
; %bb.18:                               ;   in Loop: Header=BB235_4 Depth=1
	s_andn2_saveexec_b64 s[12:13], s[12:13]
; %bb.19:                               ;   in Loop: Header=BB235_4 Depth=1
	v_pk_mul_f32 v[16:17], v[10:11], s[24:25] op_sel_hi:[1,0]
	s_andn2_b64 s[36:37], s[36:37], exec
; %bb.20:                               ;   in Loop: Header=BB235_4 Depth=1
	s_or_b64 exec, exec, s[12:13]
	v_max_f32_e64 v10, |v17|, |v17|
	v_max_f32_e64 v11, |v16|, |v16|
	v_max_f32_e32 v18, v11, v10
	v_cvt_f64_f32_e32 v[10:11], v18
	v_frexp_exp_i32_f64_e32 v10, v[10:11]
	v_sub_u32_e32 v11, 0, v10
	v_ldexp_f32 v19, |v16|, v11
	v_ldexp_f32 v11, |v17|, v11
	v_mul_f32_e32 v11, v11, v11
	v_fmac_f32_e32 v11, v19, v19
	v_sqrt_f32_e32 v11, v11
	v_cmp_neq_f32_e64 s[12:13], s42, v18
	v_cmp_le_f32_e32 vcc, 0, v16
                                        ; implicit-def: $vgpr19
                                        ; implicit-def: $vgpr18
	v_ldexp_f32 v10, v11, v10
	v_cndmask_b32_e64 v10, v28, v10, s[12:13]
	s_and_saveexec_b64 s[12:13], vcc
	s_xor_b64 s[38:39], exec, s[12:13]
	s_cbranch_execz .LBB235_22
; %bb.21:                               ;   in Loop: Header=BB235_4 Depth=1
	v_add_f32_e32 v10, v16, v10
	v_mul_f32_e32 v10, 0.5, v10
	v_mul_f32_e32 v11, 0x4f800000, v10
	v_cmp_gt_f32_e32 vcc, s45, v10
	v_cndmask_b32_e32 v10, v10, v11, vcc
	v_sqrt_f32_e32 v11, v10
	v_add_u32_e32 v16, -1, v11
	v_fma_f32 v19, -v16, v11, v10
	v_add_u32_e32 v18, 1, v11
	v_cmp_ge_f32_e64 s[12:13], 0, v19
	v_cndmask_b32_e64 v16, v11, v16, s[12:13]
	v_fma_f32 v11, -v18, v11, v10
	v_cmp_lt_f32_e64 s[12:13], 0, v11
	v_cndmask_b32_e64 v11, v16, v18, s[12:13]
	v_mul_f32_e32 v16, 0x37800000, v11
	v_cndmask_b32_e32 v11, v11, v16, vcc
	v_cmp_class_f32_e32 vcc, v10, v27
	v_cndmask_b32_e32 v18, v11, v10, vcc
	v_add_f32_e32 v10, v18, v18
	v_div_scale_f32 v11, s[12:13], v10, v10, v17
	v_rcp_f32_e32 v16, v11
	v_fma_f32 v19, -v11, v16, 1.0
	v_fmac_f32_e32 v16, v19, v16
	v_div_scale_f32 v19, vcc, v17, v10, v17
	v_mul_f32_e32 v20, v19, v16
	v_fma_f32 v21, -v11, v20, v19
	v_fmac_f32_e32 v20, v21, v16
	v_fma_f32 v11, -v11, v20, v19
	v_div_fmas_f32 v11, v11, v16, v20
	v_div_fixup_f32 v19, v11, v10, v17
                                        ; implicit-def: $vgpr10
                                        ; implicit-def: $vgpr16_vgpr17
	s_andn2_saveexec_b64 s[38:39], s[38:39]
	s_cbranch_execz .LBB235_24
	s_branch .LBB235_23
.LBB235_22:                             ;   in Loop: Header=BB235_4 Depth=1
	s_andn2_saveexec_b64 s[38:39], s[38:39]
	s_cbranch_execz .LBB235_24
.LBB235_23:                             ;   in Loop: Header=BB235_4 Depth=1
	v_sub_f32_e32 v10, v10, v16
	v_mul_f32_e32 v10, 0.5, v10
	v_mul_f32_e32 v11, 0x4f800000, v10
	v_cmp_gt_f32_e32 vcc, s45, v10
	v_cndmask_b32_e32 v10, v10, v11, vcc
	v_sqrt_f32_e32 v11, v10
	v_add_u32_e32 v16, -1, v11
	v_fma_f32 v19, -v16, v11, v10
	v_add_u32_e32 v18, 1, v11
	v_cmp_ge_f32_e64 s[12:13], 0, v19
	v_cndmask_b32_e64 v16, v11, v16, s[12:13]
	v_fma_f32 v11, -v18, v11, v10
	v_cmp_lt_f32_e64 s[12:13], 0, v11
	v_cndmask_b32_e64 v11, v16, v18, s[12:13]
	v_mul_f32_e32 v16, 0x37800000, v11
	v_cndmask_b32_e32 v11, v11, v16, vcc
	v_cmp_class_f32_e32 vcc, v10, v27
	v_cndmask_b32_e32 v10, v11, v10, vcc
	v_add_f32_e32 v11, v10, v10
	v_and_b32_e32 v16, 0x7fffffff, v17
	v_div_scale_f32 v18, s[12:13], v11, v11, v16
	v_rcp_f32_e32 v19, v18
	v_div_scale_f32 v16, vcc, v16, v11, v16
	v_fma_f32 v20, -v18, v19, 1.0
	v_fmac_f32_e32 v19, v20, v19
	v_mul_f32_e32 v20, v16, v19
	v_fma_f32 v21, -v18, v20, v16
	v_fmac_f32_e32 v20, v21, v19
	v_fma_f32 v16, -v18, v20, v16
	v_div_fmas_f32 v16, v16, v19, v20
	v_div_fixup_f32 v18, v16, v11, |v17|
	v_bfi_b32 v19, s46, v10, v17
.LBB235_24:                             ;   in Loop: Header=BB235_4 Depth=1
	s_or_b64 exec, exec, s[38:39]
                                        ; implicit-def: $vgpr11
	s_and_saveexec_b64 s[12:13], s[10:11]
	s_xor_b64 s[10:11], exec, s[12:13]
	s_cbranch_execz .LBB235_26
; %bb.25:                               ;   in Loop: Header=BB235_4 Depth=1
	v_mul_f32_e32 v10, 0.5, v18
	v_mul_f32_e32 v11, 0.5, v19
	v_cndmask_b32_e64 v10, v18, v10, s[36:37]
	v_cndmask_b32_e64 v11, v19, v11, s[36:37]
                                        ; implicit-def: $vgpr18
                                        ; implicit-def: $vgpr19
	s_andn2_saveexec_b64 s[10:11], s[10:11]
	s_cbranch_execnz .LBB235_27
	s_branch .LBB235_28
.LBB235_26:                             ;   in Loop: Header=BB235_4 Depth=1
	s_andn2_saveexec_b64 s[10:11], s[10:11]
.LBB235_27:                             ;   in Loop: Header=BB235_4 Depth=1
	v_add_f32_e32 v10, v18, v18
	v_add_f32_e32 v11, v19, v19
.LBB235_28:                             ;   in Loop: Header=BB235_4 Depth=1
	s_or_b64 exec, exec, s[10:11]
.LBB235_29:                             ;   in Loop: Header=BB235_4 Depth=1
	s_andn2_saveexec_b64 s[10:11], s[34:35]
	s_cbranch_execz .LBB235_49
; %bb.30:                               ;   in Loop: Header=BB235_4 Depth=1
	v_cmp_lt_i32_e32 vcc, -1, v10
	v_sub_f32_e32 v16, v11, v11
	s_and_saveexec_b64 s[12:13], vcc
	s_xor_b64 s[12:13], exec, s[12:13]
; %bb.31:                               ;   in Loop: Header=BB235_4 Depth=1
	v_bfi_b32 v11, s46, v16, v11
                                        ; implicit-def: $vgpr16
; %bb.32:                               ;   in Loop: Header=BB235_4 Depth=1
	s_andn2_saveexec_b64 s[12:13], s[12:13]
; %bb.33:                               ;   in Loop: Header=BB235_4 Depth=1
	v_and_b32_e32 v16, 0x7fffffff, v16
	v_bfi_b32 v11, s46, v10, v11
	v_mov_b32_e32 v10, v16
; %bb.34:                               ;   in Loop: Header=BB235_4 Depth=1
	s_or_b64 exec, exec, s[12:13]
	s_or_b64 exec, exec, s[10:11]
.LBB235_35:                             ;   in Loop: Header=BB235_4 Depth=1
	s_andn2_saveexec_b64 s[10:11], s[30:31]
.LBB235_36:                             ;   in Loop: Header=BB235_4 Depth=1
	v_sub_f32_e32 v11, v11, v11
	v_div_scale_f32 v16, vcc, v11, v11, v11
	v_rcp_f32_e32 v17, v16
	v_fma_f32 v18, -v16, v17, 1.0
	v_fmac_f32_e32 v17, v18, v17
	v_mul_f32_e32 v18, v16, v17
	v_fma_f32 v19, -v16, v18, v16
	v_fmac_f32_e32 v18, v19, v17
	v_fma_f32 v16, -v16, v18, v16
	v_div_fmas_f32 v16, v16, v17, v18
	v_div_fixup_f32 v11, v16, v11, v11
.LBB235_37:                             ;   in Loop: Header=BB235_4 Depth=1
	s_or_b64 exec, exec, s[10:11]
	v_mov_b32_e32 v16, v10
.LBB235_38:                             ;   in Loop: Header=BB235_4 Depth=1
	s_or_b64 exec, exec, s[28:29]
.LBB235_39:                             ;   in Loop: Header=BB235_4 Depth=1
	s_or_b64 exec, exec, s[26:27]
	v_cmp_neq_f32_e32 vcc, 0, v12
	v_cmp_neq_f32_e64 s[10:11], 0, v13
	s_or_b64 s[10:11], vcc, s[10:11]
	v_mov_b32_e32 v10, 0
	v_mov_b32_e32 v18, 0
	s_and_saveexec_b64 s[26:27], s[10:11]
	s_cbranch_execz .LBB235_68
; %bb.40:                               ;   in Loop: Header=BB235_4 Depth=1
	v_cmp_neq_f32_e64 s[10:11], |v13|, s42
	v_mov_b32_e32 v18, 0x7f800000
	s_and_saveexec_b64 s[28:29], s[10:11]
	s_cbranch_execz .LBB235_67
; %bb.41:                               ;   in Loop: Header=BB235_4 Depth=1
	v_cmp_o_f32_e32 vcc, v12, v12
	s_and_saveexec_b64 s[10:11], vcc
	s_xor_b64 s[30:31], exec, s[10:11]
	s_cbranch_execz .LBB235_64
; %bb.42:                               ;   in Loop: Header=BB235_4 Depth=1
	v_cmp_neq_f32_e64 s[10:11], |v12|, s42
	s_and_saveexec_b64 s[12:13], s[10:11]
	s_xor_b64 s[34:35], exec, s[12:13]
	s_cbranch_execz .LBB235_57
; %bb.43:                               ;   in Loop: Header=BB235_4 Depth=1
	v_max_f32_e64 v17, |v12|, |v12|
	v_max_f32_e64 v18, |v13|, |v13|
	v_max_f32_e32 v17, v18, v17
	v_cmp_nle_f32_e64 s[10:11], s43, v17
                                        ; implicit-def: $sgpr36_sgpr37
                                        ; implicit-def: $vgpr18_vgpr19
	s_and_saveexec_b64 s[12:13], s[10:11]
	s_xor_b64 s[12:13], exec, s[12:13]
; %bb.44:                               ;   in Loop: Header=BB235_4 Depth=1
	v_cmp_nle_f32_e64 s[36:37], |v12|, s44
	v_cmp_nle_f32_e64 s[38:39], |v13|, s44
	s_or_b64 vcc, s[38:39], s[36:37]
	v_pk_mul_f32 v[18:19], v[12:13], 4.0 op_sel_hi:[1,0]
	s_xor_b64 s[36:37], vcc, -1
	v_cndmask_b32_e32 v19, v19, v13, vcc
	v_cndmask_b32_e32 v18, v18, v12, vcc
	s_and_b64 s[36:37], s[36:37], exec
                                        ; implicit-def: $vgpr12_vgpr13
; %bb.45:                               ;   in Loop: Header=BB235_4 Depth=1
	s_andn2_saveexec_b64 s[12:13], s[12:13]
; %bb.46:                               ;   in Loop: Header=BB235_4 Depth=1
	v_pk_mul_f32 v[18:19], v[12:13], s[24:25] op_sel_hi:[1,0]
	s_andn2_b64 s[36:37], s[36:37], exec
; %bb.47:                               ;   in Loop: Header=BB235_4 Depth=1
	s_or_b64 exec, exec, s[12:13]
	v_max_f32_e64 v12, |v19|, |v19|
	v_max_f32_e64 v13, |v18|, |v18|
	v_max_f32_e32 v17, v13, v12
	v_cvt_f64_f32_e32 v[12:13], v17
	v_frexp_exp_i32_f64_e32 v12, v[12:13]
	v_sub_u32_e32 v13, 0, v12
	v_ldexp_f32 v20, |v18|, v13
	v_ldexp_f32 v13, |v19|, v13
	v_mul_f32_e32 v13, v13, v13
	v_fmac_f32_e32 v13, v20, v20
	v_sqrt_f32_e32 v13, v13
	v_cmp_neq_f32_e64 s[12:13], s42, v17
	v_cmp_le_f32_e32 vcc, 0, v18
                                        ; implicit-def: $vgpr20
                                        ; implicit-def: $vgpr17
	v_ldexp_f32 v12, v13, v12
	v_cndmask_b32_e64 v12, v28, v12, s[12:13]
	s_and_saveexec_b64 s[12:13], vcc
	s_xor_b64 s[38:39], exec, s[12:13]
	s_cbranch_execz .LBB235_50
; %bb.48:                               ;   in Loop: Header=BB235_4 Depth=1
	v_add_f32_e32 v12, v18, v12
	v_mul_f32_e32 v12, 0.5, v12
	v_mul_f32_e32 v13, 0x4f800000, v12
	v_cmp_gt_f32_e32 vcc, s45, v12
	v_cndmask_b32_e32 v12, v12, v13, vcc
	v_sqrt_f32_e32 v13, v12
	v_add_u32_e32 v17, -1, v13
	v_fma_f32 v20, -v17, v13, v12
	v_add_u32_e32 v18, 1, v13
	v_cmp_ge_f32_e64 s[12:13], 0, v20
	v_cndmask_b32_e64 v17, v13, v17, s[12:13]
	v_fma_f32 v13, -v18, v13, v12
	v_cmp_lt_f32_e64 s[12:13], 0, v13
	v_cndmask_b32_e64 v13, v17, v18, s[12:13]
	v_mul_f32_e32 v17, 0x37800000, v13
	v_cndmask_b32_e32 v13, v13, v17, vcc
	v_cmp_class_f32_e32 vcc, v12, v27
	v_cndmask_b32_e32 v17, v13, v12, vcc
	v_add_f32_e32 v12, v17, v17
	v_div_scale_f32 v13, s[12:13], v12, v12, v19
	v_rcp_f32_e32 v18, v13
	v_fma_f32 v20, -v13, v18, 1.0
	v_fmac_f32_e32 v18, v20, v18
	v_div_scale_f32 v20, vcc, v19, v12, v19
	v_mul_f32_e32 v21, v20, v18
	v_fma_f32 v29, -v13, v21, v20
	v_fmac_f32_e32 v21, v29, v18
	v_fma_f32 v13, -v13, v21, v20
	v_div_fmas_f32 v13, v13, v18, v21
	v_div_fixup_f32 v20, v13, v12, v19
                                        ; implicit-def: $vgpr12
                                        ; implicit-def: $vgpr18_vgpr19
	s_andn2_saveexec_b64 s[38:39], s[38:39]
	s_cbranch_execz .LBB235_52
	s_branch .LBB235_51
.LBB235_49:                             ;   in Loop: Header=BB235_4 Depth=1
	s_or_b64 exec, exec, s[10:11]
	s_andn2_saveexec_b64 s[10:11], s[30:31]
	s_cbranch_execnz .LBB235_36
	s_branch .LBB235_37
.LBB235_50:                             ;   in Loop: Header=BB235_4 Depth=1
	s_andn2_saveexec_b64 s[38:39], s[38:39]
	s_cbranch_execz .LBB235_52
.LBB235_51:                             ;   in Loop: Header=BB235_4 Depth=1
	v_sub_f32_e32 v12, v12, v18
	v_mul_f32_e32 v12, 0.5, v12
	v_mul_f32_e32 v13, 0x4f800000, v12
	v_cmp_gt_f32_e32 vcc, s45, v12
	v_cndmask_b32_e32 v12, v12, v13, vcc
	v_sqrt_f32_e32 v13, v12
	v_add_u32_e32 v17, -1, v13
	v_fma_f32 v20, -v17, v13, v12
	v_add_u32_e32 v18, 1, v13
	v_cmp_ge_f32_e64 s[12:13], 0, v20
	v_cndmask_b32_e64 v17, v13, v17, s[12:13]
	v_fma_f32 v13, -v18, v13, v12
	v_cmp_lt_f32_e64 s[12:13], 0, v13
	v_cndmask_b32_e64 v13, v17, v18, s[12:13]
	v_mul_f32_e32 v17, 0x37800000, v13
	v_cndmask_b32_e32 v13, v13, v17, vcc
	v_cmp_class_f32_e32 vcc, v12, v27
	v_cndmask_b32_e32 v12, v13, v12, vcc
	v_add_f32_e32 v13, v12, v12
	v_and_b32_e32 v17, 0x7fffffff, v19
	v_div_scale_f32 v18, s[12:13], v13, v13, v17
	v_rcp_f32_e32 v20, v18
	v_div_scale_f32 v17, vcc, v17, v13, v17
	v_fma_f32 v21, -v18, v20, 1.0
	v_fmac_f32_e32 v20, v21, v20
	v_mul_f32_e32 v21, v17, v20
	v_fma_f32 v29, -v18, v21, v17
	v_fmac_f32_e32 v21, v29, v20
	v_fma_f32 v17, -v18, v21, v17
	v_div_fmas_f32 v17, v17, v20, v21
	v_div_fixup_f32 v17, v17, v13, |v19|
	v_bfi_b32 v20, s46, v12, v19
.LBB235_52:                             ;   in Loop: Header=BB235_4 Depth=1
	s_or_b64 exec, exec, s[38:39]
                                        ; implicit-def: $vgpr13
	s_and_saveexec_b64 s[12:13], s[10:11]
	s_xor_b64 s[10:11], exec, s[12:13]
	s_cbranch_execz .LBB235_54
; %bb.53:                               ;   in Loop: Header=BB235_4 Depth=1
	v_mul_f32_e32 v12, 0.5, v17
	v_mul_f32_e32 v13, 0.5, v20
	v_cndmask_b32_e64 v12, v17, v12, s[36:37]
	v_cndmask_b32_e64 v13, v20, v13, s[36:37]
                                        ; implicit-def: $vgpr17
                                        ; implicit-def: $vgpr20
	s_andn2_saveexec_b64 s[10:11], s[10:11]
	s_cbranch_execnz .LBB235_55
	s_branch .LBB235_56
.LBB235_54:                             ;   in Loop: Header=BB235_4 Depth=1
	s_andn2_saveexec_b64 s[10:11], s[10:11]
.LBB235_55:                             ;   in Loop: Header=BB235_4 Depth=1
	v_add_f32_e32 v12, v17, v17
	v_add_f32_e32 v13, v20, v20
.LBB235_56:                             ;   in Loop: Header=BB235_4 Depth=1
	s_or_b64 exec, exec, s[10:11]
.LBB235_57:                             ;   in Loop: Header=BB235_4 Depth=1
	s_andn2_saveexec_b64 s[10:11], s[34:35]
	s_cbranch_execz .LBB235_63
; %bb.58:                               ;   in Loop: Header=BB235_4 Depth=1
	v_cmp_lt_i32_e32 vcc, -1, v12
	v_sub_f32_e32 v17, v13, v13
	s_and_saveexec_b64 s[12:13], vcc
	s_xor_b64 s[12:13], exec, s[12:13]
; %bb.59:                               ;   in Loop: Header=BB235_4 Depth=1
	v_bfi_b32 v13, s46, v17, v13
                                        ; implicit-def: $vgpr17
; %bb.60:                               ;   in Loop: Header=BB235_4 Depth=1
	s_andn2_saveexec_b64 s[12:13], s[12:13]
; %bb.61:                               ;   in Loop: Header=BB235_4 Depth=1
	v_and_b32_e32 v17, 0x7fffffff, v17
	v_bfi_b32 v13, s46, v12, v13
	v_mov_b32_e32 v12, v17
; %bb.62:                               ;   in Loop: Header=BB235_4 Depth=1
	s_or_b64 exec, exec, s[12:13]
.LBB235_63:                             ;   in Loop: Header=BB235_4 Depth=1
	s_or_b64 exec, exec, s[10:11]
.LBB235_64:                             ;   in Loop: Header=BB235_4 Depth=1
	s_andn2_saveexec_b64 s[10:11], s[30:31]
; %bb.65:                               ;   in Loop: Header=BB235_4 Depth=1
	v_sub_f32_e32 v13, v13, v13
	v_div_scale_f32 v17, vcc, v13, v13, v13
	v_rcp_f32_e32 v18, v17
	v_fma_f32 v19, -v17, v18, 1.0
	v_fmac_f32_e32 v18, v19, v18
	v_mul_f32_e32 v19, v17, v18
	v_fma_f32 v20, -v17, v19, v17
	v_fmac_f32_e32 v19, v20, v18
	v_fma_f32 v17, -v17, v19, v17
	v_div_fmas_f32 v17, v17, v18, v19
	v_div_fixup_f32 v13, v17, v13, v13
; %bb.66:                               ;   in Loop: Header=BB235_4 Depth=1
	s_or_b64 exec, exec, s[10:11]
	v_mov_b32_e32 v18, v12
.LBB235_67:                             ;   in Loop: Header=BB235_4 Depth=1
	s_or_b64 exec, exec, s[28:29]
.LBB235_68:                             ;   in Loop: Header=BB235_4 Depth=1
	s_or_b64 exec, exec, s[26:27]
	v_cmp_neq_f32_e32 vcc, 0, v8
	v_cmp_neq_f32_e64 s[10:11], 0, v9
	s_or_b64 s[10:11], vcc, s[10:11]
	s_and_saveexec_b64 s[26:27], s[10:11]
	s_cbranch_execz .LBB235_96
; %bb.69:                               ;   in Loop: Header=BB235_4 Depth=1
	v_cmp_neq_f32_e64 s[10:11], |v9|, s42
	v_mov_b32_e32 v10, 0x7f800000
	s_and_saveexec_b64 s[28:29], s[10:11]
	s_cbranch_execz .LBB235_95
; %bb.70:                               ;   in Loop: Header=BB235_4 Depth=1
	v_cmp_o_f32_e32 vcc, v8, v8
	s_and_saveexec_b64 s[10:11], vcc
	s_xor_b64 s[30:31], exec, s[10:11]
	s_cbranch_execz .LBB235_92
; %bb.71:                               ;   in Loop: Header=BB235_4 Depth=1
	v_cmp_neq_f32_e64 s[10:11], |v8|, s42
	s_and_saveexec_b64 s[12:13], s[10:11]
	s_xor_b64 s[34:35], exec, s[12:13]
	s_cbranch_execz .LBB235_85
; %bb.72:                               ;   in Loop: Header=BB235_4 Depth=1
	v_max_f32_e64 v10, |v8|, |v8|
	v_max_f32_e64 v12, |v9|, |v9|
	v_max_f32_e32 v10, v12, v10
	v_cmp_nle_f32_e64 s[10:11], s43, v10
                                        ; implicit-def: $sgpr36_sgpr37
                                        ; implicit-def: $vgpr20_vgpr21
	s_and_saveexec_b64 s[12:13], s[10:11]
	s_xor_b64 s[12:13], exec, s[12:13]
; %bb.73:                               ;   in Loop: Header=BB235_4 Depth=1
	v_cmp_nle_f32_e64 s[36:37], |v8|, s44
	v_cmp_nle_f32_e64 s[38:39], |v9|, s44
	s_or_b64 vcc, s[38:39], s[36:37]
	v_pk_mul_f32 v[20:21], v[8:9], 4.0 op_sel_hi:[1,0]
	s_xor_b64 s[36:37], vcc, -1
	v_cndmask_b32_e32 v21, v21, v9, vcc
	v_cndmask_b32_e32 v20, v20, v8, vcc
	s_and_b64 s[36:37], s[36:37], exec
                                        ; implicit-def: $vgpr8_vgpr9
; %bb.74:                               ;   in Loop: Header=BB235_4 Depth=1
	s_andn2_saveexec_b64 s[12:13], s[12:13]
; %bb.75:                               ;   in Loop: Header=BB235_4 Depth=1
	v_pk_mul_f32 v[20:21], v[8:9], s[24:25] op_sel_hi:[1,0]
	s_andn2_b64 s[36:37], s[36:37], exec
; %bb.76:                               ;   in Loop: Header=BB235_4 Depth=1
	s_or_b64 exec, exec, s[12:13]
	v_max_f32_e64 v8, |v21|, |v21|
	v_max_f32_e64 v9, |v20|, |v20|
	v_max_f32_e32 v10, v9, v8
	v_cvt_f64_f32_e32 v[8:9], v10
	v_frexp_exp_i32_f64_e32 v8, v[8:9]
	v_sub_u32_e32 v9, 0, v8
	v_ldexp_f32 v12, |v20|, v9
	v_ldexp_f32 v9, |v21|, v9
	v_mul_f32_e32 v9, v9, v9
	v_fmac_f32_e32 v9, v12, v12
	v_sqrt_f32_e32 v9, v9
	v_cmp_neq_f32_e64 s[12:13], s42, v10
	v_cmp_le_f32_e32 vcc, 0, v20
                                        ; implicit-def: $vgpr12
                                        ; implicit-def: $vgpr10
	v_ldexp_f32 v8, v9, v8
	v_cndmask_b32_e64 v8, v28, v8, s[12:13]
	s_and_saveexec_b64 s[12:13], vcc
	s_xor_b64 s[38:39], exec, s[12:13]
	s_cbranch_execz .LBB235_78
; %bb.77:                               ;   in Loop: Header=BB235_4 Depth=1
	v_add_f32_e32 v8, v20, v8
	v_mul_f32_e32 v8, 0.5, v8
	v_mul_f32_e32 v9, 0x4f800000, v8
	v_cmp_gt_f32_e32 vcc, s45, v8
	v_cndmask_b32_e32 v8, v8, v9, vcc
	v_sqrt_f32_e32 v9, v8
	v_add_u32_e32 v10, -1, v9
	v_fma_f32 v17, -v10, v9, v8
	v_add_u32_e32 v12, 1, v9
	v_cmp_ge_f32_e64 s[12:13], 0, v17
	v_cndmask_b32_e64 v10, v9, v10, s[12:13]
	v_fma_f32 v9, -v12, v9, v8
	v_cmp_lt_f32_e64 s[12:13], 0, v9
	v_cndmask_b32_e64 v9, v10, v12, s[12:13]
	v_mul_f32_e32 v10, 0x37800000, v9
	v_cndmask_b32_e32 v9, v9, v10, vcc
	v_cmp_class_f32_e32 vcc, v8, v27
	v_cndmask_b32_e32 v10, v9, v8, vcc
	v_add_f32_e32 v8, v10, v10
	v_div_scale_f32 v9, s[12:13], v8, v8, v21
	v_rcp_f32_e32 v12, v9
	v_fma_f32 v17, -v9, v12, 1.0
	v_fmac_f32_e32 v12, v17, v12
	v_div_scale_f32 v17, vcc, v21, v8, v21
	v_mul_f32_e32 v19, v17, v12
	v_fma_f32 v20, -v9, v19, v17
	v_fmac_f32_e32 v19, v20, v12
	v_fma_f32 v9, -v9, v19, v17
	v_div_fmas_f32 v9, v9, v12, v19
	v_div_fixup_f32 v12, v9, v8, v21
                                        ; implicit-def: $vgpr8
                                        ; implicit-def: $vgpr20_vgpr21
	s_andn2_saveexec_b64 s[38:39], s[38:39]
	s_cbranch_execz .LBB235_80
	s_branch .LBB235_79
.LBB235_78:                             ;   in Loop: Header=BB235_4 Depth=1
	s_andn2_saveexec_b64 s[38:39], s[38:39]
	s_cbranch_execz .LBB235_80
.LBB235_79:                             ;   in Loop: Header=BB235_4 Depth=1
	v_sub_f32_e32 v8, v8, v20
	v_mul_f32_e32 v8, 0.5, v8
	v_mul_f32_e32 v9, 0x4f800000, v8
	v_cmp_gt_f32_e32 vcc, s45, v8
	v_cndmask_b32_e32 v8, v8, v9, vcc
	v_sqrt_f32_e32 v9, v8
	v_add_u32_e32 v10, -1, v9
	v_fma_f32 v17, -v10, v9, v8
	v_add_u32_e32 v12, 1, v9
	v_cmp_ge_f32_e64 s[12:13], 0, v17
	v_cndmask_b32_e64 v10, v9, v10, s[12:13]
	v_fma_f32 v9, -v12, v9, v8
	v_cmp_lt_f32_e64 s[12:13], 0, v9
	v_cndmask_b32_e64 v9, v10, v12, s[12:13]
	v_mul_f32_e32 v10, 0x37800000, v9
	v_cndmask_b32_e32 v9, v9, v10, vcc
	v_cmp_class_f32_e32 vcc, v8, v27
	v_cndmask_b32_e32 v8, v9, v8, vcc
	v_add_f32_e32 v9, v8, v8
	v_and_b32_e32 v10, 0x7fffffff, v21
	v_div_scale_f32 v12, s[12:13], v9, v9, v10
	v_rcp_f32_e32 v17, v12
	v_div_scale_f32 v10, vcc, v10, v9, v10
	v_fma_f32 v19, -v12, v17, 1.0
	v_fmac_f32_e32 v17, v19, v17
	v_mul_f32_e32 v19, v10, v17
	v_fma_f32 v20, -v12, v19, v10
	v_fmac_f32_e32 v19, v20, v17
	v_fma_f32 v10, -v12, v19, v10
	v_div_fmas_f32 v10, v10, v17, v19
	v_div_fixup_f32 v10, v10, v9, |v21|
	v_bfi_b32 v12, s46, v8, v21
.LBB235_80:                             ;   in Loop: Header=BB235_4 Depth=1
	s_or_b64 exec, exec, s[38:39]
                                        ; implicit-def: $vgpr9
	s_and_saveexec_b64 s[12:13], s[10:11]
	s_xor_b64 s[10:11], exec, s[12:13]
	s_cbranch_execz .LBB235_82
; %bb.81:                               ;   in Loop: Header=BB235_4 Depth=1
	v_mul_f32_e32 v8, 0.5, v10
	v_mul_f32_e32 v9, 0.5, v12
	v_cndmask_b32_e64 v8, v10, v8, s[36:37]
	v_cndmask_b32_e64 v9, v12, v9, s[36:37]
                                        ; implicit-def: $vgpr10
                                        ; implicit-def: $vgpr12
	s_andn2_saveexec_b64 s[10:11], s[10:11]
	s_cbranch_execnz .LBB235_83
	s_branch .LBB235_84
.LBB235_82:                             ;   in Loop: Header=BB235_4 Depth=1
	s_andn2_saveexec_b64 s[10:11], s[10:11]
.LBB235_83:                             ;   in Loop: Header=BB235_4 Depth=1
	v_add_f32_e32 v8, v10, v10
	v_add_f32_e32 v9, v12, v12
.LBB235_84:                             ;   in Loop: Header=BB235_4 Depth=1
	s_or_b64 exec, exec, s[10:11]
.LBB235_85:                             ;   in Loop: Header=BB235_4 Depth=1
	s_andn2_saveexec_b64 s[10:11], s[34:35]
	s_cbranch_execz .LBB235_91
; %bb.86:                               ;   in Loop: Header=BB235_4 Depth=1
	v_cmp_lt_i32_e32 vcc, -1, v8
	v_sub_f32_e32 v10, v9, v9
	s_and_saveexec_b64 s[12:13], vcc
	s_xor_b64 s[12:13], exec, s[12:13]
; %bb.87:                               ;   in Loop: Header=BB235_4 Depth=1
	v_bfi_b32 v9, s46, v10, v9
                                        ; implicit-def: $vgpr10
; %bb.88:                               ;   in Loop: Header=BB235_4 Depth=1
	s_andn2_saveexec_b64 s[12:13], s[12:13]
; %bb.89:                               ;   in Loop: Header=BB235_4 Depth=1
	v_and_b32_e32 v10, 0x7fffffff, v10
	v_bfi_b32 v9, s46, v8, v9
	v_mov_b32_e32 v8, v10
; %bb.90:                               ;   in Loop: Header=BB235_4 Depth=1
	s_or_b64 exec, exec, s[12:13]
.LBB235_91:                             ;   in Loop: Header=BB235_4 Depth=1
	s_or_b64 exec, exec, s[10:11]
.LBB235_92:                             ;   in Loop: Header=BB235_4 Depth=1
	s_andn2_saveexec_b64 s[10:11], s[30:31]
; %bb.93:                               ;   in Loop: Header=BB235_4 Depth=1
	v_sub_f32_e32 v9, v9, v9
	v_div_scale_f32 v10, vcc, v9, v9, v9
	v_rcp_f32_e32 v12, v10
	v_fma_f32 v17, -v10, v12, 1.0
	v_fmac_f32_e32 v12, v17, v12
	v_mul_f32_e32 v17, v10, v12
	v_fma_f32 v19, -v10, v17, v10
	v_fmac_f32_e32 v17, v19, v12
	v_fma_f32 v10, -v10, v17, v10
	v_div_fmas_f32 v10, v10, v12, v17
	v_div_fixup_f32 v9, v10, v9, v9
; %bb.94:                               ;   in Loop: Header=BB235_4 Depth=1
	s_or_b64 exec, exec, s[10:11]
	v_mov_b32_e32 v10, v8
.LBB235_95:                             ;   in Loop: Header=BB235_4 Depth=1
	s_or_b64 exec, exec, s[28:29]
.LBB235_96:                             ;   in Loop: Header=BB235_4 Depth=1
	s_or_b64 exec, exec, s[26:27]
	v_cmp_neq_f32_e32 vcc, 0, v14
	v_cmp_neq_f32_e64 s[10:11], 0, v15
	s_or_b64 s[10:11], vcc, s[10:11]
	v_mov_b32_e32 v8, 0
	s_and_saveexec_b64 s[26:27], s[10:11]
	s_cbranch_execz .LBB235_106
; %bb.97:                               ;   in Loop: Header=BB235_4 Depth=1
	v_cmp_neq_f32_e64 s[10:11], |v15|, s42
	v_mov_b32_e32 v8, 0x7f800000
	s_and_saveexec_b64 s[28:29], s[10:11]
	s_cbranch_execz .LBB235_127
; %bb.98:                               ;   in Loop: Header=BB235_4 Depth=1
	v_cmp_o_f32_e32 vcc, v14, v14
	s_and_saveexec_b64 s[10:11], vcc
	s_xor_b64 s[30:31], exec, s[10:11]
	s_cbranch_execz .LBB235_124
; %bb.99:                               ;   in Loop: Header=BB235_4 Depth=1
	v_cmp_neq_f32_e64 s[10:11], |v14|, s42
	s_and_saveexec_b64 s[12:13], s[10:11]
	s_xor_b64 s[34:35], exec, s[12:13]
	s_cbranch_execz .LBB235_117
; %bb.100:                              ;   in Loop: Header=BB235_4 Depth=1
	v_max_f32_e64 v8, |v14|, |v14|
	v_max_f32_e64 v12, |v15|, |v15|
	v_max_f32_e32 v8, v12, v8
	v_cmp_nle_f32_e64 s[10:11], s43, v8
                                        ; implicit-def: $sgpr36_sgpr37
                                        ; implicit-def: $vgpr20_vgpr21
	s_and_saveexec_b64 s[12:13], s[10:11]
	s_xor_b64 s[12:13], exec, s[12:13]
; %bb.101:                              ;   in Loop: Header=BB235_4 Depth=1
	v_cmp_nle_f32_e64 s[36:37], |v14|, s44
	v_cmp_nle_f32_e64 s[38:39], |v15|, s44
	s_or_b64 vcc, s[38:39], s[36:37]
	v_pk_mul_f32 v[20:21], v[14:15], 4.0 op_sel_hi:[1,0]
	s_xor_b64 s[36:37], vcc, -1
	v_cndmask_b32_e32 v21, v21, v15, vcc
	v_cndmask_b32_e32 v20, v20, v14, vcc
	s_and_b64 s[36:37], s[36:37], exec
                                        ; implicit-def: $vgpr14_vgpr15
; %bb.102:                              ;   in Loop: Header=BB235_4 Depth=1
	s_andn2_saveexec_b64 s[12:13], s[12:13]
; %bb.103:                              ;   in Loop: Header=BB235_4 Depth=1
	v_pk_mul_f32 v[20:21], v[14:15], s[24:25] op_sel_hi:[1,0]
	s_andn2_b64 s[36:37], s[36:37], exec
; %bb.104:                              ;   in Loop: Header=BB235_4 Depth=1
	s_or_b64 exec, exec, s[12:13]
	v_max_f32_e64 v8, |v21|, |v21|
	v_max_f32_e64 v12, |v20|, |v20|
	v_max_f32_e32 v8, v12, v8
	v_cvt_f64_f32_e32 v[14:15], v8
	v_frexp_exp_i32_f64_e32 v12, v[14:15]
	v_sub_u32_e32 v14, 0, v12
	v_ldexp_f32 v15, |v20|, v14
	v_ldexp_f32 v14, |v21|, v14
	v_mul_f32_e32 v14, v14, v14
	v_fmac_f32_e32 v14, v15, v15
	v_sqrt_f32_e32 v14, v14
	v_cmp_neq_f32_e64 s[12:13], s42, v8
	v_cmp_le_f32_e32 vcc, 0, v20
                                        ; implicit-def: $vgpr8
	v_ldexp_f32 v12, v14, v12
	v_cndmask_b32_e64 v14, v28, v12, s[12:13]
                                        ; implicit-def: $vgpr12
	s_and_saveexec_b64 s[12:13], vcc
	s_xor_b64 s[38:39], exec, s[12:13]
	s_cbranch_execz .LBB235_110
; %bb.105:                              ;   in Loop: Header=BB235_4 Depth=1
	v_add_f32_e32 v8, v20, v14
	v_mul_f32_e32 v8, 0.5, v8
	v_mul_f32_e32 v12, 0x4f800000, v8
	v_cmp_gt_f32_e32 vcc, s45, v8
	v_cndmask_b32_e32 v8, v8, v12, vcc
	v_sqrt_f32_e32 v12, v8
	v_add_u32_e32 v14, -1, v12
	v_fma_f32 v17, -v14, v12, v8
	v_add_u32_e32 v15, 1, v12
	v_cmp_ge_f32_e64 s[12:13], 0, v17
	v_cndmask_b32_e64 v14, v12, v14, s[12:13]
	v_fma_f32 v12, -v15, v12, v8
	v_cmp_lt_f32_e64 s[12:13], 0, v12
	v_cndmask_b32_e64 v12, v14, v15, s[12:13]
	v_mul_f32_e32 v14, 0x37800000, v12
	v_cndmask_b32_e32 v12, v12, v14, vcc
	v_cmp_class_f32_e32 vcc, v8, v27
	v_cndmask_b32_e32 v8, v12, v8, vcc
	v_add_f32_e32 v12, v8, v8
	v_div_scale_f32 v14, s[12:13], v12, v12, v21
	v_rcp_f32_e32 v15, v14
	v_fma_f32 v17, -v14, v15, 1.0
	v_fmac_f32_e32 v15, v17, v15
	v_div_scale_f32 v17, vcc, v21, v12, v21
	v_mul_f32_e32 v19, v17, v15
	v_fma_f32 v20, -v14, v19, v17
	v_fmac_f32_e32 v19, v20, v15
	v_fma_f32 v14, -v14, v19, v17
	v_div_fmas_f32 v14, v14, v15, v19
	v_div_fixup_f32 v12, v14, v12, v21
                                        ; implicit-def: $vgpr14
                                        ; implicit-def: $vgpr20_vgpr21
	s_andn2_saveexec_b64 s[38:39], s[38:39]
	s_cbranch_execz .LBB235_112
	s_branch .LBB235_111
.LBB235_106:                            ;   in Loop: Header=BB235_4 Depth=1
	s_or_b64 exec, exec, s[26:27]
	s_and_saveexec_b64 s[10:11], s[0:1]
	s_xor_b64 s[0:1], exec, s[10:11]
	s_cbranch_execz .LBB235_128
.LBB235_107:                            ;   in Loop: Header=BB235_4 Depth=1
	v_mov_b32_e32 v12, s33
	v_add_co_u32_e32 v20, vcc, s25, v2
	v_addc_co_u32_e32 v21, vcc, 0, v12, vcc
	v_mov_b32_e32 v17, v11
	global_store_dwordx2 v[20:21], v[16:17], off
	s_or_b64 exec, exec, s[0:1]
	s_and_saveexec_b64 s[0:1], s[2:3]
	s_cbranch_execnz .LBB235_129
.LBB235_108:                            ;   in Loop: Header=BB235_4 Depth=1
	s_or_b64 exec, exec, s[0:1]
	s_and_saveexec_b64 s[0:1], s[6:7]
	s_cbranch_execz .LBB235_130
.LBB235_109:                            ;   in Loop: Header=BB235_4 Depth=1
	v_mov_b32_e32 v11, s33
	v_add_co_u32_e32 v12, vcc, s25, v7
	v_addc_co_u32_e32 v13, vcc, v11, v22, vcc
	v_mov_b32_e32 v11, v9
	global_store_dwordx2 v[12:13], v[10:11], off
	s_or_b64 exec, exec, s[0:1]
	s_and_saveexec_b64 s[0:1], s[8:9]
	s_cbranch_execz .LBB235_3
	s_branch .LBB235_131
.LBB235_110:                            ;   in Loop: Header=BB235_4 Depth=1
	s_andn2_saveexec_b64 s[38:39], s[38:39]
	s_cbranch_execz .LBB235_112
.LBB235_111:                            ;   in Loop: Header=BB235_4 Depth=1
	v_sub_f32_e32 v8, v14, v20
	v_mul_f32_e32 v8, 0.5, v8
	v_mul_f32_e32 v12, 0x4f800000, v8
	v_cmp_gt_f32_e32 vcc, s45, v8
	v_cndmask_b32_e32 v8, v8, v12, vcc
	v_sqrt_f32_e32 v12, v8
	v_add_u32_e32 v14, -1, v12
	v_fma_f32 v17, -v14, v12, v8
	v_add_u32_e32 v15, 1, v12
	v_cmp_ge_f32_e64 s[12:13], 0, v17
	v_cndmask_b32_e64 v14, v12, v14, s[12:13]
	v_fma_f32 v12, -v15, v12, v8
	v_cmp_lt_f32_e64 s[12:13], 0, v12
	v_cndmask_b32_e64 v12, v14, v15, s[12:13]
	v_mul_f32_e32 v14, 0x37800000, v12
	v_cndmask_b32_e32 v12, v12, v14, vcc
	v_cmp_class_f32_e32 vcc, v8, v27
	v_cndmask_b32_e32 v12, v12, v8, vcc
	v_add_f32_e32 v8, v12, v12
	v_and_b32_e32 v14, 0x7fffffff, v21
	v_div_scale_f32 v15, s[12:13], v8, v8, v14
	v_rcp_f32_e32 v17, v15
	v_div_scale_f32 v14, vcc, v14, v8, v14
	v_bfi_b32 v12, s46, v12, v21
	v_fma_f32 v19, -v15, v17, 1.0
	v_fmac_f32_e32 v17, v19, v17
	v_mul_f32_e32 v19, v14, v17
	v_fma_f32 v20, -v15, v19, v14
	v_fmac_f32_e32 v19, v20, v17
	v_fma_f32 v14, -v15, v19, v14
	v_div_fmas_f32 v14, v14, v17, v19
	v_div_fixup_f32 v8, v14, v8, |v21|
.LBB235_112:                            ;   in Loop: Header=BB235_4 Depth=1
	s_or_b64 exec, exec, s[38:39]
                                        ; implicit-def: $vgpr15
	s_and_saveexec_b64 s[12:13], s[10:11]
	s_xor_b64 s[10:11], exec, s[12:13]
	s_cbranch_execz .LBB235_114
; %bb.113:                              ;   in Loop: Header=BB235_4 Depth=1
	v_mul_f32_e32 v14, 0.5, v8
	v_mul_f32_e32 v15, 0.5, v12
	v_cndmask_b32_e64 v14, v8, v14, s[36:37]
	v_cndmask_b32_e64 v15, v12, v15, s[36:37]
                                        ; implicit-def: $vgpr8
                                        ; implicit-def: $vgpr12
	s_andn2_saveexec_b64 s[10:11], s[10:11]
	s_cbranch_execnz .LBB235_115
	s_branch .LBB235_116
.LBB235_114:                            ;   in Loop: Header=BB235_4 Depth=1
	s_andn2_saveexec_b64 s[10:11], s[10:11]
.LBB235_115:                            ;   in Loop: Header=BB235_4 Depth=1
	v_add_f32_e32 v14, v8, v8
	v_add_f32_e32 v15, v12, v12
.LBB235_116:                            ;   in Loop: Header=BB235_4 Depth=1
	s_or_b64 exec, exec, s[10:11]
.LBB235_117:                            ;   in Loop: Header=BB235_4 Depth=1
	s_andn2_saveexec_b64 s[10:11], s[34:35]
	s_cbranch_execz .LBB235_123
; %bb.118:                              ;   in Loop: Header=BB235_4 Depth=1
	v_cmp_lt_i32_e32 vcc, -1, v14
	v_sub_f32_e32 v8, v15, v15
	s_and_saveexec_b64 s[12:13], vcc
	s_xor_b64 s[12:13], exec, s[12:13]
; %bb.119:                              ;   in Loop: Header=BB235_4 Depth=1
	v_bfi_b32 v15, s46, v8, v15
                                        ; implicit-def: $vgpr8
; %bb.120:                              ;   in Loop: Header=BB235_4 Depth=1
	s_andn2_saveexec_b64 s[12:13], s[12:13]
; %bb.121:                              ;   in Loop: Header=BB235_4 Depth=1
	v_and_b32_e32 v8, 0x7fffffff, v8
	v_bfi_b32 v15, s46, v14, v15
	v_mov_b32_e32 v14, v8
; %bb.122:                              ;   in Loop: Header=BB235_4 Depth=1
	s_or_b64 exec, exec, s[12:13]
.LBB235_123:                            ;   in Loop: Header=BB235_4 Depth=1
	s_or_b64 exec, exec, s[10:11]
.LBB235_124:                            ;   in Loop: Header=BB235_4 Depth=1
	s_andn2_saveexec_b64 s[10:11], s[30:31]
; %bb.125:                              ;   in Loop: Header=BB235_4 Depth=1
	v_sub_f32_e32 v8, v15, v15
	v_div_scale_f32 v12, vcc, v8, v8, v8
	v_rcp_f32_e32 v15, v12
	v_fma_f32 v17, -v12, v15, 1.0
	v_fmac_f32_e32 v15, v17, v15
	v_mul_f32_e32 v17, v12, v15
	v_fma_f32 v19, -v12, v17, v12
	v_fmac_f32_e32 v17, v19, v15
	v_fma_f32 v12, -v12, v17, v12
	v_div_fmas_f32 v12, v12, v15, v17
	v_div_fixup_f32 v15, v12, v8, v8
; %bb.126:                              ;   in Loop: Header=BB235_4 Depth=1
	s_or_b64 exec, exec, s[10:11]
	v_mov_b32_e32 v8, v14
.LBB235_127:                            ;   in Loop: Header=BB235_4 Depth=1
	s_or_b64 exec, exec, s[28:29]
	s_or_b64 exec, exec, s[26:27]
	s_and_saveexec_b64 s[10:11], s[0:1]
	s_xor_b64 s[0:1], exec, s[10:11]
	s_cbranch_execnz .LBB235_107
.LBB235_128:                            ;   in Loop: Header=BB235_4 Depth=1
	s_or_b64 exec, exec, s[0:1]
	s_and_saveexec_b64 s[0:1], s[2:3]
	s_cbranch_execz .LBB235_108
.LBB235_129:                            ;   in Loop: Header=BB235_4 Depth=1
	v_mov_b32_e32 v11, s33
	v_add_co_u32_e32 v16, vcc, s25, v6
	v_addc_co_u32_e32 v17, vcc, 0, v11, vcc
	v_mov_b32_e32 v19, v13
	global_store_dwordx2 v[16:17], v[18:19], off
	s_or_b64 exec, exec, s[0:1]
	s_and_saveexec_b64 s[0:1], s[6:7]
	s_cbranch_execnz .LBB235_109
.LBB235_130:                            ;   in Loop: Header=BB235_4 Depth=1
	s_or_b64 exec, exec, s[0:1]
	s_and_saveexec_b64 s[0:1], s[8:9]
	s_cbranch_execz .LBB235_3
.LBB235_131:                            ;   in Loop: Header=BB235_4 Depth=1
	v_mov_b32_e32 v9, s33
	v_add_co_u32_e32 v10, vcc, s25, v4
	v_addc_co_u32_e32 v11, vcc, v9, v5, vcc
	v_mov_b32_e32 v9, v15
	global_store_dwordx2 v[10:11], v[8:9], off
	s_branch .LBB235_3
.LBB235_132:
	s_cbranch_execz .LBB235_134
	s_branch .LBB235_249
.LBB235_133:
.LBB235_134:
	v_mov_b32_e32 v13, 0
	v_lshlrev_b32_e32 v12, 2, v0
	s_mov_b32 s7, 0
	v_cmp_gt_i64_e32 vcc, s[14:15], v[12:13]
	s_and_saveexec_b64 s[0:1], vcc
	s_cbranch_execz .LBB235_249
; %bb.135:
	s_load_dword s0, s[4:5], 0xd3c
	v_lshlrev_b32_e32 v1, 5, v0
	s_mov_b32 s26, s7
	s_mov_b64 s[4:5], 0
	s_mov_b32 s27, 0x7f800000
	s_waitcnt lgkmcnt(0)
	s_and_b32 s0, s0, 0xffff
	s_lshl_b32 s24, s0, 2
	s_add_u32 s1, s16, s18
	s_addc_u32 s2, s17, s19
	v_add_lshl_u32 v12, v0, s0, 2
	v_mov_b32_e32 v0, s2
	v_add_co_u32_e32 v14, vcc, s1, v1
	v_addc_co_u32_e32 v15, vcc, 0, v0, vcc
	s_lshl_b32 s25, s0, 5
	s_mov_b32 s28, 0x7ed413cb
	s_mov_b32 s29, 0x1000000
	;; [unrolled: 1-line block ×4, first 2 shown]
	v_mov_b32_e32 v16, 0x260
	s_brev_b32 s31, -2
	s_mov_b64 s[8:9], 0xffff
	v_mov_b32_e32 v17, 0x7f800000
	s_branch .LBB235_139
.LBB235_136:                            ;   in Loop: Header=BB235_139 Depth=1
	s_or_b64 exec, exec, s[0:1]
	v_mov_b32_e32 v10, v6
.LBB235_137:                            ;   in Loop: Header=BB235_139 Depth=1
	s_or_b64 exec, exec, s[12:13]
.LBB235_138:                            ;   in Loop: Header=BB235_139 Depth=1
	s_or_b64 exec, exec, s[10:11]
	v_mov_b32_e32 v3, v11
	v_cmp_le_i64_e32 vcc, s[14:15], v[12:13]
	v_cmp_lt_u64_e64 s[0:1], s[8:9], v[12:13]
	global_store_dwordx4 v[14:15], v[0:3], off
	s_or_b64 s[0:1], vcc, s[0:1]
	v_mov_b32_e32 v0, s7
	v_add_co_u32_e32 v12, vcc, s24, v12
	v_mov_b32_e32 v11, v7
	v_addc_co_u32_e32 v13, vcc, v13, v0, vcc
	global_store_dwordx4 v[14:15], v[8:11], off offset:16
	v_mov_b32_e32 v0, s26
	s_and_b64 s[0:1], exec, s[0:1]
	v_add_co_u32_e32 v14, vcc, s25, v14
	s_or_b64 s[4:5], s[0:1], s[4:5]
	v_addc_co_u32_e32 v15, vcc, v15, v0, vcc
	s_andn2_b64 exec, exec, s[4:5]
	s_cbranch_execz .LBB235_249
.LBB235_139:                            ; =>This Inner Loop Header: Depth=1
	global_load_dwordx4 v[8:11], v[14:15], off
	global_load_dwordx4 v[4:7], v[14:15], off offset:16
	v_mov_b32_e32 v2, 0
	v_mov_b32_e32 v0, 0
	s_waitcnt vmcnt(1)
	v_cmp_neq_f32_e32 vcc, 0, v8
	v_cmp_neq_f32_e64 s[0:1], 0, v9
	s_or_b64 s[0:1], vcc, s[0:1]
	v_mov_b32_e32 v1, v9
	s_and_saveexec_b64 s[10:11], s[0:1]
	s_cbranch_execz .LBB235_166
; %bb.140:                              ;   in Loop: Header=BB235_139 Depth=1
	v_cmp_neq_f32_e64 s[0:1], |v9|, s27
	v_mov_b32_e32 v0, 0x7f800000
	v_mov_b32_e32 v1, v9
	s_and_saveexec_b64 s[12:13], s[0:1]
	s_cbranch_execz .LBB235_165
; %bb.141:                              ;   in Loop: Header=BB235_139 Depth=1
	v_cmp_o_f32_e32 vcc, v8, v8
	s_and_saveexec_b64 s[0:1], vcc
	s_xor_b64 s[16:17], exec, s[0:1]
	s_cbranch_execz .LBB235_162
; %bb.142:                              ;   in Loop: Header=BB235_139 Depth=1
	v_cmp_neq_f32_e64 s[0:1], |v8|, s27
	s_and_saveexec_b64 s[2:3], s[0:1]
	s_xor_b64 s[18:19], exec, s[2:3]
	s_cbranch_execz .LBB235_156
; %bb.143:                              ;   in Loop: Header=BB235_139 Depth=1
	v_max_f32_e64 v0, |v9|, |v9|
	v_max_f32_e64 v1, |v8|, |v8|
	v_max_f32_e32 v0, v1, v0
	v_cmp_nle_f32_e64 s[0:1], s28, v0
                                        ; implicit-def: $sgpr20_sgpr21
                                        ; implicit-def: $vgpr0_vgpr1
	s_and_saveexec_b64 s[2:3], s[0:1]
	s_xor_b64 s[2:3], exec, s[2:3]
; %bb.144:                              ;   in Loop: Header=BB235_139 Depth=1
	v_cmp_nle_f32_e64 s[20:21], |v8|, s29
	v_cmp_nle_f32_e64 s[22:23], |v9|, s29
	s_or_b64 vcc, s[20:21], s[22:23]
	v_pk_mul_f32 v[0:1], v[8:9], 4.0 op_sel_hi:[1,0]
	s_xor_b64 s[20:21], vcc, -1
	v_cndmask_b32_e32 v1, v1, v9, vcc
	v_cndmask_b32_e32 v0, v0, v8, vcc
	s_and_b64 s[20:21], s[20:21], exec
; %bb.145:                              ;   in Loop: Header=BB235_139 Depth=1
	s_andn2_saveexec_b64 s[2:3], s[2:3]
; %bb.146:                              ;   in Loop: Header=BB235_139 Depth=1
	v_pk_mul_f32 v[0:1], v[8:9], s[6:7] op_sel_hi:[1,0]
	s_andn2_b64 s[20:21], s[20:21], exec
; %bb.147:                              ;   in Loop: Header=BB235_139 Depth=1
	s_or_b64 exec, exec, s[2:3]
	v_max_f32_e64 v3, |v1|, |v1|
	v_max_f32_e64 v18, |v0|, |v0|
	v_max_f32_e32 v3, v18, v3
	v_cvt_f64_f32_e32 v[18:19], v3
	v_frexp_exp_i32_f64_e32 v18, v[18:19]
	v_sub_u32_e32 v19, 0, v18
	v_ldexp_f32 v20, |v0|, v19
	v_ldexp_f32 v19, |v1|, v19
	v_mul_f32_e32 v19, v19, v19
	v_fmac_f32_e32 v19, v20, v20
	v_sqrt_f32_e32 v19, v19
	v_cmp_neq_f32_e64 s[2:3], s27, v3
	v_cmp_le_f32_e32 vcc, 0, v0
                                        ; implicit-def: $vgpr3
	v_ldexp_f32 v18, v19, v18
	v_cndmask_b32_e64 v19, v17, v18, s[2:3]
                                        ; implicit-def: $vgpr18
	s_and_saveexec_b64 s[2:3], vcc
	s_xor_b64 s[22:23], exec, s[2:3]
	s_cbranch_execz .LBB235_151
; %bb.148:                              ;   in Loop: Header=BB235_139 Depth=1
	v_add_f32_e32 v0, v0, v19
	v_mul_f32_e32 v0, 0.5, v0
	v_mul_f32_e32 v3, 0x4f800000, v0
	v_cmp_gt_f32_e32 vcc, s30, v0
	v_cndmask_b32_e32 v0, v0, v3, vcc
	v_sqrt_f32_e32 v3, v0
	v_add_u32_e32 v18, -1, v3
	v_fma_f32 v20, -v18, v3, v0
	v_add_u32_e32 v19, 1, v3
	v_cmp_ge_f32_e64 s[2:3], 0, v20
	v_cndmask_b32_e64 v18, v3, v18, s[2:3]
	v_fma_f32 v3, -v19, v3, v0
	v_cmp_lt_f32_e64 s[2:3], 0, v3
	v_cndmask_b32_e64 v3, v18, v19, s[2:3]
	v_mul_f32_e32 v18, 0x37800000, v3
	v_cndmask_b32_e32 v3, v3, v18, vcc
	v_cmp_class_f32_e32 vcc, v0, v16
	v_cndmask_b32_e32 v3, v3, v0, vcc
	v_add_f32_e32 v0, v3, v3
	v_div_scale_f32 v18, s[2:3], v0, v0, v1
	v_rcp_f32_e32 v19, v18
	v_fma_f32 v20, -v18, v19, 1.0
	v_fmac_f32_e32 v19, v20, v19
	v_div_scale_f32 v20, vcc, v1, v0, v1
	v_mul_f32_e32 v21, v20, v19
	v_fma_f32 v22, -v18, v21, v20
	v_fmac_f32_e32 v21, v22, v19
	v_fma_f32 v18, -v18, v21, v20
	v_div_fmas_f32 v18, v18, v19, v21
	v_div_fixup_f32 v18, v18, v0, v1
                                        ; implicit-def: $vgpr19
                                        ; implicit-def: $vgpr0_vgpr1
	s_andn2_saveexec_b64 s[22:23], s[22:23]
	s_cbranch_execnz .LBB235_152
.LBB235_149:                            ;   in Loop: Header=BB235_139 Depth=1
	s_or_b64 exec, exec, s[22:23]
	s_and_saveexec_b64 s[2:3], s[0:1]
	s_xor_b64 s[0:1], exec, s[2:3]
	s_cbranch_execz .LBB235_153
.LBB235_150:                            ;   in Loop: Header=BB235_139 Depth=1
	v_mul_f32_e32 v0, 0.5, v3
	v_mul_f32_e32 v1, 0.5, v18
	v_cndmask_b32_e64 v0, v3, v0, s[20:21]
	v_cndmask_b32_e64 v1, v18, v1, s[20:21]
                                        ; implicit-def: $vgpr3
                                        ; implicit-def: $vgpr18
	s_andn2_saveexec_b64 s[0:1], s[0:1]
	s_cbranch_execnz .LBB235_154
	s_branch .LBB235_155
.LBB235_151:                            ;   in Loop: Header=BB235_139 Depth=1
	s_andn2_saveexec_b64 s[22:23], s[22:23]
	s_cbranch_execz .LBB235_149
.LBB235_152:                            ;   in Loop: Header=BB235_139 Depth=1
	v_sub_f32_e32 v0, v19, v0
	v_mul_f32_e32 v0, 0.5, v0
	v_mul_f32_e32 v3, 0x4f800000, v0
	v_cmp_gt_f32_e32 vcc, s30, v0
	v_cndmask_b32_e32 v0, v0, v3, vcc
	v_sqrt_f32_e32 v3, v0
	v_add_u32_e32 v18, -1, v3
	v_fma_f32 v20, -v18, v3, v0
	v_add_u32_e32 v19, 1, v3
	v_cmp_ge_f32_e64 s[2:3], 0, v20
	v_cndmask_b32_e64 v18, v3, v18, s[2:3]
	v_fma_f32 v3, -v19, v3, v0
	v_cmp_lt_f32_e64 s[2:3], 0, v3
	v_cndmask_b32_e64 v3, v18, v19, s[2:3]
	v_mul_f32_e32 v18, 0x37800000, v3
	v_cndmask_b32_e32 v3, v3, v18, vcc
	v_cmp_class_f32_e32 vcc, v0, v16
	v_cndmask_b32_e32 v0, v3, v0, vcc
	v_add_f32_e32 v3, v0, v0
	v_and_b32_e32 v18, 0x7fffffff, v1
	v_div_scale_f32 v19, s[2:3], v3, v3, v18
	v_rcp_f32_e32 v20, v19
	v_div_scale_f32 v18, vcc, v18, v3, v18
	v_fma_f32 v21, -v19, v20, 1.0
	v_fmac_f32_e32 v20, v21, v20
	v_mul_f32_e32 v21, v18, v20
	v_fma_f32 v22, -v19, v21, v18
	v_fmac_f32_e32 v21, v22, v20
	v_fma_f32 v18, -v19, v21, v18
	v_div_fmas_f32 v18, v18, v20, v21
	v_div_fixup_f32 v3, v18, v3, |v1|
	v_bfi_b32 v18, s31, v0, v1
	s_or_b64 exec, exec, s[22:23]
	s_and_saveexec_b64 s[2:3], s[0:1]
	s_xor_b64 s[0:1], exec, s[2:3]
	s_cbranch_execnz .LBB235_150
.LBB235_153:                            ;   in Loop: Header=BB235_139 Depth=1
	s_andn2_saveexec_b64 s[0:1], s[0:1]
.LBB235_154:                            ;   in Loop: Header=BB235_139 Depth=1
	v_add_f32_e32 v0, v3, v3
	v_add_f32_e32 v1, v18, v18
.LBB235_155:                            ;   in Loop: Header=BB235_139 Depth=1
	s_or_b64 exec, exec, s[0:1]
.LBB235_156:                            ;   in Loop: Header=BB235_139 Depth=1
	s_andn2_saveexec_b64 s[0:1], s[18:19]
	s_cbranch_execz .LBB235_176
; %bb.157:                              ;   in Loop: Header=BB235_139 Depth=1
	v_cmp_lt_i32_e32 vcc, -1, v8
	v_sub_f32_e32 v3, v9, v9
	s_and_saveexec_b64 s[2:3], vcc
	s_xor_b64 s[2:3], exec, s[2:3]
; %bb.158:                              ;   in Loop: Header=BB235_139 Depth=1
	v_bfi_b32 v1, s31, v3, v9
                                        ; implicit-def: $vgpr3
; %bb.159:                              ;   in Loop: Header=BB235_139 Depth=1
	s_or_saveexec_b64 s[2:3], s[2:3]
	v_mov_b32_e32 v0, v8
	s_xor_b64 exec, exec, s[2:3]
; %bb.160:                              ;   in Loop: Header=BB235_139 Depth=1
	v_and_b32_e32 v0, 0x7fffffff, v3
	v_bfi_b32 v1, s31, v8, v9
; %bb.161:                              ;   in Loop: Header=BB235_139 Depth=1
	s_or_b64 exec, exec, s[2:3]
	s_or_b64 exec, exec, s[0:1]
.LBB235_162:                            ;   in Loop: Header=BB235_139 Depth=1
	s_andn2_saveexec_b64 s[0:1], s[16:17]
	s_cbranch_execz .LBB235_164
.LBB235_163:                            ;   in Loop: Header=BB235_139 Depth=1
	v_sub_f32_e32 v0, v9, v9
	v_div_scale_f32 v1, vcc, v0, v0, v0
	v_rcp_f32_e32 v3, v1
	v_fma_f32 v9, -v1, v3, 1.0
	v_fmac_f32_e32 v3, v9, v3
	v_mul_f32_e32 v9, v1, v3
	v_fma_f32 v18, -v1, v9, v1
	v_fmac_f32_e32 v9, v18, v3
	v_fma_f32 v1, -v1, v9, v1
	v_div_fmas_f32 v1, v1, v3, v9
	v_div_fixup_f32 v1, v1, v0, v0
	v_mov_b32_e32 v0, v8
.LBB235_164:                            ;   in Loop: Header=BB235_139 Depth=1
	s_or_b64 exec, exec, s[0:1]
.LBB235_165:                            ;   in Loop: Header=BB235_139 Depth=1
	s_or_b64 exec, exec, s[12:13]
.LBB235_166:                            ;   in Loop: Header=BB235_139 Depth=1
	s_or_b64 exec, exec, s[10:11]
	v_cmp_neq_f32_e32 vcc, 0, v10
	v_cmp_neq_f32_e64 s[0:1], 0, v11
	s_or_b64 s[0:1], vcc, s[0:1]
	s_and_saveexec_b64 s[10:11], s[0:1]
	s_cbranch_execz .LBB235_195
; %bb.167:                              ;   in Loop: Header=BB235_139 Depth=1
	v_cmp_neq_f32_e64 s[0:1], |v11|, s27
	v_mov_b32_e32 v2, 0x7f800000
	s_and_saveexec_b64 s[12:13], s[0:1]
	s_cbranch_execz .LBB235_194
; %bb.168:                              ;   in Loop: Header=BB235_139 Depth=1
	v_cmp_o_f32_e32 vcc, v10, v10
	s_and_saveexec_b64 s[0:1], vcc
	s_xor_b64 s[16:17], exec, s[0:1]
	s_cbranch_execz .LBB235_191
; %bb.169:                              ;   in Loop: Header=BB235_139 Depth=1
	v_cmp_neq_f32_e64 s[0:1], |v10|, s27
	s_and_saveexec_b64 s[2:3], s[0:1]
	s_xor_b64 s[18:19], exec, s[2:3]
	s_cbranch_execz .LBB235_184
; %bb.170:                              ;   in Loop: Header=BB235_139 Depth=1
	v_max_f32_e64 v2, |v11|, |v11|
	v_max_f32_e64 v3, |v10|, |v10|
	v_max_f32_e32 v2, v3, v2
	v_cmp_nle_f32_e64 s[0:1], s28, v2
                                        ; implicit-def: $sgpr20_sgpr21
                                        ; implicit-def: $vgpr2_vgpr3
	s_and_saveexec_b64 s[2:3], s[0:1]
	s_xor_b64 s[2:3], exec, s[2:3]
; %bb.171:                              ;   in Loop: Header=BB235_139 Depth=1
	v_cmp_nle_f32_e64 s[20:21], |v10|, s29
	v_cmp_nle_f32_e64 s[22:23], |v11|, s29
	s_or_b64 vcc, s[20:21], s[22:23]
	v_pk_mul_f32 v[2:3], v[10:11], 4.0 op_sel_hi:[1,0]
	s_xor_b64 s[20:21], vcc, -1
	v_cndmask_b32_e32 v3, v3, v11, vcc
	v_cndmask_b32_e32 v2, v2, v10, vcc
	s_and_b64 s[20:21], s[20:21], exec
                                        ; implicit-def: $vgpr10_vgpr11
; %bb.172:                              ;   in Loop: Header=BB235_139 Depth=1
	s_andn2_saveexec_b64 s[2:3], s[2:3]
; %bb.173:                              ;   in Loop: Header=BB235_139 Depth=1
	v_pk_mul_f32 v[2:3], v[10:11], s[6:7] op_sel_hi:[1,0]
	s_andn2_b64 s[20:21], s[20:21], exec
; %bb.174:                              ;   in Loop: Header=BB235_139 Depth=1
	s_or_b64 exec, exec, s[2:3]
	v_max_f32_e64 v8, |v3|, |v3|
	v_max_f32_e64 v9, |v2|, |v2|
	v_max_f32_e32 v10, v9, v8
	v_cvt_f64_f32_e32 v[8:9], v10
	v_frexp_exp_i32_f64_e32 v8, v[8:9]
	v_sub_u32_e32 v9, 0, v8
	v_ldexp_f32 v11, |v2|, v9
	v_ldexp_f32 v9, |v3|, v9
	v_mul_f32_e32 v9, v9, v9
	v_fmac_f32_e32 v9, v11, v11
	v_sqrt_f32_e32 v9, v9
	v_cmp_neq_f32_e64 s[2:3], s27, v10
	v_cmp_le_f32_e32 vcc, 0, v2
	v_ldexp_f32 v8, v9, v8
	v_cndmask_b32_e64 v10, v17, v8, s[2:3]
                                        ; implicit-def: $vgpr9
                                        ; implicit-def: $vgpr8
	s_and_saveexec_b64 s[2:3], vcc
	s_xor_b64 s[22:23], exec, s[2:3]
	s_cbranch_execz .LBB235_177
; %bb.175:                              ;   in Loop: Header=BB235_139 Depth=1
	v_add_f32_e32 v2, v2, v10
	v_mul_f32_e32 v2, 0.5, v2
	v_mul_f32_e32 v8, 0x4f800000, v2
	v_cmp_gt_f32_e32 vcc, s30, v2
	v_cndmask_b32_e32 v2, v2, v8, vcc
	v_sqrt_f32_e32 v8, v2
	v_add_u32_e32 v9, -1, v8
	v_fma_f32 v11, -v9, v8, v2
	v_add_u32_e32 v10, 1, v8
	v_cmp_ge_f32_e64 s[2:3], 0, v11
	v_cndmask_b32_e64 v9, v8, v9, s[2:3]
	v_fma_f32 v8, -v10, v8, v2
	v_cmp_lt_f32_e64 s[2:3], 0, v8
	v_cndmask_b32_e64 v8, v9, v10, s[2:3]
	v_mul_f32_e32 v9, 0x37800000, v8
	v_cndmask_b32_e32 v8, v8, v9, vcc
	v_cmp_class_f32_e32 vcc, v2, v16
	v_cndmask_b32_e32 v8, v8, v2, vcc
	v_add_f32_e32 v2, v8, v8
	v_div_scale_f32 v9, s[2:3], v2, v2, v3
	v_rcp_f32_e32 v10, v9
	v_fma_f32 v11, -v9, v10, 1.0
	v_fmac_f32_e32 v10, v11, v10
	v_div_scale_f32 v11, vcc, v3, v2, v3
	v_mul_f32_e32 v18, v11, v10
	v_fma_f32 v19, -v9, v18, v11
	v_fmac_f32_e32 v18, v19, v10
	v_fma_f32 v9, -v9, v18, v11
	v_div_fmas_f32 v9, v9, v10, v18
	v_div_fixup_f32 v9, v9, v2, v3
                                        ; implicit-def: $vgpr10
                                        ; implicit-def: $vgpr2_vgpr3
	s_andn2_saveexec_b64 s[22:23], s[22:23]
	s_cbranch_execz .LBB235_179
	s_branch .LBB235_178
.LBB235_176:                            ;   in Loop: Header=BB235_139 Depth=1
	s_or_b64 exec, exec, s[0:1]
	s_andn2_saveexec_b64 s[0:1], s[16:17]
	s_cbranch_execnz .LBB235_163
	s_branch .LBB235_164
.LBB235_177:                            ;   in Loop: Header=BB235_139 Depth=1
	s_andn2_saveexec_b64 s[22:23], s[22:23]
	s_cbranch_execz .LBB235_179
.LBB235_178:                            ;   in Loop: Header=BB235_139 Depth=1
	v_sub_f32_e32 v2, v10, v2
	v_mul_f32_e32 v2, 0.5, v2
	v_mul_f32_e32 v8, 0x4f800000, v2
	v_cmp_gt_f32_e32 vcc, s30, v2
	v_cndmask_b32_e32 v2, v2, v8, vcc
	v_sqrt_f32_e32 v8, v2
	v_add_u32_e32 v9, -1, v8
	v_fma_f32 v11, -v9, v8, v2
	v_add_u32_e32 v10, 1, v8
	v_cmp_ge_f32_e64 s[2:3], 0, v11
	v_cndmask_b32_e64 v9, v8, v9, s[2:3]
	v_fma_f32 v8, -v10, v8, v2
	v_cmp_lt_f32_e64 s[2:3], 0, v8
	v_cndmask_b32_e64 v8, v9, v10, s[2:3]
	v_mul_f32_e32 v9, 0x37800000, v8
	v_cndmask_b32_e32 v8, v8, v9, vcc
	v_cmp_class_f32_e32 vcc, v2, v16
	v_cndmask_b32_e32 v2, v8, v2, vcc
	v_add_f32_e32 v8, v2, v2
	v_and_b32_e32 v9, 0x7fffffff, v3
	v_div_scale_f32 v10, s[2:3], v8, v8, v9
	v_rcp_f32_e32 v11, v10
	v_div_scale_f32 v9, vcc, v9, v8, v9
	v_fma_f32 v18, -v10, v11, 1.0
	v_fmac_f32_e32 v11, v18, v11
	v_mul_f32_e32 v18, v9, v11
	v_fma_f32 v19, -v10, v18, v9
	v_fmac_f32_e32 v18, v19, v11
	v_fma_f32 v9, -v10, v18, v9
	v_div_fmas_f32 v9, v9, v11, v18
	v_div_fixup_f32 v8, v9, v8, |v3|
	v_bfi_b32 v9, s31, v2, v3
.LBB235_179:                            ;   in Loop: Header=BB235_139 Depth=1
	s_or_b64 exec, exec, s[22:23]
                                        ; implicit-def: $vgpr11
	s_and_saveexec_b64 s[2:3], s[0:1]
	s_xor_b64 s[0:1], exec, s[2:3]
	s_cbranch_execz .LBB235_181
; %bb.180:                              ;   in Loop: Header=BB235_139 Depth=1
	v_mul_f32_e32 v2, 0.5, v8
	v_mul_f32_e32 v3, 0.5, v9
	v_cndmask_b32_e64 v10, v8, v2, s[20:21]
	v_cndmask_b32_e64 v11, v9, v3, s[20:21]
                                        ; implicit-def: $vgpr8
                                        ; implicit-def: $vgpr9
	s_andn2_saveexec_b64 s[0:1], s[0:1]
	s_cbranch_execnz .LBB235_182
	s_branch .LBB235_183
.LBB235_181:                            ;   in Loop: Header=BB235_139 Depth=1
	s_andn2_saveexec_b64 s[0:1], s[0:1]
.LBB235_182:                            ;   in Loop: Header=BB235_139 Depth=1
	v_add_f32_e32 v10, v8, v8
	v_add_f32_e32 v11, v9, v9
.LBB235_183:                            ;   in Loop: Header=BB235_139 Depth=1
	s_or_b64 exec, exec, s[0:1]
.LBB235_184:                            ;   in Loop: Header=BB235_139 Depth=1
	s_andn2_saveexec_b64 s[0:1], s[18:19]
	s_cbranch_execz .LBB235_190
; %bb.185:                              ;   in Loop: Header=BB235_139 Depth=1
	v_cmp_lt_i32_e32 vcc, -1, v10
	v_sub_f32_e32 v2, v11, v11
	s_and_saveexec_b64 s[2:3], vcc
	s_xor_b64 s[2:3], exec, s[2:3]
; %bb.186:                              ;   in Loop: Header=BB235_139 Depth=1
	v_bfi_b32 v11, s31, v2, v11
                                        ; implicit-def: $vgpr2
; %bb.187:                              ;   in Loop: Header=BB235_139 Depth=1
	s_andn2_saveexec_b64 s[2:3], s[2:3]
; %bb.188:                              ;   in Loop: Header=BB235_139 Depth=1
	v_and_b32_e32 v2, 0x7fffffff, v2
	v_bfi_b32 v11, s31, v10, v11
	v_mov_b32_e32 v10, v2
; %bb.189:                              ;   in Loop: Header=BB235_139 Depth=1
	s_or_b64 exec, exec, s[2:3]
.LBB235_190:                            ;   in Loop: Header=BB235_139 Depth=1
	s_or_b64 exec, exec, s[0:1]
.LBB235_191:                            ;   in Loop: Header=BB235_139 Depth=1
	s_andn2_saveexec_b64 s[0:1], s[16:17]
; %bb.192:                              ;   in Loop: Header=BB235_139 Depth=1
	v_sub_f32_e32 v2, v11, v11
	v_div_scale_f32 v3, vcc, v2, v2, v2
	v_rcp_f32_e32 v8, v3
	v_fma_f32 v9, -v3, v8, 1.0
	v_fmac_f32_e32 v8, v9, v8
	v_mul_f32_e32 v9, v3, v8
	v_fma_f32 v11, -v3, v9, v3
	v_fmac_f32_e32 v9, v11, v8
	v_fma_f32 v3, -v3, v9, v3
	v_div_fmas_f32 v3, v3, v8, v9
	v_div_fixup_f32 v11, v3, v2, v2
; %bb.193:                              ;   in Loop: Header=BB235_139 Depth=1
	s_or_b64 exec, exec, s[0:1]
	v_mov_b32_e32 v2, v10
.LBB235_194:                            ;   in Loop: Header=BB235_139 Depth=1
	s_or_b64 exec, exec, s[12:13]
.LBB235_195:                            ;   in Loop: Header=BB235_139 Depth=1
	s_or_b64 exec, exec, s[10:11]
	s_waitcnt vmcnt(0)
	v_cmp_neq_f32_e32 vcc, 0, v4
	v_cmp_neq_f32_e64 s[0:1], 0, v5
	s_or_b64 s[0:1], vcc, s[0:1]
	v_mov_b32_e32 v10, 0
	v_mov_b32_e32 v8, 0
	;; [unrolled: 1-line block ×3, first 2 shown]
	s_and_saveexec_b64 s[10:11], s[0:1]
	s_cbranch_execz .LBB235_223
; %bb.196:                              ;   in Loop: Header=BB235_139 Depth=1
	v_cmp_neq_f32_e64 s[0:1], |v5|, s27
	v_mov_b32_e32 v8, 0x7f800000
	v_mov_b32_e32 v9, v5
	s_and_saveexec_b64 s[12:13], s[0:1]
	s_cbranch_execz .LBB235_222
; %bb.197:                              ;   in Loop: Header=BB235_139 Depth=1
	v_cmp_o_f32_e32 vcc, v4, v4
	s_and_saveexec_b64 s[0:1], vcc
	s_xor_b64 s[16:17], exec, s[0:1]
	s_cbranch_execz .LBB235_219
; %bb.198:                              ;   in Loop: Header=BB235_139 Depth=1
	v_cmp_neq_f32_e64 s[0:1], |v4|, s27
	s_and_saveexec_b64 s[2:3], s[0:1]
	s_xor_b64 s[18:19], exec, s[2:3]
	s_cbranch_execz .LBB235_212
; %bb.199:                              ;   in Loop: Header=BB235_139 Depth=1
	v_max_f32_e64 v3, |v5|, |v5|
	v_max_f32_e64 v8, |v4|, |v4|
	v_max_f32_e32 v3, v8, v3
	v_cmp_nle_f32_e64 s[0:1], s28, v3
                                        ; implicit-def: $sgpr20_sgpr21
                                        ; implicit-def: $vgpr8_vgpr9
	s_and_saveexec_b64 s[2:3], s[0:1]
	s_xor_b64 s[2:3], exec, s[2:3]
; %bb.200:                              ;   in Loop: Header=BB235_139 Depth=1
	v_cmp_nle_f32_e64 s[20:21], |v4|, s29
	v_cmp_nle_f32_e64 s[22:23], |v5|, s29
	s_or_b64 vcc, s[20:21], s[22:23]
	v_pk_mul_f32 v[8:9], v[4:5], 4.0 op_sel_hi:[1,0]
	s_xor_b64 s[20:21], vcc, -1
	v_cndmask_b32_e32 v9, v9, v5, vcc
	v_cndmask_b32_e32 v8, v8, v4, vcc
	s_and_b64 s[20:21], s[20:21], exec
; %bb.201:                              ;   in Loop: Header=BB235_139 Depth=1
	s_andn2_saveexec_b64 s[2:3], s[2:3]
; %bb.202:                              ;   in Loop: Header=BB235_139 Depth=1
	v_pk_mul_f32 v[8:9], v[4:5], s[6:7] op_sel_hi:[1,0]
	s_andn2_b64 s[20:21], s[20:21], exec
; %bb.203:                              ;   in Loop: Header=BB235_139 Depth=1
	s_or_b64 exec, exec, s[2:3]
	v_max_f32_e64 v3, |v9|, |v9|
	v_max_f32_e64 v18, |v8|, |v8|
	v_max_f32_e32 v3, v18, v3
	v_cvt_f64_f32_e32 v[18:19], v3
	v_frexp_exp_i32_f64_e32 v18, v[18:19]
	v_sub_u32_e32 v19, 0, v18
	v_ldexp_f32 v20, |v8|, v19
	v_ldexp_f32 v19, |v9|, v19
	v_mul_f32_e32 v19, v19, v19
	v_fmac_f32_e32 v19, v20, v20
	v_sqrt_f32_e32 v19, v19
	v_cmp_neq_f32_e64 s[2:3], s27, v3
	v_cmp_le_f32_e32 vcc, 0, v8
                                        ; implicit-def: $vgpr3
	v_ldexp_f32 v18, v19, v18
	v_cndmask_b32_e64 v19, v17, v18, s[2:3]
                                        ; implicit-def: $vgpr18
	s_and_saveexec_b64 s[2:3], vcc
	s_xor_b64 s[22:23], exec, s[2:3]
	s_cbranch_execz .LBB235_207
; %bb.204:                              ;   in Loop: Header=BB235_139 Depth=1
	v_add_f32_e32 v3, v8, v19
	v_mul_f32_e32 v3, 0.5, v3
	v_mul_f32_e32 v8, 0x4f800000, v3
	v_cmp_gt_f32_e32 vcc, s30, v3
	v_cndmask_b32_e32 v3, v3, v8, vcc
	v_sqrt_f32_e32 v8, v3
	v_add_u32_e32 v18, -1, v8
	v_fma_f32 v20, -v18, v8, v3
	v_add_u32_e32 v19, 1, v8
	v_cmp_ge_f32_e64 s[2:3], 0, v20
	v_cndmask_b32_e64 v18, v8, v18, s[2:3]
	v_fma_f32 v8, -v19, v8, v3
	v_cmp_lt_f32_e64 s[2:3], 0, v8
	v_cndmask_b32_e64 v8, v18, v19, s[2:3]
	v_mul_f32_e32 v18, 0x37800000, v8
	v_cndmask_b32_e32 v8, v8, v18, vcc
	v_cmp_class_f32_e32 vcc, v3, v16
	v_cndmask_b32_e32 v3, v8, v3, vcc
	v_add_f32_e32 v8, v3, v3
	v_div_scale_f32 v18, s[2:3], v8, v8, v9
	v_rcp_f32_e32 v19, v18
	v_fma_f32 v20, -v18, v19, 1.0
	v_fmac_f32_e32 v19, v20, v19
	v_div_scale_f32 v20, vcc, v9, v8, v9
	v_mul_f32_e32 v21, v20, v19
	v_fma_f32 v22, -v18, v21, v20
	v_fmac_f32_e32 v21, v22, v19
	v_fma_f32 v18, -v18, v21, v20
	v_div_fmas_f32 v18, v18, v19, v21
	v_div_fixup_f32 v18, v18, v8, v9
                                        ; implicit-def: $vgpr19
                                        ; implicit-def: $vgpr8_vgpr9
	s_andn2_saveexec_b64 s[22:23], s[22:23]
	s_cbranch_execnz .LBB235_208
.LBB235_205:                            ;   in Loop: Header=BB235_139 Depth=1
	s_or_b64 exec, exec, s[22:23]
	s_and_saveexec_b64 s[2:3], s[0:1]
	s_xor_b64 s[0:1], exec, s[2:3]
	s_cbranch_execz .LBB235_209
.LBB235_206:                            ;   in Loop: Header=BB235_139 Depth=1
	v_mul_f32_e32 v8, 0.5, v3
	v_mul_f32_e32 v9, 0.5, v18
	v_cndmask_b32_e64 v8, v3, v8, s[20:21]
	v_cndmask_b32_e64 v9, v18, v9, s[20:21]
                                        ; implicit-def: $vgpr3
                                        ; implicit-def: $vgpr18
	s_andn2_saveexec_b64 s[0:1], s[0:1]
	s_cbranch_execnz .LBB235_210
	s_branch .LBB235_211
.LBB235_207:                            ;   in Loop: Header=BB235_139 Depth=1
	s_andn2_saveexec_b64 s[22:23], s[22:23]
	s_cbranch_execz .LBB235_205
.LBB235_208:                            ;   in Loop: Header=BB235_139 Depth=1
	v_sub_f32_e32 v3, v19, v8
	v_mul_f32_e32 v3, 0.5, v3
	v_mul_f32_e32 v8, 0x4f800000, v3
	v_cmp_gt_f32_e32 vcc, s30, v3
	v_cndmask_b32_e32 v3, v3, v8, vcc
	v_sqrt_f32_e32 v8, v3
	v_add_u32_e32 v18, -1, v8
	v_fma_f32 v20, -v18, v8, v3
	v_add_u32_e32 v19, 1, v8
	v_cmp_ge_f32_e64 s[2:3], 0, v20
	v_cndmask_b32_e64 v18, v8, v18, s[2:3]
	v_fma_f32 v8, -v19, v8, v3
	v_cmp_lt_f32_e64 s[2:3], 0, v8
	v_cndmask_b32_e64 v8, v18, v19, s[2:3]
	v_mul_f32_e32 v18, 0x37800000, v8
	v_cndmask_b32_e32 v8, v8, v18, vcc
	v_cmp_class_f32_e32 vcc, v3, v16
	v_cndmask_b32_e32 v8, v8, v3, vcc
	v_add_f32_e32 v3, v8, v8
	v_and_b32_e32 v18, 0x7fffffff, v9
	v_div_scale_f32 v19, s[2:3], v3, v3, v18
	v_rcp_f32_e32 v20, v19
	v_div_scale_f32 v18, vcc, v18, v3, v18
	v_fma_f32 v21, -v19, v20, 1.0
	v_fmac_f32_e32 v20, v21, v20
	v_mul_f32_e32 v21, v18, v20
	v_fma_f32 v22, -v19, v21, v18
	v_fmac_f32_e32 v21, v22, v20
	v_fma_f32 v18, -v19, v21, v18
	v_div_fmas_f32 v18, v18, v20, v21
	v_div_fixup_f32 v3, v18, v3, |v9|
	v_bfi_b32 v18, s31, v8, v9
	s_or_b64 exec, exec, s[22:23]
	s_and_saveexec_b64 s[2:3], s[0:1]
	s_xor_b64 s[0:1], exec, s[2:3]
	s_cbranch_execnz .LBB235_206
.LBB235_209:                            ;   in Loop: Header=BB235_139 Depth=1
	s_andn2_saveexec_b64 s[0:1], s[0:1]
.LBB235_210:                            ;   in Loop: Header=BB235_139 Depth=1
	v_add_f32_e32 v8, v3, v3
	v_add_f32_e32 v9, v18, v18
.LBB235_211:                            ;   in Loop: Header=BB235_139 Depth=1
	s_or_b64 exec, exec, s[0:1]
.LBB235_212:                            ;   in Loop: Header=BB235_139 Depth=1
	s_andn2_saveexec_b64 s[0:1], s[18:19]
	s_cbranch_execz .LBB235_218
; %bb.213:                              ;   in Loop: Header=BB235_139 Depth=1
	v_cmp_lt_i32_e32 vcc, -1, v4
	v_sub_f32_e32 v3, v5, v5
	s_and_saveexec_b64 s[2:3], vcc
	s_xor_b64 s[2:3], exec, s[2:3]
; %bb.214:                              ;   in Loop: Header=BB235_139 Depth=1
	v_bfi_b32 v9, s31, v3, v5
                                        ; implicit-def: $vgpr3
; %bb.215:                              ;   in Loop: Header=BB235_139 Depth=1
	s_or_saveexec_b64 s[2:3], s[2:3]
	v_mov_b32_e32 v8, v4
	s_xor_b64 exec, exec, s[2:3]
; %bb.216:                              ;   in Loop: Header=BB235_139 Depth=1
	v_and_b32_e32 v8, 0x7fffffff, v3
	v_bfi_b32 v9, s31, v4, v5
; %bb.217:                              ;   in Loop: Header=BB235_139 Depth=1
	s_or_b64 exec, exec, s[2:3]
.LBB235_218:                            ;   in Loop: Header=BB235_139 Depth=1
	s_or_b64 exec, exec, s[0:1]
.LBB235_219:                            ;   in Loop: Header=BB235_139 Depth=1
	s_andn2_saveexec_b64 s[0:1], s[16:17]
	s_cbranch_execz .LBB235_221
; %bb.220:                              ;   in Loop: Header=BB235_139 Depth=1
	v_sub_f32_e32 v3, v5, v5
	v_div_scale_f32 v5, vcc, v3, v3, v3
	v_rcp_f32_e32 v8, v5
	v_fma_f32 v9, -v5, v8, 1.0
	v_fmac_f32_e32 v8, v9, v8
	v_mul_f32_e32 v9, v5, v8
	v_fma_f32 v18, -v5, v9, v5
	v_fmac_f32_e32 v9, v18, v8
	v_fma_f32 v5, -v5, v9, v5
	v_div_fmas_f32 v5, v5, v8, v9
	v_div_fixup_f32 v9, v5, v3, v3
	v_mov_b32_e32 v8, v4
.LBB235_221:                            ;   in Loop: Header=BB235_139 Depth=1
	s_or_b64 exec, exec, s[0:1]
.LBB235_222:                            ;   in Loop: Header=BB235_139 Depth=1
	s_or_b64 exec, exec, s[12:13]
.LBB235_223:                            ;   in Loop: Header=BB235_139 Depth=1
	s_or_b64 exec, exec, s[10:11]
	v_cmp_neq_f32_e32 vcc, 0, v6
	v_cmp_neq_f32_e64 s[0:1], 0, v7
	s_or_b64 s[0:1], vcc, s[0:1]
	s_and_saveexec_b64 s[10:11], s[0:1]
	s_cbranch_execz .LBB235_138
; %bb.224:                              ;   in Loop: Header=BB235_139 Depth=1
	v_cmp_neq_f32_e64 s[0:1], |v7|, s27
	v_mov_b32_e32 v10, 0x7f800000
	s_and_saveexec_b64 s[12:13], s[0:1]
	s_cbranch_execz .LBB235_137
; %bb.225:                              ;   in Loop: Header=BB235_139 Depth=1
	v_cmp_o_f32_e32 vcc, v6, v6
	s_and_saveexec_b64 s[0:1], vcc
	s_xor_b64 s[16:17], exec, s[0:1]
	s_cbranch_execz .LBB235_247
; %bb.226:                              ;   in Loop: Header=BB235_139 Depth=1
	v_cmp_neq_f32_e64 s[0:1], |v6|, s27
	s_and_saveexec_b64 s[2:3], s[0:1]
	s_xor_b64 s[18:19], exec, s[2:3]
	s_cbranch_execz .LBB235_240
; %bb.227:                              ;   in Loop: Header=BB235_139 Depth=1
	v_max_f32_e64 v3, |v7|, |v7|
	v_max_f32_e64 v4, |v6|, |v6|
	v_max_f32_e32 v3, v4, v3
	v_cmp_nle_f32_e64 s[0:1], s28, v3
                                        ; implicit-def: $sgpr20_sgpr21
                                        ; implicit-def: $vgpr4_vgpr5
	s_and_saveexec_b64 s[2:3], s[0:1]
	s_xor_b64 s[2:3], exec, s[2:3]
; %bb.228:                              ;   in Loop: Header=BB235_139 Depth=1
	v_cmp_nle_f32_e64 s[20:21], |v6|, s29
	v_cmp_nle_f32_e64 s[22:23], |v7|, s29
	s_or_b64 vcc, s[20:21], s[22:23]
	v_pk_mul_f32 v[4:5], v[6:7], 4.0 op_sel_hi:[1,0]
	s_xor_b64 s[20:21], vcc, -1
	v_cndmask_b32_e32 v5, v5, v7, vcc
	v_cndmask_b32_e32 v4, v4, v6, vcc
	s_and_b64 s[20:21], s[20:21], exec
                                        ; implicit-def: $vgpr6_vgpr7
; %bb.229:                              ;   in Loop: Header=BB235_139 Depth=1
	s_andn2_saveexec_b64 s[2:3], s[2:3]
; %bb.230:                              ;   in Loop: Header=BB235_139 Depth=1
	v_pk_mul_f32 v[4:5], v[6:7], s[6:7] op_sel_hi:[1,0]
	s_andn2_b64 s[20:21], s[20:21], exec
; %bb.231:                              ;   in Loop: Header=BB235_139 Depth=1
	s_or_b64 exec, exec, s[2:3]
	v_max_f32_e64 v3, |v5|, |v5|
	v_max_f32_e64 v6, |v4|, |v4|
	v_max_f32_e32 v3, v6, v3
	v_cvt_f64_f32_e32 v[6:7], v3
	v_frexp_exp_i32_f64_e32 v6, v[6:7]
	v_sub_u32_e32 v7, 0, v6
	v_ldexp_f32 v10, |v4|, v7
	v_ldexp_f32 v7, |v5|, v7
	v_mul_f32_e32 v7, v7, v7
	v_fmac_f32_e32 v7, v10, v10
	v_sqrt_f32_e32 v7, v7
	v_cmp_neq_f32_e64 s[2:3], s27, v3
	v_cmp_le_f32_e32 vcc, 0, v4
                                        ; implicit-def: $vgpr10
                                        ; implicit-def: $vgpr3
	v_ldexp_f32 v6, v7, v6
	v_cndmask_b32_e64 v6, v17, v6, s[2:3]
	s_and_saveexec_b64 s[2:3], vcc
	s_xor_b64 s[22:23], exec, s[2:3]
	s_cbranch_execz .LBB235_233
; %bb.232:                              ;   in Loop: Header=BB235_139 Depth=1
	v_add_f32_e32 v3, v4, v6
	v_mul_f32_e32 v3, 0.5, v3
	v_mul_f32_e32 v4, 0x4f800000, v3
	v_cmp_gt_f32_e32 vcc, s30, v3
	v_cndmask_b32_e32 v3, v3, v4, vcc
	v_sqrt_f32_e32 v4, v3
	v_add_u32_e32 v6, -1, v4
	v_fma_f32 v10, -v6, v4, v3
	v_add_u32_e32 v7, 1, v4
	v_cmp_ge_f32_e64 s[2:3], 0, v10
	v_cndmask_b32_e64 v6, v4, v6, s[2:3]
	v_fma_f32 v4, -v7, v4, v3
	v_cmp_lt_f32_e64 s[2:3], 0, v4
	v_cndmask_b32_e64 v4, v6, v7, s[2:3]
	v_mul_f32_e32 v6, 0x37800000, v4
	v_cndmask_b32_e32 v4, v4, v6, vcc
	v_cmp_class_f32_e32 vcc, v3, v16
	v_cndmask_b32_e32 v3, v4, v3, vcc
	v_add_f32_e32 v4, v3, v3
	v_div_scale_f32 v6, s[2:3], v4, v4, v5
	v_rcp_f32_e32 v7, v6
	v_fma_f32 v10, -v6, v7, 1.0
	v_fmac_f32_e32 v7, v10, v7
	v_div_scale_f32 v10, vcc, v5, v4, v5
	v_mul_f32_e32 v18, v10, v7
	v_fma_f32 v19, -v6, v18, v10
	v_fmac_f32_e32 v18, v19, v7
	v_fma_f32 v6, -v6, v18, v10
	v_div_fmas_f32 v6, v6, v7, v18
	v_div_fixup_f32 v10, v6, v4, v5
                                        ; implicit-def: $vgpr6
                                        ; implicit-def: $vgpr4_vgpr5
	s_andn2_saveexec_b64 s[22:23], s[22:23]
	s_cbranch_execz .LBB235_235
	s_branch .LBB235_234
.LBB235_233:                            ;   in Loop: Header=BB235_139 Depth=1
	s_andn2_saveexec_b64 s[22:23], s[22:23]
	s_cbranch_execz .LBB235_235
.LBB235_234:                            ;   in Loop: Header=BB235_139 Depth=1
	v_sub_f32_e32 v3, v6, v4
	v_mul_f32_e32 v3, 0.5, v3
	v_mul_f32_e32 v4, 0x4f800000, v3
	v_cmp_gt_f32_e32 vcc, s30, v3
	v_cndmask_b32_e32 v3, v3, v4, vcc
	v_sqrt_f32_e32 v4, v3
	v_add_u32_e32 v6, -1, v4
	v_fma_f32 v10, -v6, v4, v3
	v_add_u32_e32 v7, 1, v4
	v_cmp_ge_f32_e64 s[2:3], 0, v10
	v_cndmask_b32_e64 v6, v4, v6, s[2:3]
	v_fma_f32 v4, -v7, v4, v3
	v_cmp_lt_f32_e64 s[2:3], 0, v4
	v_cndmask_b32_e64 v4, v6, v7, s[2:3]
	v_mul_f32_e32 v6, 0x37800000, v4
	v_cndmask_b32_e32 v4, v4, v6, vcc
	v_cmp_class_f32_e32 vcc, v3, v16
	v_cndmask_b32_e32 v4, v4, v3, vcc
	v_add_f32_e32 v3, v4, v4
	v_and_b32_e32 v6, 0x7fffffff, v5
	v_div_scale_f32 v7, s[2:3], v3, v3, v6
	v_rcp_f32_e32 v10, v7
	v_div_scale_f32 v6, vcc, v6, v3, v6
	v_fma_f32 v18, -v7, v10, 1.0
	v_fmac_f32_e32 v10, v18, v10
	v_mul_f32_e32 v18, v6, v10
	v_fma_f32 v19, -v7, v18, v6
	v_fmac_f32_e32 v18, v19, v10
	v_fma_f32 v6, -v7, v18, v6
	v_div_fmas_f32 v6, v6, v10, v18
	v_div_fixup_f32 v3, v6, v3, |v5|
	v_bfi_b32 v10, s31, v4, v5
.LBB235_235:                            ;   in Loop: Header=BB235_139 Depth=1
	s_or_b64 exec, exec, s[22:23]
                                        ; implicit-def: $vgpr7
	s_and_saveexec_b64 s[2:3], s[0:1]
	s_xor_b64 s[0:1], exec, s[2:3]
	s_cbranch_execz .LBB235_237
; %bb.236:                              ;   in Loop: Header=BB235_139 Depth=1
	v_mul_f32_e32 v4, 0.5, v3
	v_mul_f32_e32 v5, 0.5, v10
	v_cndmask_b32_e64 v6, v3, v4, s[20:21]
	v_cndmask_b32_e64 v7, v10, v5, s[20:21]
                                        ; implicit-def: $vgpr3
                                        ; implicit-def: $vgpr10
	s_andn2_saveexec_b64 s[0:1], s[0:1]
	s_cbranch_execnz .LBB235_238
	s_branch .LBB235_239
.LBB235_237:                            ;   in Loop: Header=BB235_139 Depth=1
	s_andn2_saveexec_b64 s[0:1], s[0:1]
.LBB235_238:                            ;   in Loop: Header=BB235_139 Depth=1
	v_add_f32_e32 v6, v3, v3
	v_add_f32_e32 v7, v10, v10
.LBB235_239:                            ;   in Loop: Header=BB235_139 Depth=1
	s_or_b64 exec, exec, s[0:1]
.LBB235_240:                            ;   in Loop: Header=BB235_139 Depth=1
	s_andn2_saveexec_b64 s[0:1], s[18:19]
	s_cbranch_execz .LBB235_246
; %bb.241:                              ;   in Loop: Header=BB235_139 Depth=1
	v_cmp_lt_i32_e32 vcc, -1, v6
	v_sub_f32_e32 v3, v7, v7
	s_and_saveexec_b64 s[2:3], vcc
	s_xor_b64 s[2:3], exec, s[2:3]
; %bb.242:                              ;   in Loop: Header=BB235_139 Depth=1
	v_bfi_b32 v7, s31, v3, v7
                                        ; implicit-def: $vgpr3
; %bb.243:                              ;   in Loop: Header=BB235_139 Depth=1
	s_andn2_saveexec_b64 s[2:3], s[2:3]
; %bb.244:                              ;   in Loop: Header=BB235_139 Depth=1
	v_and_b32_e32 v3, 0x7fffffff, v3
	v_bfi_b32 v7, s31, v6, v7
	v_mov_b32_e32 v6, v3
; %bb.245:                              ;   in Loop: Header=BB235_139 Depth=1
	s_or_b64 exec, exec, s[2:3]
.LBB235_246:                            ;   in Loop: Header=BB235_139 Depth=1
	s_or_b64 exec, exec, s[0:1]
.LBB235_247:                            ;   in Loop: Header=BB235_139 Depth=1
	s_andn2_saveexec_b64 s[0:1], s[16:17]
	s_cbranch_execz .LBB235_136
; %bb.248:                              ;   in Loop: Header=BB235_139 Depth=1
	v_sub_f32_e32 v3, v7, v7
	v_div_scale_f32 v4, vcc, v3, v3, v3
	v_rcp_f32_e32 v5, v4
	v_fma_f32 v7, -v4, v5, 1.0
	v_fmac_f32_e32 v5, v7, v5
	v_mul_f32_e32 v7, v4, v5
	v_fma_f32 v10, -v4, v7, v4
	v_fmac_f32_e32 v7, v10, v5
	v_fma_f32 v4, -v4, v7, v4
	v_div_fmas_f32 v4, v4, v5, v7
	v_div_fixup_f32 v7, v4, v3, v3
	s_branch .LBB235_136
.LBB235_249:
	s_endpgm
	.section	.rodata,"a",@progbits
	.p2align	6, 0x0
	.amdhsa_kernel _ZN2at6native12_GLOBAL__N_125multi_tensor_apply_kernelINS1_18TensorListMetadataILi1EEENS1_14UnaryOpFunctorIN3c107complexIfEELi1ELi1ELi0EEEJNS0_4SqrtIS8_EEEEEvT_T0_DpT1_
		.amdhsa_group_segment_fixed_size 0
		.amdhsa_private_segment_fixed_size 0
		.amdhsa_kernarg_size 3632
		.amdhsa_user_sgpr_count 6
		.amdhsa_user_sgpr_private_segment_buffer 1
		.amdhsa_user_sgpr_dispatch_ptr 0
		.amdhsa_user_sgpr_queue_ptr 0
		.amdhsa_user_sgpr_kernarg_segment_ptr 1
		.amdhsa_user_sgpr_dispatch_id 0
		.amdhsa_user_sgpr_flat_scratch_init 0
		.amdhsa_user_sgpr_kernarg_preload_length 0
		.amdhsa_user_sgpr_kernarg_preload_offset 0
		.amdhsa_user_sgpr_private_segment_size 0
		.amdhsa_uses_dynamic_stack 0
		.amdhsa_system_sgpr_private_segment_wavefront_offset 0
		.amdhsa_system_sgpr_workgroup_id_x 1
		.amdhsa_system_sgpr_workgroup_id_y 0
		.amdhsa_system_sgpr_workgroup_id_z 0
		.amdhsa_system_sgpr_workgroup_info 0
		.amdhsa_system_vgpr_workitem_id 0
		.amdhsa_next_free_vgpr 30
		.amdhsa_next_free_sgpr 47
		.amdhsa_accum_offset 32
		.amdhsa_reserve_vcc 1
		.amdhsa_reserve_flat_scratch 0
		.amdhsa_float_round_mode_32 0
		.amdhsa_float_round_mode_16_64 0
		.amdhsa_float_denorm_mode_32 3
		.amdhsa_float_denorm_mode_16_64 3
		.amdhsa_dx10_clamp 1
		.amdhsa_ieee_mode 1
		.amdhsa_fp16_overflow 0
		.amdhsa_tg_split 0
		.amdhsa_exception_fp_ieee_invalid_op 0
		.amdhsa_exception_fp_denorm_src 0
		.amdhsa_exception_fp_ieee_div_zero 0
		.amdhsa_exception_fp_ieee_overflow 0
		.amdhsa_exception_fp_ieee_underflow 0
		.amdhsa_exception_fp_ieee_inexact 0
		.amdhsa_exception_int_div_zero 0
	.end_amdhsa_kernel
	.section	.text._ZN2at6native12_GLOBAL__N_125multi_tensor_apply_kernelINS1_18TensorListMetadataILi1EEENS1_14UnaryOpFunctorIN3c107complexIfEELi1ELi1ELi0EEEJNS0_4SqrtIS8_EEEEEvT_T0_DpT1_,"axG",@progbits,_ZN2at6native12_GLOBAL__N_125multi_tensor_apply_kernelINS1_18TensorListMetadataILi1EEENS1_14UnaryOpFunctorIN3c107complexIfEELi1ELi1ELi0EEEJNS0_4SqrtIS8_EEEEEvT_T0_DpT1_,comdat
.Lfunc_end235:
	.size	_ZN2at6native12_GLOBAL__N_125multi_tensor_apply_kernelINS1_18TensorListMetadataILi1EEENS1_14UnaryOpFunctorIN3c107complexIfEELi1ELi1ELi0EEEJNS0_4SqrtIS8_EEEEEvT_T0_DpT1_, .Lfunc_end235-_ZN2at6native12_GLOBAL__N_125multi_tensor_apply_kernelINS1_18TensorListMetadataILi1EEENS1_14UnaryOpFunctorIN3c107complexIfEELi1ELi1ELi0EEEJNS0_4SqrtIS8_EEEEEvT_T0_DpT1_
                                        ; -- End function
	.section	.AMDGPU.csdata,"",@progbits
; Kernel info:
; codeLenInByte = 8476
; NumSgprs: 51
; NumVgprs: 30
; NumAgprs: 0
; TotalNumVgprs: 30
; ScratchSize: 0
; MemoryBound: 1
; FloatMode: 240
; IeeeMode: 1
; LDSByteSize: 0 bytes/workgroup (compile time only)
; SGPRBlocks: 6
; VGPRBlocks: 3
; NumSGPRsForWavesPerEU: 51
; NumVGPRsForWavesPerEU: 30
; AccumOffset: 32
; Occupancy: 8
; WaveLimiterHint : 0
; COMPUTE_PGM_RSRC2:SCRATCH_EN: 0
; COMPUTE_PGM_RSRC2:USER_SGPR: 6
; COMPUTE_PGM_RSRC2:TRAP_HANDLER: 0
; COMPUTE_PGM_RSRC2:TGID_X_EN: 1
; COMPUTE_PGM_RSRC2:TGID_Y_EN: 0
; COMPUTE_PGM_RSRC2:TGID_Z_EN: 0
; COMPUTE_PGM_RSRC2:TIDIG_COMP_CNT: 0
; COMPUTE_PGM_RSRC3_GFX90A:ACCUM_OFFSET: 7
; COMPUTE_PGM_RSRC3_GFX90A:TG_SPLIT: 0
	.section	.text._ZN2at6native12_GLOBAL__N_125multi_tensor_apply_kernelINS1_18TensorListMetadataILi1EEENS1_14UnaryOpFunctorIN3c104HalfELi1ELi1ELi0EEEJNS0_4SqrtIfEEEEEvT_T0_DpT1_,"axG",@progbits,_ZN2at6native12_GLOBAL__N_125multi_tensor_apply_kernelINS1_18TensorListMetadataILi1EEENS1_14UnaryOpFunctorIN3c104HalfELi1ELi1ELi0EEEJNS0_4SqrtIfEEEEEvT_T0_DpT1_,comdat
	.globl	_ZN2at6native12_GLOBAL__N_125multi_tensor_apply_kernelINS1_18TensorListMetadataILi1EEENS1_14UnaryOpFunctorIN3c104HalfELi1ELi1ELi0EEEJNS0_4SqrtIfEEEEEvT_T0_DpT1_ ; -- Begin function _ZN2at6native12_GLOBAL__N_125multi_tensor_apply_kernelINS1_18TensorListMetadataILi1EEENS1_14UnaryOpFunctorIN3c104HalfELi1ELi1ELi0EEEJNS0_4SqrtIfEEEEEvT_T0_DpT1_
	.p2align	8
	.type	_ZN2at6native12_GLOBAL__N_125multi_tensor_apply_kernelINS1_18TensorListMetadataILi1EEENS1_14UnaryOpFunctorIN3c104HalfELi1ELi1ELi0EEEJNS0_4SqrtIfEEEEEvT_T0_DpT1_,@function
_ZN2at6native12_GLOBAL__N_125multi_tensor_apply_kernelINS1_18TensorListMetadataILi1EEENS1_14UnaryOpFunctorIN3c104HalfELi1ELi1ELi0EEEJNS0_4SqrtIfEEEEEvT_T0_DpT1_: ; @_ZN2at6native12_GLOBAL__N_125multi_tensor_apply_kernelINS1_18TensorListMetadataILi1EEENS1_14UnaryOpFunctorIN3c104HalfELi1ELi1ELi0EEEJNS0_4SqrtIfEEEEEvT_T0_DpT1_
; %bb.0:
	v_mov_b32_e32 v1, s6
	global_load_ubyte v1, v1, s[4:5] offset:1760
	s_add_u32 s0, s4, s6
	s_mul_hi_u32 s1, s6, 3
	s_mul_i32 s6, s6, 3
	s_addc_u32 s2, s5, 0
	s_add_u32 s0, s0, s6
	s_addc_u32 s1, s2, s1
	s_load_dword s0, s[0:1], 0x820
	s_mov_b32 s7, 0
	s_waitcnt vmcnt(0)
	v_readfirstlane_b32 s2, v1
	s_lshl_b32 s1, s2, 3
	s_load_dwordx2 s[2:3], s[4:5], s1 offset:0x370
	s_load_dwordx2 s[12:13], s[4:5], s1 offset:0x0
	s_waitcnt lgkmcnt(0)
	s_ashr_i32 s1, s0, 31
	s_lshl_b64 s[14:15], s[0:1], 17
	s_lshl_b64 s[0:1], s[0:1], 16
	s_and_b32 s6, s12, 7
	s_sub_u32 s10, s2, s0
	s_subb_u32 s11, s3, s1
	s_and_b32 s0, s2, 3
	s_mov_b32 s1, s7
	s_or_b64 s[0:1], s[6:7], s[0:1]
	s_cmp_eq_u64 s[0:1], 0
	s_cbranch_scc1 .LBB236_21
; %bb.1:
	v_cmp_lt_i64_e64 s[0:1], s[10:11], 1
	s_and_b64 vcc, exec, s[0:1]
	s_cbranch_vccnz .LBB236_20
; %bb.2:
	s_load_dword s0, s[4:5], 0xd3c
	v_mov_b32_e32 v2, 0x10000
	v_mov_b32_e32 v3, 0
	v_cmp_lt_u64_e32 vcc, s[10:11], v[2:3]
	v_lshlrev_b32_e32 v1, 1, v0
	s_waitcnt lgkmcnt(0)
	s_and_b32 s2, s0, 0xffff
	s_and_b64 s[0:1], vcc, exec
	s_cselect_b32 s17, s11, 0
	s_cselect_b32 s16, s10, 0x10000
	s_lshl_b32 s3, s2, 1
	s_lshl_b32 s23, s2, 2
	s_add_u32 s6, s12, s14
	s_addc_u32 s7, s13, s15
	v_mov_b32_e32 v3, s7
	v_add_co_u32_e32 v2, vcc, s6, v1
	s_mul_i32 s0, s2, 3
	v_addc_co_u32_e32 v3, vcc, 0, v3, vcc
	v_add_co_u32_e32 v1, vcc, s0, v0
	v_addc_co_u32_e64 v6, s[0:1], 0, 0, vcc
	v_add_co_u32_e32 v7, vcc, s3, v0
	v_addc_co_u32_e64 v8, s[0:1], 0, 0, vcc
	v_add_co_u32_e32 v9, vcc, s2, v0
	v_lshlrev_b32_e32 v4, 1, v9
	s_mov_b32 s22, 0
	v_addc_co_u32_e64 v10, s[0:1], 0, 0, vcc
	v_mov_b32_e32 v5, s7
	v_add_co_u32_e32 v4, vcc, s6, v4
	s_lshl_b32 s24, s2, 3
	s_mul_i32 s25, s2, 6
	s_mov_b32 s26, s22
	v_addc_co_u32_e32 v5, vcc, 0, v5, vcc
	s_mov_b64 s[18:19], 0
	s_mov_b32 s27, 0xf800000
	v_mov_b32_e32 v11, 0x260
	v_mov_b32_e32 v12, s22
	s_branch .LBB236_4
.LBB236_3:                              ;   in Loop: Header=BB236_4 Depth=1
	s_or_b64 exec, exec, s[0:1]
	s_add_u32 s18, s18, s23
	s_addc_u32 s19, s19, 0
	s_waitcnt vmcnt(0)
	v_pk_mov_b32 v[14:15], s[10:11], s[10:11] op_sel:[0,1]
	v_cmp_lt_i64_e32 vcc, s[18:19], v[14:15]
	v_mov_b32_e32 v14, 0x10000
	v_mov_b32_e32 v15, 0
	v_cmp_lt_u64_e64 s[0:1], s[18:19], v[14:15]
	s_and_b64 s[0:1], vcc, s[0:1]
	v_add_co_u32_e32 v2, vcc, s24, v2
	v_addc_co_u32_e32 v3, vcc, v3, v12, vcc
	v_add_co_u32_e32 v4, vcc, s24, v4
	v_addc_co_u32_e32 v5, vcc, v5, v12, vcc
	s_and_b64 vcc, exec, s[0:1]
	s_cbranch_vccz .LBB236_20
.LBB236_4:                              ; =>This Inner Loop Header: Depth=1
	v_mov_b32_e32 v13, s19
	v_add_co_u32_e32 v14, vcc, s18, v0
	v_addc_co_u32_e32 v15, vcc, 0, v13, vcc
	v_cmp_gt_u64_e64 s[6:7], s[16:17], v[14:15]
	v_mov_b32_e32 v16, 0
	s_and_saveexec_b64 s[0:1], s[6:7]
	s_cbranch_execz .LBB236_6
; %bb.5:                                ;   in Loop: Header=BB236_4 Depth=1
	global_load_ushort v16, v[2:3], off
.LBB236_6:                              ;   in Loop: Header=BB236_4 Depth=1
	s_or_b64 exec, exec, s[0:1]
	v_mov_b32_e32 v13, s19
	v_add_co_u32_e32 v14, vcc, s18, v9
	v_addc_co_u32_e32 v15, vcc, v10, v13, vcc
	v_cmp_gt_u64_e64 s[2:3], s[16:17], v[14:15]
	v_mov_b32_e32 v15, 0
	s_and_saveexec_b64 s[0:1], s[2:3]
	s_cbranch_execz .LBB236_8
; %bb.7:                                ;   in Loop: Header=BB236_4 Depth=1
	global_load_ushort v15, v[4:5], off
.LBB236_8:                              ;   in Loop: Header=BB236_4 Depth=1
	s_or_b64 exec, exec, s[0:1]
	v_mov_b32_e32 v13, s19
	v_add_co_u32_e32 v18, vcc, s18, v7
	v_addc_co_u32_e32 v19, vcc, v8, v13, vcc
	v_cmp_gt_u64_e64 s[0:1], s[16:17], v[18:19]
	v_mov_b32_e32 v13, 0
	v_mov_b32_e32 v14, 0
	s_and_saveexec_b64 s[8:9], s[0:1]
	s_cbranch_execz .LBB236_10
; %bb.9:                                ;   in Loop: Header=BB236_4 Depth=1
	v_mov_b32_e32 v14, s22
	v_add_co_u32_e32 v18, vcc, s23, v2
	v_addc_co_u32_e32 v19, vcc, v3, v14, vcc
	global_load_ushort v14, v[18:19], off
.LBB236_10:                             ;   in Loop: Header=BB236_4 Depth=1
	s_or_b64 exec, exec, s[8:9]
	v_mov_b32_e32 v17, s19
	v_add_co_u32_e32 v18, vcc, s18, v1
	v_addc_co_u32_e32 v19, vcc, v6, v17, vcc
	v_cmp_gt_u64_e32 vcc, s[16:17], v[18:19]
	s_and_saveexec_b64 s[20:21], vcc
	s_cbranch_execnz .LBB236_15
; %bb.11:                               ;   in Loop: Header=BB236_4 Depth=1
	s_or_b64 exec, exec, s[20:21]
	s_and_saveexec_b64 s[8:9], s[6:7]
	s_cbranch_execnz .LBB236_16
.LBB236_12:                             ;   in Loop: Header=BB236_4 Depth=1
	s_or_b64 exec, exec, s[8:9]
	s_and_saveexec_b64 s[6:7], s[2:3]
	s_cbranch_execnz .LBB236_17
.LBB236_13:                             ;   in Loop: Header=BB236_4 Depth=1
	s_or_b64 exec, exec, s[6:7]
	s_and_saveexec_b64 s[2:3], s[0:1]
	s_cbranch_execnz .LBB236_18
.LBB236_14:                             ;   in Loop: Header=BB236_4 Depth=1
	s_or_b64 exec, exec, s[2:3]
	s_and_saveexec_b64 s[0:1], vcc
	s_cbranch_execz .LBB236_3
	s_branch .LBB236_19
.LBB236_15:                             ;   in Loop: Header=BB236_4 Depth=1
	v_mov_b32_e32 v13, s26
	v_add_co_u32_e64 v18, s[8:9], s25, v2
	v_addc_co_u32_e64 v19, s[8:9], v3, v13, s[8:9]
	global_load_ushort v13, v[18:19], off
	s_or_b64 exec, exec, s[20:21]
	s_and_saveexec_b64 s[8:9], s[6:7]
	s_cbranch_execz .LBB236_12
.LBB236_16:                             ;   in Loop: Header=BB236_4 Depth=1
	s_waitcnt vmcnt(0)
	v_cvt_f32_f16_e32 v16, v16
	v_mul_f32_e32 v17, 0x4f800000, v16
	v_cmp_gt_f32_e64 s[6:7], s27, v16
	v_cndmask_b32_e64 v16, v16, v17, s[6:7]
	v_rsq_f32_e32 v17, v16
	v_mul_f32_e32 v18, v16, v17
	v_mul_f32_e32 v17, 0.5, v17
	v_fma_f32 v19, -v17, v18, 0.5
	v_fmac_f32_e32 v18, v18, v19
	v_fmac_f32_e32 v17, v17, v19
	v_fma_f32 v19, -v18, v18, v16
	v_fmac_f32_e32 v18, v19, v17
	v_mul_f32_e32 v17, 0x37800000, v18
	v_cndmask_b32_e64 v17, v18, v17, s[6:7]
	v_cmp_class_f32_e64 s[6:7], v16, v11
	v_cndmask_b32_e64 v16, v17, v16, s[6:7]
	v_cvt_f16_f32_e32 v16, v16
	global_store_short v[2:3], v16, off
	s_or_b64 exec, exec, s[8:9]
	s_and_saveexec_b64 s[6:7], s[2:3]
	s_cbranch_execz .LBB236_13
.LBB236_17:                             ;   in Loop: Header=BB236_4 Depth=1
	s_waitcnt vmcnt(0)
	v_cvt_f32_f16_e32 v15, v15
	v_mul_f32_e32 v16, 0x4f800000, v15
	v_cmp_gt_f32_e64 s[2:3], s27, v15
	v_cndmask_b32_e64 v15, v15, v16, s[2:3]
	v_rsq_f32_e32 v16, v15
	v_mul_f32_e32 v17, v15, v16
	v_mul_f32_e32 v16, 0.5, v16
	v_fma_f32 v18, -v16, v17, 0.5
	v_fmac_f32_e32 v17, v17, v18
	v_fmac_f32_e32 v16, v16, v18
	v_fma_f32 v18, -v17, v17, v15
	v_fmac_f32_e32 v17, v18, v16
	v_mul_f32_e32 v16, 0x37800000, v17
	v_cndmask_b32_e64 v16, v17, v16, s[2:3]
	v_cmp_class_f32_e64 s[2:3], v15, v11
	v_cndmask_b32_e64 v15, v16, v15, s[2:3]
	v_cvt_f16_f32_e32 v15, v15
	global_store_short v[4:5], v15, off
	s_or_b64 exec, exec, s[6:7]
	s_and_saveexec_b64 s[2:3], s[0:1]
	s_cbranch_execz .LBB236_14
.LBB236_18:                             ;   in Loop: Header=BB236_4 Depth=1
	s_waitcnt vmcnt(0)
	v_cvt_f32_f16_e32 v14, v14
	v_mov_b32_e32 v16, s22
	v_mul_f32_e32 v15, 0x4f800000, v14
	v_cmp_gt_f32_e64 s[0:1], s27, v14
	v_cndmask_b32_e64 v14, v14, v15, s[0:1]
	v_rsq_f32_e32 v15, v14
	v_mul_f32_e32 v17, v14, v15
	v_mul_f32_e32 v15, 0.5, v15
	v_fma_f32 v18, -v15, v17, 0.5
	v_fmac_f32_e32 v17, v17, v18
	v_fmac_f32_e32 v15, v15, v18
	v_fma_f32 v18, -v17, v17, v14
	v_fmac_f32_e32 v17, v18, v15
	v_mul_f32_e32 v15, 0x37800000, v17
	v_cndmask_b32_e64 v15, v17, v15, s[0:1]
	v_cmp_class_f32_e64 s[0:1], v14, v11
	v_cndmask_b32_e64 v14, v15, v14, s[0:1]
	v_cvt_f16_f32_e32 v17, v14
	v_add_co_u32_e64 v14, s[0:1], s23, v2
	v_addc_co_u32_e64 v15, s[0:1], v3, v16, s[0:1]
	global_store_short v[14:15], v17, off
	s_or_b64 exec, exec, s[2:3]
	s_and_saveexec_b64 s[0:1], vcc
	s_cbranch_execz .LBB236_3
.LBB236_19:                             ;   in Loop: Header=BB236_4 Depth=1
	s_waitcnt vmcnt(0)
	v_cvt_f32_f16_e32 v13, v13
	v_mov_b32_e32 v15, s26
	v_mul_f32_e32 v14, 0x4f800000, v13
	v_cmp_gt_f32_e32 vcc, s27, v13
	v_cndmask_b32_e32 v13, v13, v14, vcc
	v_rsq_f32_e32 v14, v13
	v_mul_f32_e32 v16, v13, v14
	v_mul_f32_e32 v14, 0.5, v14
	v_fma_f32 v17, -v14, v16, 0.5
	v_fmac_f32_e32 v16, v16, v17
	v_fmac_f32_e32 v14, v14, v17
	v_fma_f32 v17, -v16, v16, v13
	v_fmac_f32_e32 v16, v17, v14
	v_mul_f32_e32 v14, 0x37800000, v16
	v_cndmask_b32_e32 v14, v16, v14, vcc
	v_cmp_class_f32_e32 vcc, v13, v11
	v_cndmask_b32_e32 v13, v14, v13, vcc
	v_cvt_f16_f32_e32 v13, v13
	v_add_co_u32_e32 v14, vcc, s25, v2
	v_addc_co_u32_e32 v15, vcc, v3, v15, vcc
	global_store_short v[14:15], v13, off
	s_branch .LBB236_3
.LBB236_20:
	s_cbranch_execz .LBB236_22
	s_branch .LBB236_25
.LBB236_21:
.LBB236_22:
	v_mov_b32_e32 v3, 0
	v_lshlrev_b32_e32 v2, 2, v0
	s_mov_b32 s0, 0
	v_cmp_gt_i64_e32 vcc, s[10:11], v[2:3]
	s_and_saveexec_b64 s[2:3], vcc
	s_cbranch_execz .LBB236_25
; %bb.23:
	s_load_dword s1, s[4:5], 0xd3c
	v_lshlrev_b32_e32 v1, 3, v0
	s_mov_b64 s[6:7], 0
	s_mov_b64 s[8:9], 0xffff
	v_mov_b32_e32 v5, s0
	s_waitcnt lgkmcnt(0)
	s_and_b32 s1, s1, 0xffff
	s_lshl_b32 s16, s1, 2
	s_add_u32 s2, s12, s14
	s_addc_u32 s3, s13, s15
	v_add_lshl_u32 v2, v0, s1, 2
	v_mov_b32_e32 v0, s3
	v_add_co_u32_e32 v1, vcc, s2, v1
	v_addc_co_u32_e32 v4, vcc, 0, v0, vcc
	v_add_co_u32_e32 v0, vcc, 4, v1
	v_addc_co_u32_e32 v1, vcc, 0, v4, vcc
	s_lshl_b32 s12, s1, 3
	s_mov_b32 s13, 0xf800000
	v_mov_b32_e32 v4, 0x260
	v_mov_b32_e32 v6, s0
.LBB236_24:                             ; =>This Inner Loop Header: Depth=1
	global_load_dwordx2 v[8:9], v[0:1], off offset:-4
	v_cmp_le_i64_e32 vcc, s[10:11], v[2:3]
	v_cmp_lt_u64_e64 s[0:1], s[8:9], v[2:3]
	v_add_co_u32_e64 v2, s[2:3], s16, v2
	s_or_b64 s[14:15], vcc, s[0:1]
	v_addc_co_u32_e64 v3, s[2:3], v3, v5, s[2:3]
	s_waitcnt vmcnt(0)
	v_cvt_f32_f16_e32 v7, v8
	v_cvt_f32_f16_sdwa v8, v8 dst_sel:DWORD dst_unused:UNUSED_PAD src0_sel:WORD_1
	v_cvt_f32_f16_e32 v10, v9
	v_cvt_f32_f16_sdwa v9, v9 dst_sel:DWORD dst_unused:UNUSED_PAD src0_sel:WORD_1
	v_mul_f32_e32 v11, 0x4f800000, v7
	v_cmp_gt_f32_e32 vcc, s13, v7
	v_mul_f32_e32 v12, 0x4f800000, v8
	v_cndmask_b32_e32 v7, v7, v11, vcc
	v_cmp_gt_f32_e64 s[0:1], s13, v8
	v_mul_f32_e32 v13, 0x4f800000, v10
	v_cndmask_b32_e64 v8, v8, v12, s[0:1]
	v_cmp_gt_f32_e64 s[2:3], s13, v10
	v_rsq_f32_e32 v11, v7
	v_mul_f32_e32 v14, 0x4f800000, v9
	v_cndmask_b32_e64 v10, v10, v13, s[2:3]
	v_cmp_gt_f32_e64 s[4:5], s13, v9
	v_rsq_f32_e32 v12, v8
	v_cndmask_b32_e64 v9, v9, v14, s[4:5]
	v_rsq_f32_e32 v13, v10
	v_rsq_f32_e32 v14, v9
	v_mul_f32_e32 v15, v7, v11
	v_mul_f32_e32 v11, 0.5, v11
	v_mul_f32_e32 v16, v8, v12
	v_mul_f32_e32 v12, 0.5, v12
	v_fma_f32 v19, -v11, v15, 0.5
	v_mul_f32_e32 v17, v10, v13
	v_mul_f32_e32 v13, 0.5, v13
	v_fma_f32 v20, -v12, v16, 0.5
	v_fmac_f32_e32 v15, v15, v19
	v_mul_f32_e32 v18, v9, v14
	v_mul_f32_e32 v14, 0.5, v14
	v_fma_f32 v21, -v13, v17, 0.5
	v_fmac_f32_e32 v11, v11, v19
	v_fmac_f32_e32 v16, v16, v20
	v_fma_f32 v19, -v15, v15, v7
	v_fma_f32 v22, -v14, v18, 0.5
	v_fmac_f32_e32 v12, v12, v20
	v_fmac_f32_e32 v17, v17, v21
	v_fma_f32 v20, -v16, v16, v8
	v_fmac_f32_e32 v15, v19, v11
	v_fmac_f32_e32 v13, v13, v21
	;; [unrolled: 1-line block ×3, first 2 shown]
	v_fma_f32 v21, -v17, v17, v10
	v_fmac_f32_e32 v16, v20, v12
	v_mul_f32_e32 v11, 0x37800000, v15
	v_fmac_f32_e32 v14, v14, v22
	v_fma_f32 v22, -v18, v18, v9
	v_fmac_f32_e32 v17, v21, v13
	v_mul_f32_e32 v12, 0x37800000, v16
	v_cndmask_b32_e32 v11, v15, v11, vcc
	v_cmp_class_f32_e32 vcc, v7, v4
	v_fmac_f32_e32 v18, v22, v14
	v_mul_f32_e32 v13, 0x37800000, v17
	v_cndmask_b32_e64 v12, v16, v12, s[0:1]
	v_cndmask_b32_e32 v7, v11, v7, vcc
	v_cmp_class_f32_e32 vcc, v8, v4
	v_mul_f32_e32 v14, 0x37800000, v18
	v_cndmask_b32_e64 v13, v17, v13, s[2:3]
	v_cndmask_b32_e32 v8, v12, v8, vcc
	v_cmp_class_f32_e32 vcc, v10, v4
	v_cndmask_b32_e64 v14, v18, v14, s[4:5]
	v_cndmask_b32_e32 v10, v13, v10, vcc
	v_cmp_class_f32_e32 vcc, v9, v4
	v_cndmask_b32_e32 v9, v14, v9, vcc
	v_cvt_f16_f32_e32 v7, v7
	v_cvt_f16_f32_e32 v10, v10
	;; [unrolled: 1-line block ×4, first 2 shown]
	s_and_b64 s[0:1], exec, s[14:15]
	s_or_b64 s[6:7], s[0:1], s[6:7]
	v_pack_b32_f16 v9, v10, v9
	v_pack_b32_f16 v8, v7, v8
	global_store_dwordx2 v[0:1], v[8:9], off offset:-4
	v_add_co_u32_e32 v0, vcc, s12, v0
	v_addc_co_u32_e32 v1, vcc, v1, v6, vcc
	s_andn2_b64 exec, exec, s[6:7]
	s_cbranch_execnz .LBB236_24
.LBB236_25:
	s_endpgm
	.section	.rodata,"a",@progbits
	.p2align	6, 0x0
	.amdhsa_kernel _ZN2at6native12_GLOBAL__N_125multi_tensor_apply_kernelINS1_18TensorListMetadataILi1EEENS1_14UnaryOpFunctorIN3c104HalfELi1ELi1ELi0EEEJNS0_4SqrtIfEEEEEvT_T0_DpT1_
		.amdhsa_group_segment_fixed_size 0
		.amdhsa_private_segment_fixed_size 0
		.amdhsa_kernarg_size 3632
		.amdhsa_user_sgpr_count 6
		.amdhsa_user_sgpr_private_segment_buffer 1
		.amdhsa_user_sgpr_dispatch_ptr 0
		.amdhsa_user_sgpr_queue_ptr 0
		.amdhsa_user_sgpr_kernarg_segment_ptr 1
		.amdhsa_user_sgpr_dispatch_id 0
		.amdhsa_user_sgpr_flat_scratch_init 0
		.amdhsa_user_sgpr_kernarg_preload_length 0
		.amdhsa_user_sgpr_kernarg_preload_offset 0
		.amdhsa_user_sgpr_private_segment_size 0
		.amdhsa_uses_dynamic_stack 0
		.amdhsa_system_sgpr_private_segment_wavefront_offset 0
		.amdhsa_system_sgpr_workgroup_id_x 1
		.amdhsa_system_sgpr_workgroup_id_y 0
		.amdhsa_system_sgpr_workgroup_id_z 0
		.amdhsa_system_sgpr_workgroup_info 0
		.amdhsa_system_vgpr_workitem_id 0
		.amdhsa_next_free_vgpr 23
		.amdhsa_next_free_sgpr 28
		.amdhsa_accum_offset 24
		.amdhsa_reserve_vcc 1
		.amdhsa_reserve_flat_scratch 0
		.amdhsa_float_round_mode_32 0
		.amdhsa_float_round_mode_16_64 0
		.amdhsa_float_denorm_mode_32 3
		.amdhsa_float_denorm_mode_16_64 3
		.amdhsa_dx10_clamp 1
		.amdhsa_ieee_mode 1
		.amdhsa_fp16_overflow 0
		.amdhsa_tg_split 0
		.amdhsa_exception_fp_ieee_invalid_op 0
		.amdhsa_exception_fp_denorm_src 0
		.amdhsa_exception_fp_ieee_div_zero 0
		.amdhsa_exception_fp_ieee_overflow 0
		.amdhsa_exception_fp_ieee_underflow 0
		.amdhsa_exception_fp_ieee_inexact 0
		.amdhsa_exception_int_div_zero 0
	.end_amdhsa_kernel
	.section	.text._ZN2at6native12_GLOBAL__N_125multi_tensor_apply_kernelINS1_18TensorListMetadataILi1EEENS1_14UnaryOpFunctorIN3c104HalfELi1ELi1ELi0EEEJNS0_4SqrtIfEEEEEvT_T0_DpT1_,"axG",@progbits,_ZN2at6native12_GLOBAL__N_125multi_tensor_apply_kernelINS1_18TensorListMetadataILi1EEENS1_14UnaryOpFunctorIN3c104HalfELi1ELi1ELi0EEEJNS0_4SqrtIfEEEEEvT_T0_DpT1_,comdat
.Lfunc_end236:
	.size	_ZN2at6native12_GLOBAL__N_125multi_tensor_apply_kernelINS1_18TensorListMetadataILi1EEENS1_14UnaryOpFunctorIN3c104HalfELi1ELi1ELi0EEEJNS0_4SqrtIfEEEEEvT_T0_DpT1_, .Lfunc_end236-_ZN2at6native12_GLOBAL__N_125multi_tensor_apply_kernelINS1_18TensorListMetadataILi1EEENS1_14UnaryOpFunctorIN3c104HalfELi1ELi1ELi0EEEJNS0_4SqrtIfEEEEEvT_T0_DpT1_
                                        ; -- End function
	.section	.AMDGPU.csdata,"",@progbits
; Kernel info:
; codeLenInByte = 1792
; NumSgprs: 32
; NumVgprs: 23
; NumAgprs: 0
; TotalNumVgprs: 23
; ScratchSize: 0
; MemoryBound: 0
; FloatMode: 240
; IeeeMode: 1
; LDSByteSize: 0 bytes/workgroup (compile time only)
; SGPRBlocks: 3
; VGPRBlocks: 2
; NumSGPRsForWavesPerEU: 32
; NumVGPRsForWavesPerEU: 23
; AccumOffset: 24
; Occupancy: 8
; WaveLimiterHint : 0
; COMPUTE_PGM_RSRC2:SCRATCH_EN: 0
; COMPUTE_PGM_RSRC2:USER_SGPR: 6
; COMPUTE_PGM_RSRC2:TRAP_HANDLER: 0
; COMPUTE_PGM_RSRC2:TGID_X_EN: 1
; COMPUTE_PGM_RSRC2:TGID_Y_EN: 0
; COMPUTE_PGM_RSRC2:TGID_Z_EN: 0
; COMPUTE_PGM_RSRC2:TIDIG_COMP_CNT: 0
; COMPUTE_PGM_RSRC3_GFX90A:ACCUM_OFFSET: 5
; COMPUTE_PGM_RSRC3_GFX90A:TG_SPLIT: 0
	.section	.text._ZN2at6native12_GLOBAL__N_125multi_tensor_apply_kernelINS1_18TensorListMetadataILi1EEENS1_14UnaryOpFunctorIN3c108BFloat16ELi1ELi1ELi0EEEJNS0_4SqrtIfEEEEEvT_T0_DpT1_,"axG",@progbits,_ZN2at6native12_GLOBAL__N_125multi_tensor_apply_kernelINS1_18TensorListMetadataILi1EEENS1_14UnaryOpFunctorIN3c108BFloat16ELi1ELi1ELi0EEEJNS0_4SqrtIfEEEEEvT_T0_DpT1_,comdat
	.globl	_ZN2at6native12_GLOBAL__N_125multi_tensor_apply_kernelINS1_18TensorListMetadataILi1EEENS1_14UnaryOpFunctorIN3c108BFloat16ELi1ELi1ELi0EEEJNS0_4SqrtIfEEEEEvT_T0_DpT1_ ; -- Begin function _ZN2at6native12_GLOBAL__N_125multi_tensor_apply_kernelINS1_18TensorListMetadataILi1EEENS1_14UnaryOpFunctorIN3c108BFloat16ELi1ELi1ELi0EEEJNS0_4SqrtIfEEEEEvT_T0_DpT1_
	.p2align	8
	.type	_ZN2at6native12_GLOBAL__N_125multi_tensor_apply_kernelINS1_18TensorListMetadataILi1EEENS1_14UnaryOpFunctorIN3c108BFloat16ELi1ELi1ELi0EEEJNS0_4SqrtIfEEEEEvT_T0_DpT1_,@function
_ZN2at6native12_GLOBAL__N_125multi_tensor_apply_kernelINS1_18TensorListMetadataILi1EEENS1_14UnaryOpFunctorIN3c108BFloat16ELi1ELi1ELi0EEEJNS0_4SqrtIfEEEEEvT_T0_DpT1_: ; @_ZN2at6native12_GLOBAL__N_125multi_tensor_apply_kernelINS1_18TensorListMetadataILi1EEENS1_14UnaryOpFunctorIN3c108BFloat16ELi1ELi1ELi0EEEJNS0_4SqrtIfEEEEEvT_T0_DpT1_
; %bb.0:
	v_mov_b32_e32 v1, s6
	global_load_ubyte v1, v1, s[4:5] offset:1760
	s_add_u32 s0, s4, s6
	s_mul_hi_u32 s1, s6, 3
	s_mul_i32 s6, s6, 3
	s_addc_u32 s2, s5, 0
	s_add_u32 s0, s0, s6
	s_addc_u32 s1, s2, s1
	s_load_dword s0, s[0:1], 0x820
	s_mov_b32 s7, 0
	s_waitcnt vmcnt(0)
	v_readfirstlane_b32 s2, v1
	s_lshl_b32 s1, s2, 3
	s_load_dwordx2 s[2:3], s[4:5], s1 offset:0x370
	s_load_dwordx2 s[12:13], s[4:5], s1 offset:0x0
	s_waitcnt lgkmcnt(0)
	s_ashr_i32 s1, s0, 31
	s_lshl_b64 s[14:15], s[0:1], 17
	s_lshl_b64 s[0:1], s[0:1], 16
	s_and_b32 s6, s12, 7
	s_sub_u32 s10, s2, s0
	s_subb_u32 s11, s3, s1
	s_and_b32 s0, s2, 3
	s_mov_b32 s1, s7
	s_or_b64 s[0:1], s[6:7], s[0:1]
	s_cmp_eq_u64 s[0:1], 0
	s_cbranch_scc1 .LBB237_21
; %bb.1:
	v_cmp_lt_i64_e64 s[0:1], s[10:11], 1
	s_and_b64 vcc, exec, s[0:1]
	s_cbranch_vccnz .LBB237_20
; %bb.2:
	s_load_dword s0, s[4:5], 0xd3c
	v_mov_b32_e32 v2, 0x10000
	v_mov_b32_e32 v3, 0
	v_cmp_lt_u64_e32 vcc, s[10:11], v[2:3]
	v_lshlrev_b32_e32 v1, 1, v0
	s_waitcnt lgkmcnt(0)
	s_and_b32 s2, s0, 0xffff
	s_and_b64 s[0:1], vcc, exec
	s_cselect_b32 s17, s11, 0
	s_cselect_b32 s16, s10, 0x10000
	s_lshl_b32 s3, s2, 1
	s_lshl_b32 s23, s2, 2
	s_add_u32 s6, s12, s14
	s_addc_u32 s7, s13, s15
	v_mov_b32_e32 v3, s7
	v_add_co_u32_e32 v2, vcc, s6, v1
	s_mul_i32 s0, s2, 3
	v_addc_co_u32_e32 v3, vcc, 0, v3, vcc
	v_add_co_u32_e32 v1, vcc, s0, v0
	v_addc_co_u32_e64 v8, s[0:1], 0, 0, vcc
	v_add_co_u32_e32 v9, vcc, s3, v0
	v_addc_co_u32_e64 v10, s[0:1], 0, 0, vcc
	v_add_co_u32_e32 v11, vcc, s2, v0
	v_lshlrev_b32_e32 v4, 1, v11
	s_mov_b32 s22, 0
	v_addc_co_u32_e64 v12, s[0:1], 0, 0, vcc
	v_mov_b32_e32 v5, s7
	v_add_co_u32_e32 v4, vcc, s6, v4
	s_lshl_b32 s24, s2, 3
	s_mul_i32 s25, s2, 6
	s_mov_b32 s26, s22
	v_addc_co_u32_e32 v5, vcc, 0, v5, vcc
	s_mov_b64 s[18:19], 0
	s_mov_b32 s27, 0xf800000
	v_mov_b32_e32 v13, 0x260
	s_movk_i32 s28, 0x7fff
	v_mov_b32_e32 v14, 0x7fc0
	v_pk_mov_b32 v[6:7], s[10:11], s[10:11] op_sel:[0,1]
	v_mov_b32_e32 v15, s22
	s_branch .LBB237_4
.LBB237_3:                              ;   in Loop: Header=BB237_4 Depth=1
	s_or_b64 exec, exec, s[2:3]
	s_add_u32 s18, s18, s23
	s_waitcnt vmcnt(0)
	v_mov_b32_e32 v16, 0x10000
	s_addc_u32 s19, s19, 0
	v_mov_b32_e32 v17, 0
	v_cmp_lt_i64_e32 vcc, s[18:19], v[6:7]
	v_cmp_lt_u64_e64 s[0:1], s[18:19], v[16:17]
	s_and_b64 s[0:1], vcc, s[0:1]
	v_add_co_u32_e32 v2, vcc, s24, v2
	v_addc_co_u32_e32 v3, vcc, v3, v15, vcc
	v_add_co_u32_e32 v4, vcc, s24, v4
	v_addc_co_u32_e32 v5, vcc, v5, v15, vcc
	s_and_b64 vcc, exec, s[0:1]
	s_cbranch_vccz .LBB237_20
.LBB237_4:                              ; =>This Inner Loop Header: Depth=1
	v_mov_b32_e32 v17, s19
	v_add_co_u32_e32 v16, vcc, s18, v0
	v_addc_co_u32_e32 v17, vcc, 0, v17, vcc
	v_cmp_gt_u64_e64 s[6:7], s[16:17], v[16:17]
	v_mov_b32_e32 v19, 0
	s_and_saveexec_b64 s[0:1], s[6:7]
	s_cbranch_execz .LBB237_6
; %bb.5:                                ;   in Loop: Header=BB237_4 Depth=1
	global_load_ushort v19, v[2:3], off
.LBB237_6:                              ;   in Loop: Header=BB237_4 Depth=1
	s_or_b64 exec, exec, s[0:1]
	v_mov_b32_e32 v17, s19
	v_add_co_u32_e32 v16, vcc, s18, v11
	v_addc_co_u32_e32 v17, vcc, v12, v17, vcc
	v_cmp_gt_u64_e64 s[2:3], s[16:17], v[16:17]
	v_mov_b32_e32 v18, 0
	s_and_saveexec_b64 s[0:1], s[2:3]
	s_cbranch_execz .LBB237_8
; %bb.7:                                ;   in Loop: Header=BB237_4 Depth=1
	global_load_ushort v18, v[4:5], off
.LBB237_8:                              ;   in Loop: Header=BB237_4 Depth=1
	s_or_b64 exec, exec, s[0:1]
	v_mov_b32_e32 v17, s19
	v_add_co_u32_e32 v16, vcc, s18, v9
	v_addc_co_u32_e32 v17, vcc, v10, v17, vcc
	v_cmp_gt_u64_e64 s[0:1], s[16:17], v[16:17]
	v_mov_b32_e32 v16, 0
	v_mov_b32_e32 v17, 0
	s_and_saveexec_b64 s[8:9], s[0:1]
	s_cbranch_execz .LBB237_10
; %bb.9:                                ;   in Loop: Header=BB237_4 Depth=1
	v_mov_b32_e32 v17, s22
	v_add_co_u32_e32 v20, vcc, s23, v2
	v_addc_co_u32_e32 v21, vcc, v3, v17, vcc
	global_load_ushort v17, v[20:21], off
.LBB237_10:                             ;   in Loop: Header=BB237_4 Depth=1
	s_or_b64 exec, exec, s[8:9]
	v_mov_b32_e32 v21, s19
	v_add_co_u32_e32 v20, vcc, s18, v1
	v_addc_co_u32_e32 v21, vcc, v8, v21, vcc
	v_cmp_gt_u64_e32 vcc, s[16:17], v[20:21]
	s_and_saveexec_b64 s[20:21], vcc
	s_cbranch_execnz .LBB237_15
; %bb.11:                               ;   in Loop: Header=BB237_4 Depth=1
	s_or_b64 exec, exec, s[20:21]
	s_and_saveexec_b64 s[20:21], s[6:7]
	s_cbranch_execnz .LBB237_16
.LBB237_12:                             ;   in Loop: Header=BB237_4 Depth=1
	s_or_b64 exec, exec, s[20:21]
	s_and_saveexec_b64 s[8:9], s[2:3]
	s_cbranch_execnz .LBB237_17
.LBB237_13:                             ;   in Loop: Header=BB237_4 Depth=1
	s_or_b64 exec, exec, s[8:9]
	s_and_saveexec_b64 s[6:7], s[0:1]
	s_cbranch_execnz .LBB237_18
.LBB237_14:                             ;   in Loop: Header=BB237_4 Depth=1
	s_or_b64 exec, exec, s[6:7]
	s_and_saveexec_b64 s[2:3], vcc
	s_cbranch_execz .LBB237_3
	s_branch .LBB237_19
.LBB237_15:                             ;   in Loop: Header=BB237_4 Depth=1
	v_mov_b32_e32 v16, s26
	v_add_co_u32_e64 v20, s[8:9], s25, v2
	v_addc_co_u32_e64 v21, s[8:9], v3, v16, s[8:9]
	global_load_ushort v16, v[20:21], off
	s_or_b64 exec, exec, s[20:21]
	s_and_saveexec_b64 s[20:21], s[6:7]
	s_cbranch_execz .LBB237_12
.LBB237_16:                             ;   in Loop: Header=BB237_4 Depth=1
	s_waitcnt vmcnt(0)
	v_lshlrev_b32_e32 v19, 16, v19
	v_mul_f32_e32 v20, 0x4f800000, v19
	v_cmp_gt_f32_e64 s[6:7], s27, v19
	v_cndmask_b32_e64 v19, v19, v20, s[6:7]
	v_sqrt_f32_e32 v20, v19
	v_add_u32_e32 v21, -1, v20
	v_fma_f32 v23, -v21, v20, v19
	v_add_u32_e32 v22, 1, v20
	v_cmp_ge_f32_e64 s[8:9], 0, v23
	v_cndmask_b32_e64 v21, v20, v21, s[8:9]
	v_fma_f32 v20, -v22, v20, v19
	v_cmp_lt_f32_e64 s[8:9], 0, v20
	v_cndmask_b32_e64 v20, v21, v22, s[8:9]
	v_mul_f32_e32 v21, 0x37800000, v20
	v_cndmask_b32_e64 v20, v20, v21, s[6:7]
	v_cmp_class_f32_e64 s[6:7], v19, v13
	v_cndmask_b32_e64 v19, v20, v19, s[6:7]
	v_bfe_u32 v20, v19, 16, 1
	v_add3_u32 v20, v19, v20, s28
	v_lshrrev_b32_e32 v20, 16, v20
	v_cmp_o_f32_e64 s[6:7], v19, v19
	v_cndmask_b32_e64 v19, v14, v20, s[6:7]
	global_store_short v[2:3], v19, off
	s_or_b64 exec, exec, s[20:21]
	s_and_saveexec_b64 s[8:9], s[2:3]
	s_cbranch_execz .LBB237_13
.LBB237_17:                             ;   in Loop: Header=BB237_4 Depth=1
	s_waitcnt vmcnt(0)
	v_lshlrev_b32_e32 v18, 16, v18
	v_mul_f32_e32 v19, 0x4f800000, v18
	v_cmp_gt_f32_e64 s[2:3], s27, v18
	v_cndmask_b32_e64 v18, v18, v19, s[2:3]
	v_sqrt_f32_e32 v19, v18
	v_add_u32_e32 v20, -1, v19
	v_fma_f32 v22, -v20, v19, v18
	v_add_u32_e32 v21, 1, v19
	v_cmp_ge_f32_e64 s[6:7], 0, v22
	v_cndmask_b32_e64 v20, v19, v20, s[6:7]
	v_fma_f32 v19, -v21, v19, v18
	v_cmp_lt_f32_e64 s[6:7], 0, v19
	v_cndmask_b32_e64 v19, v20, v21, s[6:7]
	v_mul_f32_e32 v20, 0x37800000, v19
	v_cndmask_b32_e64 v19, v19, v20, s[2:3]
	v_cmp_class_f32_e64 s[2:3], v18, v13
	v_cndmask_b32_e64 v18, v19, v18, s[2:3]
	v_bfe_u32 v19, v18, 16, 1
	v_add3_u32 v19, v18, v19, s28
	v_lshrrev_b32_e32 v19, 16, v19
	v_cmp_o_f32_e64 s[2:3], v18, v18
	v_cndmask_b32_e64 v18, v14, v19, s[2:3]
	global_store_short v[4:5], v18, off
	s_or_b64 exec, exec, s[8:9]
	s_and_saveexec_b64 s[6:7], s[0:1]
	s_cbranch_execz .LBB237_14
.LBB237_18:                             ;   in Loop: Header=BB237_4 Depth=1
	s_waitcnt vmcnt(0)
	v_lshlrev_b32_e32 v17, 16, v17
	v_mul_f32_e32 v18, 0x4f800000, v17
	v_cmp_gt_f32_e64 s[0:1], s27, v17
	v_cndmask_b32_e64 v17, v17, v18, s[0:1]
	v_sqrt_f32_e32 v18, v17
	v_add_u32_e32 v19, -1, v18
	v_fma_f32 v21, -v19, v18, v17
	v_add_u32_e32 v20, 1, v18
	v_cmp_ge_f32_e64 s[2:3], 0, v21
	v_cndmask_b32_e64 v19, v18, v19, s[2:3]
	v_fma_f32 v18, -v20, v18, v17
	v_cmp_lt_f32_e64 s[2:3], 0, v18
	v_cndmask_b32_e64 v18, v19, v20, s[2:3]
	v_mul_f32_e32 v19, 0x37800000, v18
	v_cndmask_b32_e64 v18, v18, v19, s[0:1]
	v_cmp_class_f32_e64 s[0:1], v17, v13
	v_cndmask_b32_e64 v17, v18, v17, s[0:1]
	v_bfe_u32 v18, v17, 16, 1
	v_add3_u32 v18, v17, v18, s28
	v_lshrrev_b32_e32 v18, 16, v18
	v_cmp_o_f32_e64 s[0:1], v17, v17
	v_cndmask_b32_e64 v17, v14, v18, s[0:1]
	v_mov_b32_e32 v19, s22
	v_add_co_u32_e64 v18, s[0:1], s23, v2
	v_addc_co_u32_e64 v19, s[0:1], v3, v19, s[0:1]
	global_store_short v[18:19], v17, off
	s_or_b64 exec, exec, s[6:7]
	s_and_saveexec_b64 s[2:3], vcc
	s_cbranch_execz .LBB237_3
.LBB237_19:                             ;   in Loop: Header=BB237_4 Depth=1
	s_waitcnt vmcnt(0)
	v_lshlrev_b32_e32 v16, 16, v16
	v_mul_f32_e32 v17, 0x4f800000, v16
	v_cmp_gt_f32_e32 vcc, s27, v16
	v_cndmask_b32_e32 v16, v16, v17, vcc
	v_sqrt_f32_e32 v17, v16
	v_add_u32_e32 v18, -1, v17
	v_fma_f32 v20, -v18, v17, v16
	v_add_u32_e32 v19, 1, v17
	v_cmp_ge_f32_e64 s[0:1], 0, v20
	v_cndmask_b32_e64 v18, v17, v18, s[0:1]
	v_fma_f32 v17, -v19, v17, v16
	v_cmp_lt_f32_e64 s[0:1], 0, v17
	v_cndmask_b32_e64 v17, v18, v19, s[0:1]
	v_mul_f32_e32 v18, 0x37800000, v17
	v_cndmask_b32_e32 v17, v17, v18, vcc
	v_cmp_class_f32_e32 vcc, v16, v13
	v_cndmask_b32_e32 v16, v17, v16, vcc
	v_bfe_u32 v17, v16, 16, 1
	v_add3_u32 v17, v16, v17, s28
	v_lshrrev_b32_e32 v17, 16, v17
	v_cmp_o_f32_e32 vcc, v16, v16
	v_cndmask_b32_e32 v18, v14, v17, vcc
	v_mov_b32_e32 v17, s26
	v_add_co_u32_e32 v16, vcc, s25, v2
	v_addc_co_u32_e32 v17, vcc, v3, v17, vcc
	global_store_short v[16:17], v18, off
	s_branch .LBB237_3
.LBB237_20:
	s_cbranch_execz .LBB237_22
	s_branch .LBB237_25
.LBB237_21:
.LBB237_22:
	v_mov_b32_e32 v3, 0
	v_lshlrev_b32_e32 v2, 2, v0
	s_mov_b32 s0, 0
	v_cmp_gt_i64_e32 vcc, s[10:11], v[2:3]
	s_and_saveexec_b64 s[2:3], vcc
	s_cbranch_execz .LBB237_25
; %bb.23:
	s_load_dword s1, s[4:5], 0xd3c
	v_lshlrev_b32_e32 v1, 3, v0
	s_mov_b64 s[8:9], 0
	s_mov_b32 s18, 0xf800000
	s_movk_i32 s19, 0x7fff
	s_waitcnt lgkmcnt(0)
	s_and_b32 s1, s1, 0xffff
	s_add_u32 s2, s12, s14
	s_addc_u32 s3, s13, s15
	v_mov_b32_e32 v2, s3
	v_add_co_u32_e32 v4, vcc, s2, v1
	v_addc_co_u32_e32 v5, vcc, 0, v2, vcc
	s_lshl_b32 s16, s1, 3
	v_add_lshl_u32 v2, v0, s1, 2
	s_lshl_b32 s17, s1, 2
	v_mov_b32_e32 v0, 0x260
	v_mov_b32_e32 v1, 0x7fc00000
	;; [unrolled: 1-line block ×3, first 2 shown]
	s_mov_b64 s[12:13], 0xffff
	v_mov_b32_e32 v7, s0
	v_mov_b32_e32 v8, s0
.LBB237_24:                             ; =>This Inner Loop Header: Depth=1
	global_load_dwordx2 v[10:11], v[4:5], off
	v_cmp_le_i64_e32 vcc, s[10:11], v[2:3]
	v_cmp_lt_u64_e64 s[0:1], s[12:13], v[2:3]
	s_or_b64 s[14:15], vcc, s[0:1]
	s_waitcnt vmcnt(0)
	v_lshlrev_b32_e32 v12, 16, v10
	v_and_b32_e32 v9, 0xffff0000, v10
	v_mul_f32_e32 v13, 0x4f800000, v12
	v_cmp_gt_f32_e32 vcc, s18, v12
	v_alignbit_b32 v10, v11, v10, 16
	v_and_b32_e32 v11, 0xffff0000, v11
	v_mul_f32_e32 v14, 0x4f800000, v9
	v_cndmask_b32_e32 v12, v12, v13, vcc
	v_cmp_gt_f32_e64 s[0:1], s18, v9
	v_and_b32_e32 v10, 0xffff0000, v10
	v_mul_f32_e32 v15, 0x4f800000, v11
	v_cndmask_b32_e64 v9, v9, v14, s[0:1]
	v_cmp_gt_f32_e64 s[2:3], s18, v11
	v_sqrt_f32_e32 v14, v12
	v_mul_f32_e32 v13, 0x4f800000, v10
	v_cndmask_b32_e64 v11, v11, v15, s[2:3]
	v_sqrt_f32_e32 v15, v9
	v_cmp_gt_f32_e64 s[4:5], s18, v10
	v_cndmask_b32_e64 v10, v10, v13, s[4:5]
	v_sqrt_f32_e32 v13, v11
	v_add_u32_e32 v17, -1, v14
	v_sqrt_f32_e32 v16, v10
	v_add_u32_e32 v19, -1, v15
	v_fma_f32 v23, -v17, v14, v12
	v_add_u32_e32 v18, 1, v14
	v_add_u32_e32 v21, -1, v13
	v_fma_f32 v25, -v19, v15, v9
	v_cmp_ge_f32_e64 s[6:7], 0, v23
	v_add_u32_e32 v20, 1, v15
	v_fma_f32 v24, -v18, v14, v12
	v_fma_f32 v29, -v21, v13, v11
	v_cndmask_b32_e64 v14, v14, v17, s[6:7]
	v_cmp_ge_f32_e64 s[6:7], 0, v25
	v_add_u32_e32 v22, 1, v13
	v_fma_f32 v26, -v20, v15, v9
	v_cndmask_b32_e64 v15, v15, v19, s[6:7]
	v_cmp_ge_f32_e64 s[6:7], 0, v29
	v_add_u32_e32 v27, -1, v16
	v_fma_f32 v30, -v22, v13, v11
	v_cndmask_b32_e64 v13, v13, v21, s[6:7]
	v_cmp_lt_f32_e64 s[6:7], 0, v24
	v_fma_f32 v17, -v27, v16, v10
	v_cndmask_b32_e64 v14, v14, v18, s[6:7]
	v_cmp_lt_f32_e64 s[6:7], 0, v26
	v_add_u32_e32 v28, 1, v16
	v_cndmask_b32_e64 v15, v15, v20, s[6:7]
	v_cmp_ge_f32_e64 s[6:7], 0, v17
	v_fma_f32 v19, -v28, v16, v10
	v_cndmask_b32_e64 v16, v16, v27, s[6:7]
	v_cmp_lt_f32_e64 s[6:7], 0, v30
	v_mul_f32_e32 v17, 0x37800000, v14
	v_cndmask_b32_e64 v13, v13, v22, s[6:7]
	v_mul_f32_e32 v18, 0x37800000, v15
	v_cmp_lt_f32_e64 s[6:7], 0, v19
	v_cndmask_b32_e32 v14, v14, v17, vcc
	v_cmp_class_f32_e32 vcc, v12, v0
	v_cndmask_b32_e64 v16, v16, v28, s[6:7]
	v_mul_f32_e32 v19, 0x37800000, v13
	v_cndmask_b32_e64 v15, v15, v18, s[0:1]
	v_cndmask_b32_e32 v12, v14, v12, vcc
	v_cmp_class_f32_e32 vcc, v9, v0
	v_mul_f32_e32 v17, 0x37800000, v16
	v_cndmask_b32_e64 v13, v13, v19, s[2:3]
	v_cndmask_b32_e32 v9, v15, v9, vcc
	v_cmp_class_f32_e32 vcc, v11, v0
	v_cndmask_b32_e64 v14, v16, v17, s[4:5]
	v_cndmask_b32_e32 v11, v13, v11, vcc
	v_cmp_class_f32_e32 vcc, v10, v0
	v_cndmask_b32_e32 v10, v14, v10, vcc
	v_bfe_u32 v14, v11, 16, 1
	v_bfe_u32 v15, v9, 16, 1
	v_add3_u32 v14, v11, v14, s19
	v_bfe_u32 v13, v12, 16, 1
	v_add3_u32 v15, v9, v15, s19
	v_and_b32_e32 v14, 0xffff0000, v14
	v_cmp_o_f32_e32 vcc, v11, v11
	v_add3_u32 v13, v12, v13, s19
	v_bfe_u32 v16, v10, 16, 1
	v_and_b32_e32 v15, 0xffff0000, v15
	v_cndmask_b32_e32 v11, v1, v14, vcc
	v_cmp_o_f32_e32 vcc, v9, v9
	v_lshrrev_b32_e32 v13, 16, v13
	v_add3_u32 v16, v10, v16, s19
	v_cndmask_b32_e32 v9, v1, v15, vcc
	v_cmp_o_f32_e32 vcc, v12, v12
	v_lshrrev_b32_e32 v16, 16, v16
	v_cndmask_b32_e32 v12, v6, v13, vcc
	v_cmp_o_f32_e32 vcc, v10, v10
	v_cndmask_b32_e32 v10, v6, v16, vcc
	v_or_b32_e32 v9, v12, v9
	v_or3_b32 v11, 0, v10, v11
	v_or3_b32 v10, v9, 0, 0
	global_store_dwordx2 v[4:5], v[10:11], off
	v_add_co_u32_e32 v4, vcc, s16, v4
	v_addc_co_u32_e32 v5, vcc, v5, v7, vcc
	s_and_b64 s[0:1], exec, s[14:15]
	v_add_co_u32_e32 v2, vcc, s17, v2
	s_or_b64 s[8:9], s[0:1], s[8:9]
	v_addc_co_u32_e32 v3, vcc, v3, v8, vcc
	s_andn2_b64 exec, exec, s[8:9]
	s_cbranch_execnz .LBB237_24
.LBB237_25:
	s_endpgm
	.section	.rodata,"a",@progbits
	.p2align	6, 0x0
	.amdhsa_kernel _ZN2at6native12_GLOBAL__N_125multi_tensor_apply_kernelINS1_18TensorListMetadataILi1EEENS1_14UnaryOpFunctorIN3c108BFloat16ELi1ELi1ELi0EEEJNS0_4SqrtIfEEEEEvT_T0_DpT1_
		.amdhsa_group_segment_fixed_size 0
		.amdhsa_private_segment_fixed_size 0
		.amdhsa_kernarg_size 3632
		.amdhsa_user_sgpr_count 6
		.amdhsa_user_sgpr_private_segment_buffer 1
		.amdhsa_user_sgpr_dispatch_ptr 0
		.amdhsa_user_sgpr_queue_ptr 0
		.amdhsa_user_sgpr_kernarg_segment_ptr 1
		.amdhsa_user_sgpr_dispatch_id 0
		.amdhsa_user_sgpr_flat_scratch_init 0
		.amdhsa_user_sgpr_kernarg_preload_length 0
		.amdhsa_user_sgpr_kernarg_preload_offset 0
		.amdhsa_user_sgpr_private_segment_size 0
		.amdhsa_uses_dynamic_stack 0
		.amdhsa_system_sgpr_private_segment_wavefront_offset 0
		.amdhsa_system_sgpr_workgroup_id_x 1
		.amdhsa_system_sgpr_workgroup_id_y 0
		.amdhsa_system_sgpr_workgroup_id_z 0
		.amdhsa_system_sgpr_workgroup_info 0
		.amdhsa_system_vgpr_workitem_id 0
		.amdhsa_next_free_vgpr 31
		.amdhsa_next_free_sgpr 29
		.amdhsa_accum_offset 32
		.amdhsa_reserve_vcc 1
		.amdhsa_reserve_flat_scratch 0
		.amdhsa_float_round_mode_32 0
		.amdhsa_float_round_mode_16_64 0
		.amdhsa_float_denorm_mode_32 3
		.amdhsa_float_denorm_mode_16_64 3
		.amdhsa_dx10_clamp 1
		.amdhsa_ieee_mode 1
		.amdhsa_fp16_overflow 0
		.amdhsa_tg_split 0
		.amdhsa_exception_fp_ieee_invalid_op 0
		.amdhsa_exception_fp_denorm_src 0
		.amdhsa_exception_fp_ieee_div_zero 0
		.amdhsa_exception_fp_ieee_overflow 0
		.amdhsa_exception_fp_ieee_underflow 0
		.amdhsa_exception_fp_ieee_inexact 0
		.amdhsa_exception_int_div_zero 0
	.end_amdhsa_kernel
	.section	.text._ZN2at6native12_GLOBAL__N_125multi_tensor_apply_kernelINS1_18TensorListMetadataILi1EEENS1_14UnaryOpFunctorIN3c108BFloat16ELi1ELi1ELi0EEEJNS0_4SqrtIfEEEEEvT_T0_DpT1_,"axG",@progbits,_ZN2at6native12_GLOBAL__N_125multi_tensor_apply_kernelINS1_18TensorListMetadataILi1EEENS1_14UnaryOpFunctorIN3c108BFloat16ELi1ELi1ELi0EEEJNS0_4SqrtIfEEEEEvT_T0_DpT1_,comdat
.Lfunc_end237:
	.size	_ZN2at6native12_GLOBAL__N_125multi_tensor_apply_kernelINS1_18TensorListMetadataILi1EEENS1_14UnaryOpFunctorIN3c108BFloat16ELi1ELi1ELi0EEEJNS0_4SqrtIfEEEEEvT_T0_DpT1_, .Lfunc_end237-_ZN2at6native12_GLOBAL__N_125multi_tensor_apply_kernelINS1_18TensorListMetadataILi1EEENS1_14UnaryOpFunctorIN3c108BFloat16ELi1ELi1ELi0EEEJNS0_4SqrtIfEEEEEvT_T0_DpT1_
                                        ; -- End function
	.section	.AMDGPU.csdata,"",@progbits
; Kernel info:
; codeLenInByte = 2208
; NumSgprs: 33
; NumVgprs: 31
; NumAgprs: 0
; TotalNumVgprs: 31
; ScratchSize: 0
; MemoryBound: 0
; FloatMode: 240
; IeeeMode: 1
; LDSByteSize: 0 bytes/workgroup (compile time only)
; SGPRBlocks: 4
; VGPRBlocks: 3
; NumSGPRsForWavesPerEU: 33
; NumVGPRsForWavesPerEU: 31
; AccumOffset: 32
; Occupancy: 8
; WaveLimiterHint : 0
; COMPUTE_PGM_RSRC2:SCRATCH_EN: 0
; COMPUTE_PGM_RSRC2:USER_SGPR: 6
; COMPUTE_PGM_RSRC2:TRAP_HANDLER: 0
; COMPUTE_PGM_RSRC2:TGID_X_EN: 1
; COMPUTE_PGM_RSRC2:TGID_Y_EN: 0
; COMPUTE_PGM_RSRC2:TGID_Z_EN: 0
; COMPUTE_PGM_RSRC2:TIDIG_COMP_CNT: 0
; COMPUTE_PGM_RSRC3_GFX90A:ACCUM_OFFSET: 7
; COMPUTE_PGM_RSRC3_GFX90A:TG_SPLIT: 0
	.section	.text._ZN2at6native12_GLOBAL__N_125multi_tensor_apply_kernelINS1_18TensorListMetadataILi2EEENS1_14UnaryOpFunctorIdLi2ELi1ELi1EEEJNS0_3ErfIdEEEEEvT_T0_DpT1_,"axG",@progbits,_ZN2at6native12_GLOBAL__N_125multi_tensor_apply_kernelINS1_18TensorListMetadataILi2EEENS1_14UnaryOpFunctorIdLi2ELi1ELi1EEEJNS0_3ErfIdEEEEEvT_T0_DpT1_,comdat
	.globl	_ZN2at6native12_GLOBAL__N_125multi_tensor_apply_kernelINS1_18TensorListMetadataILi2EEENS1_14UnaryOpFunctorIdLi2ELi1ELi1EEEJNS0_3ErfIdEEEEEvT_T0_DpT1_ ; -- Begin function _ZN2at6native12_GLOBAL__N_125multi_tensor_apply_kernelINS1_18TensorListMetadataILi2EEENS1_14UnaryOpFunctorIdLi2ELi1ELi1EEEJNS0_3ErfIdEEEEEvT_T0_DpT1_
	.p2align	8
	.type	_ZN2at6native12_GLOBAL__N_125multi_tensor_apply_kernelINS1_18TensorListMetadataILi2EEENS1_14UnaryOpFunctorIdLi2ELi1ELi1EEEJNS0_3ErfIdEEEEEvT_T0_DpT1_,@function
_ZN2at6native12_GLOBAL__N_125multi_tensor_apply_kernelINS1_18TensorListMetadataILi2EEENS1_14UnaryOpFunctorIdLi2ELi1ELi1EEEJNS0_3ErfIdEEEEEvT_T0_DpT1_: ; @_ZN2at6native12_GLOBAL__N_125multi_tensor_apply_kernelINS1_18TensorListMetadataILi2EEENS1_14UnaryOpFunctorIdLi2ELi1ELi1EEEJNS0_3ErfIdEEEEEvT_T0_DpT1_
; %bb.0:
	v_mov_b32_e32 v1, s6
	global_load_ubyte v1, v1, s[4:5] offset:1536
	s_add_u32 s0, s4, s6
	s_mul_hi_u32 s3, s6, 3
	s_mul_i32 s6, s6, 3
	s_addc_u32 s7, s5, 0
	s_add_u32 s2, s0, s6
	s_addc_u32 s3, s7, s3
	s_load_dword s14, s[2:3], 0x740
	s_mov_b32 s9, 0
	s_mov_b32 s13, s9
	;; [unrolled: 1-line block ×3, first 2 shown]
	s_waitcnt lgkmcnt(0)
	s_ashr_i32 s15, s14, 31
	s_lshl_b64 s[10:11], s[14:15], 19
	s_waitcnt vmcnt(0)
	v_readfirstlane_b32 s0, v1
	s_lshl_b32 s0, s0, 3
	s_load_dwordx2 s[6:7], s[4:5], s0 offset:0x0
	s_load_dwordx2 s[16:17], s[4:5], s0 offset:0x400
	;; [unrolled: 1-line block ×3, first 2 shown]
	s_waitcnt lgkmcnt(0)
	s_add_u32 s33, s6, s10
	s_addc_u32 s82, s7, s11
	s_and_b32 s8, s33, 31
	s_add_u32 s83, s2, s10
	s_addc_u32 s84, s3, s11
	s_and_b32 s12, s16, 3
	s_and_b32 s0, s83, 31
	s_or_b64 s[12:13], s[8:9], s[12:13]
	s_or_b64 s[0:1], s[0:1], s[12:13]
	s_lshl_b64 s[12:13], s[14:15], 16
	s_sub_u32 s12, s16, s12
	s_subb_u32 s13, s17, s13
	s_cmp_eq_u64 s[0:1], 0
	s_mov_b64 s[0:1], -1
	s_cbranch_scc0 .LBB238_21
; %bb.1:
	v_mov_b32_e32 v19, 0
	v_lshlrev_b32_e32 v18, 2, v0
	v_cmp_gt_i64_e32 vcc, s[12:13], v[18:19]
	s_and_saveexec_b64 s[14:15], vcc
	s_cbranch_execz .LBB238_20
; %bb.2:
	s_load_dword s0, s[4:5], 0xc5c
	s_mov_b32 s18, 0xc14b24be
	s_mov_b32 s20, 0xd735f9ec
	;; [unrolled: 1-line block ×4, first 2 shown]
	s_waitcnt lgkmcnt(0)
	s_and_b32 s0, s0, 0xffff
	s_mov_b32 s26, 0xa78ce240
	s_mov_b32 s28, 0xcefddd8
	s_mov_b32 s30, 0x8c94b617
	s_mov_b32 s34, 0x312306d0
	s_mov_b32 s36, 0x6f4c5a9b
	s_mov_b32 s38, 0x7cfd79ae
	s_mov_b32 s40, 0x6410fdf7
	s_mov_b32 s42, 0x1f9b1786
	s_mov_b32 s44, 0xf4634b2e
	s_mov_b32 s46, 0xb42f7e4b
	s_mov_b32 s48, 0xc047288a
	s_mov_b32 s50, 0x7bbcce25
	s_mov_b32 s52, 0xae1babae
	s_mov_b32 s54, 0xe65a6063
	s_mov_b32 s56, 0x6738ee3a
	s_mov_b32 s58, 0x28146b69
	s_mov_b32 s60, 0xa69750c4
	s_mov_b32 s62, 0x919fcca8
	s_mov_b32 s64, 0x652b82fe
	s_mov_b32 s66, 0xfefa39ef
	s_mov_b32 s68, 0x3b39803f
	s_mov_b32 s70, 0x6a5dcb37
	s_mov_b32 s72, 0
	s_mov_b32 s74, 0
	s_mov_b32 s76, 0x51d2ebeb
	v_lshlrev_b32_e32 v20, 5, v0
	s_mov_b64 s[16:17], 0
	v_add_lshl_u32 v18, v0, s0, 2
	s_lshl_b32 s8, s0, 2
	s_lshl_b32 s85, s0, 5
	s_mov_b32 s19, 0x3c598d37
	s_mov_b32 s21, 0x3d162dee
	;; [unrolled: 1-line block ×29, first 2 shown]
	s_brev_b32 s86, -2
	s_mov_b64 s[78:79], 0xffff
	v_mov_b32_e32 v22, 0x502a41cd
	v_mov_b32_e32 v23, 0xbcc145a3
	;; [unrolled: 1-line block ×44, first 2 shown]
	s_branch .LBB238_4
.LBB238_3:                              ;   in Loop: Header=BB238_4 Depth=1
	s_or_b64 exec, exec, s[0:1]
	v_bfi_b32 v15, s86, v15, v3
	v_mov_b32_e32 v3, s84
	v_add_co_u32_e32 v2, vcc, s83, v20
	v_addc_co_u32_e32 v3, vcc, 0, v3, vcc
	v_cmp_le_i64_e32 vcc, s[12:13], v[18:19]
	v_cmp_lt_u64_e64 s[0:1], s[78:79], v[18:19]
	s_or_b64 s[0:1], vcc, s[0:1]
	s_add_u32 s33, s33, s85
	s_addc_u32 s82, s82, 0
	s_add_u32 s83, s83, s85
	v_bfi_b32 v13, s86, v13, v9
	v_bfi_b32 v11, s86, v11, v7
	s_addc_u32 s84, s84, 0
	v_bfi_b32 v17, s86, v17, v5
	global_store_dwordx4 v[2:3], v[10:13], off
	global_store_dwordx4 v[2:3], v[14:17], off offset:16
	v_mov_b32_e32 v2, s9
	s_and_b64 s[0:1], exec, s[0:1]
	v_add_co_u32_e32 v18, vcc, s8, v18
	s_or_b64 s[16:17], s[0:1], s[16:17]
	v_addc_co_u32_e32 v19, vcc, v19, v2, vcc
	s_andn2_b64 exec, exec, s[16:17]
	s_cbranch_execz .LBB238_20
.LBB238_4:                              ; =>This Inner Loop Header: Depth=1
	v_mov_b32_e32 v3, s82
	v_add_co_u32_e32 v2, vcc, s33, v20
	v_addc_co_u32_e32 v3, vcc, 0, v3, vcc
	global_load_dwordx4 v[6:9], v[2:3], off
	s_nop 0
	global_load_dwordx4 v[2:5], v[2:3], off offset:16
                                        ; implicit-def: $vgpr10_vgpr11
	s_waitcnt vmcnt(1)
	v_cmp_nlt_f64_e64 s[0:1], |v[6:7]|, 1.0
	s_and_saveexec_b64 s[80:81], s[0:1]
	s_xor_b64 s[80:81], exec, s[80:81]
	s_cbranch_execz .LBB238_6
; %bb.5:                                ;   in Loop: Header=BB238_4 Depth=1
	v_fma_f64 v[10:11], |v[6:7]|, s[18:19], v[22:23]
	v_fma_f64 v[10:11], |v[6:7]|, v[10:11], s[20:21]
	;; [unrolled: 1-line block ×22, first 2 shown]
	v_fma_f64 v[10:11], |v[6:7]|, v[10:11], |v[6:7]|
	v_mul_f64 v[12:13], v[10:11], s[64:65]
	v_rndne_f64_e32 v[12:13], v[12:13]
	v_fma_f64 v[14:15], v[12:13], s[66:67], -v[10:11]
	v_fmac_f64_e32 v[14:15], s[68:69], v[12:13]
	v_pk_mov_b32 v[16:17], v[24:25], v[24:25] op_sel:[0,1]
	v_fmac_f64_e32 v[16:17], s[70:71], v[14:15]
	v_pk_mov_b32 v[64:65], v[26:27], v[26:27] op_sel:[0,1]
	;; [unrolled: 2-line block ×9, first 2 shown]
	v_fmac_f64_e32 v[16:17], v[14:15], v[64:65]
	v_fma_f64 v[16:17], v[14:15], v[16:17], 1.0
	v_fma_f64 v[14:15], v[14:15], v[16:17], 1.0
	v_cvt_i32_f64_e32 v12, v[12:13]
	v_ldexp_f64 v[12:13], v[14:15], v12
	v_add_f64 v[12:13], -v[12:13], 1.0
	v_cmp_ngt_f64_e32 vcc, s[72:73], v[10:11]
	v_cmp_nlt_f64_e64 s[0:1], s[74:75], v[10:11]
	v_cndmask_b32_e32 v13, v1, v13, vcc
	s_and_b64 vcc, s[0:1], vcc
	v_cndmask_b32_e64 v11, v21, v13, s[0:1]
	v_cndmask_b32_e32 v10, 0, v12, vcc
.LBB238_6:                              ;   in Loop: Header=BB238_4 Depth=1
	s_andn2_saveexec_b64 s[0:1], s[80:81]
	s_cbranch_execz .LBB238_8
; %bb.7:                                ;   in Loop: Header=BB238_4 Depth=1
	v_mul_f64 v[10:11], v[6:7], v[6:7]
	v_pk_mov_b32 v[12:13], v[42:43], v[42:43] op_sel:[0,1]
	v_fmac_f64_e32 v[12:13], s[76:77], v[10:11]
	v_pk_mov_b32 v[14:15], v[44:45], v[44:45] op_sel:[0,1]
	v_fmac_f64_e32 v[14:15], v[10:11], v[12:13]
	;; [unrolled: 2-line block ×11, first 2 shown]
	v_fma_f64 v[10:11], |v[6:7]|, v[12:13], |v[6:7]|
.LBB238_8:                              ;   in Loop: Header=BB238_4 Depth=1
	s_or_b64 exec, exec, s[0:1]
	v_cmp_nlt_f64_e64 s[0:1], |v[8:9]|, 1.0
	s_and_saveexec_b64 s[80:81], s[0:1]
	s_xor_b64 s[80:81], exec, s[80:81]
	s_cbranch_execz .LBB238_10
; %bb.9:                                ;   in Loop: Header=BB238_4 Depth=1
	v_fma_f64 v[12:13], |v[8:9]|, s[18:19], v[22:23]
	v_fma_f64 v[12:13], |v[8:9]|, v[12:13], s[20:21]
	;; [unrolled: 1-line block ×22, first 2 shown]
	v_fma_f64 v[12:13], |v[8:9]|, v[12:13], |v[8:9]|
	v_mul_f64 v[14:15], v[12:13], s[64:65]
	v_rndne_f64_e32 v[14:15], v[14:15]
	v_fma_f64 v[16:17], v[14:15], s[66:67], -v[12:13]
	v_fmac_f64_e32 v[16:17], s[68:69], v[14:15]
	v_pk_mov_b32 v[64:65], v[24:25], v[24:25] op_sel:[0,1]
	v_fmac_f64_e32 v[64:65], s[70:71], v[16:17]
	v_pk_mov_b32 v[66:67], v[26:27], v[26:27] op_sel:[0,1]
	;; [unrolled: 2-line block ×9, first 2 shown]
	v_fmac_f64_e32 v[64:65], v[16:17], v[66:67]
	v_fma_f64 v[64:65], v[16:17], v[64:65], 1.0
	v_fma_f64 v[16:17], v[16:17], v[64:65], 1.0
	v_cvt_i32_f64_e32 v6, v[14:15]
	v_ldexp_f64 v[14:15], v[16:17], v6
	v_add_f64 v[14:15], -v[14:15], 1.0
	v_cmp_ngt_f64_e32 vcc, s[72:73], v[12:13]
	v_cmp_nlt_f64_e64 s[0:1], s[74:75], v[12:13]
	v_cndmask_b32_e32 v6, v1, v15, vcc
	s_and_b64 vcc, s[0:1], vcc
	v_cndmask_b32_e64 v13, v21, v6, s[0:1]
	v_cndmask_b32_e32 v12, 0, v14, vcc
.LBB238_10:                             ;   in Loop: Header=BB238_4 Depth=1
	s_andn2_saveexec_b64 s[0:1], s[80:81]
	s_cbranch_execz .LBB238_12
; %bb.11:                               ;   in Loop: Header=BB238_4 Depth=1
	v_mul_f64 v[12:13], v[8:9], v[8:9]
	v_pk_mov_b32 v[14:15], v[42:43], v[42:43] op_sel:[0,1]
	v_fmac_f64_e32 v[14:15], s[76:77], v[12:13]
	v_pk_mov_b32 v[16:17], v[44:45], v[44:45] op_sel:[0,1]
	v_fmac_f64_e32 v[16:17], v[12:13], v[14:15]
	;; [unrolled: 2-line block ×11, first 2 shown]
	v_fma_f64 v[12:13], |v[8:9]|, v[14:15], |v[8:9]|
.LBB238_12:                             ;   in Loop: Header=BB238_4 Depth=1
	s_or_b64 exec, exec, s[0:1]
	s_waitcnt vmcnt(0)
	v_cmp_nlt_f64_e64 s[0:1], |v[2:3]|, 1.0
                                        ; implicit-def: $vgpr14_vgpr15
	s_and_saveexec_b64 s[80:81], s[0:1]
	s_xor_b64 s[80:81], exec, s[80:81]
	s_cbranch_execz .LBB238_14
; %bb.13:                               ;   in Loop: Header=BB238_4 Depth=1
	v_fma_f64 v[14:15], |v[2:3]|, s[18:19], v[22:23]
	v_fma_f64 v[14:15], |v[2:3]|, v[14:15], s[20:21]
	;; [unrolled: 1-line block ×22, first 2 shown]
	v_fma_f64 v[14:15], |v[2:3]|, v[14:15], |v[2:3]|
	v_mul_f64 v[16:17], v[14:15], s[64:65]
	v_rndne_f64_e32 v[16:17], v[16:17]
	v_fma_f64 v[64:65], v[16:17], s[66:67], -v[14:15]
	v_fmac_f64_e32 v[64:65], s[68:69], v[16:17]
	v_pk_mov_b32 v[66:67], v[24:25], v[24:25] op_sel:[0,1]
	v_fmac_f64_e32 v[66:67], s[70:71], v[64:65]
	v_pk_mov_b32 v[68:69], v[26:27], v[26:27] op_sel:[0,1]
	;; [unrolled: 2-line block ×9, first 2 shown]
	v_fmac_f64_e32 v[66:67], v[64:65], v[68:69]
	v_fma_f64 v[66:67], v[64:65], v[66:67], 1.0
	v_fma_f64 v[64:65], v[64:65], v[66:67], 1.0
	v_cvt_i32_f64_e32 v6, v[16:17]
	v_ldexp_f64 v[16:17], v[64:65], v6
	v_add_f64 v[16:17], -v[16:17], 1.0
	v_cmp_ngt_f64_e32 vcc, s[72:73], v[14:15]
	v_cmp_nlt_f64_e64 s[0:1], s[74:75], v[14:15]
	v_cndmask_b32_e32 v6, v1, v17, vcc
	s_and_b64 vcc, s[0:1], vcc
	v_cndmask_b32_e64 v15, v21, v6, s[0:1]
	v_cndmask_b32_e32 v14, 0, v16, vcc
.LBB238_14:                             ;   in Loop: Header=BB238_4 Depth=1
	s_andn2_saveexec_b64 s[0:1], s[80:81]
	s_cbranch_execz .LBB238_16
; %bb.15:                               ;   in Loop: Header=BB238_4 Depth=1
	v_mul_f64 v[14:15], v[2:3], v[2:3]
	v_pk_mov_b32 v[16:17], v[42:43], v[42:43] op_sel:[0,1]
	v_fmac_f64_e32 v[16:17], s[76:77], v[14:15]
	v_pk_mov_b32 v[64:65], v[44:45], v[44:45] op_sel:[0,1]
	v_fmac_f64_e32 v[64:65], v[14:15], v[16:17]
	;; [unrolled: 2-line block ×11, first 2 shown]
	v_fma_f64 v[14:15], |v[2:3]|, v[16:17], |v[2:3]|
.LBB238_16:                             ;   in Loop: Header=BB238_4 Depth=1
	s_or_b64 exec, exec, s[0:1]
	v_cmp_nlt_f64_e64 s[0:1], |v[4:5]|, 1.0
	s_and_saveexec_b64 s[80:81], s[0:1]
	s_xor_b64 s[80:81], exec, s[80:81]
	s_cbranch_execz .LBB238_18
; %bb.17:                               ;   in Loop: Header=BB238_4 Depth=1
	v_fma_f64 v[16:17], |v[4:5]|, s[18:19], v[22:23]
	v_fma_f64 v[16:17], |v[4:5]|, v[16:17], s[20:21]
	;; [unrolled: 1-line block ×22, first 2 shown]
	v_fma_f64 v[16:17], |v[4:5]|, v[16:17], |v[4:5]|
	v_mul_f64 v[64:65], v[16:17], s[64:65]
	v_rndne_f64_e32 v[64:65], v[64:65]
	v_fma_f64 v[66:67], v[64:65], s[66:67], -v[16:17]
	v_fmac_f64_e32 v[66:67], s[68:69], v[64:65]
	v_pk_mov_b32 v[68:69], v[24:25], v[24:25] op_sel:[0,1]
	v_fmac_f64_e32 v[68:69], s[70:71], v[66:67]
	v_pk_mov_b32 v[70:71], v[26:27], v[26:27] op_sel:[0,1]
	;; [unrolled: 2-line block ×9, first 2 shown]
	v_fmac_f64_e32 v[68:69], v[66:67], v[70:71]
	v_fma_f64 v[68:69], v[66:67], v[68:69], 1.0
	v_fma_f64 v[66:67], v[66:67], v[68:69], 1.0
	v_cvt_i32_f64_e32 v2, v[64:65]
	v_ldexp_f64 v[64:65], v[66:67], v2
	v_add_f64 v[64:65], -v[64:65], 1.0
	v_cmp_ngt_f64_e32 vcc, s[72:73], v[16:17]
	v_cmp_nlt_f64_e64 s[0:1], s[74:75], v[16:17]
	v_cndmask_b32_e32 v2, v1, v65, vcc
	s_and_b64 vcc, s[0:1], vcc
	v_cndmask_b32_e64 v17, v21, v2, s[0:1]
	v_cndmask_b32_e32 v16, 0, v64, vcc
.LBB238_18:                             ;   in Loop: Header=BB238_4 Depth=1
	s_andn2_saveexec_b64 s[0:1], s[80:81]
	s_cbranch_execz .LBB238_3
; %bb.19:                               ;   in Loop: Header=BB238_4 Depth=1
	v_mul_f64 v[16:17], v[4:5], v[4:5]
	v_pk_mov_b32 v[64:65], v[42:43], v[42:43] op_sel:[0,1]
	v_fmac_f64_e32 v[64:65], s[76:77], v[16:17]
	v_pk_mov_b32 v[66:67], v[44:45], v[44:45] op_sel:[0,1]
	v_fmac_f64_e32 v[66:67], v[16:17], v[64:65]
	;; [unrolled: 2-line block ×11, first 2 shown]
	v_fma_f64 v[16:17], |v[4:5]|, v[64:65], |v[4:5]|
	s_branch .LBB238_3
.LBB238_20:
	s_or_b64 exec, exec, s[14:15]
	s_mov_b64 s[0:1], 0
.LBB238_21:
	s_andn2_b64 vcc, exec, s[0:1]
	s_cbranch_vccnz .LBB238_57
; %bb.22:
	v_cmp_lt_i64_e64 s[0:1], s[12:13], 1
	s_and_b64 vcc, exec, s[0:1]
	s_cbranch_vccnz .LBB238_57
; %bb.23:
	s_load_dword s0, s[4:5], 0xc5c
	v_mov_b32_e32 v2, 0x10000
	v_mov_b32_e32 v57, 0
	;; [unrolled: 1-line block ×3, first 2 shown]
	v_lshlrev_b32_e32 v56, 3, v0
	s_waitcnt lgkmcnt(0)
	s_and_b32 s0, s0, 0xffff
	v_cmp_lt_u64_e32 vcc, s[12:13], v[2:3]
	v_mad_u64_u32 v[4:5], s[4:5], s0, 24, v[56:57]
	s_and_b64 s[4:5], vcc, exec
	v_mov_b32_e32 v53, s7
	v_add_co_u32_e32 v2, vcc, s6, v4
	v_addc_co_u32_e32 v1, vcc, v53, v5, vcc
	v_mov_b32_e32 v60, s3
	v_add_co_u32_e32 v4, vcc, s2, v4
	s_mul_i32 s8, s0, 3
	v_addc_co_u32_e32 v3, vcc, v60, v5, vcc
	s_cselect_b32 s15, s13, 0
	s_cselect_b32 s14, s12, 0x10000
	v_add_co_u32_e32 v59, vcc, s8, v0
	s_lshl_b32 s3, s0, 4
	v_addc_co_u32_e64 v76, s[4:5], 0, 0, vcc
	v_add_co_u32_e32 v49, vcc, s3, v56
	v_addc_co_u32_e64 v51, s[4:5], 0, 0, vcc
	v_add_co_u32_e32 v48, vcc, s6, v49
	v_addc_co_u32_e32 v5, vcc, v53, v51, vcc
	v_add_co_u32_e32 v50, vcc, s2, v49
	s_lshl_b32 s1, s0, 1
	v_addc_co_u32_e32 v49, vcc, v60, v51, vcc
	v_add_co_u32_e32 v77, vcc, s1, v0
	v_addc_co_u32_e64 v78, s[4:5], 0, 0, vcc
	v_add_co_u32_e32 v79, vcc, s0, v0
	s_lshl_b32 s80, s0, 2
	s_lshl_b32 s81, s0, 5
	v_addc_co_u32_e64 v80, s[0:1], 0, 0, vcc
	v_add_co_u32_e32 v52, vcc, s6, v56
	v_lshlrev_b32_e32 v57, 3, v79
	v_addc_co_u32_e32 v51, vcc, 0, v53, vcc
	v_add_co_u32_e32 v54, vcc, s6, v57
	v_addc_co_u32_e32 v53, vcc, 0, v53, vcc
	v_add_co_u32_e32 v56, vcc, s2, v56
	v_addc_co_u32_e32 v55, vcc, 0, v60, vcc
	s_mov_b32 s18, 0xc14b24be
	s_mov_b32 s20, 0xd735f9ec
	;; [unrolled: 1-line block ×29, first 2 shown]
	v_add_co_u32_e32 v58, vcc, s2, v57
	s_mov_b32 s33, 0
	s_mov_b64 s[16:17], 0
	s_mov_b32 s19, 0x3c598d37
	s_mov_b32 s21, 0x3d162dee
	;; [unrolled: 1-line block ×28, first 2 shown]
	v_mov_b32_e32 v6, 0x502a41cd
	v_mov_b32_e32 v8, 0xfca7ab0c
	;; [unrolled: 1-line block ×21, first 2 shown]
	s_mov_b32 s77, 0xbe0ab15c
	s_brev_b32 s82, -2
	v_mov_b32_e32 v7, 0xbcc145a3
	v_mov_b32_e32 v9, 0x3e928af3
	v_mov_b32_e32 v11, 0x3ec71dee
	v_mov_b32_e32 v13, 0x3efa0199
	v_mov_b32_e32 v15, 0x3f2a01a0
	v_mov_b32_e32 v17, 0x3f56c16c
	v_mov_b32_e32 v19, 0x3f811111
	v_mov_b32_e32 v21, 0x3fa55555
	v_mov_b32_e32 v23, 0x3fc55555
	v_mov_b32_e32 v25, 0x3fe00000
	v_mov_b32_e32 v27, 0x3e4d6e3d
	v_mov_b32_e32 v29, 0xbe85bfe7
	v_mov_b32_e32 v31, 0x3ebb97e4
	v_mov_b32_e32 v33, 0xbeef4ca2
	v_mov_b32_e32 v35, 0x3f1f9a2b
	v_mov_b32_e32 v37, 0xbf4c02db
	v_mov_b32_e32 v39, 0x3f7565bc
	v_mov_b32_e32 v41, 0xbf9b82ce
	v_mov_b32_e32 v43, 0x3fbce2f2
	v_mov_b32_e32 v45, 0xbfd81274
	v_mov_b32_e32 v47, 0x3fc06eba
	v_addc_co_u32_e32 v57, vcc, 0, v60, vcc
	v_mov_b32_e32 v81, 0xfff00000
	v_mov_b32_e32 v82, 0x3ff00000
	s_branch .LBB238_25
.LBB238_24:                             ;   in Loop: Header=BB238_25 Depth=1
	s_or_b64 exec, exec, s[0:1]
	s_add_u32 s16, s16, s80
	s_addc_u32 s17, s17, 0
	v_pk_mov_b32 v[60:61], s[12:13], s[12:13] op_sel:[0,1]
	v_cmp_ge_i64_e32 vcc, s[16:17], v[60:61]
	v_mov_b32_e32 v60, 0xffff
	v_mov_b32_e32 v61, 0
	v_cmp_gt_u64_e64 s[0:1], s[16:17], v[60:61]
	s_or_b64 s[0:1], vcc, s[0:1]
	v_mov_b32_e32 v60, s33
	v_add_co_u32_e32 v52, vcc, s81, v52
	v_addc_co_u32_e32 v51, vcc, v51, v60, vcc
	v_add_co_u32_e32 v56, vcc, s81, v56
	v_addc_co_u32_e32 v55, vcc, v55, v60, vcc
	;; [unrolled: 2-line block ×8, first 2 shown]
	s_and_b64 vcc, exec, s[0:1]
	s_cbranch_vccnz .LBB238_57
.LBB238_25:                             ; =>This Inner Loop Header: Depth=1
	v_mov_b32_e32 v61, s17
	v_add_co_u32_e32 v60, vcc, s16, v0
	v_addc_co_u32_e32 v61, vcc, 0, v61, vcc
	v_cmp_gt_u64_e32 vcc, s[14:15], v[60:61]
	v_pk_mov_b32 v[60:61], 0, 0
	v_pk_mov_b32 v[64:65], v[60:61], v[60:61] op_sel:[0,1]
	s_and_saveexec_b64 s[2:3], vcc
	s_cbranch_execz .LBB238_27
; %bb.26:                               ;   in Loop: Header=BB238_25 Depth=1
	v_mov_b32_e32 v63, s11
	v_add_co_u32_e64 v62, s[0:1], s10, v52
	v_addc_co_u32_e64 v63, s[0:1], v51, v63, s[0:1]
	global_load_dwordx2 v[64:65], v[62:63], off
.LBB238_27:                             ;   in Loop: Header=BB238_25 Depth=1
	s_or_b64 exec, exec, s[2:3]
	v_mov_b32_e32 v63, s17
	v_add_co_u32_e64 v62, s[0:1], s16, v79
	v_addc_co_u32_e64 v63, s[0:1], v80, v63, s[0:1]
	v_cmp_gt_u64_e64 s[0:1], s[14:15], v[62:63]
	s_and_saveexec_b64 s[4:5], s[0:1]
	s_cbranch_execz .LBB238_29
; %bb.28:                               ;   in Loop: Header=BB238_25 Depth=1
	v_mov_b32_e32 v61, s11
	v_add_co_u32_e64 v60, s[2:3], s10, v54
	v_addc_co_u32_e64 v61, s[2:3], v53, v61, s[2:3]
	global_load_dwordx2 v[60:61], v[60:61], off
.LBB238_29:                             ;   in Loop: Header=BB238_25 Depth=1
	s_or_b64 exec, exec, s[4:5]
	v_mov_b32_e32 v63, s17
	v_add_co_u32_e64 v62, s[2:3], s16, v77
	v_addc_co_u32_e64 v63, s[2:3], v78, v63, s[2:3]
	v_cmp_gt_u64_e64 s[2:3], s[14:15], v[62:63]
	v_pk_mov_b32 v[62:63], 0, 0
	v_pk_mov_b32 v[66:67], v[62:63], v[62:63] op_sel:[0,1]
	s_and_saveexec_b64 s[6:7], s[2:3]
	s_cbranch_execz .LBB238_31
; %bb.30:                               ;   in Loop: Header=BB238_25 Depth=1
	v_mov_b32_e32 v67, s11
	v_add_co_u32_e64 v66, s[4:5], s10, v48
	v_addc_co_u32_e64 v67, s[4:5], v5, v67, s[4:5]
	global_load_dwordx2 v[66:67], v[66:67], off
.LBB238_31:                             ;   in Loop: Header=BB238_25 Depth=1
	s_or_b64 exec, exec, s[6:7]
	v_mov_b32_e32 v69, s17
	v_add_co_u32_e64 v68, s[4:5], s16, v59
	v_addc_co_u32_e64 v69, s[4:5], v76, v69, s[4:5]
	v_cmp_gt_u64_e64 s[4:5], s[14:15], v[68:69]
	s_and_saveexec_b64 s[8:9], s[4:5]
	s_cbranch_execz .LBB238_33
; %bb.32:                               ;   in Loop: Header=BB238_25 Depth=1
	v_mov_b32_e32 v63, s11
	v_add_co_u32_e64 v62, s[6:7], s10, v2
	v_addc_co_u32_e64 v63, s[6:7], v1, v63, s[6:7]
	global_load_dwordx2 v[62:63], v[62:63], off
.LBB238_33:                             ;   in Loop: Header=BB238_25 Depth=1
	s_or_b64 exec, exec, s[8:9]
	s_waitcnt vmcnt(0)
	v_cmp_nlt_f64_e64 s[6:7], |v[64:65]|, 1.0
                                        ; implicit-def: $vgpr68_vgpr69
	s_and_saveexec_b64 s[8:9], s[6:7]
	s_xor_b64 s[78:79], exec, s[8:9]
	s_cbranch_execz .LBB238_35
; %bb.34:                               ;   in Loop: Header=BB238_25 Depth=1
	v_fma_f64 v[68:69], |v[64:65]|, s[18:19], v[6:7]
	v_fma_f64 v[68:69], |v[64:65]|, v[68:69], s[20:21]
	;; [unrolled: 1-line block ×22, first 2 shown]
	v_fma_f64 v[68:69], |v[64:65]|, v[68:69], |v[64:65]|
	v_mul_f64 v[70:71], v[68:69], s[64:65]
	v_rndne_f64_e32 v[70:71], v[70:71]
	v_fma_f64 v[72:73], v[70:71], s[66:67], -v[68:69]
	v_fmac_f64_e32 v[72:73], s[68:69], v[70:71]
	v_pk_mov_b32 v[74:75], v[8:9], v[8:9] op_sel:[0,1]
	v_fmac_f64_e32 v[74:75], s[70:71], v[72:73]
	v_pk_mov_b32 v[84:85], v[10:11], v[10:11] op_sel:[0,1]
	;; [unrolled: 2-line block ×9, first 2 shown]
	v_fmac_f64_e32 v[74:75], v[72:73], v[84:85]
	v_fma_f64 v[74:75], v[72:73], v[74:75], 1.0
	v_fma_f64 v[72:73], v[72:73], v[74:75], 1.0
	v_cvt_i32_f64_e32 v70, v[70:71]
	v_ldexp_f64 v[70:71], v[72:73], v70
	v_add_f64 v[70:71], -v[70:71], 1.0
	v_cmp_ngt_f64_e64 s[6:7], s[72:73], v[68:69]
	v_cmp_nlt_f64_e64 s[8:9], s[74:75], v[68:69]
	v_cndmask_b32_e64 v71, v81, v71, s[6:7]
	s_and_b64 s[6:7], s[8:9], s[6:7]
	v_cndmask_b32_e64 v69, v82, v71, s[8:9]
	v_cndmask_b32_e64 v68, 0, v70, s[6:7]
.LBB238_35:                             ;   in Loop: Header=BB238_25 Depth=1
	s_andn2_saveexec_b64 s[6:7], s[78:79]
	s_cbranch_execz .LBB238_37
; %bb.36:                               ;   in Loop: Header=BB238_25 Depth=1
	v_mul_f64 v[68:69], v[64:65], v[64:65]
	v_pk_mov_b32 v[70:71], v[26:27], v[26:27] op_sel:[0,1]
	v_fmac_f64_e32 v[70:71], s[76:77], v[68:69]
	v_pk_mov_b32 v[72:73], v[28:29], v[28:29] op_sel:[0,1]
	v_fmac_f64_e32 v[72:73], v[68:69], v[70:71]
	;; [unrolled: 2-line block ×11, first 2 shown]
	v_fma_f64 v[68:69], |v[64:65]|, v[70:71], |v[64:65]|
.LBB238_37:                             ;   in Loop: Header=BB238_25 Depth=1
	s_or_b64 exec, exec, s[6:7]
	v_cmp_nlt_f64_e64 s[6:7], |v[60:61]|, 1.0
                                        ; implicit-def: $vgpr70_vgpr71
	s_and_saveexec_b64 s[8:9], s[6:7]
	s_xor_b64 s[78:79], exec, s[8:9]
	s_cbranch_execz .LBB238_39
; %bb.38:                               ;   in Loop: Header=BB238_25 Depth=1
	v_fma_f64 v[70:71], |v[60:61]|, s[18:19], v[6:7]
	v_fma_f64 v[70:71], |v[60:61]|, v[70:71], s[20:21]
	;; [unrolled: 1-line block ×22, first 2 shown]
	v_fma_f64 v[70:71], |v[60:61]|, v[70:71], |v[60:61]|
	v_mul_f64 v[72:73], v[70:71], s[64:65]
	v_rndne_f64_e32 v[72:73], v[72:73]
	v_fma_f64 v[74:75], v[72:73], s[66:67], -v[70:71]
	v_fmac_f64_e32 v[74:75], s[68:69], v[72:73]
	v_pk_mov_b32 v[84:85], v[8:9], v[8:9] op_sel:[0,1]
	v_fmac_f64_e32 v[84:85], s[70:71], v[74:75]
	v_pk_mov_b32 v[86:87], v[10:11], v[10:11] op_sel:[0,1]
	;; [unrolled: 2-line block ×9, first 2 shown]
	v_fmac_f64_e32 v[84:85], v[74:75], v[86:87]
	v_fma_f64 v[84:85], v[74:75], v[84:85], 1.0
	v_fma_f64 v[74:75], v[74:75], v[84:85], 1.0
	v_cvt_i32_f64_e32 v64, v[72:73]
	v_ldexp_f64 v[72:73], v[74:75], v64
	v_add_f64 v[72:73], -v[72:73], 1.0
	v_cmp_ngt_f64_e64 s[6:7], s[72:73], v[70:71]
	v_cmp_nlt_f64_e64 s[8:9], s[74:75], v[70:71]
	v_cndmask_b32_e64 v64, v81, v73, s[6:7]
	s_and_b64 s[6:7], s[8:9], s[6:7]
	v_cndmask_b32_e64 v71, v82, v64, s[8:9]
	v_cndmask_b32_e64 v70, 0, v72, s[6:7]
.LBB238_39:                             ;   in Loop: Header=BB238_25 Depth=1
	s_andn2_saveexec_b64 s[6:7], s[78:79]
	s_cbranch_execz .LBB238_41
; %bb.40:                               ;   in Loop: Header=BB238_25 Depth=1
	v_mul_f64 v[70:71], v[60:61], v[60:61]
	v_pk_mov_b32 v[72:73], v[26:27], v[26:27] op_sel:[0,1]
	v_fmac_f64_e32 v[72:73], s[76:77], v[70:71]
	v_pk_mov_b32 v[74:75], v[28:29], v[28:29] op_sel:[0,1]
	v_fmac_f64_e32 v[74:75], v[70:71], v[72:73]
	;; [unrolled: 2-line block ×11, first 2 shown]
	v_fma_f64 v[70:71], |v[60:61]|, v[72:73], |v[60:61]|
.LBB238_41:                             ;   in Loop: Header=BB238_25 Depth=1
	s_or_b64 exec, exec, s[6:7]
	v_cmp_nlt_f64_e64 s[6:7], |v[66:67]|, 1.0
                                        ; implicit-def: $vgpr72_vgpr73
	s_and_saveexec_b64 s[8:9], s[6:7]
	s_xor_b64 s[78:79], exec, s[8:9]
	s_cbranch_execz .LBB238_43
; %bb.42:                               ;   in Loop: Header=BB238_25 Depth=1
	v_fma_f64 v[72:73], |v[66:67]|, s[18:19], v[6:7]
	v_fma_f64 v[72:73], |v[66:67]|, v[72:73], s[20:21]
	;; [unrolled: 1-line block ×22, first 2 shown]
	v_fma_f64 v[72:73], |v[66:67]|, v[72:73], |v[66:67]|
	v_mul_f64 v[74:75], v[72:73], s[64:65]
	v_rndne_f64_e32 v[74:75], v[74:75]
	v_fma_f64 v[84:85], v[74:75], s[66:67], -v[72:73]
	v_fmac_f64_e32 v[84:85], s[68:69], v[74:75]
	v_pk_mov_b32 v[86:87], v[8:9], v[8:9] op_sel:[0,1]
	v_fmac_f64_e32 v[86:87], s[70:71], v[84:85]
	v_pk_mov_b32 v[88:89], v[10:11], v[10:11] op_sel:[0,1]
	;; [unrolled: 2-line block ×9, first 2 shown]
	v_fmac_f64_e32 v[86:87], v[84:85], v[88:89]
	v_fma_f64 v[86:87], v[84:85], v[86:87], 1.0
	v_fma_f64 v[84:85], v[84:85], v[86:87], 1.0
	v_cvt_i32_f64_e32 v60, v[74:75]
	v_ldexp_f64 v[74:75], v[84:85], v60
	v_add_f64 v[74:75], -v[74:75], 1.0
	v_cmp_ngt_f64_e64 s[6:7], s[72:73], v[72:73]
	v_cmp_nlt_f64_e64 s[8:9], s[74:75], v[72:73]
	v_cndmask_b32_e64 v60, v81, v75, s[6:7]
	s_and_b64 s[6:7], s[8:9], s[6:7]
	v_cndmask_b32_e64 v73, v82, v60, s[8:9]
	v_cndmask_b32_e64 v72, 0, v74, s[6:7]
.LBB238_43:                             ;   in Loop: Header=BB238_25 Depth=1
	s_andn2_saveexec_b64 s[6:7], s[78:79]
	s_cbranch_execz .LBB238_45
; %bb.44:                               ;   in Loop: Header=BB238_25 Depth=1
	v_mul_f64 v[72:73], v[66:67], v[66:67]
	v_pk_mov_b32 v[74:75], v[26:27], v[26:27] op_sel:[0,1]
	v_fmac_f64_e32 v[74:75], s[76:77], v[72:73]
	v_pk_mov_b32 v[84:85], v[28:29], v[28:29] op_sel:[0,1]
	v_fmac_f64_e32 v[84:85], v[72:73], v[74:75]
	;; [unrolled: 2-line block ×11, first 2 shown]
	v_fma_f64 v[72:73], |v[66:67]|, v[74:75], |v[66:67]|
.LBB238_45:                             ;   in Loop: Header=BB238_25 Depth=1
	s_or_b64 exec, exec, s[6:7]
	v_cmp_nlt_f64_e64 s[6:7], |v[62:63]|, 1.0
                                        ; implicit-def: $vgpr74_vgpr75
	s_and_saveexec_b64 s[8:9], s[6:7]
	s_xor_b64 s[78:79], exec, s[8:9]
	s_cbranch_execnz .LBB238_51
; %bb.46:                               ;   in Loop: Header=BB238_25 Depth=1
	s_andn2_saveexec_b64 s[6:7], s[78:79]
	s_cbranch_execnz .LBB238_52
.LBB238_47:                             ;   in Loop: Header=BB238_25 Depth=1
	s_or_b64 exec, exec, s[6:7]
	s_and_saveexec_b64 s[6:7], vcc
	s_xor_b64 s[6:7], exec, s[6:7]
	s_cbranch_execnz .LBB238_53
.LBB238_48:                             ;   in Loop: Header=BB238_25 Depth=1
	s_or_b64 exec, exec, s[6:7]
	s_and_saveexec_b64 s[6:7], s[0:1]
	s_cbranch_execnz .LBB238_54
.LBB238_49:                             ;   in Loop: Header=BB238_25 Depth=1
	s_or_b64 exec, exec, s[6:7]
	s_and_saveexec_b64 s[0:1], s[2:3]
	s_cbranch_execnz .LBB238_55
.LBB238_50:                             ;   in Loop: Header=BB238_25 Depth=1
	s_or_b64 exec, exec, s[0:1]
	s_and_saveexec_b64 s[0:1], s[4:5]
	s_cbranch_execz .LBB238_24
	s_branch .LBB238_56
.LBB238_51:                             ;   in Loop: Header=BB238_25 Depth=1
	v_fma_f64 v[74:75], |v[62:63]|, s[18:19], v[6:7]
	v_fma_f64 v[74:75], |v[62:63]|, v[74:75], s[20:21]
	;; [unrolled: 1-line block ×22, first 2 shown]
	v_fma_f64 v[74:75], |v[62:63]|, v[74:75], |v[62:63]|
	v_mul_f64 v[84:85], v[74:75], s[64:65]
	v_rndne_f64_e32 v[84:85], v[84:85]
	v_fma_f64 v[86:87], v[84:85], s[66:67], -v[74:75]
	v_fmac_f64_e32 v[86:87], s[68:69], v[84:85]
	v_pk_mov_b32 v[88:89], v[8:9], v[8:9] op_sel:[0,1]
	v_fmac_f64_e32 v[88:89], s[70:71], v[86:87]
	v_pk_mov_b32 v[90:91], v[10:11], v[10:11] op_sel:[0,1]
	;; [unrolled: 2-line block ×9, first 2 shown]
	v_fmac_f64_e32 v[88:89], v[86:87], v[90:91]
	v_fma_f64 v[88:89], v[86:87], v[88:89], 1.0
	v_fma_f64 v[86:87], v[86:87], v[88:89], 1.0
	v_cvt_i32_f64_e32 v60, v[84:85]
	v_ldexp_f64 v[84:85], v[86:87], v60
	v_add_f64 v[84:85], -v[84:85], 1.0
	v_cmp_ngt_f64_e64 s[6:7], s[72:73], v[74:75]
	v_cmp_nlt_f64_e64 s[8:9], s[74:75], v[74:75]
	v_cndmask_b32_e64 v60, v81, v85, s[6:7]
	s_and_b64 s[6:7], s[8:9], s[6:7]
	v_cndmask_b32_e64 v75, v82, v60, s[8:9]
	v_cndmask_b32_e64 v74, 0, v84, s[6:7]
	s_andn2_saveexec_b64 s[6:7], s[78:79]
	s_cbranch_execz .LBB238_47
.LBB238_52:                             ;   in Loop: Header=BB238_25 Depth=1
	v_mul_f64 v[74:75], v[62:63], v[62:63]
	v_pk_mov_b32 v[84:85], v[26:27], v[26:27] op_sel:[0,1]
	v_fmac_f64_e32 v[84:85], s[76:77], v[74:75]
	v_pk_mov_b32 v[86:87], v[28:29], v[28:29] op_sel:[0,1]
	v_fmac_f64_e32 v[86:87], v[74:75], v[84:85]
	;; [unrolled: 2-line block ×11, first 2 shown]
	v_fma_f64 v[74:75], |v[62:63]|, v[84:85], |v[62:63]|
	s_or_b64 exec, exec, s[6:7]
	s_and_saveexec_b64 s[6:7], vcc
	s_xor_b64 s[6:7], exec, s[6:7]
	s_cbranch_execz .LBB238_48
.LBB238_53:                             ;   in Loop: Header=BB238_25 Depth=1
	v_mov_b32_e32 v60, s11
	v_add_co_u32_e32 v64, vcc, s10, v56
	v_bfi_b32 v69, s82, v69, v65
	v_addc_co_u32_e32 v65, vcc, v55, v60, vcc
	global_store_dwordx2 v[64:65], v[68:69], off
	s_or_b64 exec, exec, s[6:7]
	s_and_saveexec_b64 s[6:7], s[0:1]
	s_cbranch_execz .LBB238_49
.LBB238_54:                             ;   in Loop: Header=BB238_25 Depth=1
	v_bfi_b32 v71, s82, v71, v61
	v_mov_b32_e32 v61, s11
	v_add_co_u32_e32 v60, vcc, s10, v58
	v_addc_co_u32_e32 v61, vcc, v57, v61, vcc
	global_store_dwordx2 v[60:61], v[70:71], off
	s_or_b64 exec, exec, s[6:7]
	s_and_saveexec_b64 s[0:1], s[2:3]
	s_cbranch_execz .LBB238_50
.LBB238_55:                             ;   in Loop: Header=BB238_25 Depth=1
	v_mov_b32_e32 v61, s11
	v_add_co_u32_e32 v60, vcc, s10, v50
	v_bfi_b32 v73, s82, v73, v67
	v_addc_co_u32_e32 v61, vcc, v49, v61, vcc
	global_store_dwordx2 v[60:61], v[72:73], off
	s_or_b64 exec, exec, s[0:1]
	s_and_saveexec_b64 s[0:1], s[4:5]
	s_cbranch_execz .LBB238_24
.LBB238_56:                             ;   in Loop: Header=BB238_25 Depth=1
	v_mov_b32_e32 v61, s11
	v_add_co_u32_e32 v60, vcc, s10, v4
	v_bfi_b32 v75, s82, v75, v63
	v_addc_co_u32_e32 v61, vcc, v3, v61, vcc
	global_store_dwordx2 v[60:61], v[74:75], off
	s_branch .LBB238_24
.LBB238_57:
	s_endpgm
	.section	.rodata,"a",@progbits
	.p2align	6, 0x0
	.amdhsa_kernel _ZN2at6native12_GLOBAL__N_125multi_tensor_apply_kernelINS1_18TensorListMetadataILi2EEENS1_14UnaryOpFunctorIdLi2ELi1ELi1EEEJNS0_3ErfIdEEEEEvT_T0_DpT1_
		.amdhsa_group_segment_fixed_size 0
		.amdhsa_private_segment_fixed_size 0
		.amdhsa_kernarg_size 3408
		.amdhsa_user_sgpr_count 6
		.amdhsa_user_sgpr_private_segment_buffer 1
		.amdhsa_user_sgpr_dispatch_ptr 0
		.amdhsa_user_sgpr_queue_ptr 0
		.amdhsa_user_sgpr_kernarg_segment_ptr 1
		.amdhsa_user_sgpr_dispatch_id 0
		.amdhsa_user_sgpr_flat_scratch_init 0
		.amdhsa_user_sgpr_kernarg_preload_length 0
		.amdhsa_user_sgpr_kernarg_preload_offset 0
		.amdhsa_user_sgpr_private_segment_size 0
		.amdhsa_uses_dynamic_stack 0
		.amdhsa_system_sgpr_private_segment_wavefront_offset 0
		.amdhsa_system_sgpr_workgroup_id_x 1
		.amdhsa_system_sgpr_workgroup_id_y 0
		.amdhsa_system_sgpr_workgroup_id_z 0
		.amdhsa_system_sgpr_workgroup_info 0
		.amdhsa_system_vgpr_workitem_id 0
		.amdhsa_next_free_vgpr 92
		.amdhsa_next_free_sgpr 87
		.amdhsa_accum_offset 92
		.amdhsa_reserve_vcc 1
		.amdhsa_reserve_flat_scratch 0
		.amdhsa_float_round_mode_32 0
		.amdhsa_float_round_mode_16_64 0
		.amdhsa_float_denorm_mode_32 3
		.amdhsa_float_denorm_mode_16_64 3
		.amdhsa_dx10_clamp 1
		.amdhsa_ieee_mode 1
		.amdhsa_fp16_overflow 0
		.amdhsa_tg_split 0
		.amdhsa_exception_fp_ieee_invalid_op 0
		.amdhsa_exception_fp_denorm_src 0
		.amdhsa_exception_fp_ieee_div_zero 0
		.amdhsa_exception_fp_ieee_overflow 0
		.amdhsa_exception_fp_ieee_underflow 0
		.amdhsa_exception_fp_ieee_inexact 0
		.amdhsa_exception_int_div_zero 0
	.end_amdhsa_kernel
	.section	.text._ZN2at6native12_GLOBAL__N_125multi_tensor_apply_kernelINS1_18TensorListMetadataILi2EEENS1_14UnaryOpFunctorIdLi2ELi1ELi1EEEJNS0_3ErfIdEEEEEvT_T0_DpT1_,"axG",@progbits,_ZN2at6native12_GLOBAL__N_125multi_tensor_apply_kernelINS1_18TensorListMetadataILi2EEENS1_14UnaryOpFunctorIdLi2ELi1ELi1EEEJNS0_3ErfIdEEEEEvT_T0_DpT1_,comdat
.Lfunc_end238:
	.size	_ZN2at6native12_GLOBAL__N_125multi_tensor_apply_kernelINS1_18TensorListMetadataILi2EEENS1_14UnaryOpFunctorIdLi2ELi1ELi1EEEJNS0_3ErfIdEEEEEvT_T0_DpT1_, .Lfunc_end238-_ZN2at6native12_GLOBAL__N_125multi_tensor_apply_kernelINS1_18TensorListMetadataILi2EEENS1_14UnaryOpFunctorIdLi2ELi1ELi1EEEJNS0_3ErfIdEEEEEvT_T0_DpT1_
                                        ; -- End function
	.section	.AMDGPU.csdata,"",@progbits
; Kernel info:
; codeLenInByte = 7492
; NumSgprs: 91
; NumVgprs: 92
; NumAgprs: 0
; TotalNumVgprs: 92
; ScratchSize: 0
; MemoryBound: 1
; FloatMode: 240
; IeeeMode: 1
; LDSByteSize: 0 bytes/workgroup (compile time only)
; SGPRBlocks: 11
; VGPRBlocks: 11
; NumSGPRsForWavesPerEU: 91
; NumVGPRsForWavesPerEU: 92
; AccumOffset: 92
; Occupancy: 5
; WaveLimiterHint : 0
; COMPUTE_PGM_RSRC2:SCRATCH_EN: 0
; COMPUTE_PGM_RSRC2:USER_SGPR: 6
; COMPUTE_PGM_RSRC2:TRAP_HANDLER: 0
; COMPUTE_PGM_RSRC2:TGID_X_EN: 1
; COMPUTE_PGM_RSRC2:TGID_Y_EN: 0
; COMPUTE_PGM_RSRC2:TGID_Z_EN: 0
; COMPUTE_PGM_RSRC2:TIDIG_COMP_CNT: 0
; COMPUTE_PGM_RSRC3_GFX90A:ACCUM_OFFSET: 22
; COMPUTE_PGM_RSRC3_GFX90A:TG_SPLIT: 0
	.section	.text._ZN2at6native12_GLOBAL__N_125multi_tensor_apply_kernelINS1_18TensorListMetadataILi2EEENS1_14UnaryOpFunctorIfLi2ELi1ELi1EEEJNS0_3ErfIfEEEEEvT_T0_DpT1_,"axG",@progbits,_ZN2at6native12_GLOBAL__N_125multi_tensor_apply_kernelINS1_18TensorListMetadataILi2EEENS1_14UnaryOpFunctorIfLi2ELi1ELi1EEEJNS0_3ErfIfEEEEEvT_T0_DpT1_,comdat
	.globl	_ZN2at6native12_GLOBAL__N_125multi_tensor_apply_kernelINS1_18TensorListMetadataILi2EEENS1_14UnaryOpFunctorIfLi2ELi1ELi1EEEJNS0_3ErfIfEEEEEvT_T0_DpT1_ ; -- Begin function _ZN2at6native12_GLOBAL__N_125multi_tensor_apply_kernelINS1_18TensorListMetadataILi2EEENS1_14UnaryOpFunctorIfLi2ELi1ELi1EEEJNS0_3ErfIfEEEEEvT_T0_DpT1_
	.p2align	8
	.type	_ZN2at6native12_GLOBAL__N_125multi_tensor_apply_kernelINS1_18TensorListMetadataILi2EEENS1_14UnaryOpFunctorIfLi2ELi1ELi1EEEJNS0_3ErfIfEEEEEvT_T0_DpT1_,@function
_ZN2at6native12_GLOBAL__N_125multi_tensor_apply_kernelINS1_18TensorListMetadataILi2EEENS1_14UnaryOpFunctorIfLi2ELi1ELi1EEEJNS0_3ErfIfEEEEEvT_T0_DpT1_: ; @_ZN2at6native12_GLOBAL__N_125multi_tensor_apply_kernelINS1_18TensorListMetadataILi2EEENS1_14UnaryOpFunctorIfLi2ELi1ELi1EEEJNS0_3ErfIfEEEEEvT_T0_DpT1_
; %bb.0:
	v_mov_b32_e32 v1, s6
	global_load_ubyte v1, v1, s[4:5] offset:1536
	s_add_u32 s0, s4, s6
	s_mul_hi_u32 s3, s6, 3
	s_mul_i32 s6, s6, 3
	s_addc_u32 s7, s5, 0
	s_add_u32 s2, s0, s6
	s_addc_u32 s3, s7, s3
	s_load_dword s14, s[2:3], 0x740
	s_mov_b32 s1, 0
	s_mov_b32 s13, s1
	;; [unrolled: 1-line block ×3, first 2 shown]
	s_waitcnt lgkmcnt(0)
	s_ashr_i32 s15, s14, 31
	s_lshl_b64 s[8:9], s[14:15], 18
	s_waitcnt vmcnt(0)
	v_readfirstlane_b32 s0, v1
	s_lshl_b32 s0, s0, 3
	s_load_dwordx2 s[6:7], s[4:5], s0 offset:0x0
	s_load_dwordx2 s[16:17], s[4:5], s0 offset:0x400
	;; [unrolled: 1-line block ×3, first 2 shown]
	s_waitcnt lgkmcnt(0)
	s_add_u32 s18, s6, s8
	s_addc_u32 s19, s7, s9
	s_and_b32 s0, s18, 15
	s_add_u32 s20, s2, s8
	s_addc_u32 s21, s3, s9
	s_and_b32 s12, s16, 3
	s_and_b32 s10, s20, 15
	s_or_b64 s[12:13], s[0:1], s[12:13]
	s_or_b64 s[12:13], s[10:11], s[12:13]
	s_lshl_b64 s[10:11], s[14:15], 16
	s_sub_u32 s10, s16, s10
	s_subb_u32 s11, s17, s11
	s_cmp_eq_u64 s[12:13], 0
	s_mov_b64 s[12:13], -1
	s_cbranch_scc0 .LBB239_21
; %bb.1:
	v_mov_b32_e32 v7, 0
	v_lshlrev_b32_e32 v6, 2, v0
	v_cmp_gt_i64_e32 vcc, s[10:11], v[6:7]
	s_and_saveexec_b64 s[12:13], vcc
	s_cbranch_execz .LBB239_20
; %bb.2:
	s_load_dword s0, s[4:5], 0xc5c
	v_lshlrev_b32_e32 v8, 4, v0
	s_mov_b64 s[14:15], 0
	s_mov_b32 s24, 0x378e98ab
	s_mov_b32 s25, 0x3b7cd369
	s_waitcnt lgkmcnt(0)
	s_and_b32 s0, s0, 0xffff
	v_add_lshl_u32 v6, v0, s0, 2
	s_lshl_b32 s22, s0, 2
	s_lshl_b32 s23, s0, 4
	s_mov_b32 s26, 0xbcc618b2
	s_mov_b32 s27, 0x3dda74e4
	;; [unrolled: 1-line block ×7, first 2 shown]
	v_mov_b32_e32 v1, 0xbcdac9b8
	v_mov_b32_e32 v9, 0x3de703be
	;; [unrolled: 1-line block ×4, first 2 shown]
	s_brev_b32 s34, -2
	s_mov_b64 s[16:17], 0xffff
	v_mov_b32_e32 v12, s1
	v_mov_b32_e32 v13, 0xb9c68948
	;; [unrolled: 1-line block ×3, first 2 shown]
	s_branch .LBB239_4
.LBB239_3:                              ;   in Loop: Header=BB239_4 Depth=1
	s_or_b64 exec, exec, s[0:1]
	v_bfi_b32 v3, s34, v16, v3
	v_bfi_b32 v2, s34, v15, v2
	v_mov_b32_e32 v15, s21
	v_add_co_u32_e32 v16, vcc, s20, v8
	v_bfi_b32 v4, s34, v17, v4
	v_addc_co_u32_e32 v17, vcc, 0, v15, vcc
	v_cmp_le_i64_e32 vcc, s[10:11], v[6:7]
	v_cmp_lt_u64_e64 s[0:1], s[16:17], v[6:7]
	s_or_b64 s[0:1], vcc, s[0:1]
	s_add_u32 s18, s18, s23
	s_addc_u32 s19, s19, 0
	s_add_u32 s20, s20, s23
	s_addc_u32 s21, s21, 0
	s_and_b64 s[0:1], exec, s[0:1]
	v_add_co_u32_e32 v6, vcc, s22, v6
	v_bfi_b32 v5, s34, v18, v5
	s_or_b64 s[14:15], s[0:1], s[14:15]
	v_addc_co_u32_e32 v7, vcc, v7, v12, vcc
	global_store_dwordx4 v[16:17], v[2:5], off
	s_andn2_b64 exec, exec, s[14:15]
	s_cbranch_execz .LBB239_20
.LBB239_4:                              ; =>This Inner Loop Header: Depth=1
	v_mov_b32_e32 v3, s19
	v_add_co_u32_e32 v2, vcc, s18, v8
	v_addc_co_u32_e32 v3, vcc, 0, v3, vcc
	global_load_dwordx4 v[2:5], v[2:3], off
                                        ; implicit-def: $vgpr15
	s_waitcnt vmcnt(0)
	v_cmp_nlt_f32_e64 s[0:1], |v2|, 1.0
	s_and_saveexec_b64 s[36:37], s[0:1]
	s_xor_b64 s[0:1], exec, s[36:37]
	s_cbranch_execz .LBB239_6
; %bb.5:                                ;   in Loop: Header=BB239_4 Depth=1
	v_fma_f32 v15, |v2|, s24, v13
	v_fma_f32 v15, |v2|, v15, s25
	;; [unrolled: 1-line block ×6, first 2 shown]
	v_fma_f32 v15, |v2|, v15, |v2|
	v_mul_f32_e32 v16, 0xbfb8aa3b, v15
	v_fma_f32 v17, v15, s30, -v16
	v_rndne_f32_e32 v18, v16
	v_fmac_f32_e32 v17, 0xb2a5705f, v15
	v_sub_f32_e32 v16, v16, v18
	v_add_f32_e32 v16, v16, v17
	v_cvt_i32_f32_e32 v17, v18
	v_exp_f32_e32 v16, v16
	v_cmp_nlt_f32_e32 vcc, s31, v15
	v_ldexp_f32 v16, v16, v17
	v_cndmask_b32_e32 v16, 0, v16, vcc
	v_cmp_ngt_f32_e32 vcc, s33, v15
	v_cndmask_b32_e32 v15, v14, v16, vcc
	v_sub_f32_e32 v15, 1.0, v15
.LBB239_6:                              ;   in Loop: Header=BB239_4 Depth=1
	s_andn2_saveexec_b64 s[0:1], s[0:1]
; %bb.7:                                ;   in Loop: Header=BB239_4 Depth=1
	v_mul_f32_e32 v15, v2, v2
	v_mov_b32_e32 v16, 0x3ba10414
	v_fmac_f32_e32 v16, 0xba1345e1, v15
	v_fma_f32 v16, v15, v16, v1
	v_fma_f32 v16, v15, v16, v9
	;; [unrolled: 1-line block ×4, first 2 shown]
	v_fma_f32 v15, |v2|, v15, |v2|
; %bb.8:                                ;   in Loop: Header=BB239_4 Depth=1
	s_or_b64 exec, exec, s[0:1]
	v_cmp_nlt_f32_e64 s[0:1], |v3|, 1.0
                                        ; implicit-def: $vgpr16
	s_and_saveexec_b64 s[36:37], s[0:1]
	s_xor_b64 s[0:1], exec, s[36:37]
	s_cbranch_execz .LBB239_10
; %bb.9:                                ;   in Loop: Header=BB239_4 Depth=1
	v_fma_f32 v16, |v3|, s24, v13
	v_fma_f32 v16, |v3|, v16, s25
	;; [unrolled: 1-line block ×6, first 2 shown]
	v_fma_f32 v16, |v3|, v16, |v3|
	v_mul_f32_e32 v17, 0xbfb8aa3b, v16
	v_fma_f32 v18, v16, s30, -v17
	v_rndne_f32_e32 v19, v17
	v_fmac_f32_e32 v18, 0xb2a5705f, v16
	v_sub_f32_e32 v17, v17, v19
	v_add_f32_e32 v17, v17, v18
	v_cvt_i32_f32_e32 v18, v19
	v_exp_f32_e32 v17, v17
	v_cmp_nlt_f32_e32 vcc, s31, v16
	v_ldexp_f32 v17, v17, v18
	v_cndmask_b32_e32 v17, 0, v17, vcc
	v_cmp_ngt_f32_e32 vcc, s33, v16
	v_cndmask_b32_e32 v16, v14, v17, vcc
	v_sub_f32_e32 v16, 1.0, v16
.LBB239_10:                             ;   in Loop: Header=BB239_4 Depth=1
	s_andn2_saveexec_b64 s[0:1], s[0:1]
; %bb.11:                               ;   in Loop: Header=BB239_4 Depth=1
	v_mul_f32_e32 v16, v3, v3
	v_mov_b32_e32 v17, 0x3ba10414
	v_fmac_f32_e32 v17, 0xba1345e1, v16
	v_fma_f32 v17, v16, v17, v1
	v_fma_f32 v17, v16, v17, v9
	;; [unrolled: 1-line block ×4, first 2 shown]
	v_fma_f32 v16, |v3|, v16, |v3|
; %bb.12:                               ;   in Loop: Header=BB239_4 Depth=1
	s_or_b64 exec, exec, s[0:1]
	v_cmp_nlt_f32_e64 s[0:1], |v4|, 1.0
                                        ; implicit-def: $vgpr17
	s_and_saveexec_b64 s[36:37], s[0:1]
	s_xor_b64 s[0:1], exec, s[36:37]
	s_cbranch_execz .LBB239_14
; %bb.13:                               ;   in Loop: Header=BB239_4 Depth=1
	v_fma_f32 v17, |v4|, s24, v13
	v_fma_f32 v17, |v4|, v17, s25
	;; [unrolled: 1-line block ×6, first 2 shown]
	v_fma_f32 v17, |v4|, v17, |v4|
	v_mul_f32_e32 v18, 0xbfb8aa3b, v17
	v_fma_f32 v19, v17, s30, -v18
	v_rndne_f32_e32 v20, v18
	v_fmac_f32_e32 v19, 0xb2a5705f, v17
	v_sub_f32_e32 v18, v18, v20
	v_add_f32_e32 v18, v18, v19
	v_cvt_i32_f32_e32 v19, v20
	v_exp_f32_e32 v18, v18
	v_cmp_nlt_f32_e32 vcc, s31, v17
	v_ldexp_f32 v18, v18, v19
	v_cndmask_b32_e32 v18, 0, v18, vcc
	v_cmp_ngt_f32_e32 vcc, s33, v17
	v_cndmask_b32_e32 v17, v14, v18, vcc
	v_sub_f32_e32 v17, 1.0, v17
.LBB239_14:                             ;   in Loop: Header=BB239_4 Depth=1
	s_andn2_saveexec_b64 s[0:1], s[0:1]
; %bb.15:                               ;   in Loop: Header=BB239_4 Depth=1
	v_mul_f32_e32 v17, v4, v4
	v_mov_b32_e32 v18, 0x3ba10414
	v_fmac_f32_e32 v18, 0xba1345e1, v17
	v_fma_f32 v18, v17, v18, v1
	v_fma_f32 v18, v17, v18, v9
	;; [unrolled: 1-line block ×4, first 2 shown]
	v_fma_f32 v17, |v4|, v17, |v4|
; %bb.16:                               ;   in Loop: Header=BB239_4 Depth=1
	s_or_b64 exec, exec, s[0:1]
	v_cmp_nlt_f32_e64 s[0:1], |v5|, 1.0
                                        ; implicit-def: $vgpr18
	s_and_saveexec_b64 s[36:37], s[0:1]
	s_xor_b64 s[0:1], exec, s[36:37]
	s_cbranch_execz .LBB239_18
; %bb.17:                               ;   in Loop: Header=BB239_4 Depth=1
	v_fma_f32 v18, |v5|, s24, v13
	v_fma_f32 v18, |v5|, v18, s25
	;; [unrolled: 1-line block ×6, first 2 shown]
	v_fma_f32 v18, |v5|, v18, |v5|
	v_mul_f32_e32 v19, 0xbfb8aa3b, v18
	v_fma_f32 v20, v18, s30, -v19
	v_rndne_f32_e32 v21, v19
	v_fmac_f32_e32 v20, 0xb2a5705f, v18
	v_sub_f32_e32 v19, v19, v21
	v_add_f32_e32 v19, v19, v20
	v_cvt_i32_f32_e32 v20, v21
	v_exp_f32_e32 v19, v19
	v_cmp_nlt_f32_e32 vcc, s31, v18
	v_ldexp_f32 v19, v19, v20
	v_cndmask_b32_e32 v19, 0, v19, vcc
	v_cmp_ngt_f32_e32 vcc, s33, v18
	v_cndmask_b32_e32 v18, v14, v19, vcc
	v_sub_f32_e32 v18, 1.0, v18
.LBB239_18:                             ;   in Loop: Header=BB239_4 Depth=1
	s_andn2_saveexec_b64 s[0:1], s[0:1]
	s_cbranch_execz .LBB239_3
; %bb.19:                               ;   in Loop: Header=BB239_4 Depth=1
	v_mul_f32_e32 v18, v5, v5
	v_mov_b32_e32 v19, 0x3ba10414
	v_fmac_f32_e32 v19, 0xba1345e1, v18
	v_fma_f32 v19, v18, v19, v1
	v_fma_f32 v19, v18, v19, v9
	;; [unrolled: 1-line block ×4, first 2 shown]
	v_fma_f32 v18, |v5|, v18, |v5|
	s_branch .LBB239_3
.LBB239_20:
	s_or_b64 exec, exec, s[12:13]
	s_mov_b64 s[12:13], 0
.LBB239_21:
	s_andn2_b64 vcc, exec, s[12:13]
	s_cbranch_vccnz .LBB239_57
; %bb.22:
	v_cmp_lt_i64_e64 s[0:1], s[10:11], 1
	s_and_b64 vcc, exec, s[0:1]
	s_cbranch_vccnz .LBB239_57
; %bb.23:
	s_load_dword s0, s[4:5], 0xc5c
	v_mov_b32_e32 v2, 0x10000
	v_mov_b32_e32 v3, 0
	v_cmp_lt_u64_e32 vcc, s[10:11], v[2:3]
	v_lshlrev_b32_e32 v10, 2, v0
	s_waitcnt lgkmcnt(0)
	s_and_b32 s4, s0, 0xffff
	s_and_b64 s[0:1], vcc, exec
	v_mov_b32_e32 v13, s7
	v_add_co_u32_e32 v2, vcc, s6, v10
	v_addc_co_u32_e32 v1, vcc, 0, v13, vcc
	v_mov_b32_e32 v11, 0
	v_mov_b32_e32 v15, s3
	v_add_co_u32_e32 v4, vcc, s2, v10
	v_addc_co_u32_e32 v3, vcc, 0, v15, vcc
	v_mad_u64_u32 v[8:9], s[0:1], s4, 12, v[10:11]
	v_add_co_u32_e32 v6, vcc, s6, v8
	v_addc_co_u32_e32 v5, vcc, v13, v9, vcc
	v_add_co_u32_e32 v8, vcc, s2, v8
	s_mul_i32 s14, s4, 3
	v_addc_co_u32_e32 v7, vcc, v15, v9, vcc
	v_add_co_u32_e32 v17, vcc, s14, v0
	v_addc_co_u32_e64 v18, s[0:1], 0, 0, vcc
	s_cselect_b32 s13, s11, 0
	s_cselect_b32 s12, s10, 0x10000
	s_lshl_b32 s0, s4, 3
	v_add_co_u32_e32 v11, vcc, s0, v10
	v_addc_co_u32_e64 v14, s[0:1], 0, 0, vcc
	v_add_co_u32_e32 v10, vcc, s6, v11
	v_addc_co_u32_e32 v9, vcc, v13, v14, vcc
	v_add_co_u32_e32 v12, vcc, s2, v11
	s_lshl_b32 s5, s4, 1
	v_addc_co_u32_e32 v11, vcc, v15, v14, vcc
	v_add_co_u32_e32 v19, vcc, s5, v0
	v_addc_co_u32_e64 v20, s[0:1], 0, 0, vcc
	v_add_co_u32_e32 v21, vcc, s4, v0
	v_lshlrev_b32_e32 v16, 2, v21
	v_addc_co_u32_e64 v22, s[0:1], 0, 0, vcc
	v_add_co_u32_e32 v14, vcc, s6, v16
	v_addc_co_u32_e32 v13, vcc, 0, v13, vcc
	v_add_co_u32_e32 v16, vcc, s2, v16
	s_mov_b32 s18, 0
	s_lshl_b32 s19, s4, 2
	s_lshl_b32 s20, s4, 4
	v_addc_co_u32_e32 v15, vcc, 0, v15, vcc
	s_mov_b64 s[14:15], 0
	s_mov_b32 s21, 0x378e98ab
	s_mov_b32 s22, 0x3b7cd369
	;; [unrolled: 1-line block ×9, first 2 shown]
	v_mov_b32_e32 v23, 0xbcdac9b8
	v_mov_b32_e32 v24, 0x3de703be
	;; [unrolled: 1-line block ×4, first 2 shown]
	s_brev_b32 s30, -2
	v_mov_b32_e32 v27, 0xb9c68948
	v_mov_b32_e32 v28, 0x7f800000
	s_branch .LBB239_25
.LBB239_24:                             ;   in Loop: Header=BB239_25 Depth=1
	s_or_b64 exec, exec, s[0:1]
	s_add_u32 s14, s14, s19
	s_addc_u32 s15, s15, 0
	v_pk_mov_b32 v[30:31], s[10:11], s[10:11] op_sel:[0,1]
	v_cmp_ge_i64_e32 vcc, s[14:15], v[30:31]
	v_mov_b32_e32 v30, 0xffff
	v_mov_b32_e32 v31, 0
	v_cmp_gt_u64_e64 s[0:1], s[14:15], v[30:31]
	s_or_b64 s[0:1], vcc, s[0:1]
	v_mov_b32_e32 v29, s18
	v_add_co_u32_e32 v2, vcc, s20, v2
	v_addc_co_u32_e32 v1, vcc, v1, v29, vcc
	v_add_co_u32_e32 v4, vcc, s20, v4
	v_addc_co_u32_e32 v3, vcc, v3, v29, vcc
	;; [unrolled: 2-line block ×8, first 2 shown]
	s_and_b64 vcc, exec, s[0:1]
	s_cbranch_vccnz .LBB239_57
.LBB239_25:                             ; =>This Inner Loop Header: Depth=1
	v_mov_b32_e32 v29, s15
	v_add_co_u32_e32 v30, vcc, s14, v0
	v_addc_co_u32_e32 v31, vcc, 0, v29, vcc
	v_cmp_gt_u64_e32 vcc, s[12:13], v[30:31]
	v_mov_b32_e32 v29, 0
	s_and_saveexec_b64 s[2:3], vcc
	s_cbranch_execz .LBB239_27
; %bb.26:                               ;   in Loop: Header=BB239_25 Depth=1
	v_mov_b32_e32 v29, s9
	v_add_co_u32_e64 v30, s[0:1], s8, v2
	v_addc_co_u32_e64 v31, s[0:1], v1, v29, s[0:1]
	global_load_dword v29, v[30:31], off
.LBB239_27:                             ;   in Loop: Header=BB239_25 Depth=1
	s_or_b64 exec, exec, s[2:3]
	v_mov_b32_e32 v31, s15
	v_add_co_u32_e64 v30, s[0:1], s14, v21
	v_addc_co_u32_e64 v31, s[0:1], v22, v31, s[0:1]
	v_cmp_gt_u64_e64 s[0:1], s[12:13], v[30:31]
	v_mov_b32_e32 v31, 0
	s_and_saveexec_b64 s[4:5], s[0:1]
	s_cbranch_execz .LBB239_29
; %bb.28:                               ;   in Loop: Header=BB239_25 Depth=1
	v_mov_b32_e32 v31, s9
	v_add_co_u32_e64 v30, s[2:3], s8, v14
	v_addc_co_u32_e64 v31, s[2:3], v13, v31, s[2:3]
	global_load_dword v31, v[30:31], off
.LBB239_29:                             ;   in Loop: Header=BB239_25 Depth=1
	s_or_b64 exec, exec, s[4:5]
	v_mov_b32_e32 v30, s15
	v_add_co_u32_e64 v32, s[2:3], s14, v19
	v_addc_co_u32_e64 v33, s[2:3], v20, v30, s[2:3]
	v_cmp_gt_u64_e64 s[2:3], s[12:13], v[32:33]
	v_mov_b32_e32 v30, 0
	v_mov_b32_e32 v32, 0
	s_and_saveexec_b64 s[6:7], s[2:3]
	s_cbranch_execz .LBB239_31
; %bb.30:                               ;   in Loop: Header=BB239_25 Depth=1
	v_mov_b32_e32 v33, s9
	v_add_co_u32_e64 v32, s[4:5], s8, v10
	v_addc_co_u32_e64 v33, s[4:5], v9, v33, s[4:5]
	global_load_dword v32, v[32:33], off
.LBB239_31:                             ;   in Loop: Header=BB239_25 Depth=1
	s_or_b64 exec, exec, s[6:7]
	v_mov_b32_e32 v33, s15
	v_add_co_u32_e64 v34, s[4:5], s14, v17
	v_addc_co_u32_e64 v35, s[4:5], v18, v33, s[4:5]
	v_cmp_gt_u64_e64 s[4:5], s[12:13], v[34:35]
	s_and_saveexec_b64 s[16:17], s[4:5]
	s_cbranch_execz .LBB239_33
; %bb.32:                               ;   in Loop: Header=BB239_25 Depth=1
	v_mov_b32_e32 v30, s9
	v_add_co_u32_e64 v34, s[6:7], s8, v6
	v_addc_co_u32_e64 v35, s[6:7], v5, v30, s[6:7]
	global_load_dword v30, v[34:35], off
.LBB239_33:                             ;   in Loop: Header=BB239_25 Depth=1
	s_or_b64 exec, exec, s[16:17]
	s_waitcnt vmcnt(0)
	v_cmp_nlt_f32_e64 s[6:7], |v29|, 1.0
                                        ; implicit-def: $vgpr33
	s_and_saveexec_b64 s[16:17], s[6:7]
	s_xor_b64 s[16:17], exec, s[16:17]
	s_cbranch_execz .LBB239_35
; %bb.34:                               ;   in Loop: Header=BB239_25 Depth=1
	v_fma_f32 v33, |v29|, s21, v27
	v_fma_f32 v33, |v29|, v33, s22
	;; [unrolled: 1-line block ×6, first 2 shown]
	v_fma_f32 v33, |v29|, v33, |v29|
	v_mul_f32_e32 v34, 0xbfb8aa3b, v33
	v_fma_f32 v35, v33, s27, -v34
	v_rndne_f32_e32 v36, v34
	v_fmac_f32_e32 v35, 0xb2a5705f, v33
	v_sub_f32_e32 v34, v34, v36
	v_add_f32_e32 v34, v34, v35
	v_cvt_i32_f32_e32 v35, v36
	v_exp_f32_e32 v34, v34
	v_cmp_nlt_f32_e64 s[6:7], s28, v33
	v_ldexp_f32 v34, v34, v35
	v_cndmask_b32_e64 v34, 0, v34, s[6:7]
	v_cmp_ngt_f32_e64 s[6:7], s29, v33
	v_cndmask_b32_e64 v33, v28, v34, s[6:7]
	v_sub_f32_e32 v33, 1.0, v33
.LBB239_35:                             ;   in Loop: Header=BB239_25 Depth=1
	s_andn2_saveexec_b64 s[6:7], s[16:17]
; %bb.36:                               ;   in Loop: Header=BB239_25 Depth=1
	v_mul_f32_e32 v33, v29, v29
	v_mov_b32_e32 v34, 0x3ba10414
	v_fmac_f32_e32 v34, 0xba1345e1, v33
	v_fma_f32 v34, v33, v34, v23
	v_fma_f32 v34, v33, v34, v24
	;; [unrolled: 1-line block ×4, first 2 shown]
	v_fma_f32 v33, |v29|, v33, |v29|
; %bb.37:                               ;   in Loop: Header=BB239_25 Depth=1
	s_or_b64 exec, exec, s[6:7]
	v_cmp_nlt_f32_e64 s[6:7], |v31|, 1.0
                                        ; implicit-def: $vgpr34
	s_and_saveexec_b64 s[16:17], s[6:7]
	s_xor_b64 s[16:17], exec, s[16:17]
	s_cbranch_execz .LBB239_39
; %bb.38:                               ;   in Loop: Header=BB239_25 Depth=1
	v_fma_f32 v34, |v31|, s21, v27
	v_fma_f32 v34, |v31|, v34, s22
	;; [unrolled: 1-line block ×6, first 2 shown]
	v_fma_f32 v34, |v31|, v34, |v31|
	v_mul_f32_e32 v35, 0xbfb8aa3b, v34
	v_fma_f32 v36, v34, s27, -v35
	v_rndne_f32_e32 v37, v35
	v_fmac_f32_e32 v36, 0xb2a5705f, v34
	v_sub_f32_e32 v35, v35, v37
	v_add_f32_e32 v35, v35, v36
	v_cvt_i32_f32_e32 v36, v37
	v_exp_f32_e32 v35, v35
	v_cmp_nlt_f32_e64 s[6:7], s28, v34
	v_ldexp_f32 v35, v35, v36
	v_cndmask_b32_e64 v35, 0, v35, s[6:7]
	v_cmp_ngt_f32_e64 s[6:7], s29, v34
	v_cndmask_b32_e64 v34, v28, v35, s[6:7]
	v_sub_f32_e32 v34, 1.0, v34
.LBB239_39:                             ;   in Loop: Header=BB239_25 Depth=1
	s_andn2_saveexec_b64 s[6:7], s[16:17]
; %bb.40:                               ;   in Loop: Header=BB239_25 Depth=1
	v_mul_f32_e32 v34, v31, v31
	v_mov_b32_e32 v35, 0x3ba10414
	v_fmac_f32_e32 v35, 0xba1345e1, v34
	v_fma_f32 v35, v34, v35, v23
	v_fma_f32 v35, v34, v35, v24
	;; [unrolled: 1-line block ×4, first 2 shown]
	v_fma_f32 v34, |v31|, v34, |v31|
; %bb.41:                               ;   in Loop: Header=BB239_25 Depth=1
	s_or_b64 exec, exec, s[6:7]
	v_cmp_nlt_f32_e64 s[6:7], |v32|, 1.0
                                        ; implicit-def: $vgpr35
	s_and_saveexec_b64 s[16:17], s[6:7]
	s_xor_b64 s[16:17], exec, s[16:17]
	s_cbranch_execz .LBB239_43
; %bb.42:                               ;   in Loop: Header=BB239_25 Depth=1
	v_fma_f32 v35, |v32|, s21, v27
	v_fma_f32 v35, |v32|, v35, s22
	;; [unrolled: 1-line block ×6, first 2 shown]
	v_fma_f32 v35, |v32|, v35, |v32|
	v_mul_f32_e32 v36, 0xbfb8aa3b, v35
	v_fma_f32 v37, v35, s27, -v36
	v_rndne_f32_e32 v38, v36
	v_fmac_f32_e32 v37, 0xb2a5705f, v35
	v_sub_f32_e32 v36, v36, v38
	v_add_f32_e32 v36, v36, v37
	v_cvt_i32_f32_e32 v37, v38
	v_exp_f32_e32 v36, v36
	v_cmp_nlt_f32_e64 s[6:7], s28, v35
	v_ldexp_f32 v36, v36, v37
	v_cndmask_b32_e64 v36, 0, v36, s[6:7]
	v_cmp_ngt_f32_e64 s[6:7], s29, v35
	v_cndmask_b32_e64 v35, v28, v36, s[6:7]
	v_sub_f32_e32 v35, 1.0, v35
.LBB239_43:                             ;   in Loop: Header=BB239_25 Depth=1
	s_andn2_saveexec_b64 s[6:7], s[16:17]
; %bb.44:                               ;   in Loop: Header=BB239_25 Depth=1
	v_mul_f32_e32 v35, v32, v32
	v_mov_b32_e32 v36, 0x3ba10414
	v_fmac_f32_e32 v36, 0xba1345e1, v35
	v_fma_f32 v36, v35, v36, v23
	v_fma_f32 v36, v35, v36, v24
	;; [unrolled: 1-line block ×4, first 2 shown]
	v_fma_f32 v35, |v32|, v35, |v32|
; %bb.45:                               ;   in Loop: Header=BB239_25 Depth=1
	s_or_b64 exec, exec, s[6:7]
	v_cmp_nlt_f32_e64 s[6:7], |v30|, 1.0
                                        ; implicit-def: $vgpr36
	s_and_saveexec_b64 s[16:17], s[6:7]
	s_xor_b64 s[16:17], exec, s[16:17]
	s_cbranch_execnz .LBB239_51
; %bb.46:                               ;   in Loop: Header=BB239_25 Depth=1
	s_andn2_saveexec_b64 s[6:7], s[16:17]
	s_cbranch_execnz .LBB239_52
.LBB239_47:                             ;   in Loop: Header=BB239_25 Depth=1
	s_or_b64 exec, exec, s[6:7]
	s_and_saveexec_b64 s[6:7], vcc
	s_xor_b64 s[6:7], exec, s[6:7]
	s_cbranch_execnz .LBB239_53
.LBB239_48:                             ;   in Loop: Header=BB239_25 Depth=1
	s_or_b64 exec, exec, s[6:7]
	s_and_saveexec_b64 s[6:7], s[0:1]
	s_cbranch_execnz .LBB239_54
.LBB239_49:                             ;   in Loop: Header=BB239_25 Depth=1
	s_or_b64 exec, exec, s[6:7]
	s_and_saveexec_b64 s[0:1], s[2:3]
	s_cbranch_execnz .LBB239_55
.LBB239_50:                             ;   in Loop: Header=BB239_25 Depth=1
	s_or_b64 exec, exec, s[0:1]
	s_and_saveexec_b64 s[0:1], s[4:5]
	s_cbranch_execz .LBB239_24
	s_branch .LBB239_56
.LBB239_51:                             ;   in Loop: Header=BB239_25 Depth=1
	v_fma_f32 v36, |v30|, s21, v27
	v_fma_f32 v36, |v30|, v36, s22
	;; [unrolled: 1-line block ×6, first 2 shown]
	v_fma_f32 v36, |v30|, v36, |v30|
	v_mul_f32_e32 v37, 0xbfb8aa3b, v36
	v_fma_f32 v38, v36, s27, -v37
	v_rndne_f32_e32 v39, v37
	v_fmac_f32_e32 v38, 0xb2a5705f, v36
	v_sub_f32_e32 v37, v37, v39
	v_add_f32_e32 v37, v37, v38
	v_cvt_i32_f32_e32 v38, v39
	v_exp_f32_e32 v37, v37
	v_cmp_nlt_f32_e64 s[6:7], s28, v36
	v_ldexp_f32 v37, v37, v38
	v_cndmask_b32_e64 v37, 0, v37, s[6:7]
	v_cmp_ngt_f32_e64 s[6:7], s29, v36
	v_cndmask_b32_e64 v36, v28, v37, s[6:7]
	v_sub_f32_e32 v36, 1.0, v36
	s_andn2_saveexec_b64 s[6:7], s[16:17]
	s_cbranch_execz .LBB239_47
.LBB239_52:                             ;   in Loop: Header=BB239_25 Depth=1
	v_mul_f32_e32 v36, v30, v30
	v_mov_b32_e32 v37, 0x3ba10414
	v_fmac_f32_e32 v37, 0xba1345e1, v36
	v_fma_f32 v37, v36, v37, v23
	v_fma_f32 v37, v36, v37, v24
	;; [unrolled: 1-line block ×4, first 2 shown]
	v_fma_f32 v36, |v30|, v36, |v30|
	s_or_b64 exec, exec, s[6:7]
	s_and_saveexec_b64 s[6:7], vcc
	s_xor_b64 s[6:7], exec, s[6:7]
	s_cbranch_execz .LBB239_48
.LBB239_53:                             ;   in Loop: Header=BB239_25 Depth=1
	v_bfi_b32 v29, s30, v33, v29
	v_mov_b32_e32 v33, s9
	v_add_co_u32_e32 v38, vcc, s8, v4
	v_addc_co_u32_e32 v39, vcc, v3, v33, vcc
	global_store_dword v[38:39], v29, off
	s_or_b64 exec, exec, s[6:7]
	s_and_saveexec_b64 s[6:7], s[0:1]
	s_cbranch_execz .LBB239_49
.LBB239_54:                             ;   in Loop: Header=BB239_25 Depth=1
	v_bfi_b32 v29, s30, v34, v31
	v_mov_b32_e32 v31, s9
	v_add_co_u32_e32 v38, vcc, s8, v16
	v_addc_co_u32_e32 v39, vcc, v15, v31, vcc
	global_store_dword v[38:39], v29, off
	s_or_b64 exec, exec, s[6:7]
	s_and_saveexec_b64 s[0:1], s[2:3]
	s_cbranch_execz .LBB239_50
.LBB239_55:                             ;   in Loop: Header=BB239_25 Depth=1
	v_bfi_b32 v29, s30, v35, v32
	v_mov_b32_e32 v31, s9
	v_add_co_u32_e32 v32, vcc, s8, v12
	v_addc_co_u32_e32 v33, vcc, v11, v31, vcc
	global_store_dword v[32:33], v29, off
	s_or_b64 exec, exec, s[0:1]
	s_and_saveexec_b64 s[0:1], s[4:5]
	s_cbranch_execz .LBB239_24
.LBB239_56:                             ;   in Loop: Header=BB239_25 Depth=1
	v_bfi_b32 v29, s30, v36, v30
	v_mov_b32_e32 v31, s9
	v_add_co_u32_e32 v30, vcc, s8, v8
	v_addc_co_u32_e32 v31, vcc, v7, v31, vcc
	global_store_dword v[30:31], v29, off
	s_branch .LBB239_24
.LBB239_57:
	s_endpgm
	.section	.rodata,"a",@progbits
	.p2align	6, 0x0
	.amdhsa_kernel _ZN2at6native12_GLOBAL__N_125multi_tensor_apply_kernelINS1_18TensorListMetadataILi2EEENS1_14UnaryOpFunctorIfLi2ELi1ELi1EEEJNS0_3ErfIfEEEEEvT_T0_DpT1_
		.amdhsa_group_segment_fixed_size 0
		.amdhsa_private_segment_fixed_size 0
		.amdhsa_kernarg_size 3408
		.amdhsa_user_sgpr_count 6
		.amdhsa_user_sgpr_private_segment_buffer 1
		.amdhsa_user_sgpr_dispatch_ptr 0
		.amdhsa_user_sgpr_queue_ptr 0
		.amdhsa_user_sgpr_kernarg_segment_ptr 1
		.amdhsa_user_sgpr_dispatch_id 0
		.amdhsa_user_sgpr_flat_scratch_init 0
		.amdhsa_user_sgpr_kernarg_preload_length 0
		.amdhsa_user_sgpr_kernarg_preload_offset 0
		.amdhsa_user_sgpr_private_segment_size 0
		.amdhsa_uses_dynamic_stack 0
		.amdhsa_system_sgpr_private_segment_wavefront_offset 0
		.amdhsa_system_sgpr_workgroup_id_x 1
		.amdhsa_system_sgpr_workgroup_id_y 0
		.amdhsa_system_sgpr_workgroup_id_z 0
		.amdhsa_system_sgpr_workgroup_info 0
		.amdhsa_system_vgpr_workitem_id 0
		.amdhsa_next_free_vgpr 40
		.amdhsa_next_free_sgpr 38
		.amdhsa_accum_offset 40
		.amdhsa_reserve_vcc 1
		.amdhsa_reserve_flat_scratch 0
		.amdhsa_float_round_mode_32 0
		.amdhsa_float_round_mode_16_64 0
		.amdhsa_float_denorm_mode_32 3
		.amdhsa_float_denorm_mode_16_64 3
		.amdhsa_dx10_clamp 1
		.amdhsa_ieee_mode 1
		.amdhsa_fp16_overflow 0
		.amdhsa_tg_split 0
		.amdhsa_exception_fp_ieee_invalid_op 0
		.amdhsa_exception_fp_denorm_src 0
		.amdhsa_exception_fp_ieee_div_zero 0
		.amdhsa_exception_fp_ieee_overflow 0
		.amdhsa_exception_fp_ieee_underflow 0
		.amdhsa_exception_fp_ieee_inexact 0
		.amdhsa_exception_int_div_zero 0
	.end_amdhsa_kernel
	.section	.text._ZN2at6native12_GLOBAL__N_125multi_tensor_apply_kernelINS1_18TensorListMetadataILi2EEENS1_14UnaryOpFunctorIfLi2ELi1ELi1EEEJNS0_3ErfIfEEEEEvT_T0_DpT1_,"axG",@progbits,_ZN2at6native12_GLOBAL__N_125multi_tensor_apply_kernelINS1_18TensorListMetadataILi2EEENS1_14UnaryOpFunctorIfLi2ELi1ELi1EEEJNS0_3ErfIfEEEEEvT_T0_DpT1_,comdat
.Lfunc_end239:
	.size	_ZN2at6native12_GLOBAL__N_125multi_tensor_apply_kernelINS1_18TensorListMetadataILi2EEENS1_14UnaryOpFunctorIfLi2ELi1ELi1EEEJNS0_3ErfIfEEEEEvT_T0_DpT1_, .Lfunc_end239-_ZN2at6native12_GLOBAL__N_125multi_tensor_apply_kernelINS1_18TensorListMetadataILi2EEENS1_14UnaryOpFunctorIfLi2ELi1ELi1EEEJNS0_3ErfIfEEEEEvT_T0_DpT1_
                                        ; -- End function
	.section	.AMDGPU.csdata,"",@progbits
; Kernel info:
; codeLenInByte = 3324
; NumSgprs: 42
; NumVgprs: 40
; NumAgprs: 0
; TotalNumVgprs: 40
; ScratchSize: 0
; MemoryBound: 0
; FloatMode: 240
; IeeeMode: 1
; LDSByteSize: 0 bytes/workgroup (compile time only)
; SGPRBlocks: 5
; VGPRBlocks: 4
; NumSGPRsForWavesPerEU: 42
; NumVGPRsForWavesPerEU: 40
; AccumOffset: 40
; Occupancy: 8
; WaveLimiterHint : 0
; COMPUTE_PGM_RSRC2:SCRATCH_EN: 0
; COMPUTE_PGM_RSRC2:USER_SGPR: 6
; COMPUTE_PGM_RSRC2:TRAP_HANDLER: 0
; COMPUTE_PGM_RSRC2:TGID_X_EN: 1
; COMPUTE_PGM_RSRC2:TGID_Y_EN: 0
; COMPUTE_PGM_RSRC2:TGID_Z_EN: 0
; COMPUTE_PGM_RSRC2:TIDIG_COMP_CNT: 0
; COMPUTE_PGM_RSRC3_GFX90A:ACCUM_OFFSET: 9
; COMPUTE_PGM_RSRC3_GFX90A:TG_SPLIT: 0
	.section	.text._ZN2at6native12_GLOBAL__N_125multi_tensor_apply_kernelINS1_18TensorListMetadataILi2EEENS1_14UnaryOpFunctorIN3c104HalfELi2ELi1ELi1EEEJNS0_3ErfIfEEEEEvT_T0_DpT1_,"axG",@progbits,_ZN2at6native12_GLOBAL__N_125multi_tensor_apply_kernelINS1_18TensorListMetadataILi2EEENS1_14UnaryOpFunctorIN3c104HalfELi2ELi1ELi1EEEJNS0_3ErfIfEEEEEvT_T0_DpT1_,comdat
	.globl	_ZN2at6native12_GLOBAL__N_125multi_tensor_apply_kernelINS1_18TensorListMetadataILi2EEENS1_14UnaryOpFunctorIN3c104HalfELi2ELi1ELi1EEEJNS0_3ErfIfEEEEEvT_T0_DpT1_ ; -- Begin function _ZN2at6native12_GLOBAL__N_125multi_tensor_apply_kernelINS1_18TensorListMetadataILi2EEENS1_14UnaryOpFunctorIN3c104HalfELi2ELi1ELi1EEEJNS0_3ErfIfEEEEEvT_T0_DpT1_
	.p2align	8
	.type	_ZN2at6native12_GLOBAL__N_125multi_tensor_apply_kernelINS1_18TensorListMetadataILi2EEENS1_14UnaryOpFunctorIN3c104HalfELi2ELi1ELi1EEEJNS0_3ErfIfEEEEEvT_T0_DpT1_,@function
_ZN2at6native12_GLOBAL__N_125multi_tensor_apply_kernelINS1_18TensorListMetadataILi2EEENS1_14UnaryOpFunctorIN3c104HalfELi2ELi1ELi1EEEJNS0_3ErfIfEEEEEvT_T0_DpT1_: ; @_ZN2at6native12_GLOBAL__N_125multi_tensor_apply_kernelINS1_18TensorListMetadataILi2EEENS1_14UnaryOpFunctorIN3c104HalfELi2ELi1ELi1EEEJNS0_3ErfIfEEEEEvT_T0_DpT1_
; %bb.0:
	v_mov_b32_e32 v1, s6
	global_load_ubyte v1, v1, s[4:5] offset:1536
	s_add_u32 s0, s4, s6
	s_mul_hi_u32 s3, s6, 3
	s_mul_i32 s6, s6, 3
	s_addc_u32 s7, s5, 0
	s_add_u32 s2, s0, s6
	s_addc_u32 s3, s7, s3
	s_load_dword s14, s[2:3], 0x740
	s_mov_b32 s1, 0
	s_mov_b32 s13, s1
	;; [unrolled: 1-line block ×3, first 2 shown]
	s_waitcnt lgkmcnt(0)
	s_ashr_i32 s15, s14, 31
	s_lshl_b64 s[8:9], s[14:15], 17
	s_waitcnt vmcnt(0)
	v_readfirstlane_b32 s0, v1
	s_lshl_b32 s0, s0, 3
	s_load_dwordx2 s[6:7], s[4:5], s0 offset:0x0
	s_load_dwordx2 s[16:17], s[4:5], s0 offset:0x400
	;; [unrolled: 1-line block ×3, first 2 shown]
	s_waitcnt lgkmcnt(0)
	s_add_u32 s18, s6, s8
	s_addc_u32 s19, s7, s9
	s_and_b32 s0, s18, 7
	s_add_u32 s20, s2, s8
	s_addc_u32 s21, s3, s9
	s_and_b32 s12, s16, 3
	s_and_b32 s10, s20, 7
	s_or_b64 s[12:13], s[0:1], s[12:13]
	s_or_b64 s[12:13], s[10:11], s[12:13]
	s_lshl_b64 s[10:11], s[14:15], 16
	s_sub_u32 s10, s16, s10
	s_subb_u32 s11, s17, s11
	s_cmp_eq_u64 s[12:13], 0
	s_mov_b64 s[12:13], -1
	s_cbranch_scc0 .LBB240_21
; %bb.1:
	v_mov_b32_e32 v3, 0
	v_lshlrev_b32_e32 v2, 2, v0
	v_cmp_gt_i64_e32 vcc, s[10:11], v[2:3]
	s_and_saveexec_b64 s[12:13], vcc
	s_cbranch_execz .LBB240_20
; %bb.2:
	s_load_dword s0, s[4:5], 0xc5c
	v_lshlrev_b32_e32 v4, 3, v0
	s_mov_b64 s[14:15], 0
	s_mov_b32 s24, 0x378e98ab
	s_mov_b32 s25, 0x3b7cd369
	s_waitcnt lgkmcnt(0)
	s_and_b32 s0, s0, 0xffff
	v_add_lshl_u32 v2, v0, s0, 2
	s_lshl_b32 s22, s0, 2
	s_lshl_b32 s23, s0, 3
	s_mov_b32 s26, 0xbcc618b2
	s_mov_b32 s27, 0x3dda74e4
	;; [unrolled: 1-line block ×7, first 2 shown]
	v_mov_b32_e32 v1, 0xbcdac9b8
	v_mov_b32_e32 v5, 0x3de703be
	;; [unrolled: 1-line block ×4, first 2 shown]
	s_movk_i32 s34, 0x7fff
	s_mov_b64 s[16:17], 0xffff
	v_mov_b32_e32 v10, s1
	v_mov_b32_e32 v11, 0xb9c68948
	;; [unrolled: 1-line block ×3, first 2 shown]
	s_branch .LBB240_4
.LBB240_3:                              ;   in Loop: Header=BB240_4 Depth=1
	s_or_b64 exec, exec, s[0:1]
	v_cvt_f16_f32_e32 v17, v17
	v_cvt_f16_f32_e32 v15, v15
	v_lshrrev_b32_e32 v16, 16, v16
	v_lshrrev_b32_e32 v6, 16, v6
	v_bfi_b32 v16, s34, v17, v16
	v_cvt_f16_f32_e32 v14, v14
	v_bfi_b32 v17, s34, v15, v6
	v_cvt_f16_f32_e32 v6, v18
	v_lshrrev_b32_e32 v13, 16, v13
	v_lshrrev_b32_e32 v7, 16, v7
	v_bfi_b32 v13, s34, v14, v13
	v_bfi_b32 v14, s34, v6, v7
	v_mov_b32_e32 v7, s21
	v_add_co_u32_e32 v6, vcc, s20, v4
	v_addc_co_u32_e32 v7, vcc, 0, v7, vcc
	v_cmp_le_i64_e32 vcc, s[10:11], v[2:3]
	v_cmp_lt_u64_e64 s[0:1], s[16:17], v[2:3]
	s_or_b64 s[0:1], vcc, s[0:1]
	s_add_u32 s18, s18, s23
	s_addc_u32 s19, s19, 0
	s_add_u32 s20, s20, s23
	s_addc_u32 s21, s21, 0
	s_and_b64 s[0:1], exec, s[0:1]
	v_add_co_u32_e32 v2, vcc, s22, v2
	v_pack_b32_f16 v15, v16, v14
	v_pack_b32_f16 v14, v13, v17
	s_or_b64 s[14:15], s[0:1], s[14:15]
	v_addc_co_u32_e32 v3, vcc, v3, v10, vcc
	global_store_dwordx2 v[6:7], v[14:15], off
	s_andn2_b64 exec, exec, s[14:15]
	s_cbranch_execz .LBB240_20
.LBB240_4:                              ; =>This Inner Loop Header: Depth=1
	v_mov_b32_e32 v7, s19
	v_add_co_u32_e32 v6, vcc, s18, v4
	v_addc_co_u32_e32 v7, vcc, 0, v7, vcc
	global_load_dwordx2 v[6:7], v[6:7], off
                                        ; implicit-def: $vgpr14
	s_waitcnt vmcnt(0)
	v_cvt_f32_f16_e32 v13, v6
	v_cmp_nlt_f32_e64 s[0:1], |v13|, 1.0
	s_and_saveexec_b64 s[36:37], s[0:1]
	s_xor_b64 s[0:1], exec, s[36:37]
	s_cbranch_execz .LBB240_6
; %bb.5:                                ;   in Loop: Header=BB240_4 Depth=1
	v_fma_f32 v14, |v13|, s24, v11
	v_fma_f32 v14, |v13|, v14, s25
	;; [unrolled: 1-line block ×6, first 2 shown]
	v_fma_f32 v14, |v13|, v14, |v13|
	v_mul_f32_e32 v15, 0xbfb8aa3b, v14
	v_fma_f32 v16, v14, s30, -v15
	v_rndne_f32_e32 v17, v15
	v_fmac_f32_e32 v16, 0xb2a5705f, v14
	v_sub_f32_e32 v15, v15, v17
	v_add_f32_e32 v15, v15, v16
	v_cvt_i32_f32_e32 v16, v17
	v_exp_f32_e32 v15, v15
	v_cmp_nlt_f32_e32 vcc, s31, v14
	v_ldexp_f32 v15, v15, v16
	v_cndmask_b32_e32 v15, 0, v15, vcc
	v_cmp_ngt_f32_e32 vcc, s33, v14
	v_cndmask_b32_e32 v14, v12, v15, vcc
	v_sub_f32_e32 v14, 1.0, v14
.LBB240_6:                              ;   in Loop: Header=BB240_4 Depth=1
	s_andn2_saveexec_b64 s[0:1], s[0:1]
; %bb.7:                                ;   in Loop: Header=BB240_4 Depth=1
	v_mul_f32_e32 v14, v13, v13
	v_mov_b32_e32 v15, 0x3ba10414
	v_fmac_f32_e32 v15, 0xba1345e1, v14
	v_fma_f32 v15, v14, v15, v1
	v_fma_f32 v15, v14, v15, v5
	;; [unrolled: 1-line block ×4, first 2 shown]
	v_fma_f32 v14, |v13|, v14, |v13|
; %bb.8:                                ;   in Loop: Header=BB240_4 Depth=1
	s_or_b64 exec, exec, s[0:1]
	v_cvt_f32_f16_sdwa v6, v6 dst_sel:DWORD dst_unused:UNUSED_PAD src0_sel:WORD_1
                                        ; implicit-def: $vgpr15
	v_cmp_nlt_f32_e64 s[0:1], |v6|, 1.0
	s_and_saveexec_b64 s[36:37], s[0:1]
	s_xor_b64 s[0:1], exec, s[36:37]
	s_cbranch_execz .LBB240_10
; %bb.9:                                ;   in Loop: Header=BB240_4 Depth=1
	v_fma_f32 v15, |v6|, s24, v11
	v_fma_f32 v15, |v6|, v15, s25
	;; [unrolled: 1-line block ×6, first 2 shown]
	v_fma_f32 v15, |v6|, v15, |v6|
	v_mul_f32_e32 v16, 0xbfb8aa3b, v15
	v_fma_f32 v17, v15, s30, -v16
	v_rndne_f32_e32 v18, v16
	v_fmac_f32_e32 v17, 0xb2a5705f, v15
	v_sub_f32_e32 v16, v16, v18
	v_add_f32_e32 v16, v16, v17
	v_cvt_i32_f32_e32 v17, v18
	v_exp_f32_e32 v16, v16
	v_cmp_nlt_f32_e32 vcc, s31, v15
	v_ldexp_f32 v16, v16, v17
	v_cndmask_b32_e32 v16, 0, v16, vcc
	v_cmp_ngt_f32_e32 vcc, s33, v15
	v_cndmask_b32_e32 v15, v12, v16, vcc
	v_sub_f32_e32 v15, 1.0, v15
.LBB240_10:                             ;   in Loop: Header=BB240_4 Depth=1
	s_andn2_saveexec_b64 s[0:1], s[0:1]
; %bb.11:                               ;   in Loop: Header=BB240_4 Depth=1
	v_mul_f32_e32 v15, v6, v6
	v_mov_b32_e32 v16, 0x3ba10414
	v_fmac_f32_e32 v16, 0xba1345e1, v15
	v_fma_f32 v16, v15, v16, v1
	v_fma_f32 v16, v15, v16, v5
	;; [unrolled: 1-line block ×4, first 2 shown]
	v_fma_f32 v15, |v6|, v15, |v6|
; %bb.12:                               ;   in Loop: Header=BB240_4 Depth=1
	s_or_b64 exec, exec, s[0:1]
	v_cvt_f32_f16_e32 v16, v7
                                        ; implicit-def: $vgpr17
	v_cmp_nlt_f32_e64 s[0:1], |v16|, 1.0
	s_and_saveexec_b64 s[36:37], s[0:1]
	s_xor_b64 s[0:1], exec, s[36:37]
	s_cbranch_execz .LBB240_14
; %bb.13:                               ;   in Loop: Header=BB240_4 Depth=1
	v_fma_f32 v17, |v16|, s24, v11
	v_fma_f32 v17, |v16|, v17, s25
	;; [unrolled: 1-line block ×6, first 2 shown]
	v_fma_f32 v17, |v16|, v17, |v16|
	v_mul_f32_e32 v18, 0xbfb8aa3b, v17
	v_fma_f32 v19, v17, s30, -v18
	v_rndne_f32_e32 v20, v18
	v_fmac_f32_e32 v19, 0xb2a5705f, v17
	v_sub_f32_e32 v18, v18, v20
	v_add_f32_e32 v18, v18, v19
	v_cvt_i32_f32_e32 v19, v20
	v_exp_f32_e32 v18, v18
	v_cmp_nlt_f32_e32 vcc, s31, v17
	v_ldexp_f32 v18, v18, v19
	v_cndmask_b32_e32 v18, 0, v18, vcc
	v_cmp_ngt_f32_e32 vcc, s33, v17
	v_cndmask_b32_e32 v17, v12, v18, vcc
	v_sub_f32_e32 v17, 1.0, v17
.LBB240_14:                             ;   in Loop: Header=BB240_4 Depth=1
	s_andn2_saveexec_b64 s[0:1], s[0:1]
; %bb.15:                               ;   in Loop: Header=BB240_4 Depth=1
	v_mul_f32_e32 v17, v16, v16
	v_mov_b32_e32 v18, 0x3ba10414
	v_fmac_f32_e32 v18, 0xba1345e1, v17
	v_fma_f32 v18, v17, v18, v1
	v_fma_f32 v18, v17, v18, v5
	;; [unrolled: 1-line block ×4, first 2 shown]
	v_fma_f32 v17, |v16|, v17, |v16|
; %bb.16:                               ;   in Loop: Header=BB240_4 Depth=1
	s_or_b64 exec, exec, s[0:1]
	v_cvt_f32_f16_sdwa v7, v7 dst_sel:DWORD dst_unused:UNUSED_PAD src0_sel:WORD_1
                                        ; implicit-def: $vgpr18
	v_cmp_nlt_f32_e64 s[0:1], |v7|, 1.0
	s_and_saveexec_b64 s[36:37], s[0:1]
	s_xor_b64 s[0:1], exec, s[36:37]
	s_cbranch_execz .LBB240_18
; %bb.17:                               ;   in Loop: Header=BB240_4 Depth=1
	v_fma_f32 v18, |v7|, s24, v11
	v_fma_f32 v18, |v7|, v18, s25
	;; [unrolled: 1-line block ×6, first 2 shown]
	v_fma_f32 v18, |v7|, v18, |v7|
	v_mul_f32_e32 v19, 0xbfb8aa3b, v18
	v_fma_f32 v20, v18, s30, -v19
	v_rndne_f32_e32 v21, v19
	v_fmac_f32_e32 v20, 0xb2a5705f, v18
	v_sub_f32_e32 v19, v19, v21
	v_add_f32_e32 v19, v19, v20
	v_cvt_i32_f32_e32 v20, v21
	v_exp_f32_e32 v19, v19
	v_cmp_nlt_f32_e32 vcc, s31, v18
	v_ldexp_f32 v19, v19, v20
	v_cndmask_b32_e32 v19, 0, v19, vcc
	v_cmp_ngt_f32_e32 vcc, s33, v18
	v_cndmask_b32_e32 v18, v12, v19, vcc
	v_sub_f32_e32 v18, 1.0, v18
.LBB240_18:                             ;   in Loop: Header=BB240_4 Depth=1
	s_andn2_saveexec_b64 s[0:1], s[0:1]
	s_cbranch_execz .LBB240_3
; %bb.19:                               ;   in Loop: Header=BB240_4 Depth=1
	v_mul_f32_e32 v18, v7, v7
	v_mov_b32_e32 v19, 0x3ba10414
	v_fmac_f32_e32 v19, 0xba1345e1, v18
	v_fma_f32 v19, v18, v19, v1
	v_fma_f32 v19, v18, v19, v5
	;; [unrolled: 1-line block ×4, first 2 shown]
	v_fma_f32 v18, |v7|, v18, |v7|
	s_branch .LBB240_3
.LBB240_20:
	s_or_b64 exec, exec, s[12:13]
	s_mov_b64 s[12:13], 0
.LBB240_21:
	s_andn2_b64 vcc, exec, s[12:13]
	s_cbranch_vccnz .LBB240_57
; %bb.22:
	v_cmp_lt_i64_e64 s[0:1], s[10:11], 1
	s_and_b64 vcc, exec, s[0:1]
	s_cbranch_vccnz .LBB240_57
; %bb.23:
	s_load_dword s0, s[4:5], 0xc5c
	v_mov_b32_e32 v2, 0x10000
	v_mov_b32_e32 v3, 0
	v_cmp_lt_u64_e32 vcc, s[10:11], v[2:3]
	v_lshlrev_b32_e32 v10, 1, v0
	s_waitcnt lgkmcnt(0)
	s_and_b32 s4, s0, 0xffff
	s_and_b64 s[0:1], vcc, exec
	v_mov_b32_e32 v13, s7
	v_add_co_u32_e32 v2, vcc, s6, v10
	v_addc_co_u32_e32 v1, vcc, 0, v13, vcc
	v_mov_b32_e32 v11, 0
	v_mov_b32_e32 v15, s3
	v_add_co_u32_e32 v4, vcc, s2, v10
	v_addc_co_u32_e32 v3, vcc, 0, v15, vcc
	v_mad_u64_u32 v[8:9], s[0:1], s4, 6, v[10:11]
	v_add_co_u32_e32 v6, vcc, s6, v8
	v_addc_co_u32_e32 v5, vcc, v13, v9, vcc
	v_add_co_u32_e32 v8, vcc, s2, v8
	s_mul_i32 s14, s4, 3
	v_addc_co_u32_e32 v7, vcc, v15, v9, vcc
	s_cselect_b32 s13, s11, 0
	s_cselect_b32 s12, s10, 0x10000
	s_lshl_b32 s19, s4, 2
	v_add_co_u32_e32 v17, vcc, s14, v0
	v_addc_co_u32_e64 v18, s[0:1], 0, 0, vcc
	v_add_co_u32_e32 v11, vcc, s19, v10
	v_addc_co_u32_e64 v14, s[0:1], 0, 0, vcc
	v_add_co_u32_e32 v10, vcc, s6, v11
	v_addc_co_u32_e32 v9, vcc, v13, v14, vcc
	v_add_co_u32_e32 v12, vcc, s2, v11
	s_lshl_b32 s5, s4, 1
	v_addc_co_u32_e32 v11, vcc, v15, v14, vcc
	v_add_co_u32_e32 v19, vcc, s5, v0
	v_addc_co_u32_e64 v20, s[0:1], 0, 0, vcc
	v_add_co_u32_e32 v21, vcc, s4, v0
	v_lshlrev_b32_e32 v16, 1, v21
	v_addc_co_u32_e64 v22, s[0:1], 0, 0, vcc
	v_add_co_u32_e32 v14, vcc, s6, v16
	v_addc_co_u32_e32 v13, vcc, 0, v13, vcc
	v_add_co_u32_e32 v16, vcc, s2, v16
	s_mov_b32 s18, 0
	s_lshl_b32 s20, s4, 3
	v_addc_co_u32_e32 v15, vcc, 0, v15, vcc
	s_mov_b64 s[14:15], 0
	s_mov_b32 s21, 0x378e98ab
	s_mov_b32 s22, 0x3b7cd369
	;; [unrolled: 1-line block ×9, first 2 shown]
	v_mov_b32_e32 v23, 0xbcdac9b8
	v_mov_b32_e32 v24, 0x3de703be
	;; [unrolled: 1-line block ×4, first 2 shown]
	s_movk_i32 s30, 0x7fff
	v_mov_b32_e32 v27, 0xb9c68948
	v_mov_b32_e32 v28, 0x7f800000
	s_branch .LBB240_25
.LBB240_24:                             ;   in Loop: Header=BB240_25 Depth=1
	s_or_b64 exec, exec, s[0:1]
	s_add_u32 s14, s14, s19
	s_addc_u32 s15, s15, 0
	v_pk_mov_b32 v[30:31], s[10:11], s[10:11] op_sel:[0,1]
	v_cmp_ge_i64_e32 vcc, s[14:15], v[30:31]
	v_mov_b32_e32 v30, 0xffff
	v_mov_b32_e32 v31, 0
	v_cmp_gt_u64_e64 s[0:1], s[14:15], v[30:31]
	s_or_b64 s[0:1], vcc, s[0:1]
	v_mov_b32_e32 v29, s18
	v_add_co_u32_e32 v2, vcc, s20, v2
	v_addc_co_u32_e32 v1, vcc, v1, v29, vcc
	v_add_co_u32_e32 v4, vcc, s20, v4
	v_addc_co_u32_e32 v3, vcc, v3, v29, vcc
	;; [unrolled: 2-line block ×8, first 2 shown]
	s_and_b64 vcc, exec, s[0:1]
	s_cbranch_vccnz .LBB240_57
.LBB240_25:                             ; =>This Inner Loop Header: Depth=1
	v_mov_b32_e32 v29, s15
	v_add_co_u32_e32 v30, vcc, s14, v0
	v_addc_co_u32_e32 v31, vcc, 0, v29, vcc
	v_cmp_gt_u64_e32 vcc, s[12:13], v[30:31]
	v_mov_b32_e32 v29, 0
	s_and_saveexec_b64 s[2:3], vcc
	s_cbranch_execz .LBB240_27
; %bb.26:                               ;   in Loop: Header=BB240_25 Depth=1
	v_mov_b32_e32 v29, s9
	v_add_co_u32_e64 v30, s[0:1], s8, v2
	v_addc_co_u32_e64 v31, s[0:1], v1, v29, s[0:1]
	global_load_ushort v29, v[30:31], off
.LBB240_27:                             ;   in Loop: Header=BB240_25 Depth=1
	s_or_b64 exec, exec, s[2:3]
	v_mov_b32_e32 v31, s15
	v_add_co_u32_e64 v30, s[0:1], s14, v21
	v_addc_co_u32_e64 v31, s[0:1], v22, v31, s[0:1]
	v_cmp_gt_u64_e64 s[0:1], s[12:13], v[30:31]
	v_mov_b32_e32 v32, 0
	s_and_saveexec_b64 s[4:5], s[0:1]
	s_cbranch_execz .LBB240_29
; %bb.28:                               ;   in Loop: Header=BB240_25 Depth=1
	v_mov_b32_e32 v31, s9
	v_add_co_u32_e64 v30, s[2:3], s8, v14
	v_addc_co_u32_e64 v31, s[2:3], v13, v31, s[2:3]
	global_load_ushort v32, v[30:31], off
.LBB240_29:                             ;   in Loop: Header=BB240_25 Depth=1
	s_or_b64 exec, exec, s[4:5]
	v_mov_b32_e32 v31, s15
	v_add_co_u32_e64 v30, s[2:3], s14, v19
	v_addc_co_u32_e64 v31, s[2:3], v20, v31, s[2:3]
	v_cmp_gt_u64_e64 s[2:3], s[12:13], v[30:31]
	v_mov_b32_e32 v30, 0
	v_mov_b32_e32 v34, 0
	s_and_saveexec_b64 s[6:7], s[2:3]
	s_cbranch_execz .LBB240_31
; %bb.30:                               ;   in Loop: Header=BB240_25 Depth=1
	v_mov_b32_e32 v31, s9
	v_add_co_u32_e64 v34, s[4:5], s8, v10
	v_addc_co_u32_e64 v35, s[4:5], v9, v31, s[4:5]
	global_load_ushort v34, v[34:35], off
.LBB240_31:                             ;   in Loop: Header=BB240_25 Depth=1
	s_or_b64 exec, exec, s[6:7]
	v_mov_b32_e32 v31, s15
	v_add_co_u32_e64 v36, s[4:5], s14, v17
	v_addc_co_u32_e64 v37, s[4:5], v18, v31, s[4:5]
	v_cmp_gt_u64_e64 s[4:5], s[12:13], v[36:37]
	s_and_saveexec_b64 s[16:17], s[4:5]
	s_cbranch_execz .LBB240_33
; %bb.32:                               ;   in Loop: Header=BB240_25 Depth=1
	v_mov_b32_e32 v31, s9
	v_add_co_u32_e64 v30, s[6:7], s8, v6
	v_addc_co_u32_e64 v31, s[6:7], v5, v31, s[6:7]
	global_load_ushort v30, v[30:31], off
.LBB240_33:                             ;   in Loop: Header=BB240_25 Depth=1
	s_or_b64 exec, exec, s[16:17]
	s_waitcnt vmcnt(0)
	v_cvt_f32_f16_e32 v29, v29
                                        ; implicit-def: $vgpr31
	v_cmp_nlt_f32_e64 s[6:7], |v29|, 1.0
	s_and_saveexec_b64 s[16:17], s[6:7]
	s_xor_b64 s[16:17], exec, s[16:17]
	s_cbranch_execz .LBB240_35
; %bb.34:                               ;   in Loop: Header=BB240_25 Depth=1
	v_fma_f32 v31, |v29|, s21, v27
	v_fma_f32 v31, |v29|, v31, s22
	;; [unrolled: 1-line block ×6, first 2 shown]
	v_fma_f32 v31, |v29|, v31, |v29|
	v_mul_f32_e32 v33, 0xbfb8aa3b, v31
	v_fma_f32 v35, v31, s27, -v33
	v_rndne_f32_e32 v36, v33
	v_fmac_f32_e32 v35, 0xb2a5705f, v31
	v_sub_f32_e32 v33, v33, v36
	v_add_f32_e32 v33, v33, v35
	v_cvt_i32_f32_e32 v35, v36
	v_exp_f32_e32 v33, v33
	v_cmp_nlt_f32_e64 s[6:7], s28, v31
	v_ldexp_f32 v33, v33, v35
	v_cndmask_b32_e64 v33, 0, v33, s[6:7]
	v_cmp_ngt_f32_e64 s[6:7], s29, v31
	v_cndmask_b32_e64 v31, v28, v33, s[6:7]
	v_sub_f32_e32 v31, 1.0, v31
.LBB240_35:                             ;   in Loop: Header=BB240_25 Depth=1
	s_andn2_saveexec_b64 s[6:7], s[16:17]
; %bb.36:                               ;   in Loop: Header=BB240_25 Depth=1
	v_mul_f32_e32 v31, v29, v29
	v_mov_b32_e32 v33, 0x3ba10414
	v_fmac_f32_e32 v33, 0xba1345e1, v31
	v_fma_f32 v33, v31, v33, v23
	v_fma_f32 v33, v31, v33, v24
	;; [unrolled: 1-line block ×4, first 2 shown]
	v_fma_f32 v31, |v29|, v31, |v29|
; %bb.37:                               ;   in Loop: Header=BB240_25 Depth=1
	s_or_b64 exec, exec, s[6:7]
	v_cvt_f32_f16_e32 v32, v32
                                        ; implicit-def: $vgpr33
	v_cmp_nlt_f32_e64 s[6:7], |v32|, 1.0
	s_and_saveexec_b64 s[16:17], s[6:7]
	s_xor_b64 s[16:17], exec, s[16:17]
	s_cbranch_execz .LBB240_39
; %bb.38:                               ;   in Loop: Header=BB240_25 Depth=1
	v_fma_f32 v33, |v32|, s21, v27
	v_fma_f32 v33, |v32|, v33, s22
	;; [unrolled: 1-line block ×6, first 2 shown]
	v_fma_f32 v33, |v32|, v33, |v32|
	v_mul_f32_e32 v35, 0xbfb8aa3b, v33
	v_fma_f32 v36, v33, s27, -v35
	v_rndne_f32_e32 v37, v35
	v_fmac_f32_e32 v36, 0xb2a5705f, v33
	v_sub_f32_e32 v35, v35, v37
	v_add_f32_e32 v35, v35, v36
	v_cvt_i32_f32_e32 v36, v37
	v_exp_f32_e32 v35, v35
	v_cmp_nlt_f32_e64 s[6:7], s28, v33
	v_ldexp_f32 v35, v35, v36
	v_cndmask_b32_e64 v35, 0, v35, s[6:7]
	v_cmp_ngt_f32_e64 s[6:7], s29, v33
	v_cndmask_b32_e64 v33, v28, v35, s[6:7]
	v_sub_f32_e32 v33, 1.0, v33
.LBB240_39:                             ;   in Loop: Header=BB240_25 Depth=1
	s_andn2_saveexec_b64 s[6:7], s[16:17]
; %bb.40:                               ;   in Loop: Header=BB240_25 Depth=1
	v_mul_f32_e32 v33, v32, v32
	v_mov_b32_e32 v35, 0x3ba10414
	v_fmac_f32_e32 v35, 0xba1345e1, v33
	v_fma_f32 v35, v33, v35, v23
	v_fma_f32 v35, v33, v35, v24
	;; [unrolled: 1-line block ×4, first 2 shown]
	v_fma_f32 v33, |v32|, v33, |v32|
; %bb.41:                               ;   in Loop: Header=BB240_25 Depth=1
	s_or_b64 exec, exec, s[6:7]
	v_cvt_f32_f16_e32 v34, v34
                                        ; implicit-def: $vgpr35
	v_cmp_nlt_f32_e64 s[6:7], |v34|, 1.0
	s_and_saveexec_b64 s[16:17], s[6:7]
	s_xor_b64 s[16:17], exec, s[16:17]
	s_cbranch_execz .LBB240_43
; %bb.42:                               ;   in Loop: Header=BB240_25 Depth=1
	v_fma_f32 v35, |v34|, s21, v27
	v_fma_f32 v35, |v34|, v35, s22
	;; [unrolled: 1-line block ×6, first 2 shown]
	v_fma_f32 v35, |v34|, v35, |v34|
	v_mul_f32_e32 v36, 0xbfb8aa3b, v35
	v_fma_f32 v37, v35, s27, -v36
	v_rndne_f32_e32 v38, v36
	v_fmac_f32_e32 v37, 0xb2a5705f, v35
	v_sub_f32_e32 v36, v36, v38
	v_add_f32_e32 v36, v36, v37
	v_cvt_i32_f32_e32 v37, v38
	v_exp_f32_e32 v36, v36
	v_cmp_nlt_f32_e64 s[6:7], s28, v35
	v_ldexp_f32 v36, v36, v37
	v_cndmask_b32_e64 v36, 0, v36, s[6:7]
	v_cmp_ngt_f32_e64 s[6:7], s29, v35
	v_cndmask_b32_e64 v35, v28, v36, s[6:7]
	v_sub_f32_e32 v35, 1.0, v35
.LBB240_43:                             ;   in Loop: Header=BB240_25 Depth=1
	s_andn2_saveexec_b64 s[6:7], s[16:17]
; %bb.44:                               ;   in Loop: Header=BB240_25 Depth=1
	v_mul_f32_e32 v35, v34, v34
	v_mov_b32_e32 v36, 0x3ba10414
	v_fmac_f32_e32 v36, 0xba1345e1, v35
	v_fma_f32 v36, v35, v36, v23
	v_fma_f32 v36, v35, v36, v24
	;; [unrolled: 1-line block ×4, first 2 shown]
	v_fma_f32 v35, |v34|, v35, |v34|
; %bb.45:                               ;   in Loop: Header=BB240_25 Depth=1
	s_or_b64 exec, exec, s[6:7]
	v_cvt_f32_f16_e32 v30, v30
                                        ; implicit-def: $vgpr36
	v_cmp_nlt_f32_e64 s[6:7], |v30|, 1.0
	s_and_saveexec_b64 s[16:17], s[6:7]
	s_xor_b64 s[16:17], exec, s[16:17]
	s_cbranch_execnz .LBB240_51
; %bb.46:                               ;   in Loop: Header=BB240_25 Depth=1
	s_andn2_saveexec_b64 s[6:7], s[16:17]
	s_cbranch_execnz .LBB240_52
.LBB240_47:                             ;   in Loop: Header=BB240_25 Depth=1
	s_or_b64 exec, exec, s[6:7]
	s_and_saveexec_b64 s[6:7], vcc
	s_xor_b64 s[6:7], exec, s[6:7]
	s_cbranch_execnz .LBB240_53
.LBB240_48:                             ;   in Loop: Header=BB240_25 Depth=1
	s_or_b64 exec, exec, s[6:7]
	s_and_saveexec_b64 s[6:7], s[0:1]
	s_cbranch_execnz .LBB240_54
.LBB240_49:                             ;   in Loop: Header=BB240_25 Depth=1
	s_or_b64 exec, exec, s[6:7]
	s_and_saveexec_b64 s[0:1], s[2:3]
	s_cbranch_execnz .LBB240_55
.LBB240_50:                             ;   in Loop: Header=BB240_25 Depth=1
	s_or_b64 exec, exec, s[0:1]
	s_and_saveexec_b64 s[0:1], s[4:5]
	s_cbranch_execz .LBB240_24
	s_branch .LBB240_56
.LBB240_51:                             ;   in Loop: Header=BB240_25 Depth=1
	v_fma_f32 v36, |v30|, s21, v27
	v_fma_f32 v36, |v30|, v36, s22
	;; [unrolled: 1-line block ×6, first 2 shown]
	v_fma_f32 v36, |v30|, v36, |v30|
	v_mul_f32_e32 v37, 0xbfb8aa3b, v36
	v_fma_f32 v38, v36, s27, -v37
	v_rndne_f32_e32 v39, v37
	v_fmac_f32_e32 v38, 0xb2a5705f, v36
	v_sub_f32_e32 v37, v37, v39
	v_add_f32_e32 v37, v37, v38
	v_cvt_i32_f32_e32 v38, v39
	v_exp_f32_e32 v37, v37
	v_cmp_nlt_f32_e64 s[6:7], s28, v36
	v_ldexp_f32 v37, v37, v38
	v_cndmask_b32_e64 v37, 0, v37, s[6:7]
	v_cmp_ngt_f32_e64 s[6:7], s29, v36
	v_cndmask_b32_e64 v36, v28, v37, s[6:7]
	v_sub_f32_e32 v36, 1.0, v36
	s_andn2_saveexec_b64 s[6:7], s[16:17]
	s_cbranch_execz .LBB240_47
.LBB240_52:                             ;   in Loop: Header=BB240_25 Depth=1
	v_mul_f32_e32 v36, v30, v30
	v_mov_b32_e32 v37, 0x3ba10414
	v_fmac_f32_e32 v37, 0xba1345e1, v36
	v_fma_f32 v37, v36, v37, v23
	v_fma_f32 v37, v36, v37, v24
	;; [unrolled: 1-line block ×4, first 2 shown]
	v_fma_f32 v36, |v30|, v36, |v30|
	s_or_b64 exec, exec, s[6:7]
	s_and_saveexec_b64 s[6:7], vcc
	s_xor_b64 s[6:7], exec, s[6:7]
	s_cbranch_execz .LBB240_48
.LBB240_53:                             ;   in Loop: Header=BB240_25 Depth=1
	v_cvt_f16_f32_e32 v31, v31
	v_lshrrev_b32_e32 v29, 16, v29
	v_mov_b32_e32 v37, s9
	v_add_co_u32_e32 v38, vcc, s8, v4
	v_bfi_b32 v29, s30, v31, v29
	v_addc_co_u32_e32 v39, vcc, v3, v37, vcc
	global_store_short v[38:39], v29, off
	s_or_b64 exec, exec, s[6:7]
	s_and_saveexec_b64 s[6:7], s[0:1]
	s_cbranch_execz .LBB240_49
.LBB240_54:                             ;   in Loop: Header=BB240_25 Depth=1
	v_cvt_f16_f32_e32 v29, v33
	v_lshrrev_b32_e32 v31, 16, v32
	v_mov_b32_e32 v33, s9
	v_add_co_u32_e32 v32, vcc, s8, v16
	v_bfi_b32 v29, s30, v29, v31
	v_addc_co_u32_e32 v33, vcc, v15, v33, vcc
	global_store_short v[32:33], v29, off
	s_or_b64 exec, exec, s[6:7]
	s_and_saveexec_b64 s[0:1], s[2:3]
	s_cbranch_execz .LBB240_50
.LBB240_55:                             ;   in Loop: Header=BB240_25 Depth=1
	v_cvt_f16_f32_e32 v29, v35
	v_lshrrev_b32_e32 v31, 16, v34
	v_mov_b32_e32 v33, s9
	v_add_co_u32_e32 v32, vcc, s8, v12
	v_bfi_b32 v29, s30, v29, v31
	v_addc_co_u32_e32 v33, vcc, v11, v33, vcc
	global_store_short v[32:33], v29, off
	s_or_b64 exec, exec, s[0:1]
	s_and_saveexec_b64 s[0:1], s[4:5]
	s_cbranch_execz .LBB240_24
.LBB240_56:                             ;   in Loop: Header=BB240_25 Depth=1
	v_cvt_f16_f32_e32 v29, v36
	v_lshrrev_b32_e32 v30, 16, v30
	v_mov_b32_e32 v31, s9
	v_bfi_b32 v29, s30, v29, v30
	v_add_co_u32_e32 v30, vcc, s8, v8
	v_addc_co_u32_e32 v31, vcc, v7, v31, vcc
	global_store_short v[30:31], v29, off
	s_branch .LBB240_24
.LBB240_57:
	s_endpgm
	.section	.rodata,"a",@progbits
	.p2align	6, 0x0
	.amdhsa_kernel _ZN2at6native12_GLOBAL__N_125multi_tensor_apply_kernelINS1_18TensorListMetadataILi2EEENS1_14UnaryOpFunctorIN3c104HalfELi2ELi1ELi1EEEJNS0_3ErfIfEEEEEvT_T0_DpT1_
		.amdhsa_group_segment_fixed_size 0
		.amdhsa_private_segment_fixed_size 0
		.amdhsa_kernarg_size 3408
		.amdhsa_user_sgpr_count 6
		.amdhsa_user_sgpr_private_segment_buffer 1
		.amdhsa_user_sgpr_dispatch_ptr 0
		.amdhsa_user_sgpr_queue_ptr 0
		.amdhsa_user_sgpr_kernarg_segment_ptr 1
		.amdhsa_user_sgpr_dispatch_id 0
		.amdhsa_user_sgpr_flat_scratch_init 0
		.amdhsa_user_sgpr_kernarg_preload_length 0
		.amdhsa_user_sgpr_kernarg_preload_offset 0
		.amdhsa_user_sgpr_private_segment_size 0
		.amdhsa_uses_dynamic_stack 0
		.amdhsa_system_sgpr_private_segment_wavefront_offset 0
		.amdhsa_system_sgpr_workgroup_id_x 1
		.amdhsa_system_sgpr_workgroup_id_y 0
		.amdhsa_system_sgpr_workgroup_id_z 0
		.amdhsa_system_sgpr_workgroup_info 0
		.amdhsa_system_vgpr_workitem_id 0
		.amdhsa_next_free_vgpr 40
		.amdhsa_next_free_sgpr 38
		.amdhsa_accum_offset 40
		.amdhsa_reserve_vcc 1
		.amdhsa_reserve_flat_scratch 0
		.amdhsa_float_round_mode_32 0
		.amdhsa_float_round_mode_16_64 0
		.amdhsa_float_denorm_mode_32 3
		.amdhsa_float_denorm_mode_16_64 3
		.amdhsa_dx10_clamp 1
		.amdhsa_ieee_mode 1
		.amdhsa_fp16_overflow 0
		.amdhsa_tg_split 0
		.amdhsa_exception_fp_ieee_invalid_op 0
		.amdhsa_exception_fp_denorm_src 0
		.amdhsa_exception_fp_ieee_div_zero 0
		.amdhsa_exception_fp_ieee_overflow 0
		.amdhsa_exception_fp_ieee_underflow 0
		.amdhsa_exception_fp_ieee_inexact 0
		.amdhsa_exception_int_div_zero 0
	.end_amdhsa_kernel
	.section	.text._ZN2at6native12_GLOBAL__N_125multi_tensor_apply_kernelINS1_18TensorListMetadataILi2EEENS1_14UnaryOpFunctorIN3c104HalfELi2ELi1ELi1EEEJNS0_3ErfIfEEEEEvT_T0_DpT1_,"axG",@progbits,_ZN2at6native12_GLOBAL__N_125multi_tensor_apply_kernelINS1_18TensorListMetadataILi2EEENS1_14UnaryOpFunctorIN3c104HalfELi2ELi1ELi1EEEJNS0_3ErfIfEEEEEvT_T0_DpT1_,comdat
.Lfunc_end240:
	.size	_ZN2at6native12_GLOBAL__N_125multi_tensor_apply_kernelINS1_18TensorListMetadataILi2EEENS1_14UnaryOpFunctorIN3c104HalfELi2ELi1ELi1EEEJNS0_3ErfIfEEEEEvT_T0_DpT1_, .Lfunc_end240-_ZN2at6native12_GLOBAL__N_125multi_tensor_apply_kernelINS1_18TensorListMetadataILi2EEENS1_14UnaryOpFunctorIN3c104HalfELi2ELi1ELi1EEEJNS0_3ErfIfEEEEEvT_T0_DpT1_
                                        ; -- End function
	.section	.AMDGPU.csdata,"",@progbits
; Kernel info:
; codeLenInByte = 3440
; NumSgprs: 42
; NumVgprs: 40
; NumAgprs: 0
; TotalNumVgprs: 40
; ScratchSize: 0
; MemoryBound: 0
; FloatMode: 240
; IeeeMode: 1
; LDSByteSize: 0 bytes/workgroup (compile time only)
; SGPRBlocks: 5
; VGPRBlocks: 4
; NumSGPRsForWavesPerEU: 42
; NumVGPRsForWavesPerEU: 40
; AccumOffset: 40
; Occupancy: 8
; WaveLimiterHint : 0
; COMPUTE_PGM_RSRC2:SCRATCH_EN: 0
; COMPUTE_PGM_RSRC2:USER_SGPR: 6
; COMPUTE_PGM_RSRC2:TRAP_HANDLER: 0
; COMPUTE_PGM_RSRC2:TGID_X_EN: 1
; COMPUTE_PGM_RSRC2:TGID_Y_EN: 0
; COMPUTE_PGM_RSRC2:TGID_Z_EN: 0
; COMPUTE_PGM_RSRC2:TIDIG_COMP_CNT: 0
; COMPUTE_PGM_RSRC3_GFX90A:ACCUM_OFFSET: 9
; COMPUTE_PGM_RSRC3_GFX90A:TG_SPLIT: 0
	.section	.text._ZN2at6native12_GLOBAL__N_125multi_tensor_apply_kernelINS1_18TensorListMetadataILi2EEENS1_14UnaryOpFunctorIN3c108BFloat16ELi2ELi1ELi1EEEJNS0_3ErfIfEEEEEvT_T0_DpT1_,"axG",@progbits,_ZN2at6native12_GLOBAL__N_125multi_tensor_apply_kernelINS1_18TensorListMetadataILi2EEENS1_14UnaryOpFunctorIN3c108BFloat16ELi2ELi1ELi1EEEJNS0_3ErfIfEEEEEvT_T0_DpT1_,comdat
	.globl	_ZN2at6native12_GLOBAL__N_125multi_tensor_apply_kernelINS1_18TensorListMetadataILi2EEENS1_14UnaryOpFunctorIN3c108BFloat16ELi2ELi1ELi1EEEJNS0_3ErfIfEEEEEvT_T0_DpT1_ ; -- Begin function _ZN2at6native12_GLOBAL__N_125multi_tensor_apply_kernelINS1_18TensorListMetadataILi2EEENS1_14UnaryOpFunctorIN3c108BFloat16ELi2ELi1ELi1EEEJNS0_3ErfIfEEEEEvT_T0_DpT1_
	.p2align	8
	.type	_ZN2at6native12_GLOBAL__N_125multi_tensor_apply_kernelINS1_18TensorListMetadataILi2EEENS1_14UnaryOpFunctorIN3c108BFloat16ELi2ELi1ELi1EEEJNS0_3ErfIfEEEEEvT_T0_DpT1_,@function
_ZN2at6native12_GLOBAL__N_125multi_tensor_apply_kernelINS1_18TensorListMetadataILi2EEENS1_14UnaryOpFunctorIN3c108BFloat16ELi2ELi1ELi1EEEJNS0_3ErfIfEEEEEvT_T0_DpT1_: ; @_ZN2at6native12_GLOBAL__N_125multi_tensor_apply_kernelINS1_18TensorListMetadataILi2EEENS1_14UnaryOpFunctorIN3c108BFloat16ELi2ELi1ELi1EEEJNS0_3ErfIfEEEEEvT_T0_DpT1_
; %bb.0:
	v_mov_b32_e32 v1, s6
	global_load_ubyte v1, v1, s[4:5] offset:1536
	s_add_u32 s0, s4, s6
	s_mul_hi_u32 s2, s6, 3
	s_mul_i32 s6, s6, 3
	s_addc_u32 s3, s5, 0
	s_add_u32 s8, s0, s6
	s_addc_u32 s9, s3, s2
	s_mov_b32 s1, 0
	s_mov_b32 s17, s1
	;; [unrolled: 1-line block ×3, first 2 shown]
	s_waitcnt vmcnt(0)
	v_readfirstlane_b32 s0, v1
	s_lshl_b32 s0, s0, 3
	s_load_dword s12, s[8:9], 0x740
	s_load_dwordx2 s[6:7], s[4:5], s0 offset:0x0
	s_load_dwordx2 s[14:15], s[4:5], s0 offset:0x400
	;; [unrolled: 1-line block ×3, first 2 shown]
	s_waitcnt lgkmcnt(0)
	s_ashr_i32 s13, s12, 31
	s_and_b32 s0, s6, 7
	s_and_b32 s16, s14, 3
	;; [unrolled: 1-line block ×3, first 2 shown]
	s_or_b64 s[16:17], s[0:1], s[16:17]
	s_lshl_b64 s[8:9], s[12:13], 17
	s_or_b64 s[16:17], s[10:11], s[16:17]
	s_lshl_b64 s[10:11], s[12:13], 16
	s_sub_u32 s10, s14, s10
	s_subb_u32 s11, s15, s11
	s_cmp_eq_u64 s[16:17], 0
	s_mov_b64 s[12:13], -1
	s_cbranch_scc0 .LBB241_21
; %bb.1:
	v_mov_b32_e32 v3, 0
	v_lshlrev_b32_e32 v2, 2, v0
	v_cmp_gt_i64_e32 vcc, s[10:11], v[2:3]
	s_and_saveexec_b64 s[12:13], vcc
	s_cbranch_execz .LBB241_20
; %bb.2:
	s_load_dword s0, s[4:5], 0xc5c
	v_lshlrev_b32_e32 v1, 3, v0
	v_mov_b32_e32 v2, s9
	v_add_co_u32_e32 v4, vcc, s8, v1
	s_waitcnt lgkmcnt(0)
	s_and_b32 s0, s0, 0xffff
	v_addc_co_u32_e32 v1, vcc, 0, v2, vcc
	s_lshl_b32 s18, s0, 3
	v_add_lshl_u32 v2, v0, s0, 2
	s_lshl_b32 s19, s0, 2
	s_mov_b32 s20, s1
	s_mov_b64 s[14:15], 0
	v_mov_b32_e32 v5, s7
	s_mov_b32 s21, 0x378e98ab
	s_mov_b32 s22, 0x3b7cd369
	;; [unrolled: 1-line block ×9, first 2 shown]
	v_mov_b32_e32 v8, 0xbcdac9b8
	v_mov_b32_e32 v9, 0x3de703be
	;; [unrolled: 1-line block ×4, first 2 shown]
	s_brev_b32 s30, -2
	s_movk_i32 s31, 0x7fff
	v_mov_b32_e32 v12, s3
	v_mov_b32_e32 v13, 0x7fc00000
	;; [unrolled: 1-line block ×3, first 2 shown]
	s_mov_b64 s[16:17], 0xffff
	v_mov_b32_e32 v15, 0xb9c68948
	v_mov_b32_e32 v16, 0x7f800000
	;; [unrolled: 1-line block ×3, first 2 shown]
	s_branch .LBB241_4
.LBB241_3:                              ;   in Loop: Header=BB241_4 Depth=1
	s_or_b64 exec, exec, s[0:1]
	v_bfi_b32 v22, s30, v22, v6
	v_bfe_u32 v6, v22, 16, 1
	v_add3_u32 v6, v22, v6, s31
	v_bfi_b32 v20, s30, v21, v20
	v_lshrrev_b32_e32 v24, 16, v6
	v_bfe_u32 v6, v20, 16, 1
	v_add3_u32 v6, v20, v6, s31
	v_bfi_b32 v18, s30, v19, v18
	v_and_b32_e32 v21, 0xffff0000, v6
	v_bfe_u32 v6, v18, 16, 1
	v_add3_u32 v6, v18, v6, s31
	v_bfi_b32 v23, s30, v23, v7
	v_lshrrev_b32_e32 v19, 16, v6
	v_bfe_u32 v6, v23, 16, 1
	v_add3_u32 v25, v23, v6, s31
	v_add_co_u32_e32 v6, vcc, s2, v4
	v_addc_co_u32_e32 v7, vcc, v12, v1, vcc
	v_and_b32_e32 v25, 0xffff0000, v25
	v_cmp_o_f32_e32 vcc, v23, v23
	v_cndmask_b32_e32 v23, v13, v25, vcc
	v_cmp_o_f32_e32 vcc, v22, v22
	v_cndmask_b32_e32 v22, v14, v24, vcc
	;; [unrolled: 2-line block ×4, first 2 shown]
	v_cmp_le_i64_e32 vcc, s[10:11], v[2:3]
	v_cmp_lt_u64_e64 s[0:1], s[16:17], v[2:3]
	v_or_b32_e32 v18, v20, v18
	s_or_b64 s[0:1], vcc, s[0:1]
	v_add_co_u32_e32 v4, vcc, s18, v4
	v_or3_b32 v19, 0, v22, v23
	v_or3_b32 v18, v18, 0, 0
	v_addc_co_u32_e32 v1, vcc, v1, v17, vcc
	global_store_dwordx2 v[6:7], v[18:19], off
	v_mov_b32_e32 v6, s20
	s_and_b64 s[0:1], exec, s[0:1]
	v_add_co_u32_e32 v2, vcc, s19, v2
	s_or_b64 s[14:15], s[0:1], s[14:15]
	v_addc_co_u32_e32 v3, vcc, v3, v6, vcc
	s_andn2_b64 exec, exec, s[14:15]
	s_cbranch_execz .LBB241_20
.LBB241_4:                              ; =>This Inner Loop Header: Depth=1
	v_add_co_u32_e32 v6, vcc, s6, v4
	v_addc_co_u32_e32 v7, vcc, v5, v1, vcc
	global_load_dwordx2 v[6:7], v[6:7], off
                                        ; implicit-def: $vgpr19
	s_waitcnt vmcnt(0)
	v_lshlrev_b32_e32 v18, 16, v6
	v_cmp_nlt_f32_e64 s[0:1], |v18|, 1.0
	s_and_saveexec_b64 s[34:35], s[0:1]
	s_xor_b64 s[0:1], exec, s[34:35]
	s_cbranch_execz .LBB241_6
; %bb.5:                                ;   in Loop: Header=BB241_4 Depth=1
	v_fma_f32 v19, |v18|, s21, v15
	v_fma_f32 v19, |v18|, v19, s22
	;; [unrolled: 1-line block ×6, first 2 shown]
	v_fma_f32 v19, |v18|, v19, |v18|
	v_mul_f32_e32 v20, 0xbfb8aa3b, v19
	v_fma_f32 v21, v19, s27, -v20
	v_rndne_f32_e32 v22, v20
	v_fmac_f32_e32 v21, 0xb2a5705f, v19
	v_sub_f32_e32 v20, v20, v22
	v_add_f32_e32 v20, v20, v21
	v_cvt_i32_f32_e32 v21, v22
	v_exp_f32_e32 v20, v20
	v_cmp_nlt_f32_e32 vcc, s28, v19
	v_ldexp_f32 v20, v20, v21
	v_cndmask_b32_e32 v20, 0, v20, vcc
	v_cmp_ngt_f32_e32 vcc, s29, v19
	v_cndmask_b32_e32 v19, v16, v20, vcc
	v_sub_f32_e32 v19, 1.0, v19
.LBB241_6:                              ;   in Loop: Header=BB241_4 Depth=1
	s_andn2_saveexec_b64 s[0:1], s[0:1]
; %bb.7:                                ;   in Loop: Header=BB241_4 Depth=1
	v_mul_f32_e32 v19, v18, v18
	v_mov_b32_e32 v20, 0x3ba10414
	v_fmac_f32_e32 v20, 0xba1345e1, v19
	v_fma_f32 v20, v19, v20, v8
	v_fma_f32 v20, v19, v20, v9
	;; [unrolled: 1-line block ×4, first 2 shown]
	v_fma_f32 v19, |v18|, v19, |v18|
; %bb.8:                                ;   in Loop: Header=BB241_4 Depth=1
	s_or_b64 exec, exec, s[0:1]
	v_and_b32_e32 v20, 0xffff0000, v6
	v_cmp_nlt_f32_e64 s[0:1], |v20|, 1.0
                                        ; implicit-def: $vgpr21
	s_and_saveexec_b64 s[34:35], s[0:1]
	s_xor_b64 s[0:1], exec, s[34:35]
	s_cbranch_execz .LBB241_10
; %bb.9:                                ;   in Loop: Header=BB241_4 Depth=1
	v_fma_f32 v21, |v20|, s21, v15
	v_fma_f32 v21, |v20|, v21, s22
	;; [unrolled: 1-line block ×6, first 2 shown]
	v_fma_f32 v21, |v20|, v21, |v20|
	v_mul_f32_e32 v22, 0xbfb8aa3b, v21
	v_fma_f32 v23, v21, s27, -v22
	v_rndne_f32_e32 v24, v22
	v_fmac_f32_e32 v23, 0xb2a5705f, v21
	v_sub_f32_e32 v22, v22, v24
	v_add_f32_e32 v22, v22, v23
	v_cvt_i32_f32_e32 v23, v24
	v_exp_f32_e32 v22, v22
	v_cmp_nlt_f32_e32 vcc, s28, v21
	v_ldexp_f32 v22, v22, v23
	v_cndmask_b32_e32 v22, 0, v22, vcc
	v_cmp_ngt_f32_e32 vcc, s29, v21
	v_cndmask_b32_e32 v21, v16, v22, vcc
	v_sub_f32_e32 v21, 1.0, v21
.LBB241_10:                             ;   in Loop: Header=BB241_4 Depth=1
	s_andn2_saveexec_b64 s[0:1], s[0:1]
; %bb.11:                               ;   in Loop: Header=BB241_4 Depth=1
	v_mul_f32_e32 v21, v20, v20
	v_mov_b32_e32 v22, 0x3ba10414
	v_fmac_f32_e32 v22, 0xba1345e1, v21
	v_fma_f32 v22, v21, v22, v8
	v_fma_f32 v22, v21, v22, v9
	;; [unrolled: 1-line block ×4, first 2 shown]
	v_fma_f32 v21, |v20|, v21, |v20|
; %bb.12:                               ;   in Loop: Header=BB241_4 Depth=1
	s_or_b64 exec, exec, s[0:1]
	v_alignbit_b32 v6, v7, v6, 16
	v_and_b32_e32 v6, 0xffff0000, v6
	v_cmp_nlt_f32_e64 s[0:1], |v6|, 1.0
                                        ; implicit-def: $vgpr22
	s_and_saveexec_b64 s[34:35], s[0:1]
	s_xor_b64 s[0:1], exec, s[34:35]
	s_cbranch_execz .LBB241_14
; %bb.13:                               ;   in Loop: Header=BB241_4 Depth=1
	v_fma_f32 v22, |v6|, s21, v15
	v_fma_f32 v22, |v6|, v22, s22
	;; [unrolled: 1-line block ×6, first 2 shown]
	v_fma_f32 v22, |v6|, v22, |v6|
	v_mul_f32_e32 v23, 0xbfb8aa3b, v22
	v_fma_f32 v24, v22, s27, -v23
	v_rndne_f32_e32 v25, v23
	v_fmac_f32_e32 v24, 0xb2a5705f, v22
	v_sub_f32_e32 v23, v23, v25
	v_add_f32_e32 v23, v23, v24
	v_cvt_i32_f32_e32 v24, v25
	v_exp_f32_e32 v23, v23
	v_cmp_nlt_f32_e32 vcc, s28, v22
	v_ldexp_f32 v23, v23, v24
	v_cndmask_b32_e32 v23, 0, v23, vcc
	v_cmp_ngt_f32_e32 vcc, s29, v22
	v_cndmask_b32_e32 v22, v16, v23, vcc
	v_sub_f32_e32 v22, 1.0, v22
.LBB241_14:                             ;   in Loop: Header=BB241_4 Depth=1
	s_andn2_saveexec_b64 s[0:1], s[0:1]
; %bb.15:                               ;   in Loop: Header=BB241_4 Depth=1
	v_mul_f32_e32 v22, v6, v6
	v_mov_b32_e32 v23, 0x3ba10414
	v_fmac_f32_e32 v23, 0xba1345e1, v22
	v_fma_f32 v23, v22, v23, v8
	v_fma_f32 v23, v22, v23, v9
	;; [unrolled: 1-line block ×4, first 2 shown]
	v_fma_f32 v22, |v6|, v22, |v6|
; %bb.16:                               ;   in Loop: Header=BB241_4 Depth=1
	s_or_b64 exec, exec, s[0:1]
	v_and_b32_e32 v7, 0xffff0000, v7
	v_cmp_nlt_f32_e64 s[0:1], |v7|, 1.0
                                        ; implicit-def: $vgpr23
	s_and_saveexec_b64 s[34:35], s[0:1]
	s_xor_b64 s[0:1], exec, s[34:35]
	s_cbranch_execz .LBB241_18
; %bb.17:                               ;   in Loop: Header=BB241_4 Depth=1
	v_fma_f32 v23, |v7|, s21, v15
	v_fma_f32 v23, |v7|, v23, s22
	;; [unrolled: 1-line block ×6, first 2 shown]
	v_fma_f32 v23, |v7|, v23, |v7|
	v_mul_f32_e32 v24, 0xbfb8aa3b, v23
	v_fma_f32 v25, v23, s27, -v24
	v_rndne_f32_e32 v26, v24
	v_fmac_f32_e32 v25, 0xb2a5705f, v23
	v_sub_f32_e32 v24, v24, v26
	v_add_f32_e32 v24, v24, v25
	v_cvt_i32_f32_e32 v25, v26
	v_exp_f32_e32 v24, v24
	v_cmp_nlt_f32_e32 vcc, s28, v23
	v_ldexp_f32 v24, v24, v25
	v_cndmask_b32_e32 v24, 0, v24, vcc
	v_cmp_ngt_f32_e32 vcc, s29, v23
	v_cndmask_b32_e32 v23, v16, v24, vcc
	v_sub_f32_e32 v23, 1.0, v23
.LBB241_18:                             ;   in Loop: Header=BB241_4 Depth=1
	s_andn2_saveexec_b64 s[0:1], s[0:1]
	s_cbranch_execz .LBB241_3
; %bb.19:                               ;   in Loop: Header=BB241_4 Depth=1
	v_mul_f32_e32 v23, v7, v7
	v_mov_b32_e32 v24, 0x3ba10414
	v_fmac_f32_e32 v24, 0xba1345e1, v23
	v_fma_f32 v24, v23, v24, v8
	v_fma_f32 v24, v23, v24, v9
	;; [unrolled: 1-line block ×4, first 2 shown]
	v_fma_f32 v23, |v7|, v23, |v7|
	s_branch .LBB241_3
.LBB241_20:
	s_or_b64 exec, exec, s[12:13]
	s_mov_b64 s[12:13], 0
.LBB241_21:
	s_andn2_b64 vcc, exec, s[12:13]
	s_cbranch_vccnz .LBB241_57
; %bb.22:
	v_cmp_lt_i64_e64 s[0:1], s[10:11], 1
	s_and_b64 vcc, exec, s[0:1]
	s_cbranch_vccnz .LBB241_57
; %bb.23:
	s_load_dword s0, s[4:5], 0xc5c
	v_mov_b32_e32 v2, 0x10000
	v_mov_b32_e32 v3, 0
	v_cmp_lt_u64_e32 vcc, s[10:11], v[2:3]
	v_lshlrev_b32_e32 v10, 1, v0
	s_waitcnt lgkmcnt(0)
	s_and_b32 s4, s0, 0xffff
	s_and_b64 s[0:1], vcc, exec
	v_mov_b32_e32 v13, s7
	v_add_co_u32_e32 v2, vcc, s6, v10
	v_addc_co_u32_e32 v1, vcc, 0, v13, vcc
	v_mov_b32_e32 v11, 0
	v_mov_b32_e32 v15, s3
	v_add_co_u32_e32 v4, vcc, s2, v10
	v_addc_co_u32_e32 v3, vcc, 0, v15, vcc
	v_mad_u64_u32 v[8:9], s[0:1], s4, 6, v[10:11]
	v_add_co_u32_e32 v6, vcc, s6, v8
	v_addc_co_u32_e32 v5, vcc, v13, v9, vcc
	v_add_co_u32_e32 v8, vcc, s2, v8
	s_mul_i32 s14, s4, 3
	v_addc_co_u32_e32 v7, vcc, v15, v9, vcc
	s_cselect_b32 s13, s11, 0
	s_cselect_b32 s12, s10, 0x10000
	s_lshl_b32 s19, s4, 2
	v_add_co_u32_e32 v17, vcc, s14, v0
	v_addc_co_u32_e64 v18, s[0:1], 0, 0, vcc
	v_add_co_u32_e32 v11, vcc, s19, v10
	v_addc_co_u32_e64 v14, s[0:1], 0, 0, vcc
	v_add_co_u32_e32 v10, vcc, s6, v11
	v_addc_co_u32_e32 v9, vcc, v13, v14, vcc
	v_add_co_u32_e32 v12, vcc, s2, v11
	s_lshl_b32 s5, s4, 1
	v_addc_co_u32_e32 v11, vcc, v15, v14, vcc
	v_add_co_u32_e32 v19, vcc, s5, v0
	v_addc_co_u32_e64 v20, s[0:1], 0, 0, vcc
	v_add_co_u32_e32 v21, vcc, s4, v0
	v_lshlrev_b32_e32 v16, 1, v21
	v_addc_co_u32_e64 v22, s[0:1], 0, 0, vcc
	v_add_co_u32_e32 v14, vcc, s6, v16
	v_addc_co_u32_e32 v13, vcc, 0, v13, vcc
	v_add_co_u32_e32 v16, vcc, s2, v16
	s_mov_b32 s18, 0
	s_lshl_b32 s20, s4, 3
	v_addc_co_u32_e32 v15, vcc, 0, v15, vcc
	s_mov_b64 s[14:15], 0
	s_mov_b32 s21, 0x378e98ab
	s_mov_b32 s22, 0x3b7cd369
	;; [unrolled: 1-line block ×9, first 2 shown]
	v_mov_b32_e32 v23, 0xbcdac9b8
	v_mov_b32_e32 v24, 0x3de703be
	;; [unrolled: 1-line block ×4, first 2 shown]
	s_brev_b32 s30, -2
	s_movk_i32 s31, 0x7fff
	v_mov_b32_e32 v27, 0xb9c68948
	v_mov_b32_e32 v28, 0x7f800000
	;; [unrolled: 1-line block ×3, first 2 shown]
	s_branch .LBB241_25
.LBB241_24:                             ;   in Loop: Header=BB241_25 Depth=1
	s_or_b64 exec, exec, s[0:1]
	s_add_u32 s14, s14, s19
	s_addc_u32 s15, s15, 0
	v_pk_mov_b32 v[30:31], s[10:11], s[10:11] op_sel:[0,1]
	v_cmp_ge_i64_e32 vcc, s[14:15], v[30:31]
	v_mov_b32_e32 v30, 0xffff
	v_mov_b32_e32 v31, 0
	v_cmp_gt_u64_e64 s[0:1], s[14:15], v[30:31]
	s_or_b64 s[0:1], vcc, s[0:1]
	v_mov_b32_e32 v30, s18
	v_add_co_u32_e32 v2, vcc, s20, v2
	v_addc_co_u32_e32 v1, vcc, v1, v30, vcc
	v_add_co_u32_e32 v4, vcc, s20, v4
	v_addc_co_u32_e32 v3, vcc, v3, v30, vcc
	;; [unrolled: 2-line block ×8, first 2 shown]
	s_and_b64 vcc, exec, s[0:1]
	s_cbranch_vccnz .LBB241_57
.LBB241_25:                             ; =>This Inner Loop Header: Depth=1
	v_mov_b32_e32 v31, s15
	v_add_co_u32_e32 v30, vcc, s14, v0
	v_addc_co_u32_e32 v31, vcc, 0, v31, vcc
	v_cmp_gt_u64_e32 vcc, s[12:13], v[30:31]
	v_mov_b32_e32 v30, 0
	s_and_saveexec_b64 s[2:3], vcc
	s_cbranch_execz .LBB241_27
; %bb.26:                               ;   in Loop: Header=BB241_25 Depth=1
	v_mov_b32_e32 v31, s9
	v_add_co_u32_e64 v30, s[0:1], s8, v2
	v_addc_co_u32_e64 v31, s[0:1], v1, v31, s[0:1]
	global_load_ushort v30, v[30:31], off
.LBB241_27:                             ;   in Loop: Header=BB241_25 Depth=1
	s_or_b64 exec, exec, s[2:3]
	v_mov_b32_e32 v31, s15
	v_add_co_u32_e64 v32, s[0:1], s14, v21
	v_addc_co_u32_e64 v33, s[0:1], v22, v31, s[0:1]
	v_cmp_gt_u64_e64 s[0:1], s[12:13], v[32:33]
	v_mov_b32_e32 v33, 0
	s_and_saveexec_b64 s[4:5], s[0:1]
	s_cbranch_execz .LBB241_29
; %bb.28:                               ;   in Loop: Header=BB241_25 Depth=1
	v_mov_b32_e32 v31, s9
	v_add_co_u32_e64 v32, s[2:3], s8, v14
	v_addc_co_u32_e64 v33, s[2:3], v13, v31, s[2:3]
	global_load_ushort v33, v[32:33], off
.LBB241_29:                             ;   in Loop: Header=BB241_25 Depth=1
	s_or_b64 exec, exec, s[4:5]
	v_mov_b32_e32 v31, s15
	v_add_co_u32_e64 v34, s[2:3], s14, v19
	v_addc_co_u32_e64 v35, s[2:3], v20, v31, s[2:3]
	v_cmp_gt_u64_e64 s[2:3], s[12:13], v[34:35]
	v_mov_b32_e32 v31, 0
	v_mov_b32_e32 v35, 0
	s_and_saveexec_b64 s[6:7], s[2:3]
	s_cbranch_execz .LBB241_31
; %bb.30:                               ;   in Loop: Header=BB241_25 Depth=1
	v_mov_b32_e32 v32, s9
	v_add_co_u32_e64 v34, s[4:5], s8, v10
	v_addc_co_u32_e64 v35, s[4:5], v9, v32, s[4:5]
	global_load_ushort v35, v[34:35], off
.LBB241_31:                             ;   in Loop: Header=BB241_25 Depth=1
	s_or_b64 exec, exec, s[6:7]
	v_mov_b32_e32 v32, s15
	v_add_co_u32_e64 v36, s[4:5], s14, v17
	v_addc_co_u32_e64 v37, s[4:5], v18, v32, s[4:5]
	v_cmp_gt_u64_e64 s[4:5], s[12:13], v[36:37]
	s_and_saveexec_b64 s[16:17], s[4:5]
	s_cbranch_execz .LBB241_33
; %bb.32:                               ;   in Loop: Header=BB241_25 Depth=1
	v_mov_b32_e32 v31, s9
	v_add_co_u32_e64 v36, s[6:7], s8, v6
	v_addc_co_u32_e64 v37, s[6:7], v5, v31, s[6:7]
	global_load_ushort v31, v[36:37], off
.LBB241_33:                             ;   in Loop: Header=BB241_25 Depth=1
	s_or_b64 exec, exec, s[16:17]
	s_waitcnt vmcnt(0)
	v_lshlrev_b32_e32 v30, 16, v30
	v_cmp_nlt_f32_e64 s[6:7], |v30|, 1.0
                                        ; implicit-def: $vgpr32
	s_and_saveexec_b64 s[16:17], s[6:7]
	s_xor_b64 s[16:17], exec, s[16:17]
	s_cbranch_execz .LBB241_35
; %bb.34:                               ;   in Loop: Header=BB241_25 Depth=1
	v_fma_f32 v32, |v30|, s21, v27
	v_fma_f32 v32, |v30|, v32, s22
	v_fma_f32 v32, |v30|, v32, s23
	v_fma_f32 v32, |v30|, v32, s24
	v_fma_f32 v32, |v30|, v32, s25
	v_fma_f32 v32, |v30|, v32, s26
	v_fma_f32 v32, |v30|, v32, |v30|
	v_mul_f32_e32 v34, 0xbfb8aa3b, v32
	v_fma_f32 v36, v32, s27, -v34
	v_rndne_f32_e32 v37, v34
	v_fmac_f32_e32 v36, 0xb2a5705f, v32
	v_sub_f32_e32 v34, v34, v37
	v_add_f32_e32 v34, v34, v36
	v_cvt_i32_f32_e32 v36, v37
	v_exp_f32_e32 v34, v34
	v_cmp_nlt_f32_e64 s[6:7], s28, v32
	v_ldexp_f32 v34, v34, v36
	v_cndmask_b32_e64 v34, 0, v34, s[6:7]
	v_cmp_ngt_f32_e64 s[6:7], s29, v32
	v_cndmask_b32_e64 v32, v28, v34, s[6:7]
	v_sub_f32_e32 v32, 1.0, v32
.LBB241_35:                             ;   in Loop: Header=BB241_25 Depth=1
	s_andn2_saveexec_b64 s[6:7], s[16:17]
; %bb.36:                               ;   in Loop: Header=BB241_25 Depth=1
	v_mul_f32_e32 v32, v30, v30
	v_mov_b32_e32 v34, 0x3ba10414
	v_fmac_f32_e32 v34, 0xba1345e1, v32
	v_fma_f32 v34, v32, v34, v23
	v_fma_f32 v34, v32, v34, v24
	;; [unrolled: 1-line block ×4, first 2 shown]
	v_fma_f32 v32, |v30|, v32, |v30|
; %bb.37:                               ;   in Loop: Header=BB241_25 Depth=1
	s_or_b64 exec, exec, s[6:7]
	v_lshlrev_b32_e32 v33, 16, v33
	v_cmp_nlt_f32_e64 s[6:7], |v33|, 1.0
                                        ; implicit-def: $vgpr34
	s_and_saveexec_b64 s[16:17], s[6:7]
	s_xor_b64 s[16:17], exec, s[16:17]
	s_cbranch_execz .LBB241_39
; %bb.38:                               ;   in Loop: Header=BB241_25 Depth=1
	v_fma_f32 v34, |v33|, s21, v27
	v_fma_f32 v34, |v33|, v34, s22
	;; [unrolled: 1-line block ×6, first 2 shown]
	v_fma_f32 v34, |v33|, v34, |v33|
	v_mul_f32_e32 v36, 0xbfb8aa3b, v34
	v_fma_f32 v37, v34, s27, -v36
	v_rndne_f32_e32 v38, v36
	v_fmac_f32_e32 v37, 0xb2a5705f, v34
	v_sub_f32_e32 v36, v36, v38
	v_add_f32_e32 v36, v36, v37
	v_cvt_i32_f32_e32 v37, v38
	v_exp_f32_e32 v36, v36
	v_cmp_nlt_f32_e64 s[6:7], s28, v34
	v_ldexp_f32 v36, v36, v37
	v_cndmask_b32_e64 v36, 0, v36, s[6:7]
	v_cmp_ngt_f32_e64 s[6:7], s29, v34
	v_cndmask_b32_e64 v34, v28, v36, s[6:7]
	v_sub_f32_e32 v34, 1.0, v34
.LBB241_39:                             ;   in Loop: Header=BB241_25 Depth=1
	s_andn2_saveexec_b64 s[6:7], s[16:17]
; %bb.40:                               ;   in Loop: Header=BB241_25 Depth=1
	v_mul_f32_e32 v34, v33, v33
	v_mov_b32_e32 v36, 0x3ba10414
	v_fmac_f32_e32 v36, 0xba1345e1, v34
	v_fma_f32 v36, v34, v36, v23
	v_fma_f32 v36, v34, v36, v24
	;; [unrolled: 1-line block ×4, first 2 shown]
	v_fma_f32 v34, |v33|, v34, |v33|
; %bb.41:                               ;   in Loop: Header=BB241_25 Depth=1
	s_or_b64 exec, exec, s[6:7]
	v_lshlrev_b32_e32 v35, 16, v35
	v_cmp_nlt_f32_e64 s[6:7], |v35|, 1.0
                                        ; implicit-def: $vgpr36
	s_and_saveexec_b64 s[16:17], s[6:7]
	s_xor_b64 s[16:17], exec, s[16:17]
	s_cbranch_execz .LBB241_43
; %bb.42:                               ;   in Loop: Header=BB241_25 Depth=1
	v_fma_f32 v36, |v35|, s21, v27
	v_fma_f32 v36, |v35|, v36, s22
	;; [unrolled: 1-line block ×6, first 2 shown]
	v_fma_f32 v36, |v35|, v36, |v35|
	v_mul_f32_e32 v37, 0xbfb8aa3b, v36
	v_fma_f32 v38, v36, s27, -v37
	v_rndne_f32_e32 v39, v37
	v_fmac_f32_e32 v38, 0xb2a5705f, v36
	v_sub_f32_e32 v37, v37, v39
	v_add_f32_e32 v37, v37, v38
	v_cvt_i32_f32_e32 v38, v39
	v_exp_f32_e32 v37, v37
	v_cmp_nlt_f32_e64 s[6:7], s28, v36
	v_ldexp_f32 v37, v37, v38
	v_cndmask_b32_e64 v37, 0, v37, s[6:7]
	v_cmp_ngt_f32_e64 s[6:7], s29, v36
	v_cndmask_b32_e64 v36, v28, v37, s[6:7]
	v_sub_f32_e32 v36, 1.0, v36
.LBB241_43:                             ;   in Loop: Header=BB241_25 Depth=1
	s_andn2_saveexec_b64 s[6:7], s[16:17]
; %bb.44:                               ;   in Loop: Header=BB241_25 Depth=1
	v_mul_f32_e32 v36, v35, v35
	v_mov_b32_e32 v37, 0x3ba10414
	v_fmac_f32_e32 v37, 0xba1345e1, v36
	v_fma_f32 v37, v36, v37, v23
	v_fma_f32 v37, v36, v37, v24
	v_fma_f32 v37, v36, v37, v25
	v_fma_f32 v36, v36, v37, v26
	v_fma_f32 v36, |v35|, v36, |v35|
; %bb.45:                               ;   in Loop: Header=BB241_25 Depth=1
	s_or_b64 exec, exec, s[6:7]
	v_lshlrev_b32_e32 v31, 16, v31
	v_cmp_nlt_f32_e64 s[6:7], |v31|, 1.0
                                        ; implicit-def: $vgpr37
	s_and_saveexec_b64 s[16:17], s[6:7]
	s_xor_b64 s[16:17], exec, s[16:17]
	s_cbranch_execnz .LBB241_51
; %bb.46:                               ;   in Loop: Header=BB241_25 Depth=1
	s_andn2_saveexec_b64 s[6:7], s[16:17]
	s_cbranch_execnz .LBB241_52
.LBB241_47:                             ;   in Loop: Header=BB241_25 Depth=1
	s_or_b64 exec, exec, s[6:7]
	s_and_saveexec_b64 s[6:7], vcc
	s_xor_b64 s[6:7], exec, s[6:7]
	s_cbranch_execnz .LBB241_53
.LBB241_48:                             ;   in Loop: Header=BB241_25 Depth=1
	s_or_b64 exec, exec, s[6:7]
	s_and_saveexec_b64 s[6:7], s[0:1]
	s_cbranch_execnz .LBB241_54
.LBB241_49:                             ;   in Loop: Header=BB241_25 Depth=1
	s_or_b64 exec, exec, s[6:7]
	s_and_saveexec_b64 s[0:1], s[2:3]
	s_cbranch_execnz .LBB241_55
.LBB241_50:                             ;   in Loop: Header=BB241_25 Depth=1
	s_or_b64 exec, exec, s[0:1]
	s_and_saveexec_b64 s[0:1], s[4:5]
	s_cbranch_execz .LBB241_24
	s_branch .LBB241_56
.LBB241_51:                             ;   in Loop: Header=BB241_25 Depth=1
	v_fma_f32 v37, |v31|, s21, v27
	v_fma_f32 v37, |v31|, v37, s22
	;; [unrolled: 1-line block ×6, first 2 shown]
	v_fma_f32 v37, |v31|, v37, |v31|
	v_mul_f32_e32 v38, 0xbfb8aa3b, v37
	v_fma_f32 v39, v37, s27, -v38
	v_rndne_f32_e32 v40, v38
	v_fmac_f32_e32 v39, 0xb2a5705f, v37
	v_sub_f32_e32 v38, v38, v40
	v_add_f32_e32 v38, v38, v39
	v_cvt_i32_f32_e32 v39, v40
	v_exp_f32_e32 v38, v38
	v_cmp_nlt_f32_e64 s[6:7], s28, v37
	v_ldexp_f32 v38, v38, v39
	v_cndmask_b32_e64 v38, 0, v38, s[6:7]
	v_cmp_ngt_f32_e64 s[6:7], s29, v37
	v_cndmask_b32_e64 v37, v28, v38, s[6:7]
	v_sub_f32_e32 v37, 1.0, v37
	s_andn2_saveexec_b64 s[6:7], s[16:17]
	s_cbranch_execz .LBB241_47
.LBB241_52:                             ;   in Loop: Header=BB241_25 Depth=1
	v_mul_f32_e32 v37, v31, v31
	v_mov_b32_e32 v38, 0x3ba10414
	v_fmac_f32_e32 v38, 0xba1345e1, v37
	v_fma_f32 v38, v37, v38, v23
	v_fma_f32 v38, v37, v38, v24
	;; [unrolled: 1-line block ×4, first 2 shown]
	v_fma_f32 v37, |v31|, v37, |v31|
	s_or_b64 exec, exec, s[6:7]
	s_and_saveexec_b64 s[6:7], vcc
	s_xor_b64 s[6:7], exec, s[6:7]
	s_cbranch_execz .LBB241_48
.LBB241_53:                             ;   in Loop: Header=BB241_25 Depth=1
	v_bfi_b32 v30, s30, v32, v30
	v_bfe_u32 v32, v30, 16, 1
	v_add3_u32 v32, v30, v32, s31
	v_lshrrev_b32_e32 v32, 16, v32
	v_cmp_o_f32_e32 vcc, v30, v30
	v_cndmask_b32_e32 v30, v29, v32, vcc
	v_mov_b32_e32 v32, s9
	v_add_co_u32_e32 v38, vcc, s8, v4
	v_addc_co_u32_e32 v39, vcc, v3, v32, vcc
	global_store_short v[38:39], v30, off
	s_or_b64 exec, exec, s[6:7]
	s_and_saveexec_b64 s[6:7], s[0:1]
	s_cbranch_execz .LBB241_49
.LBB241_54:                             ;   in Loop: Header=BB241_25 Depth=1
	v_bfi_b32 v30, s30, v34, v33
	v_bfe_u32 v32, v30, 16, 1
	v_add3_u32 v32, v30, v32, s31
	v_lshrrev_b32_e32 v32, 16, v32
	v_cmp_o_f32_e32 vcc, v30, v30
	v_cndmask_b32_e32 v30, v29, v32, vcc
	v_mov_b32_e32 v33, s9
	v_add_co_u32_e32 v32, vcc, s8, v16
	v_addc_co_u32_e32 v33, vcc, v15, v33, vcc
	global_store_short v[32:33], v30, off
	s_or_b64 exec, exec, s[6:7]
	s_and_saveexec_b64 s[0:1], s[2:3]
	s_cbranch_execz .LBB241_50
.LBB241_55:                             ;   in Loop: Header=BB241_25 Depth=1
	v_bfi_b32 v30, s30, v36, v35
	v_bfe_u32 v32, v30, 16, 1
	v_add3_u32 v32, v30, v32, s31
	v_lshrrev_b32_e32 v32, 16, v32
	v_cmp_o_f32_e32 vcc, v30, v30
	v_cndmask_b32_e32 v30, v29, v32, vcc
	v_mov_b32_e32 v33, s9
	v_add_co_u32_e32 v32, vcc, s8, v12
	v_addc_co_u32_e32 v33, vcc, v11, v33, vcc
	global_store_short v[32:33], v30, off
	s_or_b64 exec, exec, s[0:1]
	s_and_saveexec_b64 s[0:1], s[4:5]
	s_cbranch_execz .LBB241_24
.LBB241_56:                             ;   in Loop: Header=BB241_25 Depth=1
	v_bfi_b32 v30, s30, v37, v31
	v_bfe_u32 v31, v30, 16, 1
	v_add3_u32 v31, v30, v31, s31
	v_lshrrev_b32_e32 v31, 16, v31
	v_cmp_o_f32_e32 vcc, v30, v30
	v_cndmask_b32_e32 v32, v29, v31, vcc
	v_mov_b32_e32 v31, s9
	v_add_co_u32_e32 v30, vcc, s8, v8
	v_addc_co_u32_e32 v31, vcc, v7, v31, vcc
	global_store_short v[30:31], v32, off
	s_branch .LBB241_24
.LBB241_57:
	s_endpgm
	.section	.rodata,"a",@progbits
	.p2align	6, 0x0
	.amdhsa_kernel _ZN2at6native12_GLOBAL__N_125multi_tensor_apply_kernelINS1_18TensorListMetadataILi2EEENS1_14UnaryOpFunctorIN3c108BFloat16ELi2ELi1ELi1EEEJNS0_3ErfIfEEEEEvT_T0_DpT1_
		.amdhsa_group_segment_fixed_size 0
		.amdhsa_private_segment_fixed_size 0
		.amdhsa_kernarg_size 3408
		.amdhsa_user_sgpr_count 6
		.amdhsa_user_sgpr_private_segment_buffer 1
		.amdhsa_user_sgpr_dispatch_ptr 0
		.amdhsa_user_sgpr_queue_ptr 0
		.amdhsa_user_sgpr_kernarg_segment_ptr 1
		.amdhsa_user_sgpr_dispatch_id 0
		.amdhsa_user_sgpr_flat_scratch_init 0
		.amdhsa_user_sgpr_kernarg_preload_length 0
		.amdhsa_user_sgpr_kernarg_preload_offset 0
		.amdhsa_user_sgpr_private_segment_size 0
		.amdhsa_uses_dynamic_stack 0
		.amdhsa_system_sgpr_private_segment_wavefront_offset 0
		.amdhsa_system_sgpr_workgroup_id_x 1
		.amdhsa_system_sgpr_workgroup_id_y 0
		.amdhsa_system_sgpr_workgroup_id_z 0
		.amdhsa_system_sgpr_workgroup_info 0
		.amdhsa_system_vgpr_workitem_id 0
		.amdhsa_next_free_vgpr 41
		.amdhsa_next_free_sgpr 36
		.amdhsa_accum_offset 44
		.amdhsa_reserve_vcc 1
		.amdhsa_reserve_flat_scratch 0
		.amdhsa_float_round_mode_32 0
		.amdhsa_float_round_mode_16_64 0
		.amdhsa_float_denorm_mode_32 3
		.amdhsa_float_denorm_mode_16_64 3
		.amdhsa_dx10_clamp 1
		.amdhsa_ieee_mode 1
		.amdhsa_fp16_overflow 0
		.amdhsa_tg_split 0
		.amdhsa_exception_fp_ieee_invalid_op 0
		.amdhsa_exception_fp_denorm_src 0
		.amdhsa_exception_fp_ieee_div_zero 0
		.amdhsa_exception_fp_ieee_overflow 0
		.amdhsa_exception_fp_ieee_underflow 0
		.amdhsa_exception_fp_ieee_inexact 0
		.amdhsa_exception_int_div_zero 0
	.end_amdhsa_kernel
	.section	.text._ZN2at6native12_GLOBAL__N_125multi_tensor_apply_kernelINS1_18TensorListMetadataILi2EEENS1_14UnaryOpFunctorIN3c108BFloat16ELi2ELi1ELi1EEEJNS0_3ErfIfEEEEEvT_T0_DpT1_,"axG",@progbits,_ZN2at6native12_GLOBAL__N_125multi_tensor_apply_kernelINS1_18TensorListMetadataILi2EEENS1_14UnaryOpFunctorIN3c108BFloat16ELi2ELi1ELi1EEEJNS0_3ErfIfEEEEEvT_T0_DpT1_,comdat
.Lfunc_end241:
	.size	_ZN2at6native12_GLOBAL__N_125multi_tensor_apply_kernelINS1_18TensorListMetadataILi2EEENS1_14UnaryOpFunctorIN3c108BFloat16ELi2ELi1ELi1EEEJNS0_3ErfIfEEEEEvT_T0_DpT1_, .Lfunc_end241-_ZN2at6native12_GLOBAL__N_125multi_tensor_apply_kernelINS1_18TensorListMetadataILi2EEENS1_14UnaryOpFunctorIN3c108BFloat16ELi2ELi1ELi1EEEJNS0_3ErfIfEEEEEvT_T0_DpT1_
                                        ; -- End function
	.section	.AMDGPU.csdata,"",@progbits
; Kernel info:
; codeLenInByte = 3648
; NumSgprs: 40
; NumVgprs: 41
; NumAgprs: 0
; TotalNumVgprs: 41
; ScratchSize: 0
; MemoryBound: 0
; FloatMode: 240
; IeeeMode: 1
; LDSByteSize: 0 bytes/workgroup (compile time only)
; SGPRBlocks: 4
; VGPRBlocks: 5
; NumSGPRsForWavesPerEU: 40
; NumVGPRsForWavesPerEU: 41
; AccumOffset: 44
; Occupancy: 8
; WaveLimiterHint : 0
; COMPUTE_PGM_RSRC2:SCRATCH_EN: 0
; COMPUTE_PGM_RSRC2:USER_SGPR: 6
; COMPUTE_PGM_RSRC2:TRAP_HANDLER: 0
; COMPUTE_PGM_RSRC2:TGID_X_EN: 1
; COMPUTE_PGM_RSRC2:TGID_Y_EN: 0
; COMPUTE_PGM_RSRC2:TGID_Z_EN: 0
; COMPUTE_PGM_RSRC2:TIDIG_COMP_CNT: 0
; COMPUTE_PGM_RSRC3_GFX90A:ACCUM_OFFSET: 10
; COMPUTE_PGM_RSRC3_GFX90A:TG_SPLIT: 0
	.section	.text._ZN2at6native12_GLOBAL__N_125multi_tensor_apply_kernelINS1_18TensorListMetadataILi1EEENS1_14UnaryOpFunctorIdLi1ELi1ELi0EEEJNS0_3ErfIdEEEEEvT_T0_DpT1_,"axG",@progbits,_ZN2at6native12_GLOBAL__N_125multi_tensor_apply_kernelINS1_18TensorListMetadataILi1EEENS1_14UnaryOpFunctorIdLi1ELi1ELi0EEEJNS0_3ErfIdEEEEEvT_T0_DpT1_,comdat
	.globl	_ZN2at6native12_GLOBAL__N_125multi_tensor_apply_kernelINS1_18TensorListMetadataILi1EEENS1_14UnaryOpFunctorIdLi1ELi1ELi0EEEJNS0_3ErfIdEEEEEvT_T0_DpT1_ ; -- Begin function _ZN2at6native12_GLOBAL__N_125multi_tensor_apply_kernelINS1_18TensorListMetadataILi1EEENS1_14UnaryOpFunctorIdLi1ELi1ELi0EEEJNS0_3ErfIdEEEEEvT_T0_DpT1_
	.p2align	8
	.type	_ZN2at6native12_GLOBAL__N_125multi_tensor_apply_kernelINS1_18TensorListMetadataILi1EEENS1_14UnaryOpFunctorIdLi1ELi1ELi0EEEJNS0_3ErfIdEEEEEvT_T0_DpT1_,@function
_ZN2at6native12_GLOBAL__N_125multi_tensor_apply_kernelINS1_18TensorListMetadataILi1EEENS1_14UnaryOpFunctorIdLi1ELi1ELi0EEEJNS0_3ErfIdEEEEEvT_T0_DpT1_: ; @_ZN2at6native12_GLOBAL__N_125multi_tensor_apply_kernelINS1_18TensorListMetadataILi1EEENS1_14UnaryOpFunctorIdLi1ELi1ELi0EEEJNS0_3ErfIdEEEEEvT_T0_DpT1_
; %bb.0:
	v_mov_b32_e32 v1, s6
	global_load_ubyte v1, v1, s[4:5] offset:1760
	s_add_u32 s0, s4, s6
	s_mul_hi_u32 s1, s6, 3
	s_mul_i32 s6, s6, 3
	s_addc_u32 s2, s5, 0
	s_add_u32 s0, s0, s6
	s_addc_u32 s1, s2, s1
	s_load_dword s0, s[0:1], 0x820
	s_mov_b32 s7, 0
	s_waitcnt vmcnt(0)
	v_readfirstlane_b32 s2, v1
	s_lshl_b32 s1, s2, 3
	s_load_dwordx2 s[2:3], s[4:5], s1 offset:0x370
	s_load_dwordx2 s[14:15], s[4:5], s1 offset:0x0
	s_waitcnt lgkmcnt(0)
	s_ashr_i32 s1, s0, 31
	s_lshl_b64 s[16:17], s[0:1], 19
	s_lshl_b64 s[0:1], s[0:1], 16
	s_and_b32 s6, s14, 31
	s_sub_u32 s12, s2, s0
	s_subb_u32 s13, s3, s1
	s_and_b32 s0, s2, 3
	s_mov_b32 s1, s7
	s_or_b64 s[0:1], s[6:7], s[0:1]
	s_cmp_eq_u64 s[0:1], 0
	s_cbranch_scc1 .LBB242_37
; %bb.1:
	v_cmp_lt_i64_e64 s[0:1], s[12:13], 1
	s_and_b64 vcc, exec, s[0:1]
	s_cbranch_vccnz .LBB242_36
; %bb.2:
	s_load_dword s0, s[4:5], 0xd3c
	v_mov_b32_e32 v2, 0x10000
	v_mov_b32_e32 v3, 0
	v_cmp_lt_u64_e32 vcc, s[12:13], v[2:3]
	v_lshlrev_b32_e32 v1, 3, v0
	s_waitcnt lgkmcnt(0)
	s_and_b32 s2, s0, 0xffff
	s_and_b64 s[0:1], vcc, exec
	s_cselect_b32 s19, s13, 0
	s_cselect_b32 s18, s12, 0x10000
	s_lshl_b32 s3, s2, 1
	s_lshl_b32 s84, s2, 2
	s_add_u32 s6, s14, s16
	s_addc_u32 s7, s15, s17
	v_mov_b32_e32 v3, s7
	v_add_co_u32_e32 v2, vcc, s6, v1
	s_mul_i32 s0, s2, 3
	v_addc_co_u32_e32 v3, vcc, 0, v3, vcc
	v_add_co_u32_e32 v1, vcc, s0, v0
	v_addc_co_u32_e64 v64, s[0:1], 0, 0, vcc
	v_add_co_u32_e32 v65, vcc, s3, v0
	v_addc_co_u32_e64 v66, s[0:1], 0, 0, vcc
	v_add_co_u32_e32 v67, vcc, s2, v0
	v_lshlrev_b32_e32 v4, 3, v67
	s_mov_b32 s33, 0
	v_addc_co_u32_e64 v68, s[0:1], 0, 0, vcc
	v_mov_b32_e32 v5, s7
	v_add_co_u32_e32 v4, vcc, s6, v4
	s_mov_b32 s22, 0xc14b24be
	s_mov_b32 s24, 0xd735f9ec
	;; [unrolled: 1-line block ×29, first 2 shown]
	s_lshl_b32 s85, s2, 5
	s_mul_i32 s86, s2, 24
	s_mov_b32 s87, s33
	s_lshl_b32 s88, s2, 4
	s_mov_b32 s89, s33
	v_addc_co_u32_e32 v5, vcc, 0, v5, vcc
	s_mov_b64 s[20:21], 0
	s_mov_b32 s23, 0x3c598d37
	s_mov_b32 s25, 0x3d162dee
	;; [unrolled: 1-line block ×28, first 2 shown]
	s_brev_b32 s90, -2
	v_mov_b32_e32 v6, 0x502a41cd
	v_mov_b32_e32 v7, 0xbcc145a3
	;; [unrolled: 1-line block ×44, first 2 shown]
	s_mov_b32 s81, 0xbe0ab15c
	s_branch .LBB242_4
.LBB242_3:                              ;   in Loop: Header=BB242_4 Depth=1
	s_or_b64 exec, exec, s[0:1]
	s_add_u32 s20, s20, s84
	s_addc_u32 s21, s21, 0
	v_pk_mov_b32 v[48:49], s[12:13], s[12:13] op_sel:[0,1]
	v_cmp_ge_i64_e32 vcc, s[20:21], v[48:49]
	v_mov_b32_e32 v48, 0xffff
	v_mov_b32_e32 v49, 0
	v_cmp_gt_u64_e64 s[0:1], s[20:21], v[48:49]
	s_or_b64 s[0:1], vcc, s[0:1]
	v_mov_b32_e32 v48, s33
	v_add_co_u32_e32 v2, vcc, s85, v2
	v_addc_co_u32_e32 v3, vcc, v3, v48, vcc
	v_add_co_u32_e32 v4, vcc, s85, v4
	v_addc_co_u32_e32 v5, vcc, v5, v48, vcc
	s_and_b64 vcc, exec, s[0:1]
	s_cbranch_vccnz .LBB242_36
.LBB242_4:                              ; =>This Inner Loop Header: Depth=1
	v_mov_b32_e32 v49, s21
	v_add_co_u32_e32 v48, vcc, s20, v0
	v_addc_co_u32_e32 v49, vcc, 0, v49, vcc
	v_cmp_gt_u64_e32 vcc, s[18:19], v[48:49]
	v_pk_mov_b32 v[48:49], 0, 0
	v_pk_mov_b32 v[50:51], v[48:49], v[48:49] op_sel:[0,1]
	s_and_saveexec_b64 s[0:1], vcc
	s_cbranch_execz .LBB242_6
; %bb.5:                                ;   in Loop: Header=BB242_4 Depth=1
	global_load_dwordx2 v[50:51], v[2:3], off
.LBB242_6:                              ;   in Loop: Header=BB242_4 Depth=1
	s_or_b64 exec, exec, s[0:1]
	v_mov_b32_e32 v53, s21
	v_add_co_u32_e64 v52, s[0:1], s20, v67
	v_addc_co_u32_e64 v53, s[0:1], v68, v53, s[0:1]
	v_cmp_gt_u64_e64 s[0:1], s[18:19], v[52:53]
	s_and_saveexec_b64 s[2:3], s[0:1]
	s_cbranch_execz .LBB242_8
; %bb.7:                                ;   in Loop: Header=BB242_4 Depth=1
	global_load_dwordx2 v[48:49], v[4:5], off
.LBB242_8:                              ;   in Loop: Header=BB242_4 Depth=1
	s_or_b64 exec, exec, s[2:3]
	v_mov_b32_e32 v53, s21
	v_add_co_u32_e64 v52, s[2:3], s20, v65
	v_addc_co_u32_e64 v53, s[2:3], v66, v53, s[2:3]
	v_cmp_gt_u64_e64 s[2:3], s[18:19], v[52:53]
	v_pk_mov_b32 v[52:53], 0, 0
	v_pk_mov_b32 v[54:55], v[52:53], v[52:53] op_sel:[0,1]
	s_and_saveexec_b64 s[8:9], s[2:3]
	s_cbranch_execz .LBB242_10
; %bb.9:                                ;   in Loop: Header=BB242_4 Depth=1
	v_mov_b32_e32 v55, s89
	v_add_co_u32_e64 v54, s[6:7], s88, v2
	v_addc_co_u32_e64 v55, s[6:7], v3, v55, s[6:7]
	global_load_dwordx2 v[54:55], v[54:55], off
.LBB242_10:                             ;   in Loop: Header=BB242_4 Depth=1
	s_or_b64 exec, exec, s[8:9]
	v_mov_b32_e32 v57, s21
	v_add_co_u32_e64 v56, s[6:7], s20, v1
	v_addc_co_u32_e64 v57, s[6:7], v64, v57, s[6:7]
	v_cmp_gt_u64_e64 s[6:7], s[18:19], v[56:57]
	s_and_saveexec_b64 s[10:11], s[6:7]
	s_cbranch_execz .LBB242_12
; %bb.11:                               ;   in Loop: Header=BB242_4 Depth=1
	v_mov_b32_e32 v53, s87
	v_add_co_u32_e64 v52, s[8:9], s86, v2
	v_addc_co_u32_e64 v53, s[8:9], v3, v53, s[8:9]
	global_load_dwordx2 v[52:53], v[52:53], off
.LBB242_12:                             ;   in Loop: Header=BB242_4 Depth=1
	s_or_b64 exec, exec, s[10:11]
	s_waitcnt vmcnt(0)
	v_cmp_nlt_f64_e64 s[8:9], |v[50:51]|, 1.0
                                        ; implicit-def: $vgpr56_vgpr57
	s_and_saveexec_b64 s[10:11], s[8:9]
	s_xor_b64 s[82:83], exec, s[10:11]
	s_cbranch_execz .LBB242_14
; %bb.13:                               ;   in Loop: Header=BB242_4 Depth=1
	v_fma_f64 v[56:57], |v[50:51]|, s[22:23], v[6:7]
	v_fma_f64 v[56:57], |v[50:51]|, v[56:57], s[24:25]
	;; [unrolled: 1-line block ×22, first 2 shown]
	v_fma_f64 v[56:57], |v[50:51]|, v[56:57], |v[50:51]|
	v_mul_f64 v[58:59], v[56:57], s[68:69]
	v_rndne_f64_e32 v[58:59], v[58:59]
	v_fma_f64 v[60:61], v[58:59], s[70:71], -v[56:57]
	v_fmac_f64_e32 v[60:61], s[72:73], v[58:59]
	v_pk_mov_b32 v[62:63], v[8:9], v[8:9] op_sel:[0,1]
	v_fmac_f64_e32 v[62:63], s[74:75], v[60:61]
	v_pk_mov_b32 v[72:73], v[10:11], v[10:11] op_sel:[0,1]
	;; [unrolled: 2-line block ×9, first 2 shown]
	v_fmac_f64_e32 v[62:63], v[60:61], v[72:73]
	v_fma_f64 v[62:63], v[60:61], v[62:63], 1.0
	v_fma_f64 v[60:61], v[60:61], v[62:63], 1.0
	v_cvt_i32_f64_e32 v58, v[58:59]
	v_ldexp_f64 v[58:59], v[60:61], v58
	v_add_f64 v[58:59], -v[58:59], 1.0
	v_cmp_ngt_f64_e64 s[8:9], s[76:77], v[56:57]
	v_cmp_nlt_f64_e64 s[10:11], s[78:79], v[56:57]
	v_cndmask_b32_e64 v59, v69, v59, s[8:9]
	s_and_b64 s[8:9], s[10:11], s[8:9]
	v_cndmask_b32_e64 v57, v70, v59, s[10:11]
	v_cndmask_b32_e64 v56, 0, v58, s[8:9]
.LBB242_14:                             ;   in Loop: Header=BB242_4 Depth=1
	s_andn2_saveexec_b64 s[8:9], s[82:83]
	s_cbranch_execz .LBB242_16
; %bb.15:                               ;   in Loop: Header=BB242_4 Depth=1
	v_mul_f64 v[56:57], v[50:51], v[50:51]
	v_pk_mov_b32 v[58:59], v[26:27], v[26:27] op_sel:[0,1]
	v_fmac_f64_e32 v[58:59], s[80:81], v[56:57]
	v_pk_mov_b32 v[60:61], v[28:29], v[28:29] op_sel:[0,1]
	v_fmac_f64_e32 v[60:61], v[56:57], v[58:59]
	;; [unrolled: 2-line block ×11, first 2 shown]
	v_fma_f64 v[56:57], |v[50:51]|, v[58:59], |v[50:51]|
.LBB242_16:                             ;   in Loop: Header=BB242_4 Depth=1
	s_or_b64 exec, exec, s[8:9]
	v_cmp_nlt_f64_e64 s[8:9], |v[48:49]|, 1.0
                                        ; implicit-def: $vgpr58_vgpr59
	s_and_saveexec_b64 s[10:11], s[8:9]
	s_xor_b64 s[82:83], exec, s[10:11]
	s_cbranch_execz .LBB242_18
; %bb.17:                               ;   in Loop: Header=BB242_4 Depth=1
	v_fma_f64 v[58:59], |v[48:49]|, s[22:23], v[6:7]
	v_fma_f64 v[58:59], |v[48:49]|, v[58:59], s[24:25]
	v_fma_f64 v[58:59], |v[48:49]|, v[58:59], s[26:27]
	v_fma_f64 v[58:59], |v[48:49]|, v[58:59], s[28:29]
	v_fma_f64 v[58:59], |v[48:49]|, v[58:59], s[30:31]
	v_fma_f64 v[58:59], |v[48:49]|, v[58:59], s[34:35]
	v_fma_f64 v[58:59], |v[48:49]|, v[58:59], s[36:37]
	v_fma_f64 v[58:59], |v[48:49]|, v[58:59], s[38:39]
	v_fma_f64 v[58:59], |v[48:49]|, v[58:59], s[40:41]
	v_fma_f64 v[58:59], |v[48:49]|, v[58:59], s[42:43]
	v_fma_f64 v[58:59], |v[48:49]|, v[58:59], s[44:45]
	v_fma_f64 v[58:59], |v[48:49]|, v[58:59], s[46:47]
	v_fma_f64 v[58:59], |v[48:49]|, v[58:59], s[48:49]
	v_fma_f64 v[58:59], |v[48:49]|, v[58:59], s[50:51]
	v_fma_f64 v[58:59], |v[48:49]|, v[58:59], s[52:53]
	v_fma_f64 v[58:59], |v[48:49]|, v[58:59], s[54:55]
	v_fma_f64 v[58:59], |v[48:49]|, v[58:59], s[56:57]
	v_fma_f64 v[58:59], |v[48:49]|, v[58:59], s[58:59]
	v_fma_f64 v[58:59], |v[48:49]|, v[58:59], s[60:61]
	v_fma_f64 v[58:59], |v[48:49]|, v[58:59], s[62:63]
	v_fma_f64 v[58:59], |v[48:49]|, v[58:59], s[64:65]
	v_fma_f64 v[58:59], |v[48:49]|, v[58:59], s[66:67]
	v_fma_f64 v[58:59], |v[48:49]|, v[58:59], |v[48:49]|
	v_mul_f64 v[60:61], v[58:59], s[68:69]
	v_rndne_f64_e32 v[60:61], v[60:61]
	v_fma_f64 v[62:63], v[60:61], s[70:71], -v[58:59]
	v_fmac_f64_e32 v[62:63], s[72:73], v[60:61]
	v_pk_mov_b32 v[72:73], v[8:9], v[8:9] op_sel:[0,1]
	v_fmac_f64_e32 v[72:73], s[74:75], v[62:63]
	v_pk_mov_b32 v[74:75], v[10:11], v[10:11] op_sel:[0,1]
	;; [unrolled: 2-line block ×9, first 2 shown]
	v_fmac_f64_e32 v[72:73], v[62:63], v[74:75]
	v_fma_f64 v[72:73], v[62:63], v[72:73], 1.0
	v_fma_f64 v[62:63], v[62:63], v[72:73], 1.0
	v_cvt_i32_f64_e32 v50, v[60:61]
	v_ldexp_f64 v[60:61], v[62:63], v50
	v_add_f64 v[60:61], -v[60:61], 1.0
	v_cmp_ngt_f64_e64 s[8:9], s[76:77], v[58:59]
	v_cmp_nlt_f64_e64 s[10:11], s[78:79], v[58:59]
	v_cndmask_b32_e64 v50, v69, v61, s[8:9]
	s_and_b64 s[8:9], s[10:11], s[8:9]
	v_cndmask_b32_e64 v59, v70, v50, s[10:11]
	v_cndmask_b32_e64 v58, 0, v60, s[8:9]
.LBB242_18:                             ;   in Loop: Header=BB242_4 Depth=1
	s_andn2_saveexec_b64 s[8:9], s[82:83]
	s_cbranch_execz .LBB242_20
; %bb.19:                               ;   in Loop: Header=BB242_4 Depth=1
	v_mul_f64 v[58:59], v[48:49], v[48:49]
	v_pk_mov_b32 v[60:61], v[26:27], v[26:27] op_sel:[0,1]
	v_fmac_f64_e32 v[60:61], s[80:81], v[58:59]
	v_pk_mov_b32 v[62:63], v[28:29], v[28:29] op_sel:[0,1]
	v_fmac_f64_e32 v[62:63], v[58:59], v[60:61]
	;; [unrolled: 2-line block ×11, first 2 shown]
	v_fma_f64 v[58:59], |v[48:49]|, v[60:61], |v[48:49]|
.LBB242_20:                             ;   in Loop: Header=BB242_4 Depth=1
	s_or_b64 exec, exec, s[8:9]
	v_cmp_nlt_f64_e64 s[8:9], |v[54:55]|, 1.0
                                        ; implicit-def: $vgpr60_vgpr61
	s_and_saveexec_b64 s[10:11], s[8:9]
	s_xor_b64 s[82:83], exec, s[10:11]
	s_cbranch_execz .LBB242_22
; %bb.21:                               ;   in Loop: Header=BB242_4 Depth=1
	v_fma_f64 v[60:61], |v[54:55]|, s[22:23], v[6:7]
	v_fma_f64 v[60:61], |v[54:55]|, v[60:61], s[24:25]
	;; [unrolled: 1-line block ×22, first 2 shown]
	v_fma_f64 v[60:61], |v[54:55]|, v[60:61], |v[54:55]|
	v_mul_f64 v[62:63], v[60:61], s[68:69]
	v_rndne_f64_e32 v[62:63], v[62:63]
	v_fma_f64 v[72:73], v[62:63], s[70:71], -v[60:61]
	v_fmac_f64_e32 v[72:73], s[72:73], v[62:63]
	v_pk_mov_b32 v[74:75], v[8:9], v[8:9] op_sel:[0,1]
	v_fmac_f64_e32 v[74:75], s[74:75], v[72:73]
	v_pk_mov_b32 v[76:77], v[10:11], v[10:11] op_sel:[0,1]
	;; [unrolled: 2-line block ×9, first 2 shown]
	v_fmac_f64_e32 v[74:75], v[72:73], v[76:77]
	v_fma_f64 v[74:75], v[72:73], v[74:75], 1.0
	v_fma_f64 v[72:73], v[72:73], v[74:75], 1.0
	v_cvt_i32_f64_e32 v48, v[62:63]
	v_ldexp_f64 v[62:63], v[72:73], v48
	v_add_f64 v[62:63], -v[62:63], 1.0
	v_cmp_ngt_f64_e64 s[8:9], s[76:77], v[60:61]
	v_cmp_nlt_f64_e64 s[10:11], s[78:79], v[60:61]
	v_cndmask_b32_e64 v48, v69, v63, s[8:9]
	s_and_b64 s[8:9], s[10:11], s[8:9]
	v_cndmask_b32_e64 v61, v70, v48, s[10:11]
	v_cndmask_b32_e64 v60, 0, v62, s[8:9]
.LBB242_22:                             ;   in Loop: Header=BB242_4 Depth=1
	s_andn2_saveexec_b64 s[8:9], s[82:83]
	s_cbranch_execz .LBB242_24
; %bb.23:                               ;   in Loop: Header=BB242_4 Depth=1
	v_mul_f64 v[60:61], v[54:55], v[54:55]
	v_pk_mov_b32 v[62:63], v[26:27], v[26:27] op_sel:[0,1]
	v_fmac_f64_e32 v[62:63], s[80:81], v[60:61]
	v_pk_mov_b32 v[72:73], v[28:29], v[28:29] op_sel:[0,1]
	v_fmac_f64_e32 v[72:73], v[60:61], v[62:63]
	;; [unrolled: 2-line block ×11, first 2 shown]
	v_fma_f64 v[60:61], |v[54:55]|, v[62:63], |v[54:55]|
.LBB242_24:                             ;   in Loop: Header=BB242_4 Depth=1
	s_or_b64 exec, exec, s[8:9]
	v_cmp_nlt_f64_e64 s[8:9], |v[52:53]|, 1.0
                                        ; implicit-def: $vgpr62_vgpr63
	s_and_saveexec_b64 s[10:11], s[8:9]
	s_xor_b64 s[82:83], exec, s[10:11]
	s_cbranch_execnz .LBB242_30
; %bb.25:                               ;   in Loop: Header=BB242_4 Depth=1
	s_andn2_saveexec_b64 s[8:9], s[82:83]
	s_cbranch_execnz .LBB242_31
.LBB242_26:                             ;   in Loop: Header=BB242_4 Depth=1
	s_or_b64 exec, exec, s[8:9]
	s_and_saveexec_b64 s[8:9], vcc
	s_xor_b64 s[8:9], exec, s[8:9]
	s_cbranch_execnz .LBB242_32
.LBB242_27:                             ;   in Loop: Header=BB242_4 Depth=1
	s_or_b64 exec, exec, s[8:9]
	s_and_saveexec_b64 s[8:9], s[0:1]
	s_cbranch_execnz .LBB242_33
.LBB242_28:                             ;   in Loop: Header=BB242_4 Depth=1
	s_or_b64 exec, exec, s[8:9]
	s_and_saveexec_b64 s[0:1], s[2:3]
	s_cbranch_execnz .LBB242_34
.LBB242_29:                             ;   in Loop: Header=BB242_4 Depth=1
	s_or_b64 exec, exec, s[0:1]
	s_and_saveexec_b64 s[0:1], s[6:7]
	s_cbranch_execz .LBB242_3
	s_branch .LBB242_35
.LBB242_30:                             ;   in Loop: Header=BB242_4 Depth=1
	v_fma_f64 v[62:63], |v[52:53]|, s[22:23], v[6:7]
	v_fma_f64 v[62:63], |v[52:53]|, v[62:63], s[24:25]
	;; [unrolled: 1-line block ×22, first 2 shown]
	v_fma_f64 v[62:63], |v[52:53]|, v[62:63], |v[52:53]|
	v_mul_f64 v[72:73], v[62:63], s[68:69]
	v_rndne_f64_e32 v[72:73], v[72:73]
	v_fma_f64 v[74:75], v[72:73], s[70:71], -v[62:63]
	v_fmac_f64_e32 v[74:75], s[72:73], v[72:73]
	v_pk_mov_b32 v[76:77], v[8:9], v[8:9] op_sel:[0,1]
	v_fmac_f64_e32 v[76:77], s[74:75], v[74:75]
	v_pk_mov_b32 v[78:79], v[10:11], v[10:11] op_sel:[0,1]
	;; [unrolled: 2-line block ×9, first 2 shown]
	v_fmac_f64_e32 v[76:77], v[74:75], v[78:79]
	v_fma_f64 v[76:77], v[74:75], v[76:77], 1.0
	v_fma_f64 v[74:75], v[74:75], v[76:77], 1.0
	v_cvt_i32_f64_e32 v48, v[72:73]
	v_ldexp_f64 v[72:73], v[74:75], v48
	v_add_f64 v[72:73], -v[72:73], 1.0
	v_cmp_ngt_f64_e64 s[8:9], s[76:77], v[62:63]
	v_cmp_nlt_f64_e64 s[10:11], s[78:79], v[62:63]
	v_cndmask_b32_e64 v48, v69, v73, s[8:9]
	s_and_b64 s[8:9], s[10:11], s[8:9]
	v_cndmask_b32_e64 v63, v70, v48, s[10:11]
	v_cndmask_b32_e64 v62, 0, v72, s[8:9]
	s_andn2_saveexec_b64 s[8:9], s[82:83]
	s_cbranch_execz .LBB242_26
.LBB242_31:                             ;   in Loop: Header=BB242_4 Depth=1
	v_mul_f64 v[62:63], v[52:53], v[52:53]
	v_pk_mov_b32 v[72:73], v[26:27], v[26:27] op_sel:[0,1]
	v_fmac_f64_e32 v[72:73], s[80:81], v[62:63]
	v_pk_mov_b32 v[74:75], v[28:29], v[28:29] op_sel:[0,1]
	v_fmac_f64_e32 v[74:75], v[62:63], v[72:73]
	;; [unrolled: 2-line block ×11, first 2 shown]
	v_fma_f64 v[62:63], |v[52:53]|, v[72:73], |v[52:53]|
	s_or_b64 exec, exec, s[8:9]
	s_and_saveexec_b64 s[8:9], vcc
	s_xor_b64 s[8:9], exec, s[8:9]
	s_cbranch_execz .LBB242_27
.LBB242_32:                             ;   in Loop: Header=BB242_4 Depth=1
	v_bfi_b32 v57, s90, v57, v51
	global_store_dwordx2 v[2:3], v[56:57], off
	s_or_b64 exec, exec, s[8:9]
	s_and_saveexec_b64 s[8:9], s[0:1]
	s_cbranch_execz .LBB242_28
.LBB242_33:                             ;   in Loop: Header=BB242_4 Depth=1
	v_bfi_b32 v59, s90, v59, v49
	global_store_dwordx2 v[4:5], v[58:59], off
	s_or_b64 exec, exec, s[8:9]
	s_and_saveexec_b64 s[0:1], s[2:3]
	s_cbranch_execz .LBB242_29
.LBB242_34:                             ;   in Loop: Header=BB242_4 Depth=1
	v_mov_b32_e32 v49, s89
	v_add_co_u32_e32 v48, vcc, s88, v2
	v_bfi_b32 v61, s90, v61, v55
	v_addc_co_u32_e32 v49, vcc, v3, v49, vcc
	global_store_dwordx2 v[48:49], v[60:61], off
	s_or_b64 exec, exec, s[0:1]
	s_and_saveexec_b64 s[0:1], s[6:7]
	s_cbranch_execz .LBB242_3
.LBB242_35:                             ;   in Loop: Header=BB242_4 Depth=1
	v_mov_b32_e32 v49, s87
	v_add_co_u32_e32 v48, vcc, s86, v2
	v_bfi_b32 v63, s90, v63, v53
	v_addc_co_u32_e32 v49, vcc, v3, v49, vcc
	global_store_dwordx2 v[48:49], v[62:63], off
	s_branch .LBB242_3
.LBB242_36:
	s_cbranch_execz .LBB242_38
	s_branch .LBB242_57
.LBB242_37:
.LBB242_38:
	v_mov_b32_e32 v17, 0
	v_lshlrev_b32_e32 v16, 2, v0
	s_mov_b32 s33, 0
	v_cmp_gt_i64_e32 vcc, s[12:13], v[16:17]
	s_and_saveexec_b64 s[0:1], vcc
	s_cbranch_execz .LBB242_57
; %bb.39:
	s_load_dword s0, s[4:5], 0xd3c
	v_lshlrev_b32_e32 v1, 5, v0
	s_mov_b32 s4, 0xc14b24be
	s_mov_b32 s6, 0xd735f9ec
	;; [unrolled: 1-line block ×3, first 2 shown]
	s_waitcnt lgkmcnt(0)
	s_and_b32 s0, s0, 0xffff
	s_lshl_b32 s70, s0, 2
	s_add_u32 s1, s14, s16
	s_addc_u32 s2, s15, s17
	v_add_lshl_u32 v16, v0, s0, 2
	v_mov_b32_e32 v0, s2
	v_add_co_u32_e32 v1, vcc, s1, v1
	v_addc_co_u32_e32 v0, vcc, 0, v0, vcc
	v_add_co_u32_e32 v18, vcc, 16, v1
	s_mov_b32 s10, 0x7074b644
	s_mov_b32 s14, 0xa78ce240
	;; [unrolled: 1-line block ×26, first 2 shown]
	v_addc_co_u32_e32 v19, vcc, 0, v0, vcc
	s_lshl_b32 s71, s0, 5
	s_mov_b32 s72, s33
	s_mov_b64 s[2:3], 0
	s_mov_b32 s5, 0x3c598d37
	s_mov_b32 s7, 0x3d162dee
	;; [unrolled: 1-line block ×29, first 2 shown]
	s_brev_b32 s73, -2
	s_mov_b64 s[66:67], 0xffff
	v_mov_b32_e32 v20, 0x502a41cd
	v_mov_b32_e32 v21, 0xbcc145a3
	;; [unrolled: 1-line block ×44, first 2 shown]
	s_branch .LBB242_41
.LBB242_40:                             ;   in Loop: Header=BB242_41 Depth=1
	s_or_b64 exec, exec, s[0:1]
	v_cmp_le_i64_e32 vcc, s[12:13], v[16:17]
	v_cmp_lt_u64_e64 s[0:1], s[66:67], v[16:17]
	s_or_b64 s[0:1], vcc, s[0:1]
	v_mov_b32_e32 v0, s33
	v_add_co_u32_e32 v16, vcc, s70, v16
	v_bfi_b32 v11, s73, v11, v7
	v_bfi_b32 v9, s73, v9, v5
	v_addc_co_u32_e32 v17, vcc, v17, v0, vcc
	v_bfi_b32 v13, s73, v13, v1
	v_bfi_b32 v15, s73, v15, v3
	global_store_dwordx4 v[18:19], v[8:11], off offset:-16
	global_store_dwordx4 v[18:19], v[12:15], off
	v_mov_b32_e32 v0, s72
	s_and_b64 s[0:1], exec, s[0:1]
	v_add_co_u32_e32 v18, vcc, s71, v18
	s_or_b64 s[2:3], s[0:1], s[2:3]
	v_addc_co_u32_e32 v19, vcc, v19, v0, vcc
	s_andn2_b64 exec, exec, s[2:3]
	s_cbranch_execz .LBB242_57
.LBB242_41:                             ; =>This Inner Loop Header: Depth=1
	global_load_dwordx4 v[4:7], v[18:19], off offset:-16
	global_load_dwordx4 v[0:3], v[18:19], off
                                        ; implicit-def: $vgpr8_vgpr9
	s_waitcnt vmcnt(1)
	v_cmp_nlt_f64_e64 s[0:1], |v[4:5]|, 1.0
	s_and_saveexec_b64 s[68:69], s[0:1]
	s_xor_b64 s[68:69], exec, s[68:69]
	s_cbranch_execz .LBB242_43
; %bb.42:                               ;   in Loop: Header=BB242_41 Depth=1
	v_fma_f64 v[8:9], |v[4:5]|, s[4:5], v[20:21]
	v_fma_f64 v[8:9], |v[4:5]|, v[8:9], s[6:7]
	v_fma_f64 v[8:9], |v[4:5]|, v[8:9], s[8:9]
	v_fma_f64 v[8:9], |v[4:5]|, v[8:9], s[10:11]
	v_fma_f64 v[8:9], |v[4:5]|, v[8:9], s[14:15]
	v_fma_f64 v[8:9], |v[4:5]|, v[8:9], s[16:17]
	v_fma_f64 v[8:9], |v[4:5]|, v[8:9], s[18:19]
	v_fma_f64 v[8:9], |v[4:5]|, v[8:9], s[20:21]
	v_fma_f64 v[8:9], |v[4:5]|, v[8:9], s[22:23]
	v_fma_f64 v[8:9], |v[4:5]|, v[8:9], s[24:25]
	v_fma_f64 v[8:9], |v[4:5]|, v[8:9], s[26:27]
	v_fma_f64 v[8:9], |v[4:5]|, v[8:9], s[28:29]
	v_fma_f64 v[8:9], |v[4:5]|, v[8:9], s[30:31]
	v_fma_f64 v[8:9], |v[4:5]|, v[8:9], s[34:35]
	v_fma_f64 v[8:9], |v[4:5]|, v[8:9], s[36:37]
	v_fma_f64 v[8:9], |v[4:5]|, v[8:9], s[38:39]
	v_fma_f64 v[8:9], |v[4:5]|, v[8:9], s[40:41]
	v_fma_f64 v[8:9], |v[4:5]|, v[8:9], s[42:43]
	v_fma_f64 v[8:9], |v[4:5]|, v[8:9], s[44:45]
	v_fma_f64 v[8:9], |v[4:5]|, v[8:9], s[46:47]
	v_fma_f64 v[8:9], |v[4:5]|, v[8:9], s[48:49]
	v_fma_f64 v[8:9], |v[4:5]|, v[8:9], s[50:51]
	v_fma_f64 v[8:9], |v[4:5]|, v[8:9], |v[4:5]|
	v_mul_f64 v[10:11], v[8:9], s[52:53]
	v_rndne_f64_e32 v[10:11], v[10:11]
	v_fma_f64 v[12:13], v[10:11], s[54:55], -v[8:9]
	v_fmac_f64_e32 v[12:13], s[56:57], v[10:11]
	v_pk_mov_b32 v[14:15], v[22:23], v[22:23] op_sel:[0,1]
	v_fmac_f64_e32 v[14:15], s[58:59], v[12:13]
	v_pk_mov_b32 v[64:65], v[24:25], v[24:25] op_sel:[0,1]
	v_fmac_f64_e32 v[64:65], v[12:13], v[14:15]
	v_pk_mov_b32 v[14:15], v[26:27], v[26:27] op_sel:[0,1]
	v_fmac_f64_e32 v[14:15], v[12:13], v[64:65]
	v_pk_mov_b32 v[64:65], v[28:29], v[28:29] op_sel:[0,1]
	v_fmac_f64_e32 v[64:65], v[12:13], v[14:15]
	v_pk_mov_b32 v[14:15], v[30:31], v[30:31] op_sel:[0,1]
	v_fmac_f64_e32 v[14:15], v[12:13], v[64:65]
	v_pk_mov_b32 v[64:65], v[32:33], v[32:33] op_sel:[0,1]
	v_fmac_f64_e32 v[64:65], v[12:13], v[14:15]
	v_pk_mov_b32 v[14:15], v[34:35], v[34:35] op_sel:[0,1]
	v_fmac_f64_e32 v[14:15], v[12:13], v[64:65]
	v_pk_mov_b32 v[64:65], v[36:37], v[36:37] op_sel:[0,1]
	v_fmac_f64_e32 v[64:65], v[12:13], v[14:15]
	v_pk_mov_b32 v[14:15], v[38:39], v[38:39] op_sel:[0,1]
	v_fmac_f64_e32 v[14:15], v[12:13], v[64:65]
	v_fma_f64 v[14:15], v[12:13], v[14:15], 1.0
	v_fma_f64 v[12:13], v[12:13], v[14:15], 1.0
	v_cvt_i32_f64_e32 v10, v[10:11]
	v_ldexp_f64 v[10:11], v[12:13], v10
	v_add_f64 v[10:11], -v[10:11], 1.0
	v_cmp_ngt_f64_e32 vcc, s[60:61], v[8:9]
	v_cmp_nlt_f64_e64 s[0:1], s[62:63], v[8:9]
	v_cndmask_b32_e32 v11, v62, v11, vcc
	s_and_b64 vcc, s[0:1], vcc
	v_cndmask_b32_e64 v9, v63, v11, s[0:1]
	v_cndmask_b32_e32 v8, 0, v10, vcc
.LBB242_43:                             ;   in Loop: Header=BB242_41 Depth=1
	s_andn2_saveexec_b64 s[0:1], s[68:69]
	s_cbranch_execz .LBB242_45
; %bb.44:                               ;   in Loop: Header=BB242_41 Depth=1
	v_mul_f64 v[8:9], v[4:5], v[4:5]
	v_pk_mov_b32 v[10:11], v[40:41], v[40:41] op_sel:[0,1]
	v_fmac_f64_e32 v[10:11], s[64:65], v[8:9]
	v_pk_mov_b32 v[12:13], v[42:43], v[42:43] op_sel:[0,1]
	v_fmac_f64_e32 v[12:13], v[8:9], v[10:11]
	;; [unrolled: 2-line block ×11, first 2 shown]
	v_fma_f64 v[8:9], |v[4:5]|, v[10:11], |v[4:5]|
.LBB242_45:                             ;   in Loop: Header=BB242_41 Depth=1
	s_or_b64 exec, exec, s[0:1]
	v_cmp_nlt_f64_e64 s[0:1], |v[6:7]|, 1.0
	s_and_saveexec_b64 s[68:69], s[0:1]
	s_xor_b64 s[68:69], exec, s[68:69]
	s_cbranch_execz .LBB242_47
; %bb.46:                               ;   in Loop: Header=BB242_41 Depth=1
	v_fma_f64 v[10:11], |v[6:7]|, s[4:5], v[20:21]
	v_fma_f64 v[10:11], |v[6:7]|, v[10:11], s[6:7]
	;; [unrolled: 1-line block ×22, first 2 shown]
	v_fma_f64 v[10:11], |v[6:7]|, v[10:11], |v[6:7]|
	v_mul_f64 v[12:13], v[10:11], s[52:53]
	v_rndne_f64_e32 v[12:13], v[12:13]
	v_fma_f64 v[14:15], v[12:13], s[54:55], -v[10:11]
	v_fmac_f64_e32 v[14:15], s[56:57], v[12:13]
	v_pk_mov_b32 v[64:65], v[22:23], v[22:23] op_sel:[0,1]
	v_fmac_f64_e32 v[64:65], s[58:59], v[14:15]
	v_pk_mov_b32 v[66:67], v[24:25], v[24:25] op_sel:[0,1]
	;; [unrolled: 2-line block ×9, first 2 shown]
	v_fmac_f64_e32 v[64:65], v[14:15], v[66:67]
	v_fma_f64 v[64:65], v[14:15], v[64:65], 1.0
	v_fma_f64 v[14:15], v[14:15], v[64:65], 1.0
	v_cvt_i32_f64_e32 v4, v[12:13]
	v_ldexp_f64 v[12:13], v[14:15], v4
	v_add_f64 v[12:13], -v[12:13], 1.0
	v_cmp_ngt_f64_e32 vcc, s[60:61], v[10:11]
	v_cmp_nlt_f64_e64 s[0:1], s[62:63], v[10:11]
	v_cndmask_b32_e32 v4, v62, v13, vcc
	s_and_b64 vcc, s[0:1], vcc
	v_cndmask_b32_e64 v11, v63, v4, s[0:1]
	v_cndmask_b32_e32 v10, 0, v12, vcc
.LBB242_47:                             ;   in Loop: Header=BB242_41 Depth=1
	s_andn2_saveexec_b64 s[0:1], s[68:69]
	s_cbranch_execz .LBB242_49
; %bb.48:                               ;   in Loop: Header=BB242_41 Depth=1
	v_mul_f64 v[10:11], v[6:7], v[6:7]
	v_pk_mov_b32 v[12:13], v[40:41], v[40:41] op_sel:[0,1]
	v_fmac_f64_e32 v[12:13], s[64:65], v[10:11]
	v_pk_mov_b32 v[14:15], v[42:43], v[42:43] op_sel:[0,1]
	v_fmac_f64_e32 v[14:15], v[10:11], v[12:13]
	;; [unrolled: 2-line block ×11, first 2 shown]
	v_fma_f64 v[10:11], |v[6:7]|, v[12:13], |v[6:7]|
.LBB242_49:                             ;   in Loop: Header=BB242_41 Depth=1
	s_or_b64 exec, exec, s[0:1]
	s_waitcnt vmcnt(0)
	v_cmp_nlt_f64_e64 s[0:1], |v[0:1]|, 1.0
                                        ; implicit-def: $vgpr12_vgpr13
	s_and_saveexec_b64 s[68:69], s[0:1]
	s_xor_b64 s[68:69], exec, s[68:69]
	s_cbranch_execz .LBB242_51
; %bb.50:                               ;   in Loop: Header=BB242_41 Depth=1
	v_fma_f64 v[12:13], |v[0:1]|, s[4:5], v[20:21]
	v_fma_f64 v[12:13], |v[0:1]|, v[12:13], s[6:7]
	v_fma_f64 v[12:13], |v[0:1]|, v[12:13], s[8:9]
	v_fma_f64 v[12:13], |v[0:1]|, v[12:13], s[10:11]
	v_fma_f64 v[12:13], |v[0:1]|, v[12:13], s[14:15]
	v_fma_f64 v[12:13], |v[0:1]|, v[12:13], s[16:17]
	v_fma_f64 v[12:13], |v[0:1]|, v[12:13], s[18:19]
	v_fma_f64 v[12:13], |v[0:1]|, v[12:13], s[20:21]
	v_fma_f64 v[12:13], |v[0:1]|, v[12:13], s[22:23]
	v_fma_f64 v[12:13], |v[0:1]|, v[12:13], s[24:25]
	v_fma_f64 v[12:13], |v[0:1]|, v[12:13], s[26:27]
	v_fma_f64 v[12:13], |v[0:1]|, v[12:13], s[28:29]
	v_fma_f64 v[12:13], |v[0:1]|, v[12:13], s[30:31]
	v_fma_f64 v[12:13], |v[0:1]|, v[12:13], s[34:35]
	v_fma_f64 v[12:13], |v[0:1]|, v[12:13], s[36:37]
	v_fma_f64 v[12:13], |v[0:1]|, v[12:13], s[38:39]
	v_fma_f64 v[12:13], |v[0:1]|, v[12:13], s[40:41]
	v_fma_f64 v[12:13], |v[0:1]|, v[12:13], s[42:43]
	v_fma_f64 v[12:13], |v[0:1]|, v[12:13], s[44:45]
	v_fma_f64 v[12:13], |v[0:1]|, v[12:13], s[46:47]
	v_fma_f64 v[12:13], |v[0:1]|, v[12:13], s[48:49]
	v_fma_f64 v[12:13], |v[0:1]|, v[12:13], s[50:51]
	v_fma_f64 v[12:13], |v[0:1]|, v[12:13], |v[0:1]|
	v_mul_f64 v[14:15], v[12:13], s[52:53]
	v_rndne_f64_e32 v[14:15], v[14:15]
	v_fma_f64 v[64:65], v[14:15], s[54:55], -v[12:13]
	v_fmac_f64_e32 v[64:65], s[56:57], v[14:15]
	v_pk_mov_b32 v[66:67], v[22:23], v[22:23] op_sel:[0,1]
	v_fmac_f64_e32 v[66:67], s[58:59], v[64:65]
	v_pk_mov_b32 v[68:69], v[24:25], v[24:25] op_sel:[0,1]
	;; [unrolled: 2-line block ×9, first 2 shown]
	v_fmac_f64_e32 v[66:67], v[64:65], v[68:69]
	v_fma_f64 v[66:67], v[64:65], v[66:67], 1.0
	v_fma_f64 v[64:65], v[64:65], v[66:67], 1.0
	v_cvt_i32_f64_e32 v4, v[14:15]
	v_ldexp_f64 v[14:15], v[64:65], v4
	v_add_f64 v[14:15], -v[14:15], 1.0
	v_cmp_ngt_f64_e32 vcc, s[60:61], v[12:13]
	v_cmp_nlt_f64_e64 s[0:1], s[62:63], v[12:13]
	v_cndmask_b32_e32 v4, v62, v15, vcc
	s_and_b64 vcc, s[0:1], vcc
	v_cndmask_b32_e64 v13, v63, v4, s[0:1]
	v_cndmask_b32_e32 v12, 0, v14, vcc
.LBB242_51:                             ;   in Loop: Header=BB242_41 Depth=1
	s_andn2_saveexec_b64 s[0:1], s[68:69]
	s_cbranch_execz .LBB242_53
; %bb.52:                               ;   in Loop: Header=BB242_41 Depth=1
	v_mul_f64 v[12:13], v[0:1], v[0:1]
	v_pk_mov_b32 v[14:15], v[40:41], v[40:41] op_sel:[0,1]
	v_fmac_f64_e32 v[14:15], s[64:65], v[12:13]
	v_pk_mov_b32 v[64:65], v[42:43], v[42:43] op_sel:[0,1]
	v_fmac_f64_e32 v[64:65], v[12:13], v[14:15]
	;; [unrolled: 2-line block ×11, first 2 shown]
	v_fma_f64 v[12:13], |v[0:1]|, v[14:15], |v[0:1]|
.LBB242_53:                             ;   in Loop: Header=BB242_41 Depth=1
	s_or_b64 exec, exec, s[0:1]
	v_cmp_nlt_f64_e64 s[0:1], |v[2:3]|, 1.0
	s_and_saveexec_b64 s[68:69], s[0:1]
	s_xor_b64 s[68:69], exec, s[68:69]
	s_cbranch_execz .LBB242_55
; %bb.54:                               ;   in Loop: Header=BB242_41 Depth=1
	v_fma_f64 v[14:15], |v[2:3]|, s[4:5], v[20:21]
	v_fma_f64 v[14:15], |v[2:3]|, v[14:15], s[6:7]
	;; [unrolled: 1-line block ×22, first 2 shown]
	v_fma_f64 v[14:15], |v[2:3]|, v[14:15], |v[2:3]|
	v_mul_f64 v[64:65], v[14:15], s[52:53]
	v_rndne_f64_e32 v[64:65], v[64:65]
	v_fma_f64 v[66:67], v[64:65], s[54:55], -v[14:15]
	v_fmac_f64_e32 v[66:67], s[56:57], v[64:65]
	v_pk_mov_b32 v[68:69], v[22:23], v[22:23] op_sel:[0,1]
	v_fmac_f64_e32 v[68:69], s[58:59], v[66:67]
	v_pk_mov_b32 v[70:71], v[24:25], v[24:25] op_sel:[0,1]
	;; [unrolled: 2-line block ×9, first 2 shown]
	v_fmac_f64_e32 v[68:69], v[66:67], v[70:71]
	v_fma_f64 v[68:69], v[66:67], v[68:69], 1.0
	v_fma_f64 v[66:67], v[66:67], v[68:69], 1.0
	v_cvt_i32_f64_e32 v0, v[64:65]
	v_ldexp_f64 v[64:65], v[66:67], v0
	v_add_f64 v[64:65], -v[64:65], 1.0
	v_cmp_ngt_f64_e32 vcc, s[60:61], v[14:15]
	v_cmp_nlt_f64_e64 s[0:1], s[62:63], v[14:15]
	v_cndmask_b32_e32 v0, v62, v65, vcc
	s_and_b64 vcc, s[0:1], vcc
	v_cndmask_b32_e64 v15, v63, v0, s[0:1]
	v_cndmask_b32_e32 v14, 0, v64, vcc
.LBB242_55:                             ;   in Loop: Header=BB242_41 Depth=1
	s_andn2_saveexec_b64 s[0:1], s[68:69]
	s_cbranch_execz .LBB242_40
; %bb.56:                               ;   in Loop: Header=BB242_41 Depth=1
	v_mul_f64 v[14:15], v[2:3], v[2:3]
	v_pk_mov_b32 v[64:65], v[40:41], v[40:41] op_sel:[0,1]
	v_fmac_f64_e32 v[64:65], s[64:65], v[14:15]
	v_pk_mov_b32 v[66:67], v[42:43], v[42:43] op_sel:[0,1]
	v_fmac_f64_e32 v[66:67], v[14:15], v[64:65]
	v_pk_mov_b32 v[64:65], v[44:45], v[44:45] op_sel:[0,1]
	v_fmac_f64_e32 v[64:65], v[14:15], v[66:67]
	v_pk_mov_b32 v[66:67], v[46:47], v[46:47] op_sel:[0,1]
	v_fmac_f64_e32 v[66:67], v[14:15], v[64:65]
	v_pk_mov_b32 v[64:65], v[48:49], v[48:49] op_sel:[0,1]
	v_fmac_f64_e32 v[64:65], v[14:15], v[66:67]
	v_pk_mov_b32 v[66:67], v[50:51], v[50:51] op_sel:[0,1]
	v_fmac_f64_e32 v[66:67], v[14:15], v[64:65]
	v_pk_mov_b32 v[64:65], v[52:53], v[52:53] op_sel:[0,1]
	v_fmac_f64_e32 v[64:65], v[14:15], v[66:67]
	v_pk_mov_b32 v[66:67], v[54:55], v[54:55] op_sel:[0,1]
	v_fmac_f64_e32 v[66:67], v[14:15], v[64:65]
	v_pk_mov_b32 v[64:65], v[56:57], v[56:57] op_sel:[0,1]
	v_fmac_f64_e32 v[64:65], v[14:15], v[66:67]
	v_pk_mov_b32 v[66:67], v[58:59], v[58:59] op_sel:[0,1]
	v_fmac_f64_e32 v[66:67], v[14:15], v[64:65]
	v_pk_mov_b32 v[64:65], v[60:61], v[60:61] op_sel:[0,1]
	v_fmac_f64_e32 v[64:65], v[14:15], v[66:67]
	v_fma_f64 v[14:15], |v[2:3]|, v[64:65], |v[2:3]|
	s_branch .LBB242_40
.LBB242_57:
	s_endpgm
	.section	.rodata,"a",@progbits
	.p2align	6, 0x0
	.amdhsa_kernel _ZN2at6native12_GLOBAL__N_125multi_tensor_apply_kernelINS1_18TensorListMetadataILi1EEENS1_14UnaryOpFunctorIdLi1ELi1ELi0EEEJNS0_3ErfIdEEEEEvT_T0_DpT1_
		.amdhsa_group_segment_fixed_size 0
		.amdhsa_private_segment_fixed_size 0
		.amdhsa_kernarg_size 3632
		.amdhsa_user_sgpr_count 6
		.amdhsa_user_sgpr_private_segment_buffer 1
		.amdhsa_user_sgpr_dispatch_ptr 0
		.amdhsa_user_sgpr_queue_ptr 0
		.amdhsa_user_sgpr_kernarg_segment_ptr 1
		.amdhsa_user_sgpr_dispatch_id 0
		.amdhsa_user_sgpr_flat_scratch_init 0
		.amdhsa_user_sgpr_kernarg_preload_length 0
		.amdhsa_user_sgpr_kernarg_preload_offset 0
		.amdhsa_user_sgpr_private_segment_size 0
		.amdhsa_uses_dynamic_stack 0
		.amdhsa_system_sgpr_private_segment_wavefront_offset 0
		.amdhsa_system_sgpr_workgroup_id_x 1
		.amdhsa_system_sgpr_workgroup_id_y 0
		.amdhsa_system_sgpr_workgroup_id_z 0
		.amdhsa_system_sgpr_workgroup_info 0
		.amdhsa_system_vgpr_workitem_id 0
		.amdhsa_next_free_vgpr 80
		.amdhsa_next_free_sgpr 91
		.amdhsa_accum_offset 80
		.amdhsa_reserve_vcc 1
		.amdhsa_reserve_flat_scratch 0
		.amdhsa_float_round_mode_32 0
		.amdhsa_float_round_mode_16_64 0
		.amdhsa_float_denorm_mode_32 3
		.amdhsa_float_denorm_mode_16_64 3
		.amdhsa_dx10_clamp 1
		.amdhsa_ieee_mode 1
		.amdhsa_fp16_overflow 0
		.amdhsa_tg_split 0
		.amdhsa_exception_fp_ieee_invalid_op 0
		.amdhsa_exception_fp_denorm_src 0
		.amdhsa_exception_fp_ieee_div_zero 0
		.amdhsa_exception_fp_ieee_overflow 0
		.amdhsa_exception_fp_ieee_underflow 0
		.amdhsa_exception_fp_ieee_inexact 0
		.amdhsa_exception_int_div_zero 0
	.end_amdhsa_kernel
	.section	.text._ZN2at6native12_GLOBAL__N_125multi_tensor_apply_kernelINS1_18TensorListMetadataILi1EEENS1_14UnaryOpFunctorIdLi1ELi1ELi0EEEJNS0_3ErfIdEEEEEvT_T0_DpT1_,"axG",@progbits,_ZN2at6native12_GLOBAL__N_125multi_tensor_apply_kernelINS1_18TensorListMetadataILi1EEENS1_14UnaryOpFunctorIdLi1ELi1ELi0EEEJNS0_3ErfIdEEEEEvT_T0_DpT1_,comdat
.Lfunc_end242:
	.size	_ZN2at6native12_GLOBAL__N_125multi_tensor_apply_kernelINS1_18TensorListMetadataILi1EEENS1_14UnaryOpFunctorIdLi1ELi1ELi0EEEJNS0_3ErfIdEEEEEvT_T0_DpT1_, .Lfunc_end242-_ZN2at6native12_GLOBAL__N_125multi_tensor_apply_kernelINS1_18TensorListMetadataILi1EEENS1_14UnaryOpFunctorIdLi1ELi1ELi0EEEJNS0_3ErfIdEEEEEvT_T0_DpT1_
                                        ; -- End function
	.section	.AMDGPU.csdata,"",@progbits
; Kernel info:
; codeLenInByte = 7280
; NumSgprs: 95
; NumVgprs: 80
; NumAgprs: 0
; TotalNumVgprs: 80
; ScratchSize: 0
; MemoryBound: 1
; FloatMode: 240
; IeeeMode: 1
; LDSByteSize: 0 bytes/workgroup (compile time only)
; SGPRBlocks: 11
; VGPRBlocks: 9
; NumSGPRsForWavesPerEU: 95
; NumVGPRsForWavesPerEU: 80
; AccumOffset: 80
; Occupancy: 6
; WaveLimiterHint : 0
; COMPUTE_PGM_RSRC2:SCRATCH_EN: 0
; COMPUTE_PGM_RSRC2:USER_SGPR: 6
; COMPUTE_PGM_RSRC2:TRAP_HANDLER: 0
; COMPUTE_PGM_RSRC2:TGID_X_EN: 1
; COMPUTE_PGM_RSRC2:TGID_Y_EN: 0
; COMPUTE_PGM_RSRC2:TGID_Z_EN: 0
; COMPUTE_PGM_RSRC2:TIDIG_COMP_CNT: 0
; COMPUTE_PGM_RSRC3_GFX90A:ACCUM_OFFSET: 19
; COMPUTE_PGM_RSRC3_GFX90A:TG_SPLIT: 0
	.section	.text._ZN2at6native12_GLOBAL__N_125multi_tensor_apply_kernelINS1_18TensorListMetadataILi1EEENS1_14UnaryOpFunctorIfLi1ELi1ELi0EEEJNS0_3ErfIfEEEEEvT_T0_DpT1_,"axG",@progbits,_ZN2at6native12_GLOBAL__N_125multi_tensor_apply_kernelINS1_18TensorListMetadataILi1EEENS1_14UnaryOpFunctorIfLi1ELi1ELi0EEEJNS0_3ErfIfEEEEEvT_T0_DpT1_,comdat
	.globl	_ZN2at6native12_GLOBAL__N_125multi_tensor_apply_kernelINS1_18TensorListMetadataILi1EEENS1_14UnaryOpFunctorIfLi1ELi1ELi0EEEJNS0_3ErfIfEEEEEvT_T0_DpT1_ ; -- Begin function _ZN2at6native12_GLOBAL__N_125multi_tensor_apply_kernelINS1_18TensorListMetadataILi1EEENS1_14UnaryOpFunctorIfLi1ELi1ELi0EEEJNS0_3ErfIfEEEEEvT_T0_DpT1_
	.p2align	8
	.type	_ZN2at6native12_GLOBAL__N_125multi_tensor_apply_kernelINS1_18TensorListMetadataILi1EEENS1_14UnaryOpFunctorIfLi1ELi1ELi0EEEJNS0_3ErfIfEEEEEvT_T0_DpT1_,@function
_ZN2at6native12_GLOBAL__N_125multi_tensor_apply_kernelINS1_18TensorListMetadataILi1EEENS1_14UnaryOpFunctorIfLi1ELi1ELi0EEEJNS0_3ErfIfEEEEEvT_T0_DpT1_: ; @_ZN2at6native12_GLOBAL__N_125multi_tensor_apply_kernelINS1_18TensorListMetadataILi1EEENS1_14UnaryOpFunctorIfLi1ELi1ELi0EEEJNS0_3ErfIfEEEEEvT_T0_DpT1_
; %bb.0:
	v_mov_b32_e32 v1, s6
	global_load_ubyte v1, v1, s[4:5] offset:1760
	s_add_u32 s0, s4, s6
	s_mul_hi_u32 s1, s6, 3
	s_mul_i32 s6, s6, 3
	s_addc_u32 s2, s5, 0
	s_add_u32 s0, s0, s6
	s_addc_u32 s1, s2, s1
	s_load_dword s0, s[0:1], 0x820
	s_mov_b32 s7, 0
	s_waitcnt vmcnt(0)
	v_readfirstlane_b32 s2, v1
	s_lshl_b32 s1, s2, 3
	s_load_dwordx2 s[2:3], s[4:5], s1 offset:0x370
	s_load_dwordx2 s[12:13], s[4:5], s1 offset:0x0
	s_waitcnt lgkmcnt(0)
	s_ashr_i32 s1, s0, 31
	s_lshl_b64 s[14:15], s[0:1], 18
	s_lshl_b64 s[0:1], s[0:1], 16
	s_and_b32 s6, s12, 15
	s_sub_u32 s10, s2, s0
	s_subb_u32 s11, s3, s1
	s_and_b32 s0, s2, 3
	s_mov_b32 s1, s7
	s_or_b64 s[0:1], s[6:7], s[0:1]
	s_cmp_eq_u64 s[0:1], 0
	s_cbranch_scc1 .LBB243_37
; %bb.1:
	v_cmp_lt_i64_e64 s[0:1], s[10:11], 1
	s_and_b64 vcc, exec, s[0:1]
	s_cbranch_vccnz .LBB243_36
; %bb.2:
	s_load_dword s0, s[4:5], 0xd3c
	v_mov_b32_e32 v2, 0x10000
	v_mov_b32_e32 v3, 0
	v_cmp_lt_u64_e32 vcc, s[10:11], v[2:3]
	v_lshlrev_b32_e32 v1, 2, v0
	s_waitcnt lgkmcnt(0)
	s_and_b32 s2, s0, 0xffff
	s_and_b64 s[0:1], vcc, exec
	s_cselect_b32 s17, s11, 0
	s_cselect_b32 s16, s10, 0x10000
	s_lshl_b32 s3, s2, 1
	s_lshl_b32 s23, s2, 2
	s_add_u32 s6, s12, s14
	s_addc_u32 s7, s13, s15
	v_mov_b32_e32 v3, s7
	v_add_co_u32_e32 v2, vcc, s6, v1
	s_mul_i32 s0, s2, 3
	v_addc_co_u32_e32 v3, vcc, 0, v3, vcc
	v_add_co_u32_e32 v1, vcc, s0, v0
	v_addc_co_u32_e64 v6, s[0:1], 0, 0, vcc
	v_add_co_u32_e32 v7, vcc, s3, v0
	v_addc_co_u32_e64 v8, s[0:1], 0, 0, vcc
	v_add_co_u32_e32 v9, vcc, s2, v0
	v_lshlrev_b32_e32 v4, 2, v9
	s_mov_b32 s22, 0
	v_addc_co_u32_e64 v10, s[0:1], 0, 0, vcc
	v_mov_b32_e32 v5, s7
	v_add_co_u32_e32 v4, vcc, s6, v4
	s_lshl_b32 s24, s2, 4
	s_mul_i32 s25, s2, 12
	s_mov_b32 s26, s22
	s_lshl_b32 s27, s2, 3
	s_mov_b32 s28, s22
	v_addc_co_u32_e32 v5, vcc, 0, v5, vcc
	s_mov_b64 s[18:19], 0
	s_mov_b32 s29, 0x378e98ab
	s_mov_b32 s30, 0x3b7cd369
	;; [unrolled: 1-line block ×9, first 2 shown]
	v_mov_b32_e32 v11, 0xbcdac9b8
	v_mov_b32_e32 v12, 0x3de703be
	;; [unrolled: 1-line block ×4, first 2 shown]
	s_brev_b32 s39, -2
	v_mov_b32_e32 v15, 0xb9c68948
	v_mov_b32_e32 v16, 0x7f800000
	s_branch .LBB243_4
.LBB243_3:                              ;   in Loop: Header=BB243_4 Depth=1
	s_or_b64 exec, exec, s[0:1]
	s_add_u32 s18, s18, s23
	s_addc_u32 s19, s19, 0
	v_pk_mov_b32 v[18:19], s[10:11], s[10:11] op_sel:[0,1]
	v_cmp_ge_i64_e32 vcc, s[18:19], v[18:19]
	v_mov_b32_e32 v18, 0xffff
	v_mov_b32_e32 v19, 0
	v_cmp_gt_u64_e64 s[0:1], s[18:19], v[18:19]
	s_or_b64 s[0:1], vcc, s[0:1]
	v_mov_b32_e32 v17, s22
	v_add_co_u32_e32 v2, vcc, s24, v2
	v_addc_co_u32_e32 v3, vcc, v3, v17, vcc
	v_add_co_u32_e32 v4, vcc, s24, v4
	v_addc_co_u32_e32 v5, vcc, v5, v17, vcc
	s_and_b64 vcc, exec, s[0:1]
	s_cbranch_vccnz .LBB243_36
.LBB243_4:                              ; =>This Inner Loop Header: Depth=1
	v_mov_b32_e32 v17, s19
	v_add_co_u32_e32 v18, vcc, s18, v0
	v_addc_co_u32_e32 v19, vcc, 0, v17, vcc
	v_cmp_gt_u64_e32 vcc, s[16:17], v[18:19]
	v_mov_b32_e32 v17, 0
	s_and_saveexec_b64 s[0:1], vcc
	s_cbranch_execz .LBB243_6
; %bb.5:                                ;   in Loop: Header=BB243_4 Depth=1
	global_load_dword v17, v[2:3], off
.LBB243_6:                              ;   in Loop: Header=BB243_4 Depth=1
	s_or_b64 exec, exec, s[0:1]
	v_mov_b32_e32 v19, s19
	v_add_co_u32_e64 v18, s[0:1], s18, v9
	v_addc_co_u32_e64 v19, s[0:1], v10, v19, s[0:1]
	v_cmp_gt_u64_e64 s[0:1], s[16:17], v[18:19]
	v_mov_b32_e32 v19, 0
	s_and_saveexec_b64 s[2:3], s[0:1]
	s_cbranch_execz .LBB243_8
; %bb.7:                                ;   in Loop: Header=BB243_4 Depth=1
	global_load_dword v19, v[4:5], off
.LBB243_8:                              ;   in Loop: Header=BB243_4 Depth=1
	s_or_b64 exec, exec, s[2:3]
	v_mov_b32_e32 v18, s19
	v_add_co_u32_e64 v20, s[2:3], s18, v7
	v_addc_co_u32_e64 v21, s[2:3], v8, v18, s[2:3]
	v_cmp_gt_u64_e64 s[2:3], s[16:17], v[20:21]
	v_mov_b32_e32 v18, 0
	v_mov_b32_e32 v20, 0
	s_and_saveexec_b64 s[8:9], s[2:3]
	s_cbranch_execz .LBB243_10
; %bb.9:                                ;   in Loop: Header=BB243_4 Depth=1
	v_mov_b32_e32 v21, s28
	v_add_co_u32_e64 v20, s[6:7], s27, v2
	v_addc_co_u32_e64 v21, s[6:7], v3, v21, s[6:7]
	global_load_dword v20, v[20:21], off
.LBB243_10:                             ;   in Loop: Header=BB243_4 Depth=1
	s_or_b64 exec, exec, s[8:9]
	v_mov_b32_e32 v21, s19
	v_add_co_u32_e64 v22, s[6:7], s18, v1
	v_addc_co_u32_e64 v23, s[6:7], v6, v21, s[6:7]
	v_cmp_gt_u64_e64 s[6:7], s[16:17], v[22:23]
	s_and_saveexec_b64 s[20:21], s[6:7]
	s_cbranch_execz .LBB243_12
; %bb.11:                               ;   in Loop: Header=BB243_4 Depth=1
	v_mov_b32_e32 v18, s26
	v_add_co_u32_e64 v22, s[8:9], s25, v2
	v_addc_co_u32_e64 v23, s[8:9], v3, v18, s[8:9]
	global_load_dword v18, v[22:23], off
.LBB243_12:                             ;   in Loop: Header=BB243_4 Depth=1
	s_or_b64 exec, exec, s[20:21]
	s_waitcnt vmcnt(0)
	v_cmp_nlt_f32_e64 s[8:9], |v17|, 1.0
                                        ; implicit-def: $vgpr21
	s_and_saveexec_b64 s[20:21], s[8:9]
	s_xor_b64 s[20:21], exec, s[20:21]
	s_cbranch_execz .LBB243_14
; %bb.13:                               ;   in Loop: Header=BB243_4 Depth=1
	v_fma_f32 v21, |v17|, s29, v15
	v_fma_f32 v21, |v17|, v21, s30
	;; [unrolled: 1-line block ×6, first 2 shown]
	v_fma_f32 v21, |v17|, v21, |v17|
	v_mul_f32_e32 v22, 0xbfb8aa3b, v21
	v_fma_f32 v23, v21, s36, -v22
	v_rndne_f32_e32 v24, v22
	v_fmac_f32_e32 v23, 0xb2a5705f, v21
	v_sub_f32_e32 v22, v22, v24
	v_add_f32_e32 v22, v22, v23
	v_cvt_i32_f32_e32 v23, v24
	v_exp_f32_e32 v22, v22
	v_cmp_nlt_f32_e64 s[8:9], s37, v21
	v_ldexp_f32 v22, v22, v23
	v_cndmask_b32_e64 v22, 0, v22, s[8:9]
	v_cmp_ngt_f32_e64 s[8:9], s38, v21
	v_cndmask_b32_e64 v21, v16, v22, s[8:9]
	v_sub_f32_e32 v21, 1.0, v21
.LBB243_14:                             ;   in Loop: Header=BB243_4 Depth=1
	s_andn2_saveexec_b64 s[8:9], s[20:21]
; %bb.15:                               ;   in Loop: Header=BB243_4 Depth=1
	v_mul_f32_e32 v21, v17, v17
	v_mov_b32_e32 v22, 0x3ba10414
	v_fmac_f32_e32 v22, 0xba1345e1, v21
	v_fma_f32 v22, v21, v22, v11
	v_fma_f32 v22, v21, v22, v12
	;; [unrolled: 1-line block ×4, first 2 shown]
	v_fma_f32 v21, |v17|, v21, |v17|
; %bb.16:                               ;   in Loop: Header=BB243_4 Depth=1
	s_or_b64 exec, exec, s[8:9]
	v_cmp_nlt_f32_e64 s[8:9], |v19|, 1.0
                                        ; implicit-def: $vgpr22
	s_and_saveexec_b64 s[20:21], s[8:9]
	s_xor_b64 s[20:21], exec, s[20:21]
	s_cbranch_execz .LBB243_18
; %bb.17:                               ;   in Loop: Header=BB243_4 Depth=1
	v_fma_f32 v22, |v19|, s29, v15
	v_fma_f32 v22, |v19|, v22, s30
	;; [unrolled: 1-line block ×6, first 2 shown]
	v_fma_f32 v22, |v19|, v22, |v19|
	v_mul_f32_e32 v23, 0xbfb8aa3b, v22
	v_fma_f32 v24, v22, s36, -v23
	v_rndne_f32_e32 v25, v23
	v_fmac_f32_e32 v24, 0xb2a5705f, v22
	v_sub_f32_e32 v23, v23, v25
	v_add_f32_e32 v23, v23, v24
	v_cvt_i32_f32_e32 v24, v25
	v_exp_f32_e32 v23, v23
	v_cmp_nlt_f32_e64 s[8:9], s37, v22
	v_ldexp_f32 v23, v23, v24
	v_cndmask_b32_e64 v23, 0, v23, s[8:9]
	v_cmp_ngt_f32_e64 s[8:9], s38, v22
	v_cndmask_b32_e64 v22, v16, v23, s[8:9]
	v_sub_f32_e32 v22, 1.0, v22
.LBB243_18:                             ;   in Loop: Header=BB243_4 Depth=1
	s_andn2_saveexec_b64 s[8:9], s[20:21]
; %bb.19:                               ;   in Loop: Header=BB243_4 Depth=1
	v_mul_f32_e32 v22, v19, v19
	v_mov_b32_e32 v23, 0x3ba10414
	v_fmac_f32_e32 v23, 0xba1345e1, v22
	v_fma_f32 v23, v22, v23, v11
	v_fma_f32 v23, v22, v23, v12
	;; [unrolled: 1-line block ×4, first 2 shown]
	v_fma_f32 v22, |v19|, v22, |v19|
; %bb.20:                               ;   in Loop: Header=BB243_4 Depth=1
	s_or_b64 exec, exec, s[8:9]
	v_cmp_nlt_f32_e64 s[8:9], |v20|, 1.0
                                        ; implicit-def: $vgpr23
	s_and_saveexec_b64 s[20:21], s[8:9]
	s_xor_b64 s[20:21], exec, s[20:21]
	s_cbranch_execz .LBB243_22
; %bb.21:                               ;   in Loop: Header=BB243_4 Depth=1
	v_fma_f32 v23, |v20|, s29, v15
	v_fma_f32 v23, |v20|, v23, s30
	;; [unrolled: 1-line block ×6, first 2 shown]
	v_fma_f32 v23, |v20|, v23, |v20|
	v_mul_f32_e32 v24, 0xbfb8aa3b, v23
	v_fma_f32 v25, v23, s36, -v24
	v_rndne_f32_e32 v26, v24
	v_fmac_f32_e32 v25, 0xb2a5705f, v23
	v_sub_f32_e32 v24, v24, v26
	v_add_f32_e32 v24, v24, v25
	v_cvt_i32_f32_e32 v25, v26
	v_exp_f32_e32 v24, v24
	v_cmp_nlt_f32_e64 s[8:9], s37, v23
	v_ldexp_f32 v24, v24, v25
	v_cndmask_b32_e64 v24, 0, v24, s[8:9]
	v_cmp_ngt_f32_e64 s[8:9], s38, v23
	v_cndmask_b32_e64 v23, v16, v24, s[8:9]
	v_sub_f32_e32 v23, 1.0, v23
.LBB243_22:                             ;   in Loop: Header=BB243_4 Depth=1
	s_andn2_saveexec_b64 s[8:9], s[20:21]
; %bb.23:                               ;   in Loop: Header=BB243_4 Depth=1
	v_mul_f32_e32 v23, v20, v20
	v_mov_b32_e32 v24, 0x3ba10414
	v_fmac_f32_e32 v24, 0xba1345e1, v23
	v_fma_f32 v24, v23, v24, v11
	v_fma_f32 v24, v23, v24, v12
	;; [unrolled: 1-line block ×4, first 2 shown]
	v_fma_f32 v23, |v20|, v23, |v20|
; %bb.24:                               ;   in Loop: Header=BB243_4 Depth=1
	s_or_b64 exec, exec, s[8:9]
	v_cmp_nlt_f32_e64 s[8:9], |v18|, 1.0
                                        ; implicit-def: $vgpr24
	s_and_saveexec_b64 s[20:21], s[8:9]
	s_xor_b64 s[20:21], exec, s[20:21]
	s_cbranch_execnz .LBB243_30
; %bb.25:                               ;   in Loop: Header=BB243_4 Depth=1
	s_andn2_saveexec_b64 s[8:9], s[20:21]
	s_cbranch_execnz .LBB243_31
.LBB243_26:                             ;   in Loop: Header=BB243_4 Depth=1
	s_or_b64 exec, exec, s[8:9]
	s_and_saveexec_b64 s[8:9], vcc
	s_xor_b64 s[8:9], exec, s[8:9]
	s_cbranch_execnz .LBB243_32
.LBB243_27:                             ;   in Loop: Header=BB243_4 Depth=1
	s_or_b64 exec, exec, s[8:9]
	s_and_saveexec_b64 s[8:9], s[0:1]
	s_cbranch_execnz .LBB243_33
.LBB243_28:                             ;   in Loop: Header=BB243_4 Depth=1
	s_or_b64 exec, exec, s[8:9]
	s_and_saveexec_b64 s[0:1], s[2:3]
	s_cbranch_execnz .LBB243_34
.LBB243_29:                             ;   in Loop: Header=BB243_4 Depth=1
	s_or_b64 exec, exec, s[0:1]
	s_and_saveexec_b64 s[0:1], s[6:7]
	s_cbranch_execz .LBB243_3
	s_branch .LBB243_35
.LBB243_30:                             ;   in Loop: Header=BB243_4 Depth=1
	v_fma_f32 v24, |v18|, s29, v15
	v_fma_f32 v24, |v18|, v24, s30
	;; [unrolled: 1-line block ×6, first 2 shown]
	v_fma_f32 v24, |v18|, v24, |v18|
	v_mul_f32_e32 v25, 0xbfb8aa3b, v24
	v_fma_f32 v26, v24, s36, -v25
	v_rndne_f32_e32 v27, v25
	v_fmac_f32_e32 v26, 0xb2a5705f, v24
	v_sub_f32_e32 v25, v25, v27
	v_add_f32_e32 v25, v25, v26
	v_cvt_i32_f32_e32 v26, v27
	v_exp_f32_e32 v25, v25
	v_cmp_nlt_f32_e64 s[8:9], s37, v24
	v_ldexp_f32 v25, v25, v26
	v_cndmask_b32_e64 v25, 0, v25, s[8:9]
	v_cmp_ngt_f32_e64 s[8:9], s38, v24
	v_cndmask_b32_e64 v24, v16, v25, s[8:9]
	v_sub_f32_e32 v24, 1.0, v24
	s_andn2_saveexec_b64 s[8:9], s[20:21]
	s_cbranch_execz .LBB243_26
.LBB243_31:                             ;   in Loop: Header=BB243_4 Depth=1
	v_mul_f32_e32 v24, v18, v18
	v_mov_b32_e32 v25, 0x3ba10414
	v_fmac_f32_e32 v25, 0xba1345e1, v24
	v_fma_f32 v25, v24, v25, v11
	v_fma_f32 v25, v24, v25, v12
	;; [unrolled: 1-line block ×4, first 2 shown]
	v_fma_f32 v24, |v18|, v24, |v18|
	s_or_b64 exec, exec, s[8:9]
	s_and_saveexec_b64 s[8:9], vcc
	s_xor_b64 s[8:9], exec, s[8:9]
	s_cbranch_execz .LBB243_27
.LBB243_32:                             ;   in Loop: Header=BB243_4 Depth=1
	v_bfi_b32 v17, s39, v21, v17
	global_store_dword v[2:3], v17, off
	s_or_b64 exec, exec, s[8:9]
	s_and_saveexec_b64 s[8:9], s[0:1]
	s_cbranch_execz .LBB243_28
.LBB243_33:                             ;   in Loop: Header=BB243_4 Depth=1
	v_bfi_b32 v17, s39, v22, v19
	global_store_dword v[4:5], v17, off
	s_or_b64 exec, exec, s[8:9]
	s_and_saveexec_b64 s[0:1], s[2:3]
	s_cbranch_execz .LBB243_29
.LBB243_34:                             ;   in Loop: Header=BB243_4 Depth=1
	v_bfi_b32 v17, s39, v23, v20
	v_mov_b32_e32 v19, s28
	v_add_co_u32_e32 v20, vcc, s27, v2
	v_addc_co_u32_e32 v21, vcc, v3, v19, vcc
	global_store_dword v[20:21], v17, off
	s_or_b64 exec, exec, s[0:1]
	s_and_saveexec_b64 s[0:1], s[6:7]
	s_cbranch_execz .LBB243_3
.LBB243_35:                             ;   in Loop: Header=BB243_4 Depth=1
	v_bfi_b32 v17, s39, v24, v18
	v_mov_b32_e32 v19, s26
	v_add_co_u32_e32 v18, vcc, s25, v2
	v_addc_co_u32_e32 v19, vcc, v3, v19, vcc
	global_store_dword v[18:19], v17, off
	s_branch .LBB243_3
.LBB243_36:
	s_cbranch_execz .LBB243_38
	s_branch .LBB243_57
.LBB243_37:
.LBB243_38:
	v_mov_b32_e32 v5, 0
	v_lshlrev_b32_e32 v4, 2, v0
	s_mov_b32 s0, 0
	v_cmp_gt_i64_e32 vcc, s[10:11], v[4:5]
	s_and_saveexec_b64 s[2:3], vcc
	s_cbranch_execz .LBB243_57
; %bb.39:
	s_load_dword s1, s[4:5], 0xd3c
	v_lshlrev_b32_e32 v1, 4, v0
	s_mov_b32 s8, 0x378e98ab
	s_mov_b32 s9, 0x3b7cd369
	;; [unrolled: 1-line block ×3, first 2 shown]
	s_waitcnt lgkmcnt(0)
	s_and_b32 s1, s1, 0xffff
	s_lshl_b32 s6, s1, 2
	s_add_u32 s2, s12, s14
	s_addc_u32 s3, s13, s15
	v_add_lshl_u32 v4, v0, s1, 2
	v_mov_b32_e32 v0, s3
	v_add_co_u32_e32 v1, vcc, s2, v1
	v_addc_co_u32_e32 v0, vcc, 0, v0, vcc
	v_add_co_u32_e32 v6, vcc, 8, v1
	v_addc_co_u32_e32 v7, vcc, 0, v0, vcc
	s_lshl_b32 s7, s1, 4
	s_mov_b64 s[2:3], 0
	s_mov_b32 s12, 0xbcc618b2
	s_mov_b32 s13, 0x3dda74e4
	;; [unrolled: 1-line block ×6, first 2 shown]
	v_mov_b32_e32 v8, 0xbcdac9b8
	v_mov_b32_e32 v9, 0x3de703be
	;; [unrolled: 1-line block ×4, first 2 shown]
	s_brev_b32 s19, -2
	s_mov_b64 s[4:5], 0xffff
	v_mov_b32_e32 v12, 0xb9c68948
	v_mov_b32_e32 v13, 0x7f800000
	;; [unrolled: 1-line block ×4, first 2 shown]
	s_branch .LBB243_41
.LBB243_40:                             ;   in Loop: Header=BB243_41 Depth=1
	s_or_b64 exec, exec, s[0:1]
	v_cmp_le_i64_e32 vcc, s[10:11], v[4:5]
	v_cmp_lt_u64_e64 s[0:1], s[4:5], v[4:5]
	s_or_b64 s[0:1], vcc, s[0:1]
	v_add_co_u32_e32 v4, vcc, s6, v4
	v_bfi_b32 v2, s19, v18, v2
	v_bfi_b32 v1, s19, v17, v1
	;; [unrolled: 1-line block ×4, first 2 shown]
	v_addc_co_u32_e32 v5, vcc, v5, v14, vcc
	global_store_dwordx4 v[6:7], v[0:3], off offset:-8
	s_and_b64 s[0:1], exec, s[0:1]
	v_add_co_u32_e32 v6, vcc, s7, v6
	s_or_b64 s[2:3], s[0:1], s[2:3]
	v_addc_co_u32_e32 v7, vcc, v7, v15, vcc
	s_andn2_b64 exec, exec, s[2:3]
	s_cbranch_execz .LBB243_57
.LBB243_41:                             ; =>This Inner Loop Header: Depth=1
	global_load_dwordx4 v[0:3], v[6:7], off offset:-8
                                        ; implicit-def: $vgpr16
	s_waitcnt vmcnt(0)
	v_cmp_nlt_f32_e64 s[0:1], |v0|, 1.0
	s_and_saveexec_b64 s[20:21], s[0:1]
	s_xor_b64 s[0:1], exec, s[20:21]
	s_cbranch_execz .LBB243_43
; %bb.42:                               ;   in Loop: Header=BB243_41 Depth=1
	v_fma_f32 v16, |v0|, s8, v12
	v_fma_f32 v16, |v0|, v16, s9
	;; [unrolled: 1-line block ×6, first 2 shown]
	v_fma_f32 v16, |v0|, v16, |v0|
	v_mul_f32_e32 v17, 0xbfb8aa3b, v16
	v_fma_f32 v18, v16, s16, -v17
	v_rndne_f32_e32 v19, v17
	v_fmac_f32_e32 v18, 0xb2a5705f, v16
	v_sub_f32_e32 v17, v17, v19
	v_add_f32_e32 v17, v17, v18
	v_cvt_i32_f32_e32 v18, v19
	v_exp_f32_e32 v17, v17
	v_cmp_nlt_f32_e32 vcc, s17, v16
	v_ldexp_f32 v17, v17, v18
	v_cndmask_b32_e32 v17, 0, v17, vcc
	v_cmp_ngt_f32_e32 vcc, s18, v16
	v_cndmask_b32_e32 v16, v13, v17, vcc
	v_sub_f32_e32 v16, 1.0, v16
.LBB243_43:                             ;   in Loop: Header=BB243_41 Depth=1
	s_andn2_saveexec_b64 s[0:1], s[0:1]
; %bb.44:                               ;   in Loop: Header=BB243_41 Depth=1
	v_mul_f32_e32 v16, v0, v0
	v_mov_b32_e32 v17, 0x3ba10414
	v_fmac_f32_e32 v17, 0xba1345e1, v16
	v_fma_f32 v17, v16, v17, v8
	v_fma_f32 v17, v16, v17, v9
	;; [unrolled: 1-line block ×4, first 2 shown]
	v_fma_f32 v16, |v0|, v16, |v0|
; %bb.45:                               ;   in Loop: Header=BB243_41 Depth=1
	s_or_b64 exec, exec, s[0:1]
	v_cmp_nlt_f32_e64 s[0:1], |v1|, 1.0
                                        ; implicit-def: $vgpr17
	s_and_saveexec_b64 s[20:21], s[0:1]
	s_xor_b64 s[0:1], exec, s[20:21]
	s_cbranch_execz .LBB243_47
; %bb.46:                               ;   in Loop: Header=BB243_41 Depth=1
	v_fma_f32 v17, |v1|, s8, v12
	v_fma_f32 v17, |v1|, v17, s9
	;; [unrolled: 1-line block ×6, first 2 shown]
	v_fma_f32 v17, |v1|, v17, |v1|
	v_mul_f32_e32 v18, 0xbfb8aa3b, v17
	v_fma_f32 v19, v17, s16, -v18
	v_rndne_f32_e32 v20, v18
	v_fmac_f32_e32 v19, 0xb2a5705f, v17
	v_sub_f32_e32 v18, v18, v20
	v_add_f32_e32 v18, v18, v19
	v_cvt_i32_f32_e32 v19, v20
	v_exp_f32_e32 v18, v18
	v_cmp_nlt_f32_e32 vcc, s17, v17
	v_ldexp_f32 v18, v18, v19
	v_cndmask_b32_e32 v18, 0, v18, vcc
	v_cmp_ngt_f32_e32 vcc, s18, v17
	v_cndmask_b32_e32 v17, v13, v18, vcc
	v_sub_f32_e32 v17, 1.0, v17
.LBB243_47:                             ;   in Loop: Header=BB243_41 Depth=1
	s_andn2_saveexec_b64 s[0:1], s[0:1]
; %bb.48:                               ;   in Loop: Header=BB243_41 Depth=1
	v_mul_f32_e32 v17, v1, v1
	v_mov_b32_e32 v18, 0x3ba10414
	v_fmac_f32_e32 v18, 0xba1345e1, v17
	v_fma_f32 v18, v17, v18, v8
	v_fma_f32 v18, v17, v18, v9
	;; [unrolled: 1-line block ×4, first 2 shown]
	v_fma_f32 v17, |v1|, v17, |v1|
; %bb.49:                               ;   in Loop: Header=BB243_41 Depth=1
	s_or_b64 exec, exec, s[0:1]
	v_cmp_nlt_f32_e64 s[0:1], |v2|, 1.0
                                        ; implicit-def: $vgpr18
	s_and_saveexec_b64 s[20:21], s[0:1]
	s_xor_b64 s[0:1], exec, s[20:21]
	s_cbranch_execz .LBB243_51
; %bb.50:                               ;   in Loop: Header=BB243_41 Depth=1
	v_fma_f32 v18, |v2|, s8, v12
	v_fma_f32 v18, |v2|, v18, s9
	;; [unrolled: 1-line block ×6, first 2 shown]
	v_fma_f32 v18, |v2|, v18, |v2|
	v_mul_f32_e32 v19, 0xbfb8aa3b, v18
	v_fma_f32 v20, v18, s16, -v19
	v_rndne_f32_e32 v21, v19
	v_fmac_f32_e32 v20, 0xb2a5705f, v18
	v_sub_f32_e32 v19, v19, v21
	v_add_f32_e32 v19, v19, v20
	v_cvt_i32_f32_e32 v20, v21
	v_exp_f32_e32 v19, v19
	v_cmp_nlt_f32_e32 vcc, s17, v18
	v_ldexp_f32 v19, v19, v20
	v_cndmask_b32_e32 v19, 0, v19, vcc
	v_cmp_ngt_f32_e32 vcc, s18, v18
	v_cndmask_b32_e32 v18, v13, v19, vcc
	v_sub_f32_e32 v18, 1.0, v18
.LBB243_51:                             ;   in Loop: Header=BB243_41 Depth=1
	s_andn2_saveexec_b64 s[0:1], s[0:1]
; %bb.52:                               ;   in Loop: Header=BB243_41 Depth=1
	v_mul_f32_e32 v18, v2, v2
	v_mov_b32_e32 v19, 0x3ba10414
	v_fmac_f32_e32 v19, 0xba1345e1, v18
	v_fma_f32 v19, v18, v19, v8
	v_fma_f32 v19, v18, v19, v9
	;; [unrolled: 1-line block ×4, first 2 shown]
	v_fma_f32 v18, |v2|, v18, |v2|
; %bb.53:                               ;   in Loop: Header=BB243_41 Depth=1
	s_or_b64 exec, exec, s[0:1]
	v_cmp_nlt_f32_e64 s[0:1], |v3|, 1.0
                                        ; implicit-def: $vgpr19
	s_and_saveexec_b64 s[20:21], s[0:1]
	s_xor_b64 s[0:1], exec, s[20:21]
	s_cbranch_execz .LBB243_55
; %bb.54:                               ;   in Loop: Header=BB243_41 Depth=1
	v_fma_f32 v19, |v3|, s8, v12
	v_fma_f32 v19, |v3|, v19, s9
	v_fma_f32 v19, |v3|, v19, s12
	v_fma_f32 v19, |v3|, v19, s13
	v_fma_f32 v19, |v3|, v19, s14
	v_fma_f32 v19, |v3|, v19, s15
	v_fma_f32 v19, |v3|, v19, |v3|
	v_mul_f32_e32 v20, 0xbfb8aa3b, v19
	v_fma_f32 v21, v19, s16, -v20
	v_rndne_f32_e32 v22, v20
	v_fmac_f32_e32 v21, 0xb2a5705f, v19
	v_sub_f32_e32 v20, v20, v22
	v_add_f32_e32 v20, v20, v21
	v_cvt_i32_f32_e32 v21, v22
	v_exp_f32_e32 v20, v20
	v_cmp_nlt_f32_e32 vcc, s17, v19
	v_ldexp_f32 v20, v20, v21
	v_cndmask_b32_e32 v20, 0, v20, vcc
	v_cmp_ngt_f32_e32 vcc, s18, v19
	v_cndmask_b32_e32 v19, v13, v20, vcc
	v_sub_f32_e32 v19, 1.0, v19
.LBB243_55:                             ;   in Loop: Header=BB243_41 Depth=1
	s_andn2_saveexec_b64 s[0:1], s[0:1]
	s_cbranch_execz .LBB243_40
; %bb.56:                               ;   in Loop: Header=BB243_41 Depth=1
	v_mul_f32_e32 v19, v3, v3
	v_mov_b32_e32 v20, 0x3ba10414
	v_fmac_f32_e32 v20, 0xba1345e1, v19
	v_fma_f32 v20, v19, v20, v8
	v_fma_f32 v20, v19, v20, v9
	;; [unrolled: 1-line block ×4, first 2 shown]
	v_fma_f32 v19, |v3|, v19, |v3|
	s_branch .LBB243_40
.LBB243_57:
	s_endpgm
	.section	.rodata,"a",@progbits
	.p2align	6, 0x0
	.amdhsa_kernel _ZN2at6native12_GLOBAL__N_125multi_tensor_apply_kernelINS1_18TensorListMetadataILi1EEENS1_14UnaryOpFunctorIfLi1ELi1ELi0EEEJNS0_3ErfIfEEEEEvT_T0_DpT1_
		.amdhsa_group_segment_fixed_size 0
		.amdhsa_private_segment_fixed_size 0
		.amdhsa_kernarg_size 3632
		.amdhsa_user_sgpr_count 6
		.amdhsa_user_sgpr_private_segment_buffer 1
		.amdhsa_user_sgpr_dispatch_ptr 0
		.amdhsa_user_sgpr_queue_ptr 0
		.amdhsa_user_sgpr_kernarg_segment_ptr 1
		.amdhsa_user_sgpr_dispatch_id 0
		.amdhsa_user_sgpr_flat_scratch_init 0
		.amdhsa_user_sgpr_kernarg_preload_length 0
		.amdhsa_user_sgpr_kernarg_preload_offset 0
		.amdhsa_user_sgpr_private_segment_size 0
		.amdhsa_uses_dynamic_stack 0
		.amdhsa_system_sgpr_private_segment_wavefront_offset 0
		.amdhsa_system_sgpr_workgroup_id_x 1
		.amdhsa_system_sgpr_workgroup_id_y 0
		.amdhsa_system_sgpr_workgroup_id_z 0
		.amdhsa_system_sgpr_workgroup_info 0
		.amdhsa_system_vgpr_workitem_id 0
		.amdhsa_next_free_vgpr 28
		.amdhsa_next_free_sgpr 40
		.amdhsa_accum_offset 28
		.amdhsa_reserve_vcc 1
		.amdhsa_reserve_flat_scratch 0
		.amdhsa_float_round_mode_32 0
		.amdhsa_float_round_mode_16_64 0
		.amdhsa_float_denorm_mode_32 3
		.amdhsa_float_denorm_mode_16_64 3
		.amdhsa_dx10_clamp 1
		.amdhsa_ieee_mode 1
		.amdhsa_fp16_overflow 0
		.amdhsa_tg_split 0
		.amdhsa_exception_fp_ieee_invalid_op 0
		.amdhsa_exception_fp_denorm_src 0
		.amdhsa_exception_fp_ieee_div_zero 0
		.amdhsa_exception_fp_ieee_overflow 0
		.amdhsa_exception_fp_ieee_underflow 0
		.amdhsa_exception_fp_ieee_inexact 0
		.amdhsa_exception_int_div_zero 0
	.end_amdhsa_kernel
	.section	.text._ZN2at6native12_GLOBAL__N_125multi_tensor_apply_kernelINS1_18TensorListMetadataILi1EEENS1_14UnaryOpFunctorIfLi1ELi1ELi0EEEJNS0_3ErfIfEEEEEvT_T0_DpT1_,"axG",@progbits,_ZN2at6native12_GLOBAL__N_125multi_tensor_apply_kernelINS1_18TensorListMetadataILi1EEENS1_14UnaryOpFunctorIfLi1ELi1ELi0EEEJNS0_3ErfIfEEEEEvT_T0_DpT1_,comdat
.Lfunc_end243:
	.size	_ZN2at6native12_GLOBAL__N_125multi_tensor_apply_kernelINS1_18TensorListMetadataILi1EEENS1_14UnaryOpFunctorIfLi1ELi1ELi0EEEJNS0_3ErfIfEEEEEvT_T0_DpT1_, .Lfunc_end243-_ZN2at6native12_GLOBAL__N_125multi_tensor_apply_kernelINS1_18TensorListMetadataILi1EEENS1_14UnaryOpFunctorIfLi1ELi1ELi0EEEJNS0_3ErfIfEEEEEvT_T0_DpT1_
                                        ; -- End function
	.section	.AMDGPU.csdata,"",@progbits
; Kernel info:
; codeLenInByte = 3112
; NumSgprs: 44
; NumVgprs: 28
; NumAgprs: 0
; TotalNumVgprs: 28
; ScratchSize: 0
; MemoryBound: 0
; FloatMode: 240
; IeeeMode: 1
; LDSByteSize: 0 bytes/workgroup (compile time only)
; SGPRBlocks: 5
; VGPRBlocks: 3
; NumSGPRsForWavesPerEU: 44
; NumVGPRsForWavesPerEU: 28
; AccumOffset: 28
; Occupancy: 8
; WaveLimiterHint : 0
; COMPUTE_PGM_RSRC2:SCRATCH_EN: 0
; COMPUTE_PGM_RSRC2:USER_SGPR: 6
; COMPUTE_PGM_RSRC2:TRAP_HANDLER: 0
; COMPUTE_PGM_RSRC2:TGID_X_EN: 1
; COMPUTE_PGM_RSRC2:TGID_Y_EN: 0
; COMPUTE_PGM_RSRC2:TGID_Z_EN: 0
; COMPUTE_PGM_RSRC2:TIDIG_COMP_CNT: 0
; COMPUTE_PGM_RSRC3_GFX90A:ACCUM_OFFSET: 6
; COMPUTE_PGM_RSRC3_GFX90A:TG_SPLIT: 0
	.section	.text._ZN2at6native12_GLOBAL__N_125multi_tensor_apply_kernelINS1_18TensorListMetadataILi1EEENS1_14UnaryOpFunctorIN3c104HalfELi1ELi1ELi0EEEJNS0_3ErfIfEEEEEvT_T0_DpT1_,"axG",@progbits,_ZN2at6native12_GLOBAL__N_125multi_tensor_apply_kernelINS1_18TensorListMetadataILi1EEENS1_14UnaryOpFunctorIN3c104HalfELi1ELi1ELi0EEEJNS0_3ErfIfEEEEEvT_T0_DpT1_,comdat
	.globl	_ZN2at6native12_GLOBAL__N_125multi_tensor_apply_kernelINS1_18TensorListMetadataILi1EEENS1_14UnaryOpFunctorIN3c104HalfELi1ELi1ELi0EEEJNS0_3ErfIfEEEEEvT_T0_DpT1_ ; -- Begin function _ZN2at6native12_GLOBAL__N_125multi_tensor_apply_kernelINS1_18TensorListMetadataILi1EEENS1_14UnaryOpFunctorIN3c104HalfELi1ELi1ELi0EEEJNS0_3ErfIfEEEEEvT_T0_DpT1_
	.p2align	8
	.type	_ZN2at6native12_GLOBAL__N_125multi_tensor_apply_kernelINS1_18TensorListMetadataILi1EEENS1_14UnaryOpFunctorIN3c104HalfELi1ELi1ELi0EEEJNS0_3ErfIfEEEEEvT_T0_DpT1_,@function
_ZN2at6native12_GLOBAL__N_125multi_tensor_apply_kernelINS1_18TensorListMetadataILi1EEENS1_14UnaryOpFunctorIN3c104HalfELi1ELi1ELi0EEEJNS0_3ErfIfEEEEEvT_T0_DpT1_: ; @_ZN2at6native12_GLOBAL__N_125multi_tensor_apply_kernelINS1_18TensorListMetadataILi1EEENS1_14UnaryOpFunctorIN3c104HalfELi1ELi1ELi0EEEJNS0_3ErfIfEEEEEvT_T0_DpT1_
; %bb.0:
	v_mov_b32_e32 v1, s6
	global_load_ubyte v1, v1, s[4:5] offset:1760
	s_add_u32 s0, s4, s6
	s_mul_hi_u32 s1, s6, 3
	s_mul_i32 s6, s6, 3
	s_addc_u32 s2, s5, 0
	s_add_u32 s0, s0, s6
	s_addc_u32 s1, s2, s1
	s_load_dword s0, s[0:1], 0x820
	s_mov_b32 s7, 0
	s_waitcnt vmcnt(0)
	v_readfirstlane_b32 s2, v1
	s_lshl_b32 s1, s2, 3
	s_load_dwordx2 s[2:3], s[4:5], s1 offset:0x370
	s_load_dwordx2 s[12:13], s[4:5], s1 offset:0x0
	s_waitcnt lgkmcnt(0)
	s_ashr_i32 s1, s0, 31
	s_lshl_b64 s[14:15], s[0:1], 17
	s_lshl_b64 s[0:1], s[0:1], 16
	s_and_b32 s6, s12, 7
	s_sub_u32 s10, s2, s0
	s_subb_u32 s11, s3, s1
	s_and_b32 s0, s2, 3
	s_mov_b32 s1, s7
	s_or_b64 s[0:1], s[6:7], s[0:1]
	s_cmp_eq_u64 s[0:1], 0
	s_cbranch_scc1 .LBB244_37
; %bb.1:
	v_cmp_lt_i64_e64 s[0:1], s[10:11], 1
	s_and_b64 vcc, exec, s[0:1]
	s_cbranch_vccnz .LBB244_36
; %bb.2:
	s_load_dword s0, s[4:5], 0xd3c
	v_mov_b32_e32 v2, 0x10000
	v_mov_b32_e32 v3, 0
	v_cmp_lt_u64_e32 vcc, s[10:11], v[2:3]
	v_lshlrev_b32_e32 v1, 1, v0
	s_waitcnt lgkmcnt(0)
	s_and_b32 s2, s0, 0xffff
	s_and_b64 s[0:1], vcc, exec
	s_cselect_b32 s17, s11, 0
	s_cselect_b32 s16, s10, 0x10000
	s_lshl_b32 s3, s2, 1
	s_lshl_b32 s23, s2, 2
	s_add_u32 s6, s12, s14
	s_addc_u32 s7, s13, s15
	v_mov_b32_e32 v3, s7
	v_add_co_u32_e32 v2, vcc, s6, v1
	s_mul_i32 s0, s2, 3
	v_addc_co_u32_e32 v3, vcc, 0, v3, vcc
	v_add_co_u32_e32 v1, vcc, s0, v0
	v_addc_co_u32_e64 v6, s[0:1], 0, 0, vcc
	v_add_co_u32_e32 v7, vcc, s3, v0
	v_addc_co_u32_e64 v8, s[0:1], 0, 0, vcc
	v_add_co_u32_e32 v9, vcc, s2, v0
	v_lshlrev_b32_e32 v4, 1, v9
	s_mov_b32 s22, 0
	v_addc_co_u32_e64 v10, s[0:1], 0, 0, vcc
	v_mov_b32_e32 v5, s7
	v_add_co_u32_e32 v4, vcc, s6, v4
	s_lshl_b32 s24, s2, 3
	s_mov_b32 s25, s22
	s_mul_i32 s26, s2, 6
	s_mov_b32 s27, s22
	v_addc_co_u32_e32 v5, vcc, 0, v5, vcc
	s_mov_b64 s[18:19], 0
	s_mov_b32 s28, 0x378e98ab
	s_mov_b32 s29, 0x3b7cd369
	;; [unrolled: 1-line block ×9, first 2 shown]
	v_mov_b32_e32 v11, 0xbcdac9b8
	v_mov_b32_e32 v12, 0x3de703be
	;; [unrolled: 1-line block ×4, first 2 shown]
	s_movk_i32 s38, 0x7fff
	v_mov_b32_e32 v15, 0xb9c68948
	v_mov_b32_e32 v16, 0x7f800000
	s_branch .LBB244_4
.LBB244_3:                              ;   in Loop: Header=BB244_4 Depth=1
	s_or_b64 exec, exec, s[0:1]
	s_add_u32 s18, s18, s23
	s_addc_u32 s19, s19, 0
	v_pk_mov_b32 v[18:19], s[10:11], s[10:11] op_sel:[0,1]
	v_cmp_ge_i64_e32 vcc, s[18:19], v[18:19]
	v_mov_b32_e32 v18, 0xffff
	v_mov_b32_e32 v19, 0
	v_cmp_gt_u64_e64 s[0:1], s[18:19], v[18:19]
	s_or_b64 s[0:1], vcc, s[0:1]
	v_mov_b32_e32 v17, s25
	v_add_co_u32_e32 v2, vcc, s24, v2
	v_addc_co_u32_e32 v3, vcc, v3, v17, vcc
	v_add_co_u32_e32 v4, vcc, s24, v4
	v_addc_co_u32_e32 v5, vcc, v5, v17, vcc
	s_and_b64 vcc, exec, s[0:1]
	s_cbranch_vccnz .LBB244_36
.LBB244_4:                              ; =>This Inner Loop Header: Depth=1
	v_mov_b32_e32 v17, s19
	v_add_co_u32_e32 v18, vcc, s18, v0
	v_addc_co_u32_e32 v19, vcc, 0, v17, vcc
	v_cmp_gt_u64_e32 vcc, s[16:17], v[18:19]
	v_mov_b32_e32 v17, 0
	s_and_saveexec_b64 s[0:1], vcc
	s_cbranch_execz .LBB244_6
; %bb.5:                                ;   in Loop: Header=BB244_4 Depth=1
	global_load_ushort v17, v[2:3], off
.LBB244_6:                              ;   in Loop: Header=BB244_4 Depth=1
	s_or_b64 exec, exec, s[0:1]
	v_mov_b32_e32 v19, s19
	v_add_co_u32_e64 v18, s[0:1], s18, v9
	v_addc_co_u32_e64 v19, s[0:1], v10, v19, s[0:1]
	v_cmp_gt_u64_e64 s[0:1], s[16:17], v[18:19]
	v_mov_b32_e32 v20, 0
	s_and_saveexec_b64 s[2:3], s[0:1]
	s_cbranch_execz .LBB244_8
; %bb.7:                                ;   in Loop: Header=BB244_4 Depth=1
	global_load_ushort v20, v[4:5], off
.LBB244_8:                              ;   in Loop: Header=BB244_4 Depth=1
	s_or_b64 exec, exec, s[2:3]
	v_mov_b32_e32 v19, s19
	v_add_co_u32_e64 v18, s[2:3], s18, v7
	v_addc_co_u32_e64 v19, s[2:3], v8, v19, s[2:3]
	v_cmp_gt_u64_e64 s[2:3], s[16:17], v[18:19]
	v_mov_b32_e32 v18, 0
	v_mov_b32_e32 v22, 0
	s_and_saveexec_b64 s[8:9], s[2:3]
	s_cbranch_execz .LBB244_10
; %bb.9:                                ;   in Loop: Header=BB244_4 Depth=1
	v_mov_b32_e32 v19, s22
	v_add_co_u32_e64 v22, s[6:7], s23, v2
	v_addc_co_u32_e64 v23, s[6:7], v3, v19, s[6:7]
	global_load_ushort v22, v[22:23], off
.LBB244_10:                             ;   in Loop: Header=BB244_4 Depth=1
	s_or_b64 exec, exec, s[8:9]
	v_mov_b32_e32 v19, s19
	v_add_co_u32_e64 v24, s[6:7], s18, v1
	v_addc_co_u32_e64 v25, s[6:7], v6, v19, s[6:7]
	v_cmp_gt_u64_e64 s[6:7], s[16:17], v[24:25]
	s_and_saveexec_b64 s[20:21], s[6:7]
	s_cbranch_execz .LBB244_12
; %bb.11:                               ;   in Loop: Header=BB244_4 Depth=1
	v_mov_b32_e32 v19, s27
	v_add_co_u32_e64 v18, s[8:9], s26, v2
	v_addc_co_u32_e64 v19, s[8:9], v3, v19, s[8:9]
	global_load_ushort v18, v[18:19], off
.LBB244_12:                             ;   in Loop: Header=BB244_4 Depth=1
	s_or_b64 exec, exec, s[20:21]
	s_waitcnt vmcnt(0)
	v_cvt_f32_f16_e32 v17, v17
                                        ; implicit-def: $vgpr19
	v_cmp_nlt_f32_e64 s[8:9], |v17|, 1.0
	s_and_saveexec_b64 s[20:21], s[8:9]
	s_xor_b64 s[20:21], exec, s[20:21]
	s_cbranch_execz .LBB244_14
; %bb.13:                               ;   in Loop: Header=BB244_4 Depth=1
	v_fma_f32 v19, |v17|, s28, v15
	v_fma_f32 v19, |v17|, v19, s29
	;; [unrolled: 1-line block ×6, first 2 shown]
	v_fma_f32 v19, |v17|, v19, |v17|
	v_mul_f32_e32 v21, 0xbfb8aa3b, v19
	v_fma_f32 v23, v19, s35, -v21
	v_rndne_f32_e32 v24, v21
	v_fmac_f32_e32 v23, 0xb2a5705f, v19
	v_sub_f32_e32 v21, v21, v24
	v_add_f32_e32 v21, v21, v23
	v_cvt_i32_f32_e32 v23, v24
	v_exp_f32_e32 v21, v21
	v_cmp_nlt_f32_e64 s[8:9], s36, v19
	v_ldexp_f32 v21, v21, v23
	v_cndmask_b32_e64 v21, 0, v21, s[8:9]
	v_cmp_ngt_f32_e64 s[8:9], s37, v19
	v_cndmask_b32_e64 v19, v16, v21, s[8:9]
	v_sub_f32_e32 v19, 1.0, v19
.LBB244_14:                             ;   in Loop: Header=BB244_4 Depth=1
	s_andn2_saveexec_b64 s[8:9], s[20:21]
; %bb.15:                               ;   in Loop: Header=BB244_4 Depth=1
	v_mul_f32_e32 v19, v17, v17
	v_mov_b32_e32 v21, 0x3ba10414
	v_fmac_f32_e32 v21, 0xba1345e1, v19
	v_fma_f32 v21, v19, v21, v11
	v_fma_f32 v21, v19, v21, v12
	;; [unrolled: 1-line block ×4, first 2 shown]
	v_fma_f32 v19, |v17|, v19, |v17|
; %bb.16:                               ;   in Loop: Header=BB244_4 Depth=1
	s_or_b64 exec, exec, s[8:9]
	v_cvt_f32_f16_e32 v20, v20
                                        ; implicit-def: $vgpr21
	v_cmp_nlt_f32_e64 s[8:9], |v20|, 1.0
	s_and_saveexec_b64 s[20:21], s[8:9]
	s_xor_b64 s[20:21], exec, s[20:21]
	s_cbranch_execz .LBB244_18
; %bb.17:                               ;   in Loop: Header=BB244_4 Depth=1
	v_fma_f32 v21, |v20|, s28, v15
	v_fma_f32 v21, |v20|, v21, s29
	;; [unrolled: 1-line block ×6, first 2 shown]
	v_fma_f32 v21, |v20|, v21, |v20|
	v_mul_f32_e32 v23, 0xbfb8aa3b, v21
	v_fma_f32 v24, v21, s35, -v23
	v_rndne_f32_e32 v25, v23
	v_fmac_f32_e32 v24, 0xb2a5705f, v21
	v_sub_f32_e32 v23, v23, v25
	v_add_f32_e32 v23, v23, v24
	v_cvt_i32_f32_e32 v24, v25
	v_exp_f32_e32 v23, v23
	v_cmp_nlt_f32_e64 s[8:9], s36, v21
	v_ldexp_f32 v23, v23, v24
	v_cndmask_b32_e64 v23, 0, v23, s[8:9]
	v_cmp_ngt_f32_e64 s[8:9], s37, v21
	v_cndmask_b32_e64 v21, v16, v23, s[8:9]
	v_sub_f32_e32 v21, 1.0, v21
.LBB244_18:                             ;   in Loop: Header=BB244_4 Depth=1
	s_andn2_saveexec_b64 s[8:9], s[20:21]
; %bb.19:                               ;   in Loop: Header=BB244_4 Depth=1
	v_mul_f32_e32 v21, v20, v20
	v_mov_b32_e32 v23, 0x3ba10414
	v_fmac_f32_e32 v23, 0xba1345e1, v21
	v_fma_f32 v23, v21, v23, v11
	v_fma_f32 v23, v21, v23, v12
	;; [unrolled: 1-line block ×4, first 2 shown]
	v_fma_f32 v21, |v20|, v21, |v20|
; %bb.20:                               ;   in Loop: Header=BB244_4 Depth=1
	s_or_b64 exec, exec, s[8:9]
	v_cvt_f32_f16_e32 v22, v22
                                        ; implicit-def: $vgpr23
	v_cmp_nlt_f32_e64 s[8:9], |v22|, 1.0
	s_and_saveexec_b64 s[20:21], s[8:9]
	s_xor_b64 s[20:21], exec, s[20:21]
	s_cbranch_execz .LBB244_22
; %bb.21:                               ;   in Loop: Header=BB244_4 Depth=1
	v_fma_f32 v23, |v22|, s28, v15
	v_fma_f32 v23, |v22|, v23, s29
	;; [unrolled: 1-line block ×6, first 2 shown]
	v_fma_f32 v23, |v22|, v23, |v22|
	v_mul_f32_e32 v24, 0xbfb8aa3b, v23
	v_fma_f32 v25, v23, s35, -v24
	v_rndne_f32_e32 v26, v24
	v_fmac_f32_e32 v25, 0xb2a5705f, v23
	v_sub_f32_e32 v24, v24, v26
	v_add_f32_e32 v24, v24, v25
	v_cvt_i32_f32_e32 v25, v26
	v_exp_f32_e32 v24, v24
	v_cmp_nlt_f32_e64 s[8:9], s36, v23
	v_ldexp_f32 v24, v24, v25
	v_cndmask_b32_e64 v24, 0, v24, s[8:9]
	v_cmp_ngt_f32_e64 s[8:9], s37, v23
	v_cndmask_b32_e64 v23, v16, v24, s[8:9]
	v_sub_f32_e32 v23, 1.0, v23
.LBB244_22:                             ;   in Loop: Header=BB244_4 Depth=1
	s_andn2_saveexec_b64 s[8:9], s[20:21]
; %bb.23:                               ;   in Loop: Header=BB244_4 Depth=1
	v_mul_f32_e32 v23, v22, v22
	v_mov_b32_e32 v24, 0x3ba10414
	v_fmac_f32_e32 v24, 0xba1345e1, v23
	v_fma_f32 v24, v23, v24, v11
	v_fma_f32 v24, v23, v24, v12
	;; [unrolled: 1-line block ×4, first 2 shown]
	v_fma_f32 v23, |v22|, v23, |v22|
; %bb.24:                               ;   in Loop: Header=BB244_4 Depth=1
	s_or_b64 exec, exec, s[8:9]
	v_cvt_f32_f16_e32 v18, v18
                                        ; implicit-def: $vgpr24
	v_cmp_nlt_f32_e64 s[8:9], |v18|, 1.0
	s_and_saveexec_b64 s[20:21], s[8:9]
	s_xor_b64 s[20:21], exec, s[20:21]
	s_cbranch_execnz .LBB244_30
; %bb.25:                               ;   in Loop: Header=BB244_4 Depth=1
	s_andn2_saveexec_b64 s[8:9], s[20:21]
	s_cbranch_execnz .LBB244_31
.LBB244_26:                             ;   in Loop: Header=BB244_4 Depth=1
	s_or_b64 exec, exec, s[8:9]
	s_and_saveexec_b64 s[8:9], vcc
	s_xor_b64 s[8:9], exec, s[8:9]
	s_cbranch_execnz .LBB244_32
.LBB244_27:                             ;   in Loop: Header=BB244_4 Depth=1
	s_or_b64 exec, exec, s[8:9]
	s_and_saveexec_b64 s[8:9], s[0:1]
	s_cbranch_execnz .LBB244_33
.LBB244_28:                             ;   in Loop: Header=BB244_4 Depth=1
	s_or_b64 exec, exec, s[8:9]
	s_and_saveexec_b64 s[0:1], s[2:3]
	s_cbranch_execnz .LBB244_34
.LBB244_29:                             ;   in Loop: Header=BB244_4 Depth=1
	s_or_b64 exec, exec, s[0:1]
	s_and_saveexec_b64 s[0:1], s[6:7]
	s_cbranch_execz .LBB244_3
	s_branch .LBB244_35
.LBB244_30:                             ;   in Loop: Header=BB244_4 Depth=1
	v_fma_f32 v24, |v18|, s28, v15
	v_fma_f32 v24, |v18|, v24, s29
	;; [unrolled: 1-line block ×6, first 2 shown]
	v_fma_f32 v24, |v18|, v24, |v18|
	v_mul_f32_e32 v25, 0xbfb8aa3b, v24
	v_fma_f32 v26, v24, s35, -v25
	v_rndne_f32_e32 v27, v25
	v_fmac_f32_e32 v26, 0xb2a5705f, v24
	v_sub_f32_e32 v25, v25, v27
	v_add_f32_e32 v25, v25, v26
	v_cvt_i32_f32_e32 v26, v27
	v_exp_f32_e32 v25, v25
	v_cmp_nlt_f32_e64 s[8:9], s36, v24
	v_ldexp_f32 v25, v25, v26
	v_cndmask_b32_e64 v25, 0, v25, s[8:9]
	v_cmp_ngt_f32_e64 s[8:9], s37, v24
	v_cndmask_b32_e64 v24, v16, v25, s[8:9]
	v_sub_f32_e32 v24, 1.0, v24
	s_andn2_saveexec_b64 s[8:9], s[20:21]
	s_cbranch_execz .LBB244_26
.LBB244_31:                             ;   in Loop: Header=BB244_4 Depth=1
	v_mul_f32_e32 v24, v18, v18
	v_mov_b32_e32 v25, 0x3ba10414
	v_fmac_f32_e32 v25, 0xba1345e1, v24
	v_fma_f32 v25, v24, v25, v11
	v_fma_f32 v25, v24, v25, v12
	;; [unrolled: 1-line block ×4, first 2 shown]
	v_fma_f32 v24, |v18|, v24, |v18|
	s_or_b64 exec, exec, s[8:9]
	s_and_saveexec_b64 s[8:9], vcc
	s_xor_b64 s[8:9], exec, s[8:9]
	s_cbranch_execz .LBB244_27
.LBB244_32:                             ;   in Loop: Header=BB244_4 Depth=1
	v_cvt_f16_f32_e32 v19, v19
	v_lshrrev_b32_e32 v17, 16, v17
	v_bfi_b32 v17, s38, v19, v17
	global_store_short v[2:3], v17, off
	s_or_b64 exec, exec, s[8:9]
	s_and_saveexec_b64 s[8:9], s[0:1]
	s_cbranch_execz .LBB244_28
.LBB244_33:                             ;   in Loop: Header=BB244_4 Depth=1
	v_cvt_f16_f32_e32 v17, v21
	v_lshrrev_b32_e32 v19, 16, v20
	v_bfi_b32 v17, s38, v17, v19
	global_store_short v[4:5], v17, off
	s_or_b64 exec, exec, s[8:9]
	s_and_saveexec_b64 s[0:1], s[2:3]
	s_cbranch_execz .LBB244_29
.LBB244_34:                             ;   in Loop: Header=BB244_4 Depth=1
	v_cvt_f16_f32_e32 v17, v23
	v_lshrrev_b32_e32 v19, 16, v22
	v_mov_b32_e32 v21, s22
	v_add_co_u32_e32 v20, vcc, s23, v2
	v_bfi_b32 v17, s38, v17, v19
	v_addc_co_u32_e32 v21, vcc, v3, v21, vcc
	global_store_short v[20:21], v17, off
	s_or_b64 exec, exec, s[0:1]
	s_and_saveexec_b64 s[0:1], s[6:7]
	s_cbranch_execz .LBB244_3
.LBB244_35:                             ;   in Loop: Header=BB244_4 Depth=1
	v_cvt_f16_f32_e32 v17, v24
	v_lshrrev_b32_e32 v18, 16, v18
	v_mov_b32_e32 v19, s27
	v_bfi_b32 v17, s38, v17, v18
	v_add_co_u32_e32 v18, vcc, s26, v2
	v_addc_co_u32_e32 v19, vcc, v3, v19, vcc
	global_store_short v[18:19], v17, off
	s_branch .LBB244_3
.LBB244_36:
	s_cbranch_execz .LBB244_38
	s_branch .LBB244_57
.LBB244_37:
.LBB244_38:
	v_mov_b32_e32 v3, 0
	v_lshlrev_b32_e32 v2, 2, v0
	s_mov_b32 s0, 0
	v_cmp_gt_i64_e32 vcc, s[10:11], v[2:3]
	s_and_saveexec_b64 s[2:3], vcc
	s_cbranch_execz .LBB244_57
; %bb.39:
	s_load_dword s1, s[4:5], 0xd3c
	v_lshlrev_b32_e32 v1, 3, v0
	s_mov_b32 s8, 0x378e98ab
	s_mov_b32 s9, 0x3b7cd369
	;; [unrolled: 1-line block ×3, first 2 shown]
	s_waitcnt lgkmcnt(0)
	s_and_b32 s1, s1, 0xffff
	s_lshl_b32 s6, s1, 2
	s_add_u32 s2, s12, s14
	s_addc_u32 s3, s13, s15
	v_add_lshl_u32 v2, v0, s1, 2
	v_mov_b32_e32 v0, s3
	v_add_co_u32_e32 v1, vcc, s2, v1
	v_addc_co_u32_e32 v4, vcc, 0, v0, vcc
	v_add_co_u32_e32 v0, vcc, 4, v1
	v_addc_co_u32_e32 v1, vcc, 0, v4, vcc
	s_lshl_b32 s7, s1, 3
	s_mov_b64 s[2:3], 0
	s_mov_b32 s12, 0xbcc618b2
	s_mov_b32 s13, 0x3dda74e4
	;; [unrolled: 1-line block ×6, first 2 shown]
	v_mov_b32_e32 v6, 0xbcdac9b8
	v_mov_b32_e32 v7, 0x3de703be
	v_mov_b32_e32 v8, 0xbec09330
	v_mov_b32_e32 v9, 0x3e0375d0
	s_movk_i32 s19, 0x7fff
	s_mov_b64 s[4:5], 0xffff
	v_mov_b32_e32 v10, s0
	v_mov_b32_e32 v11, s0
	;; [unrolled: 1-line block ×4, first 2 shown]
	s_branch .LBB244_41
.LBB244_40:                             ;   in Loop: Header=BB244_41 Depth=1
	s_or_b64 exec, exec, s[0:1]
	v_cvt_f16_f32_e32 v16, v16
	v_lshrrev_b32_e32 v4, 16, v4
	v_cvt_f16_f32_e32 v18, v18
	v_cvt_f16_f32_e32 v15, v15
	v_bfi_b32 v4, s19, v16, v4
	v_cvt_f16_f32_e32 v16, v19
	v_lshrrev_b32_e32 v17, 16, v17
	v_lshrrev_b32_e32 v14, 16, v14
	;; [unrolled: 1-line block ×3, first 2 shown]
	v_cmp_le_i64_e32 vcc, s[10:11], v[2:3]
	v_cmp_lt_u64_e64 s[0:1], s[4:5], v[2:3]
	v_bfi_b32 v17, s19, v18, v17
	v_bfi_b32 v14, s19, v15, v14
	;; [unrolled: 1-line block ×3, first 2 shown]
	s_or_b64 s[0:1], vcc, s[0:1]
	v_add_co_u32_e32 v2, vcc, s6, v2
	v_pack_b32_f16 v5, v17, v5
	v_pack_b32_f16 v4, v14, v4
	v_addc_co_u32_e32 v3, vcc, v3, v10, vcc
	global_store_dwordx2 v[0:1], v[4:5], off offset:-4
	s_and_b64 s[0:1], exec, s[0:1]
	v_add_co_u32_e32 v0, vcc, s7, v0
	s_or_b64 s[2:3], s[0:1], s[2:3]
	v_addc_co_u32_e32 v1, vcc, v1, v11, vcc
	s_andn2_b64 exec, exec, s[2:3]
	s_cbranch_execz .LBB244_57
.LBB244_41:                             ; =>This Inner Loop Header: Depth=1
	global_load_dwordx2 v[4:5], v[0:1], off offset:-4
                                        ; implicit-def: $vgpr15
	s_waitcnt vmcnt(0)
	v_cvt_f32_f16_e32 v14, v4
	v_cmp_nlt_f32_e64 s[0:1], |v14|, 1.0
	s_and_saveexec_b64 s[20:21], s[0:1]
	s_xor_b64 s[0:1], exec, s[20:21]
	s_cbranch_execz .LBB244_43
; %bb.42:                               ;   in Loop: Header=BB244_41 Depth=1
	v_fma_f32 v15, |v14|, s8, v12
	v_fma_f32 v15, |v14|, v15, s9
	;; [unrolled: 1-line block ×6, first 2 shown]
	v_fma_f32 v15, |v14|, v15, |v14|
	v_mul_f32_e32 v16, 0xbfb8aa3b, v15
	v_fma_f32 v17, v15, s16, -v16
	v_rndne_f32_e32 v18, v16
	v_fmac_f32_e32 v17, 0xb2a5705f, v15
	v_sub_f32_e32 v16, v16, v18
	v_add_f32_e32 v16, v16, v17
	v_cvt_i32_f32_e32 v17, v18
	v_exp_f32_e32 v16, v16
	v_cmp_nlt_f32_e32 vcc, s17, v15
	v_ldexp_f32 v16, v16, v17
	v_cndmask_b32_e32 v16, 0, v16, vcc
	v_cmp_ngt_f32_e32 vcc, s18, v15
	v_cndmask_b32_e32 v15, v13, v16, vcc
	v_sub_f32_e32 v15, 1.0, v15
.LBB244_43:                             ;   in Loop: Header=BB244_41 Depth=1
	s_andn2_saveexec_b64 s[0:1], s[0:1]
; %bb.44:                               ;   in Loop: Header=BB244_41 Depth=1
	v_mul_f32_e32 v15, v14, v14
	v_mov_b32_e32 v16, 0x3ba10414
	v_fmac_f32_e32 v16, 0xba1345e1, v15
	v_fma_f32 v16, v15, v16, v6
	v_fma_f32 v16, v15, v16, v7
	;; [unrolled: 1-line block ×4, first 2 shown]
	v_fma_f32 v15, |v14|, v15, |v14|
; %bb.45:                               ;   in Loop: Header=BB244_41 Depth=1
	s_or_b64 exec, exec, s[0:1]
	v_cvt_f32_f16_sdwa v4, v4 dst_sel:DWORD dst_unused:UNUSED_PAD src0_sel:WORD_1
                                        ; implicit-def: $vgpr16
	v_cmp_nlt_f32_e64 s[0:1], |v4|, 1.0
	s_and_saveexec_b64 s[20:21], s[0:1]
	s_xor_b64 s[0:1], exec, s[20:21]
	s_cbranch_execz .LBB244_47
; %bb.46:                               ;   in Loop: Header=BB244_41 Depth=1
	v_fma_f32 v16, |v4|, s8, v12
	v_fma_f32 v16, |v4|, v16, s9
	;; [unrolled: 1-line block ×6, first 2 shown]
	v_fma_f32 v16, |v4|, v16, |v4|
	v_mul_f32_e32 v17, 0xbfb8aa3b, v16
	v_fma_f32 v18, v16, s16, -v17
	v_rndne_f32_e32 v19, v17
	v_fmac_f32_e32 v18, 0xb2a5705f, v16
	v_sub_f32_e32 v17, v17, v19
	v_add_f32_e32 v17, v17, v18
	v_cvt_i32_f32_e32 v18, v19
	v_exp_f32_e32 v17, v17
	v_cmp_nlt_f32_e32 vcc, s17, v16
	v_ldexp_f32 v17, v17, v18
	v_cndmask_b32_e32 v17, 0, v17, vcc
	v_cmp_ngt_f32_e32 vcc, s18, v16
	v_cndmask_b32_e32 v16, v13, v17, vcc
	v_sub_f32_e32 v16, 1.0, v16
.LBB244_47:                             ;   in Loop: Header=BB244_41 Depth=1
	s_andn2_saveexec_b64 s[0:1], s[0:1]
; %bb.48:                               ;   in Loop: Header=BB244_41 Depth=1
	v_mul_f32_e32 v16, v4, v4
	v_mov_b32_e32 v17, 0x3ba10414
	v_fmac_f32_e32 v17, 0xba1345e1, v16
	v_fma_f32 v17, v16, v17, v6
	v_fma_f32 v17, v16, v17, v7
	;; [unrolled: 1-line block ×4, first 2 shown]
	v_fma_f32 v16, |v4|, v16, |v4|
; %bb.49:                               ;   in Loop: Header=BB244_41 Depth=1
	s_or_b64 exec, exec, s[0:1]
	v_cvt_f32_f16_e32 v17, v5
                                        ; implicit-def: $vgpr18
	v_cmp_nlt_f32_e64 s[0:1], |v17|, 1.0
	s_and_saveexec_b64 s[20:21], s[0:1]
	s_xor_b64 s[0:1], exec, s[20:21]
	s_cbranch_execz .LBB244_51
; %bb.50:                               ;   in Loop: Header=BB244_41 Depth=1
	v_fma_f32 v18, |v17|, s8, v12
	v_fma_f32 v18, |v17|, v18, s9
	;; [unrolled: 1-line block ×6, first 2 shown]
	v_fma_f32 v18, |v17|, v18, |v17|
	v_mul_f32_e32 v19, 0xbfb8aa3b, v18
	v_fma_f32 v20, v18, s16, -v19
	v_rndne_f32_e32 v21, v19
	v_fmac_f32_e32 v20, 0xb2a5705f, v18
	v_sub_f32_e32 v19, v19, v21
	v_add_f32_e32 v19, v19, v20
	v_cvt_i32_f32_e32 v20, v21
	v_exp_f32_e32 v19, v19
	v_cmp_nlt_f32_e32 vcc, s17, v18
	v_ldexp_f32 v19, v19, v20
	v_cndmask_b32_e32 v19, 0, v19, vcc
	v_cmp_ngt_f32_e32 vcc, s18, v18
	v_cndmask_b32_e32 v18, v13, v19, vcc
	v_sub_f32_e32 v18, 1.0, v18
.LBB244_51:                             ;   in Loop: Header=BB244_41 Depth=1
	s_andn2_saveexec_b64 s[0:1], s[0:1]
; %bb.52:                               ;   in Loop: Header=BB244_41 Depth=1
	v_mul_f32_e32 v18, v17, v17
	v_mov_b32_e32 v19, 0x3ba10414
	v_fmac_f32_e32 v19, 0xba1345e1, v18
	v_fma_f32 v19, v18, v19, v6
	v_fma_f32 v19, v18, v19, v7
	;; [unrolled: 1-line block ×4, first 2 shown]
	v_fma_f32 v18, |v17|, v18, |v17|
; %bb.53:                               ;   in Loop: Header=BB244_41 Depth=1
	s_or_b64 exec, exec, s[0:1]
	v_cvt_f32_f16_sdwa v5, v5 dst_sel:DWORD dst_unused:UNUSED_PAD src0_sel:WORD_1
                                        ; implicit-def: $vgpr19
	v_cmp_nlt_f32_e64 s[0:1], |v5|, 1.0
	s_and_saveexec_b64 s[20:21], s[0:1]
	s_xor_b64 s[0:1], exec, s[20:21]
	s_cbranch_execz .LBB244_55
; %bb.54:                               ;   in Loop: Header=BB244_41 Depth=1
	v_fma_f32 v19, |v5|, s8, v12
	v_fma_f32 v19, |v5|, v19, s9
	;; [unrolled: 1-line block ×6, first 2 shown]
	v_fma_f32 v19, |v5|, v19, |v5|
	v_mul_f32_e32 v20, 0xbfb8aa3b, v19
	v_fma_f32 v21, v19, s16, -v20
	v_rndne_f32_e32 v22, v20
	v_fmac_f32_e32 v21, 0xb2a5705f, v19
	v_sub_f32_e32 v20, v20, v22
	v_add_f32_e32 v20, v20, v21
	v_cvt_i32_f32_e32 v21, v22
	v_exp_f32_e32 v20, v20
	v_cmp_nlt_f32_e32 vcc, s17, v19
	v_ldexp_f32 v20, v20, v21
	v_cndmask_b32_e32 v20, 0, v20, vcc
	v_cmp_ngt_f32_e32 vcc, s18, v19
	v_cndmask_b32_e32 v19, v13, v20, vcc
	v_sub_f32_e32 v19, 1.0, v19
.LBB244_55:                             ;   in Loop: Header=BB244_41 Depth=1
	s_andn2_saveexec_b64 s[0:1], s[0:1]
	s_cbranch_execz .LBB244_40
; %bb.56:                               ;   in Loop: Header=BB244_41 Depth=1
	v_mul_f32_e32 v19, v5, v5
	v_mov_b32_e32 v20, 0x3ba10414
	v_fmac_f32_e32 v20, 0xba1345e1, v19
	v_fma_f32 v20, v19, v20, v6
	v_fma_f32 v20, v19, v20, v7
	;; [unrolled: 1-line block ×4, first 2 shown]
	v_fma_f32 v19, |v5|, v19, |v5|
	s_branch .LBB244_40
.LBB244_57:
	s_endpgm
	.section	.rodata,"a",@progbits
	.p2align	6, 0x0
	.amdhsa_kernel _ZN2at6native12_GLOBAL__N_125multi_tensor_apply_kernelINS1_18TensorListMetadataILi1EEENS1_14UnaryOpFunctorIN3c104HalfELi1ELi1ELi0EEEJNS0_3ErfIfEEEEEvT_T0_DpT1_
		.amdhsa_group_segment_fixed_size 0
		.amdhsa_private_segment_fixed_size 0
		.amdhsa_kernarg_size 3632
		.amdhsa_user_sgpr_count 6
		.amdhsa_user_sgpr_private_segment_buffer 1
		.amdhsa_user_sgpr_dispatch_ptr 0
		.amdhsa_user_sgpr_queue_ptr 0
		.amdhsa_user_sgpr_kernarg_segment_ptr 1
		.amdhsa_user_sgpr_dispatch_id 0
		.amdhsa_user_sgpr_flat_scratch_init 0
		.amdhsa_user_sgpr_kernarg_preload_length 0
		.amdhsa_user_sgpr_kernarg_preload_offset 0
		.amdhsa_user_sgpr_private_segment_size 0
		.amdhsa_uses_dynamic_stack 0
		.amdhsa_system_sgpr_private_segment_wavefront_offset 0
		.amdhsa_system_sgpr_workgroup_id_x 1
		.amdhsa_system_sgpr_workgroup_id_y 0
		.amdhsa_system_sgpr_workgroup_id_z 0
		.amdhsa_system_sgpr_workgroup_info 0
		.amdhsa_system_vgpr_workitem_id 0
		.amdhsa_next_free_vgpr 28
		.amdhsa_next_free_sgpr 39
		.amdhsa_accum_offset 28
		.amdhsa_reserve_vcc 1
		.amdhsa_reserve_flat_scratch 0
		.amdhsa_float_round_mode_32 0
		.amdhsa_float_round_mode_16_64 0
		.amdhsa_float_denorm_mode_32 3
		.amdhsa_float_denorm_mode_16_64 3
		.amdhsa_dx10_clamp 1
		.amdhsa_ieee_mode 1
		.amdhsa_fp16_overflow 0
		.amdhsa_tg_split 0
		.amdhsa_exception_fp_ieee_invalid_op 0
		.amdhsa_exception_fp_denorm_src 0
		.amdhsa_exception_fp_ieee_div_zero 0
		.amdhsa_exception_fp_ieee_overflow 0
		.amdhsa_exception_fp_ieee_underflow 0
		.amdhsa_exception_fp_ieee_inexact 0
		.amdhsa_exception_int_div_zero 0
	.end_amdhsa_kernel
	.section	.text._ZN2at6native12_GLOBAL__N_125multi_tensor_apply_kernelINS1_18TensorListMetadataILi1EEENS1_14UnaryOpFunctorIN3c104HalfELi1ELi1ELi0EEEJNS0_3ErfIfEEEEEvT_T0_DpT1_,"axG",@progbits,_ZN2at6native12_GLOBAL__N_125multi_tensor_apply_kernelINS1_18TensorListMetadataILi1EEENS1_14UnaryOpFunctorIN3c104HalfELi1ELi1ELi0EEEJNS0_3ErfIfEEEEEvT_T0_DpT1_,comdat
.Lfunc_end244:
	.size	_ZN2at6native12_GLOBAL__N_125multi_tensor_apply_kernelINS1_18TensorListMetadataILi1EEENS1_14UnaryOpFunctorIN3c104HalfELi1ELi1ELi0EEEJNS0_3ErfIfEEEEEvT_T0_DpT1_, .Lfunc_end244-_ZN2at6native12_GLOBAL__N_125multi_tensor_apply_kernelINS1_18TensorListMetadataILi1EEENS1_14UnaryOpFunctorIN3c104HalfELi1ELi1ELi0EEEJNS0_3ErfIfEEEEEvT_T0_DpT1_
                                        ; -- End function
	.section	.AMDGPU.csdata,"",@progbits
; Kernel info:
; codeLenInByte = 3228
; NumSgprs: 43
; NumVgprs: 28
; NumAgprs: 0
; TotalNumVgprs: 28
; ScratchSize: 0
; MemoryBound: 0
; FloatMode: 240
; IeeeMode: 1
; LDSByteSize: 0 bytes/workgroup (compile time only)
; SGPRBlocks: 5
; VGPRBlocks: 3
; NumSGPRsForWavesPerEU: 43
; NumVGPRsForWavesPerEU: 28
; AccumOffset: 28
; Occupancy: 8
; WaveLimiterHint : 0
; COMPUTE_PGM_RSRC2:SCRATCH_EN: 0
; COMPUTE_PGM_RSRC2:USER_SGPR: 6
; COMPUTE_PGM_RSRC2:TRAP_HANDLER: 0
; COMPUTE_PGM_RSRC2:TGID_X_EN: 1
; COMPUTE_PGM_RSRC2:TGID_Y_EN: 0
; COMPUTE_PGM_RSRC2:TGID_Z_EN: 0
; COMPUTE_PGM_RSRC2:TIDIG_COMP_CNT: 0
; COMPUTE_PGM_RSRC3_GFX90A:ACCUM_OFFSET: 6
; COMPUTE_PGM_RSRC3_GFX90A:TG_SPLIT: 0
	.section	.text._ZN2at6native12_GLOBAL__N_125multi_tensor_apply_kernelINS1_18TensorListMetadataILi1EEENS1_14UnaryOpFunctorIN3c108BFloat16ELi1ELi1ELi0EEEJNS0_3ErfIfEEEEEvT_T0_DpT1_,"axG",@progbits,_ZN2at6native12_GLOBAL__N_125multi_tensor_apply_kernelINS1_18TensorListMetadataILi1EEENS1_14UnaryOpFunctorIN3c108BFloat16ELi1ELi1ELi0EEEJNS0_3ErfIfEEEEEvT_T0_DpT1_,comdat
	.globl	_ZN2at6native12_GLOBAL__N_125multi_tensor_apply_kernelINS1_18TensorListMetadataILi1EEENS1_14UnaryOpFunctorIN3c108BFloat16ELi1ELi1ELi0EEEJNS0_3ErfIfEEEEEvT_T0_DpT1_ ; -- Begin function _ZN2at6native12_GLOBAL__N_125multi_tensor_apply_kernelINS1_18TensorListMetadataILi1EEENS1_14UnaryOpFunctorIN3c108BFloat16ELi1ELi1ELi0EEEJNS0_3ErfIfEEEEEvT_T0_DpT1_
	.p2align	8
	.type	_ZN2at6native12_GLOBAL__N_125multi_tensor_apply_kernelINS1_18TensorListMetadataILi1EEENS1_14UnaryOpFunctorIN3c108BFloat16ELi1ELi1ELi0EEEJNS0_3ErfIfEEEEEvT_T0_DpT1_,@function
_ZN2at6native12_GLOBAL__N_125multi_tensor_apply_kernelINS1_18TensorListMetadataILi1EEENS1_14UnaryOpFunctorIN3c108BFloat16ELi1ELi1ELi0EEEJNS0_3ErfIfEEEEEvT_T0_DpT1_: ; @_ZN2at6native12_GLOBAL__N_125multi_tensor_apply_kernelINS1_18TensorListMetadataILi1EEENS1_14UnaryOpFunctorIN3c108BFloat16ELi1ELi1ELi0EEEJNS0_3ErfIfEEEEEvT_T0_DpT1_
; %bb.0:
	v_mov_b32_e32 v1, s6
	global_load_ubyte v1, v1, s[4:5] offset:1760
	s_add_u32 s0, s4, s6
	s_mul_hi_u32 s1, s6, 3
	s_mul_i32 s6, s6, 3
	s_addc_u32 s2, s5, 0
	s_add_u32 s0, s0, s6
	s_addc_u32 s1, s2, s1
	s_load_dword s0, s[0:1], 0x820
	s_mov_b32 s7, 0
	s_waitcnt vmcnt(0)
	v_readfirstlane_b32 s2, v1
	s_lshl_b32 s1, s2, 3
	s_load_dwordx2 s[2:3], s[4:5], s1 offset:0x370
	s_load_dwordx2 s[12:13], s[4:5], s1 offset:0x0
	s_waitcnt lgkmcnt(0)
	s_ashr_i32 s1, s0, 31
	s_lshl_b64 s[14:15], s[0:1], 17
	s_lshl_b64 s[0:1], s[0:1], 16
	s_and_b32 s6, s12, 7
	s_sub_u32 s10, s2, s0
	s_subb_u32 s11, s3, s1
	s_and_b32 s0, s2, 3
	s_mov_b32 s1, s7
	s_or_b64 s[0:1], s[6:7], s[0:1]
	s_cmp_eq_u64 s[0:1], 0
	s_cbranch_scc1 .LBB245_37
; %bb.1:
	v_cmp_lt_i64_e64 s[0:1], s[10:11], 1
	s_and_b64 vcc, exec, s[0:1]
	s_cbranch_vccnz .LBB245_36
; %bb.2:
	s_load_dword s0, s[4:5], 0xd3c
	v_mov_b32_e32 v2, 0x10000
	v_mov_b32_e32 v3, 0
	v_cmp_lt_u64_e32 vcc, s[10:11], v[2:3]
	v_lshlrev_b32_e32 v1, 1, v0
	s_waitcnt lgkmcnt(0)
	s_and_b32 s2, s0, 0xffff
	s_and_b64 s[0:1], vcc, exec
	s_cselect_b32 s17, s11, 0
	s_cselect_b32 s16, s10, 0x10000
	s_lshl_b32 s3, s2, 1
	s_lshl_b32 s23, s2, 2
	s_add_u32 s6, s12, s14
	s_addc_u32 s7, s13, s15
	v_mov_b32_e32 v3, s7
	v_add_co_u32_e32 v2, vcc, s6, v1
	s_mul_i32 s0, s2, 3
	v_addc_co_u32_e32 v3, vcc, 0, v3, vcc
	v_add_co_u32_e32 v1, vcc, s0, v0
	v_addc_co_u32_e64 v6, s[0:1], 0, 0, vcc
	v_add_co_u32_e32 v7, vcc, s3, v0
	v_addc_co_u32_e64 v8, s[0:1], 0, 0, vcc
	v_add_co_u32_e32 v9, vcc, s2, v0
	v_lshlrev_b32_e32 v4, 1, v9
	s_mov_b32 s22, 0
	v_addc_co_u32_e64 v10, s[0:1], 0, 0, vcc
	v_mov_b32_e32 v5, s7
	v_add_co_u32_e32 v4, vcc, s6, v4
	s_lshl_b32 s24, s2, 3
	s_mov_b32 s25, s22
	s_mul_i32 s26, s2, 6
	s_mov_b32 s27, s22
	v_addc_co_u32_e32 v5, vcc, 0, v5, vcc
	s_mov_b64 s[18:19], 0
	s_mov_b32 s28, 0x378e98ab
	s_mov_b32 s29, 0x3b7cd369
	;; [unrolled: 1-line block ×9, first 2 shown]
	v_mov_b32_e32 v11, 0xbcdac9b8
	v_mov_b32_e32 v12, 0x3de703be
	;; [unrolled: 1-line block ×4, first 2 shown]
	s_brev_b32 s38, -2
	s_movk_i32 s39, 0x7fff
	v_mov_b32_e32 v15, 0xb9c68948
	v_mov_b32_e32 v16, 0x7f800000
	;; [unrolled: 1-line block ×3, first 2 shown]
	s_branch .LBB245_4
.LBB245_3:                              ;   in Loop: Header=BB245_4 Depth=1
	s_or_b64 exec, exec, s[0:1]
	s_add_u32 s18, s18, s23
	s_addc_u32 s19, s19, 0
	v_pk_mov_b32 v[18:19], s[10:11], s[10:11] op_sel:[0,1]
	v_cmp_ge_i64_e32 vcc, s[18:19], v[18:19]
	v_mov_b32_e32 v18, 0xffff
	v_mov_b32_e32 v19, 0
	v_cmp_gt_u64_e64 s[0:1], s[18:19], v[18:19]
	s_or_b64 s[0:1], vcc, s[0:1]
	v_mov_b32_e32 v18, s25
	v_add_co_u32_e32 v2, vcc, s24, v2
	v_addc_co_u32_e32 v3, vcc, v3, v18, vcc
	v_add_co_u32_e32 v4, vcc, s24, v4
	v_addc_co_u32_e32 v5, vcc, v5, v18, vcc
	s_and_b64 vcc, exec, s[0:1]
	s_cbranch_vccnz .LBB245_36
.LBB245_4:                              ; =>This Inner Loop Header: Depth=1
	v_mov_b32_e32 v19, s19
	v_add_co_u32_e32 v18, vcc, s18, v0
	v_addc_co_u32_e32 v19, vcc, 0, v19, vcc
	v_cmp_gt_u64_e32 vcc, s[16:17], v[18:19]
	v_mov_b32_e32 v18, 0
	s_and_saveexec_b64 s[0:1], vcc
	s_cbranch_execz .LBB245_6
; %bb.5:                                ;   in Loop: Header=BB245_4 Depth=1
	global_load_ushort v18, v[2:3], off
.LBB245_6:                              ;   in Loop: Header=BB245_4 Depth=1
	s_or_b64 exec, exec, s[0:1]
	v_mov_b32_e32 v19, s19
	v_add_co_u32_e64 v20, s[0:1], s18, v9
	v_addc_co_u32_e64 v21, s[0:1], v10, v19, s[0:1]
	v_cmp_gt_u64_e64 s[0:1], s[16:17], v[20:21]
	v_mov_b32_e32 v21, 0
	s_and_saveexec_b64 s[2:3], s[0:1]
	s_cbranch_execz .LBB245_8
; %bb.7:                                ;   in Loop: Header=BB245_4 Depth=1
	global_load_ushort v21, v[4:5], off
.LBB245_8:                              ;   in Loop: Header=BB245_4 Depth=1
	s_or_b64 exec, exec, s[2:3]
	v_mov_b32_e32 v19, s19
	v_add_co_u32_e64 v22, s[2:3], s18, v7
	v_addc_co_u32_e64 v23, s[2:3], v8, v19, s[2:3]
	v_cmp_gt_u64_e64 s[2:3], s[16:17], v[22:23]
	v_mov_b32_e32 v19, 0
	v_mov_b32_e32 v23, 0
	s_and_saveexec_b64 s[8:9], s[2:3]
	s_cbranch_execz .LBB245_10
; %bb.9:                                ;   in Loop: Header=BB245_4 Depth=1
	v_mov_b32_e32 v20, s22
	v_add_co_u32_e64 v22, s[6:7], s23, v2
	v_addc_co_u32_e64 v23, s[6:7], v3, v20, s[6:7]
	global_load_ushort v23, v[22:23], off
.LBB245_10:                             ;   in Loop: Header=BB245_4 Depth=1
	s_or_b64 exec, exec, s[8:9]
	v_mov_b32_e32 v20, s19
	v_add_co_u32_e64 v24, s[6:7], s18, v1
	v_addc_co_u32_e64 v25, s[6:7], v6, v20, s[6:7]
	v_cmp_gt_u64_e64 s[6:7], s[16:17], v[24:25]
	s_and_saveexec_b64 s[20:21], s[6:7]
	s_cbranch_execz .LBB245_12
; %bb.11:                               ;   in Loop: Header=BB245_4 Depth=1
	v_mov_b32_e32 v19, s27
	v_add_co_u32_e64 v24, s[8:9], s26, v2
	v_addc_co_u32_e64 v25, s[8:9], v3, v19, s[8:9]
	global_load_ushort v19, v[24:25], off
.LBB245_12:                             ;   in Loop: Header=BB245_4 Depth=1
	s_or_b64 exec, exec, s[20:21]
	s_waitcnt vmcnt(0)
	v_lshlrev_b32_e32 v18, 16, v18
	v_cmp_nlt_f32_e64 s[8:9], |v18|, 1.0
                                        ; implicit-def: $vgpr20
	s_and_saveexec_b64 s[20:21], s[8:9]
	s_xor_b64 s[20:21], exec, s[20:21]
	s_cbranch_execz .LBB245_14
; %bb.13:                               ;   in Loop: Header=BB245_4 Depth=1
	v_fma_f32 v20, |v18|, s28, v15
	v_fma_f32 v20, |v18|, v20, s29
	v_fma_f32 v20, |v18|, v20, s30
	v_fma_f32 v20, |v18|, v20, s31
	v_fma_f32 v20, |v18|, v20, s33
	v_fma_f32 v20, |v18|, v20, s34
	v_fma_f32 v20, |v18|, v20, |v18|
	v_mul_f32_e32 v22, 0xbfb8aa3b, v20
	v_fma_f32 v24, v20, s35, -v22
	v_rndne_f32_e32 v25, v22
	v_fmac_f32_e32 v24, 0xb2a5705f, v20
	v_sub_f32_e32 v22, v22, v25
	v_add_f32_e32 v22, v22, v24
	v_cvt_i32_f32_e32 v24, v25
	v_exp_f32_e32 v22, v22
	v_cmp_nlt_f32_e64 s[8:9], s36, v20
	v_ldexp_f32 v22, v22, v24
	v_cndmask_b32_e64 v22, 0, v22, s[8:9]
	v_cmp_ngt_f32_e64 s[8:9], s37, v20
	v_cndmask_b32_e64 v20, v16, v22, s[8:9]
	v_sub_f32_e32 v20, 1.0, v20
.LBB245_14:                             ;   in Loop: Header=BB245_4 Depth=1
	s_andn2_saveexec_b64 s[8:9], s[20:21]
; %bb.15:                               ;   in Loop: Header=BB245_4 Depth=1
	v_mul_f32_e32 v20, v18, v18
	v_mov_b32_e32 v22, 0x3ba10414
	v_fmac_f32_e32 v22, 0xba1345e1, v20
	v_fma_f32 v22, v20, v22, v11
	v_fma_f32 v22, v20, v22, v12
	;; [unrolled: 1-line block ×4, first 2 shown]
	v_fma_f32 v20, |v18|, v20, |v18|
; %bb.16:                               ;   in Loop: Header=BB245_4 Depth=1
	s_or_b64 exec, exec, s[8:9]
	v_lshlrev_b32_e32 v21, 16, v21
	v_cmp_nlt_f32_e64 s[8:9], |v21|, 1.0
                                        ; implicit-def: $vgpr22
	s_and_saveexec_b64 s[20:21], s[8:9]
	s_xor_b64 s[20:21], exec, s[20:21]
	s_cbranch_execz .LBB245_18
; %bb.17:                               ;   in Loop: Header=BB245_4 Depth=1
	v_fma_f32 v22, |v21|, s28, v15
	v_fma_f32 v22, |v21|, v22, s29
	;; [unrolled: 1-line block ×6, first 2 shown]
	v_fma_f32 v22, |v21|, v22, |v21|
	v_mul_f32_e32 v24, 0xbfb8aa3b, v22
	v_fma_f32 v25, v22, s35, -v24
	v_rndne_f32_e32 v26, v24
	v_fmac_f32_e32 v25, 0xb2a5705f, v22
	v_sub_f32_e32 v24, v24, v26
	v_add_f32_e32 v24, v24, v25
	v_cvt_i32_f32_e32 v25, v26
	v_exp_f32_e32 v24, v24
	v_cmp_nlt_f32_e64 s[8:9], s36, v22
	v_ldexp_f32 v24, v24, v25
	v_cndmask_b32_e64 v24, 0, v24, s[8:9]
	v_cmp_ngt_f32_e64 s[8:9], s37, v22
	v_cndmask_b32_e64 v22, v16, v24, s[8:9]
	v_sub_f32_e32 v22, 1.0, v22
.LBB245_18:                             ;   in Loop: Header=BB245_4 Depth=1
	s_andn2_saveexec_b64 s[8:9], s[20:21]
; %bb.19:                               ;   in Loop: Header=BB245_4 Depth=1
	v_mul_f32_e32 v22, v21, v21
	v_mov_b32_e32 v24, 0x3ba10414
	v_fmac_f32_e32 v24, 0xba1345e1, v22
	v_fma_f32 v24, v22, v24, v11
	v_fma_f32 v24, v22, v24, v12
	;; [unrolled: 1-line block ×4, first 2 shown]
	v_fma_f32 v22, |v21|, v22, |v21|
; %bb.20:                               ;   in Loop: Header=BB245_4 Depth=1
	s_or_b64 exec, exec, s[8:9]
	v_lshlrev_b32_e32 v23, 16, v23
	v_cmp_nlt_f32_e64 s[8:9], |v23|, 1.0
                                        ; implicit-def: $vgpr24
	s_and_saveexec_b64 s[20:21], s[8:9]
	s_xor_b64 s[20:21], exec, s[20:21]
	s_cbranch_execz .LBB245_22
; %bb.21:                               ;   in Loop: Header=BB245_4 Depth=1
	v_fma_f32 v24, |v23|, s28, v15
	v_fma_f32 v24, |v23|, v24, s29
	;; [unrolled: 1-line block ×6, first 2 shown]
	v_fma_f32 v24, |v23|, v24, |v23|
	v_mul_f32_e32 v25, 0xbfb8aa3b, v24
	v_fma_f32 v26, v24, s35, -v25
	v_rndne_f32_e32 v27, v25
	v_fmac_f32_e32 v26, 0xb2a5705f, v24
	v_sub_f32_e32 v25, v25, v27
	v_add_f32_e32 v25, v25, v26
	v_cvt_i32_f32_e32 v26, v27
	v_exp_f32_e32 v25, v25
	v_cmp_nlt_f32_e64 s[8:9], s36, v24
	v_ldexp_f32 v25, v25, v26
	v_cndmask_b32_e64 v25, 0, v25, s[8:9]
	v_cmp_ngt_f32_e64 s[8:9], s37, v24
	v_cndmask_b32_e64 v24, v16, v25, s[8:9]
	v_sub_f32_e32 v24, 1.0, v24
.LBB245_22:                             ;   in Loop: Header=BB245_4 Depth=1
	s_andn2_saveexec_b64 s[8:9], s[20:21]
; %bb.23:                               ;   in Loop: Header=BB245_4 Depth=1
	v_mul_f32_e32 v24, v23, v23
	v_mov_b32_e32 v25, 0x3ba10414
	v_fmac_f32_e32 v25, 0xba1345e1, v24
	v_fma_f32 v25, v24, v25, v11
	v_fma_f32 v25, v24, v25, v12
	;; [unrolled: 1-line block ×4, first 2 shown]
	v_fma_f32 v24, |v23|, v24, |v23|
; %bb.24:                               ;   in Loop: Header=BB245_4 Depth=1
	s_or_b64 exec, exec, s[8:9]
	v_lshlrev_b32_e32 v19, 16, v19
	v_cmp_nlt_f32_e64 s[8:9], |v19|, 1.0
                                        ; implicit-def: $vgpr25
	s_and_saveexec_b64 s[20:21], s[8:9]
	s_xor_b64 s[20:21], exec, s[20:21]
	s_cbranch_execnz .LBB245_30
; %bb.25:                               ;   in Loop: Header=BB245_4 Depth=1
	s_andn2_saveexec_b64 s[8:9], s[20:21]
	s_cbranch_execnz .LBB245_31
.LBB245_26:                             ;   in Loop: Header=BB245_4 Depth=1
	s_or_b64 exec, exec, s[8:9]
	s_and_saveexec_b64 s[8:9], vcc
	s_xor_b64 s[8:9], exec, s[8:9]
	s_cbranch_execnz .LBB245_32
.LBB245_27:                             ;   in Loop: Header=BB245_4 Depth=1
	s_or_b64 exec, exec, s[8:9]
	s_and_saveexec_b64 s[8:9], s[0:1]
	s_cbranch_execnz .LBB245_33
.LBB245_28:                             ;   in Loop: Header=BB245_4 Depth=1
	s_or_b64 exec, exec, s[8:9]
	s_and_saveexec_b64 s[0:1], s[2:3]
	s_cbranch_execnz .LBB245_34
.LBB245_29:                             ;   in Loop: Header=BB245_4 Depth=1
	s_or_b64 exec, exec, s[0:1]
	s_and_saveexec_b64 s[0:1], s[6:7]
	s_cbranch_execz .LBB245_3
	s_branch .LBB245_35
.LBB245_30:                             ;   in Loop: Header=BB245_4 Depth=1
	v_fma_f32 v25, |v19|, s28, v15
	v_fma_f32 v25, |v19|, v25, s29
	;; [unrolled: 1-line block ×6, first 2 shown]
	v_fma_f32 v25, |v19|, v25, |v19|
	v_mul_f32_e32 v26, 0xbfb8aa3b, v25
	v_fma_f32 v27, v25, s35, -v26
	v_rndne_f32_e32 v28, v26
	v_fmac_f32_e32 v27, 0xb2a5705f, v25
	v_sub_f32_e32 v26, v26, v28
	v_add_f32_e32 v26, v26, v27
	v_cvt_i32_f32_e32 v27, v28
	v_exp_f32_e32 v26, v26
	v_cmp_nlt_f32_e64 s[8:9], s36, v25
	v_ldexp_f32 v26, v26, v27
	v_cndmask_b32_e64 v26, 0, v26, s[8:9]
	v_cmp_ngt_f32_e64 s[8:9], s37, v25
	v_cndmask_b32_e64 v25, v16, v26, s[8:9]
	v_sub_f32_e32 v25, 1.0, v25
	s_andn2_saveexec_b64 s[8:9], s[20:21]
	s_cbranch_execz .LBB245_26
.LBB245_31:                             ;   in Loop: Header=BB245_4 Depth=1
	v_mul_f32_e32 v25, v19, v19
	v_mov_b32_e32 v26, 0x3ba10414
	v_fmac_f32_e32 v26, 0xba1345e1, v25
	v_fma_f32 v26, v25, v26, v11
	v_fma_f32 v26, v25, v26, v12
	;; [unrolled: 1-line block ×4, first 2 shown]
	v_fma_f32 v25, |v19|, v25, |v19|
	s_or_b64 exec, exec, s[8:9]
	s_and_saveexec_b64 s[8:9], vcc
	s_xor_b64 s[8:9], exec, s[8:9]
	s_cbranch_execz .LBB245_27
.LBB245_32:                             ;   in Loop: Header=BB245_4 Depth=1
	v_bfi_b32 v18, s38, v20, v18
	v_bfe_u32 v20, v18, 16, 1
	v_add3_u32 v20, v18, v20, s39
	v_lshrrev_b32_e32 v20, 16, v20
	v_cmp_o_f32_e32 vcc, v18, v18
	v_cndmask_b32_e32 v18, v17, v20, vcc
	global_store_short v[2:3], v18, off
	s_or_b64 exec, exec, s[8:9]
	s_and_saveexec_b64 s[8:9], s[0:1]
	s_cbranch_execz .LBB245_28
.LBB245_33:                             ;   in Loop: Header=BB245_4 Depth=1
	v_bfi_b32 v18, s38, v22, v21
	v_bfe_u32 v20, v18, 16, 1
	v_add3_u32 v20, v18, v20, s39
	v_lshrrev_b32_e32 v20, 16, v20
	v_cmp_o_f32_e32 vcc, v18, v18
	v_cndmask_b32_e32 v18, v17, v20, vcc
	global_store_short v[4:5], v18, off
	s_or_b64 exec, exec, s[8:9]
	s_and_saveexec_b64 s[0:1], s[2:3]
	s_cbranch_execz .LBB245_29
.LBB245_34:                             ;   in Loop: Header=BB245_4 Depth=1
	v_bfi_b32 v18, s38, v24, v23
	v_bfe_u32 v20, v18, 16, 1
	v_add3_u32 v20, v18, v20, s39
	v_lshrrev_b32_e32 v20, 16, v20
	v_cmp_o_f32_e32 vcc, v18, v18
	v_cndmask_b32_e32 v18, v17, v20, vcc
	v_mov_b32_e32 v21, s22
	v_add_co_u32_e32 v20, vcc, s23, v2
	v_addc_co_u32_e32 v21, vcc, v3, v21, vcc
	global_store_short v[20:21], v18, off
	s_or_b64 exec, exec, s[0:1]
	s_and_saveexec_b64 s[0:1], s[6:7]
	s_cbranch_execz .LBB245_3
.LBB245_35:                             ;   in Loop: Header=BB245_4 Depth=1
	v_bfi_b32 v18, s38, v25, v19
	v_bfe_u32 v19, v18, 16, 1
	v_add3_u32 v19, v18, v19, s39
	v_lshrrev_b32_e32 v19, 16, v19
	v_cmp_o_f32_e32 vcc, v18, v18
	v_cndmask_b32_e32 v20, v17, v19, vcc
	v_mov_b32_e32 v19, s27
	v_add_co_u32_e32 v18, vcc, s26, v2
	v_addc_co_u32_e32 v19, vcc, v3, v19, vcc
	global_store_short v[18:19], v20, off
	s_branch .LBB245_3
.LBB245_36:
	s_cbranch_execz .LBB245_38
	s_branch .LBB245_57
.LBB245_37:
.LBB245_38:
	v_mov_b32_e32 v3, 0
	v_lshlrev_b32_e32 v2, 2, v0
	s_mov_b32 s0, 0
	v_cmp_gt_i64_e32 vcc, s[10:11], v[2:3]
	s_and_saveexec_b64 s[2:3], vcc
	s_cbranch_execz .LBB245_57
; %bb.39:
	s_load_dword s1, s[4:5], 0xd3c
	v_lshlrev_b32_e32 v1, 3, v0
	s_mov_b32 s8, 0x378e98ab
	s_mov_b32 s9, 0x3b7cd369
	s_mov_b32 s16, 0xbfb8aa3b
	s_waitcnt lgkmcnt(0)
	s_and_b32 s1, s1, 0xffff
	s_add_u32 s2, s12, s14
	s_addc_u32 s3, s13, s15
	v_mov_b32_e32 v2, s3
	v_add_co_u32_e32 v4, vcc, s2, v1
	v_addc_co_u32_e32 v5, vcc, 0, v2, vcc
	s_lshl_b32 s6, s1, 3
	v_add_lshl_u32 v2, v0, s1, 2
	s_lshl_b32 s7, s1, 2
	s_mov_b64 s[2:3], 0
	s_mov_b32 s12, 0xbcc618b2
	s_mov_b32 s13, 0x3dda74e4
	;; [unrolled: 1-line block ×6, first 2 shown]
	v_mov_b32_e32 v6, 0xbcdac9b8
	v_mov_b32_e32 v7, 0x3de703be
	;; [unrolled: 1-line block ×4, first 2 shown]
	s_brev_b32 s19, -2
	s_movk_i32 s20, 0x7fff
	v_mov_b32_e32 v10, 0x7fc00000
	v_mov_b32_e32 v11, 0x7fc0
	s_mov_b64 s[4:5], 0xffff
	v_mov_b32_e32 v12, s0
	v_mov_b32_e32 v13, 0xb9c68948
	;; [unrolled: 1-line block ×4, first 2 shown]
	s_branch .LBB245_41
.LBB245_40:                             ;   in Loop: Header=BB245_41 Depth=1
	s_or_b64 exec, exec, s[0:1]
	v_bfi_b32 v1, s19, v21, v1
	v_bfi_b32 v0, s19, v20, v0
	v_bfe_u32 v21, v1, 16, 1
	v_bfe_u32 v20, v0, 16, 1
	v_bfi_b32 v18, s19, v19, v18
	v_add3_u32 v21, v1, v21, s20
	v_add3_u32 v20, v0, v20, s20
	v_bfe_u32 v19, v18, 16, 1
	v_bfi_b32 v16, s19, v17, v16
	v_and_b32_e32 v21, 0xffff0000, v21
	v_cmp_o_f32_e32 vcc, v1, v1
	v_lshrrev_b32_e32 v20, 16, v20
	v_add3_u32 v19, v18, v19, s20
	v_bfe_u32 v17, v16, 16, 1
	v_cndmask_b32_e32 v1, v10, v21, vcc
	v_cmp_o_f32_e32 vcc, v0, v0
	v_and_b32_e32 v19, 0xffff0000, v19
	v_add3_u32 v17, v16, v17, s20
	v_cndmask_b32_e32 v0, v11, v20, vcc
	v_cmp_o_f32_e32 vcc, v18, v18
	v_lshrrev_b32_e32 v17, 16, v17
	v_cndmask_b32_e32 v18, v10, v19, vcc
	v_cmp_o_f32_e32 vcc, v16, v16
	v_cndmask_b32_e32 v16, v11, v17, vcc
	v_or_b32_e32 v16, v18, v16
	v_or3_b32 v1, 0, v0, v1
	v_or3_b32 v0, v16, 0, 0
	v_cmp_le_i64_e32 vcc, s[10:11], v[2:3]
	v_cmp_lt_u64_e64 s[0:1], s[4:5], v[2:3]
	global_store_dwordx2 v[4:5], v[0:1], off
	s_or_b64 s[0:1], vcc, s[0:1]
	v_add_co_u32_e32 v4, vcc, s6, v4
	v_addc_co_u32_e32 v5, vcc, v5, v12, vcc
	s_and_b64 s[0:1], exec, s[0:1]
	v_add_co_u32_e32 v2, vcc, s7, v2
	s_or_b64 s[2:3], s[0:1], s[2:3]
	v_addc_co_u32_e32 v3, vcc, v3, v15, vcc
	s_andn2_b64 exec, exec, s[2:3]
	s_cbranch_execz .LBB245_57
.LBB245_41:                             ; =>This Inner Loop Header: Depth=1
	global_load_dwordx2 v[0:1], v[4:5], off
                                        ; implicit-def: $vgpr17
	s_waitcnt vmcnt(0)
	v_lshlrev_b32_e32 v16, 16, v0
	v_cmp_nlt_f32_e64 s[0:1], |v16|, 1.0
	s_and_saveexec_b64 s[22:23], s[0:1]
	s_xor_b64 s[0:1], exec, s[22:23]
	s_cbranch_execz .LBB245_43
; %bb.42:                               ;   in Loop: Header=BB245_41 Depth=1
	v_fma_f32 v17, |v16|, s8, v13
	v_fma_f32 v17, |v16|, v17, s9
	;; [unrolled: 1-line block ×6, first 2 shown]
	v_fma_f32 v17, |v16|, v17, |v16|
	v_mul_f32_e32 v18, 0xbfb8aa3b, v17
	v_fma_f32 v19, v17, s16, -v18
	v_rndne_f32_e32 v20, v18
	v_fmac_f32_e32 v19, 0xb2a5705f, v17
	v_sub_f32_e32 v18, v18, v20
	v_add_f32_e32 v18, v18, v19
	v_cvt_i32_f32_e32 v19, v20
	v_exp_f32_e32 v18, v18
	v_cmp_nlt_f32_e32 vcc, s17, v17
	v_ldexp_f32 v18, v18, v19
	v_cndmask_b32_e32 v18, 0, v18, vcc
	v_cmp_ngt_f32_e32 vcc, s18, v17
	v_cndmask_b32_e32 v17, v14, v18, vcc
	v_sub_f32_e32 v17, 1.0, v17
.LBB245_43:                             ;   in Loop: Header=BB245_41 Depth=1
	s_andn2_saveexec_b64 s[0:1], s[0:1]
; %bb.44:                               ;   in Loop: Header=BB245_41 Depth=1
	v_mul_f32_e32 v17, v16, v16
	v_mov_b32_e32 v18, 0x3ba10414
	v_fmac_f32_e32 v18, 0xba1345e1, v17
	v_fma_f32 v18, v17, v18, v6
	v_fma_f32 v18, v17, v18, v7
	v_fma_f32 v18, v17, v18, v8
	v_fma_f32 v17, v17, v18, v9
	v_fma_f32 v17, |v16|, v17, |v16|
; %bb.45:                               ;   in Loop: Header=BB245_41 Depth=1
	s_or_b64 exec, exec, s[0:1]
	v_and_b32_e32 v18, 0xffff0000, v0
	v_cmp_nlt_f32_e64 s[0:1], |v18|, 1.0
                                        ; implicit-def: $vgpr19
	s_and_saveexec_b64 s[22:23], s[0:1]
	s_xor_b64 s[0:1], exec, s[22:23]
	s_cbranch_execz .LBB245_47
; %bb.46:                               ;   in Loop: Header=BB245_41 Depth=1
	v_fma_f32 v19, |v18|, s8, v13
	v_fma_f32 v19, |v18|, v19, s9
	v_fma_f32 v19, |v18|, v19, s12
	v_fma_f32 v19, |v18|, v19, s13
	v_fma_f32 v19, |v18|, v19, s14
	v_fma_f32 v19, |v18|, v19, s15
	v_fma_f32 v19, |v18|, v19, |v18|
	v_mul_f32_e32 v20, 0xbfb8aa3b, v19
	v_fma_f32 v21, v19, s16, -v20
	v_rndne_f32_e32 v22, v20
	v_fmac_f32_e32 v21, 0xb2a5705f, v19
	v_sub_f32_e32 v20, v20, v22
	v_add_f32_e32 v20, v20, v21
	v_cvt_i32_f32_e32 v21, v22
	v_exp_f32_e32 v20, v20
	v_cmp_nlt_f32_e32 vcc, s17, v19
	v_ldexp_f32 v20, v20, v21
	v_cndmask_b32_e32 v20, 0, v20, vcc
	v_cmp_ngt_f32_e32 vcc, s18, v19
	v_cndmask_b32_e32 v19, v14, v20, vcc
	v_sub_f32_e32 v19, 1.0, v19
.LBB245_47:                             ;   in Loop: Header=BB245_41 Depth=1
	s_andn2_saveexec_b64 s[0:1], s[0:1]
; %bb.48:                               ;   in Loop: Header=BB245_41 Depth=1
	v_mul_f32_e32 v19, v18, v18
	v_mov_b32_e32 v20, 0x3ba10414
	v_fmac_f32_e32 v20, 0xba1345e1, v19
	v_fma_f32 v20, v19, v20, v6
	v_fma_f32 v20, v19, v20, v7
	;; [unrolled: 1-line block ×4, first 2 shown]
	v_fma_f32 v19, |v18|, v19, |v18|
; %bb.49:                               ;   in Loop: Header=BB245_41 Depth=1
	s_or_b64 exec, exec, s[0:1]
	v_alignbit_b32 v0, v1, v0, 16
	v_and_b32_e32 v0, 0xffff0000, v0
	v_cmp_nlt_f32_e64 s[0:1], |v0|, 1.0
                                        ; implicit-def: $vgpr20
	s_and_saveexec_b64 s[22:23], s[0:1]
	s_xor_b64 s[0:1], exec, s[22:23]
	s_cbranch_execz .LBB245_51
; %bb.50:                               ;   in Loop: Header=BB245_41 Depth=1
	v_fma_f32 v20, |v0|, s8, v13
	v_fma_f32 v20, |v0|, v20, s9
	;; [unrolled: 1-line block ×6, first 2 shown]
	v_fma_f32 v20, |v0|, v20, |v0|
	v_mul_f32_e32 v21, 0xbfb8aa3b, v20
	v_fma_f32 v22, v20, s16, -v21
	v_rndne_f32_e32 v23, v21
	v_fmac_f32_e32 v22, 0xb2a5705f, v20
	v_sub_f32_e32 v21, v21, v23
	v_add_f32_e32 v21, v21, v22
	v_cvt_i32_f32_e32 v22, v23
	v_exp_f32_e32 v21, v21
	v_cmp_nlt_f32_e32 vcc, s17, v20
	v_ldexp_f32 v21, v21, v22
	v_cndmask_b32_e32 v21, 0, v21, vcc
	v_cmp_ngt_f32_e32 vcc, s18, v20
	v_cndmask_b32_e32 v20, v14, v21, vcc
	v_sub_f32_e32 v20, 1.0, v20
.LBB245_51:                             ;   in Loop: Header=BB245_41 Depth=1
	s_andn2_saveexec_b64 s[0:1], s[0:1]
; %bb.52:                               ;   in Loop: Header=BB245_41 Depth=1
	v_mul_f32_e32 v20, v0, v0
	v_mov_b32_e32 v21, 0x3ba10414
	v_fmac_f32_e32 v21, 0xba1345e1, v20
	v_fma_f32 v21, v20, v21, v6
	v_fma_f32 v21, v20, v21, v7
	;; [unrolled: 1-line block ×4, first 2 shown]
	v_fma_f32 v20, |v0|, v20, |v0|
; %bb.53:                               ;   in Loop: Header=BB245_41 Depth=1
	s_or_b64 exec, exec, s[0:1]
	v_and_b32_e32 v1, 0xffff0000, v1
	v_cmp_nlt_f32_e64 s[0:1], |v1|, 1.0
                                        ; implicit-def: $vgpr21
	s_and_saveexec_b64 s[22:23], s[0:1]
	s_xor_b64 s[0:1], exec, s[22:23]
	s_cbranch_execz .LBB245_55
; %bb.54:                               ;   in Loop: Header=BB245_41 Depth=1
	v_fma_f32 v21, |v1|, s8, v13
	v_fma_f32 v21, |v1|, v21, s9
	;; [unrolled: 1-line block ×6, first 2 shown]
	v_fma_f32 v21, |v1|, v21, |v1|
	v_mul_f32_e32 v22, 0xbfb8aa3b, v21
	v_fma_f32 v23, v21, s16, -v22
	v_rndne_f32_e32 v24, v22
	v_fmac_f32_e32 v23, 0xb2a5705f, v21
	v_sub_f32_e32 v22, v22, v24
	v_add_f32_e32 v22, v22, v23
	v_cvt_i32_f32_e32 v23, v24
	v_exp_f32_e32 v22, v22
	v_cmp_nlt_f32_e32 vcc, s17, v21
	v_ldexp_f32 v22, v22, v23
	v_cndmask_b32_e32 v22, 0, v22, vcc
	v_cmp_ngt_f32_e32 vcc, s18, v21
	v_cndmask_b32_e32 v21, v14, v22, vcc
	v_sub_f32_e32 v21, 1.0, v21
.LBB245_55:                             ;   in Loop: Header=BB245_41 Depth=1
	s_andn2_saveexec_b64 s[0:1], s[0:1]
	s_cbranch_execz .LBB245_40
; %bb.56:                               ;   in Loop: Header=BB245_41 Depth=1
	v_mul_f32_e32 v21, v1, v1
	v_mov_b32_e32 v22, 0x3ba10414
	v_fmac_f32_e32 v22, 0xba1345e1, v21
	v_fma_f32 v22, v21, v22, v6
	v_fma_f32 v22, v21, v22, v7
	;; [unrolled: 1-line block ×4, first 2 shown]
	v_fma_f32 v21, |v1|, v21, |v1|
	s_branch .LBB245_40
.LBB245_57:
	s_endpgm
	.section	.rodata,"a",@progbits
	.p2align	6, 0x0
	.amdhsa_kernel _ZN2at6native12_GLOBAL__N_125multi_tensor_apply_kernelINS1_18TensorListMetadataILi1EEENS1_14UnaryOpFunctorIN3c108BFloat16ELi1ELi1ELi0EEEJNS0_3ErfIfEEEEEvT_T0_DpT1_
		.amdhsa_group_segment_fixed_size 0
		.amdhsa_private_segment_fixed_size 0
		.amdhsa_kernarg_size 3632
		.amdhsa_user_sgpr_count 6
		.amdhsa_user_sgpr_private_segment_buffer 1
		.amdhsa_user_sgpr_dispatch_ptr 0
		.amdhsa_user_sgpr_queue_ptr 0
		.amdhsa_user_sgpr_kernarg_segment_ptr 1
		.amdhsa_user_sgpr_dispatch_id 0
		.amdhsa_user_sgpr_flat_scratch_init 0
		.amdhsa_user_sgpr_kernarg_preload_length 0
		.amdhsa_user_sgpr_kernarg_preload_offset 0
		.amdhsa_user_sgpr_private_segment_size 0
		.amdhsa_uses_dynamic_stack 0
		.amdhsa_system_sgpr_private_segment_wavefront_offset 0
		.amdhsa_system_sgpr_workgroup_id_x 1
		.amdhsa_system_sgpr_workgroup_id_y 0
		.amdhsa_system_sgpr_workgroup_id_z 0
		.amdhsa_system_sgpr_workgroup_info 0
		.amdhsa_system_vgpr_workitem_id 0
		.amdhsa_next_free_vgpr 29
		.amdhsa_next_free_sgpr 40
		.amdhsa_accum_offset 32
		.amdhsa_reserve_vcc 1
		.amdhsa_reserve_flat_scratch 0
		.amdhsa_float_round_mode_32 0
		.amdhsa_float_round_mode_16_64 0
		.amdhsa_float_denorm_mode_32 3
		.amdhsa_float_denorm_mode_16_64 3
		.amdhsa_dx10_clamp 1
		.amdhsa_ieee_mode 1
		.amdhsa_fp16_overflow 0
		.amdhsa_tg_split 0
		.amdhsa_exception_fp_ieee_invalid_op 0
		.amdhsa_exception_fp_denorm_src 0
		.amdhsa_exception_fp_ieee_div_zero 0
		.amdhsa_exception_fp_ieee_overflow 0
		.amdhsa_exception_fp_ieee_underflow 0
		.amdhsa_exception_fp_ieee_inexact 0
		.amdhsa_exception_int_div_zero 0
	.end_amdhsa_kernel
	.section	.text._ZN2at6native12_GLOBAL__N_125multi_tensor_apply_kernelINS1_18TensorListMetadataILi1EEENS1_14UnaryOpFunctorIN3c108BFloat16ELi1ELi1ELi0EEEJNS0_3ErfIfEEEEEvT_T0_DpT1_,"axG",@progbits,_ZN2at6native12_GLOBAL__N_125multi_tensor_apply_kernelINS1_18TensorListMetadataILi1EEENS1_14UnaryOpFunctorIN3c108BFloat16ELi1ELi1ELi0EEEJNS0_3ErfIfEEEEEvT_T0_DpT1_,comdat
.Lfunc_end245:
	.size	_ZN2at6native12_GLOBAL__N_125multi_tensor_apply_kernelINS1_18TensorListMetadataILi1EEENS1_14UnaryOpFunctorIN3c108BFloat16ELi1ELi1ELi0EEEJNS0_3ErfIfEEEEEvT_T0_DpT1_, .Lfunc_end245-_ZN2at6native12_GLOBAL__N_125multi_tensor_apply_kernelINS1_18TensorListMetadataILi1EEENS1_14UnaryOpFunctorIN3c108BFloat16ELi1ELi1ELi0EEEJNS0_3ErfIfEEEEEvT_T0_DpT1_
                                        ; -- End function
	.section	.AMDGPU.csdata,"",@progbits
; Kernel info:
; codeLenInByte = 3436
; NumSgprs: 44
; NumVgprs: 29
; NumAgprs: 0
; TotalNumVgprs: 29
; ScratchSize: 0
; MemoryBound: 0
; FloatMode: 240
; IeeeMode: 1
; LDSByteSize: 0 bytes/workgroup (compile time only)
; SGPRBlocks: 5
; VGPRBlocks: 3
; NumSGPRsForWavesPerEU: 44
; NumVGPRsForWavesPerEU: 29
; AccumOffset: 32
; Occupancy: 8
; WaveLimiterHint : 0
; COMPUTE_PGM_RSRC2:SCRATCH_EN: 0
; COMPUTE_PGM_RSRC2:USER_SGPR: 6
; COMPUTE_PGM_RSRC2:TRAP_HANDLER: 0
; COMPUTE_PGM_RSRC2:TGID_X_EN: 1
; COMPUTE_PGM_RSRC2:TGID_Y_EN: 0
; COMPUTE_PGM_RSRC2:TGID_Z_EN: 0
; COMPUTE_PGM_RSRC2:TIDIG_COMP_CNT: 0
; COMPUTE_PGM_RSRC3_GFX90A:ACCUM_OFFSET: 7
; COMPUTE_PGM_RSRC3_GFX90A:TG_SPLIT: 0
	.section	.text._ZN2at6native12_GLOBAL__N_125multi_tensor_apply_kernelINS1_18TensorListMetadataILi2EEENS1_14UnaryOpFunctorIdLi2ELi1ELi1EEEJNS0_7SigmoidIdEEEEEvT_T0_DpT1_,"axG",@progbits,_ZN2at6native12_GLOBAL__N_125multi_tensor_apply_kernelINS1_18TensorListMetadataILi2EEENS1_14UnaryOpFunctorIdLi2ELi1ELi1EEEJNS0_7SigmoidIdEEEEEvT_T0_DpT1_,comdat
	.globl	_ZN2at6native12_GLOBAL__N_125multi_tensor_apply_kernelINS1_18TensorListMetadataILi2EEENS1_14UnaryOpFunctorIdLi2ELi1ELi1EEEJNS0_7SigmoidIdEEEEEvT_T0_DpT1_ ; -- Begin function _ZN2at6native12_GLOBAL__N_125multi_tensor_apply_kernelINS1_18TensorListMetadataILi2EEENS1_14UnaryOpFunctorIdLi2ELi1ELi1EEEJNS0_7SigmoidIdEEEEEvT_T0_DpT1_
	.p2align	8
	.type	_ZN2at6native12_GLOBAL__N_125multi_tensor_apply_kernelINS1_18TensorListMetadataILi2EEENS1_14UnaryOpFunctorIdLi2ELi1ELi1EEEJNS0_7SigmoidIdEEEEEvT_T0_DpT1_,@function
_ZN2at6native12_GLOBAL__N_125multi_tensor_apply_kernelINS1_18TensorListMetadataILi2EEENS1_14UnaryOpFunctorIdLi2ELi1ELi1EEEJNS0_7SigmoidIdEEEEEvT_T0_DpT1_: ; @_ZN2at6native12_GLOBAL__N_125multi_tensor_apply_kernelINS1_18TensorListMetadataILi2EEENS1_14UnaryOpFunctorIdLi2ELi1ELi1EEEJNS0_7SigmoidIdEEEEEvT_T0_DpT1_
; %bb.0:
	v_mov_b32_e32 v1, s6
	global_load_ubyte v1, v1, s[4:5] offset:1536
	s_add_u32 s0, s4, s6
	s_mul_hi_u32 s1, s6, 3
	s_mul_i32 s6, s6, 3
	s_addc_u32 s2, s5, 0
	s_add_u32 s0, s0, s6
	s_addc_u32 s1, s2, s1
	s_load_dword s2, s[0:1], 0x740
	s_mov_b32 s1, 0
	s_mov_b32 s9, s1
	;; [unrolled: 1-line block ×3, first 2 shown]
	s_waitcnt lgkmcnt(0)
	s_ashr_i32 s3, s2, 31
	s_lshl_b64 s[18:19], s[2:3], 19
	s_waitcnt vmcnt(0)
	v_readfirstlane_b32 s0, v1
	s_lshl_b32 s0, s0, 3
	s_load_dwordx2 s[24:25], s[4:5], s0 offset:0x0
	s_load_dwordx2 s[16:17], s[4:5], 0xc50
	s_load_dwordx2 s[10:11], s[4:5], s0 offset:0x400
	s_load_dwordx2 s[22:23], s[4:5], s0 offset:0x200
	s_waitcnt lgkmcnt(0)
	s_add_u32 s33, s24, s18
	s_addc_u32 s64, s25, s19
	s_and_b32 s0, s33, 31
	s_add_u32 s65, s22, s18
	s_addc_u32 s66, s23, s19
	s_and_b32 s8, s10, 3
	s_and_b32 s6, s65, 31
	s_or_b64 s[8:9], s[0:1], s[8:9]
	s_or_b64 s[6:7], s[6:7], s[8:9]
	s_lshl_b64 s[2:3], s[2:3], 16
	s_sub_u32 s20, s10, s2
	s_subb_u32 s21, s11, s3
	s_cmp_eq_u64 s[6:7], 0
	s_mov_b64 s[2:3], -1
	s_cbranch_scc0 .LBB246_5
; %bb.1:
	v_mov_b32_e32 v3, 0
	v_lshlrev_b32_e32 v2, 2, v0
	v_cmp_gt_i64_e32 vcc, s[20:21], v[2:3]
	s_and_saveexec_b64 s[26:27], vcc
	s_cbranch_execz .LBB246_4
; %bb.2:
	s_load_dword s0, s[4:5], 0xc64
	s_mov_b32 s2, 0xfca7ab0c
	s_mov_b32 s30, 0x652b82fe
	;; [unrolled: 1-line block ×4, first 2 shown]
	s_waitcnt lgkmcnt(0)
	s_and_b32 s0, s0, 0xffff
	s_mov_b32 s3, 0x3e928af3
	s_mov_b32 s38, 0x6a5dcb37
	;; [unrolled: 1-line block ×12, first 2 shown]
	v_lshlrev_b32_e32 v4, 5, v0
	s_mov_b64 s[28:29], 0
	v_add_lshl_u32 v2, v0, s0, 2
	s_lshl_b32 s67, s0, 2
	s_lshl_b32 s68, s0, 5
	s_mov_b32 s31, 0xbff71547
	s_mov_b32 s35, 0xbfe62e42
	;; [unrolled: 1-line block ×4, first 2 shown]
	v_pk_mov_b32 v[6:7], s[2:3], s[2:3] op_sel:[0,1]
	s_mov_b32 s41, 0x3ec71dee
	s_mov_b32 s43, 0x3efa0199
	;; [unrolled: 1-line block ×9, first 2 shown]
	v_mov_b32_e32 v1, 0x7ff00000
	s_mov_b32 s59, 0x4090cc00
	s_mov_b64 s[60:61], 0xffff
	v_mov_b32_e32 v5, s1
.LBB246_3:                              ; =>This Inner Loop Header: Depth=1
	v_cmp_le_i64_e64 s[0:1], s[20:21], v[2:3]
	v_cmp_lt_u64_e64 s[2:3], s[60:61], v[2:3]
	v_add_co_u32_e64 v2, s[6:7], s67, v2
	v_addc_co_u32_e64 v3, s[6:7], v3, v5, s[6:7]
	v_mov_b32_e32 v8, s64
	v_add_co_u32_e64 v12, s[6:7], s33, v4
	v_mov_b32_e32 v9, s66
	v_add_co_u32_e32 v16, vcc, s65, v4
	v_addc_co_u32_e64 v13, s[6:7], 0, v8, s[6:7]
	v_addc_co_u32_e32 v17, vcc, 0, v9, vcc
	global_load_dwordx4 v[8:11], v[12:13], off
	s_nop 0
	global_load_dwordx4 v[12:15], v[12:13], off offset:16
	s_or_b64 s[62:63], s[0:1], s[2:3]
	s_waitcnt vmcnt(1)
	v_mul_f64 v[18:19], v[8:9], s[30:31]
	v_mul_f64 v[20:21], v[10:11], s[30:31]
	v_rndne_f64_e32 v[18:19], v[18:19]
	s_waitcnt vmcnt(0)
	v_mul_f64 v[22:23], v[12:13], s[30:31]
	v_rndne_f64_e32 v[20:21], v[20:21]
	v_fma_f64 v[26:27], v[18:19], s[34:35], -v[8:9]
	v_mul_f64 v[24:25], v[14:15], s[30:31]
	v_rndne_f64_e32 v[22:23], v[22:23]
	v_fma_f64 v[28:29], v[20:21], s[34:35], -v[10:11]
	v_fmac_f64_e32 v[26:27], s[36:37], v[18:19]
	v_rndne_f64_e32 v[24:25], v[24:25]
	v_cvt_i32_f64_e32 v34, v[18:19]
	v_fma_f64 v[30:31], v[22:23], s[34:35], -v[12:13]
	v_fmac_f64_e32 v[28:29], s[36:37], v[20:21]
	v_fma_f64 v[18:19], s[38:39], v[26:27], v[6:7]
	v_cvt_i32_f64_e32 v35, v[20:21]
	v_fma_f64 v[32:33], v[24:25], s[34:35], -v[14:15]
	v_fmac_f64_e32 v[30:31], s[36:37], v[22:23]
	v_fma_f64 v[20:21], s[38:39], v[28:29], v[6:7]
	v_fma_f64 v[18:19], v[26:27], v[18:19], s[40:41]
	v_cvt_i32_f64_e32 v36, v[22:23]
	v_fmac_f64_e32 v[32:33], s[36:37], v[24:25]
	v_fma_f64 v[22:23], s[38:39], v[30:31], v[6:7]
	v_fma_f64 v[20:21], v[28:29], v[20:21], s[40:41]
	v_fma_f64 v[18:19], v[26:27], v[18:19], s[42:43]
	v_cvt_i32_f64_e32 v37, v[24:25]
	v_fma_f64 v[24:25], s[38:39], v[32:33], v[6:7]
	v_fma_f64 v[22:23], v[30:31], v[22:23], s[40:41]
	;; [unrolled: 1-line block ×27, first 2 shown]
	v_fma_f64 v[18:19], v[26:27], v[18:19], 1.0
	v_fma_f64 v[24:25], v[32:33], v[24:25], s[52:53]
	v_fma_f64 v[22:23], v[30:31], v[22:23], s[54:55]
	v_fma_f64 v[20:21], v[28:29], v[20:21], 1.0
	v_fma_f64 v[18:19], v[26:27], v[18:19], 1.0
	v_fma_f64 v[24:25], v[32:33], v[24:25], s[54:55]
	v_fma_f64 v[22:23], v[30:31], v[22:23], 1.0
	v_fma_f64 v[20:21], v[28:29], v[20:21], 1.0
	v_ldexp_f64 v[18:19], v[18:19], v34
	v_cmp_ngt_f64_e64 s[6:7], s[56:57], v[8:9]
	v_cmp_nlt_f64_e64 s[14:15], s[58:59], v[8:9]
	v_fma_f64 v[24:25], v[32:33], v[24:25], 1.0
	v_fma_f64 v[22:23], v[30:31], v[22:23], 1.0
	v_ldexp_f64 v[20:21], v[20:21], v35
	v_cmp_ngt_f64_e32 vcc, s[56:57], v[10:11]
	v_cndmask_b32_e64 v19, v1, v19, s[6:7]
	v_cmp_nlt_f64_e64 s[8:9], s[58:59], v[10:11]
	s_and_b64 s[6:7], s[14:15], s[6:7]
	v_fma_f64 v[24:25], v[32:33], v[24:25], 1.0
	v_ldexp_f64 v[22:23], v[22:23], v36
	v_cmp_ngt_f64_e64 s[0:1], s[56:57], v[12:13]
	v_cndmask_b32_e32 v21, v1, v21, vcc
	v_cmp_nlt_f64_e64 s[10:11], s[58:59], v[12:13]
	v_cndmask_b32_e64 v9, 0, v19, s[14:15]
	v_cndmask_b32_e64 v8, 0, v18, s[6:7]
	s_and_b64 vcc, s[8:9], vcc
	v_ldexp_f64 v[24:25], v[24:25], v37
	v_cmp_ngt_f64_e64 s[2:3], s[56:57], v[14:15]
	v_cndmask_b32_e64 v23, v1, v23, s[0:1]
	v_cmp_nlt_f64_e64 s[12:13], s[58:59], v[14:15]
	v_cndmask_b32_e64 v11, 0, v21, s[8:9]
	v_cndmask_b32_e32 v10, 0, v20, vcc
	s_and_b64 vcc, s[10:11], s[0:1]
	v_add_f64 v[8:9], v[8:9], s[16:17]
	v_cndmask_b32_e64 v25, v1, v25, s[2:3]
	v_cndmask_b32_e64 v13, 0, v23, s[10:11]
	v_cndmask_b32_e32 v12, 0, v22, vcc
	s_and_b64 vcc, s[12:13], s[2:3]
	v_add_f64 v[10:11], v[10:11], s[16:17]
	v_div_scale_f64 v[18:19], s[0:1], v[8:9], v[8:9], s[16:17]
	v_cndmask_b32_e64 v15, 0, v25, s[12:13]
	v_cndmask_b32_e32 v14, 0, v24, vcc
	v_add_f64 v[12:13], v[12:13], s[16:17]
	v_div_scale_f64 v[22:23], s[0:1], v[10:11], v[10:11], s[16:17]
	v_rcp_f64_e32 v[34:35], v[18:19]
	v_add_f64 v[14:15], v[14:15], s[16:17]
	v_div_scale_f64 v[26:27], s[2:3], v[12:13], v[12:13], s[16:17]
	v_rcp_f64_e32 v[36:37], v[22:23]
	v_div_scale_f64 v[30:31], s[6:7], v[14:15], v[14:15], s[16:17]
	v_rcp_f64_e32 v[38:39], v[26:27]
	v_rcp_f64_e32 v[40:41], v[30:31]
	v_fma_f64 v[42:43], -v[18:19], v[34:35], 1.0
	v_fma_f64 v[44:45], -v[22:23], v[36:37], 1.0
	v_fmac_f64_e32 v[34:35], v[34:35], v[42:43]
	v_fma_f64 v[46:47], -v[26:27], v[38:39], 1.0
	v_fmac_f64_e32 v[36:37], v[36:37], v[44:45]
	v_fma_f64 v[42:43], -v[18:19], v[34:35], 1.0
	v_div_scale_f64 v[20:21], vcc, s[16:17], v[8:9], s[16:17]
	v_fma_f64 v[48:49], -v[30:31], v[40:41], 1.0
	v_fmac_f64_e32 v[38:39], v[38:39], v[46:47]
	v_fma_f64 v[44:45], -v[22:23], v[36:37], 1.0
	v_fmac_f64_e32 v[34:35], v[34:35], v[42:43]
	v_div_scale_f64 v[24:25], s[0:1], s[16:17], v[10:11], s[16:17]
	v_fmac_f64_e32 v[40:41], v[40:41], v[48:49]
	v_fma_f64 v[46:47], -v[26:27], v[38:39], 1.0
	v_fmac_f64_e32 v[36:37], v[36:37], v[44:45]
	v_mul_f64 v[42:43], v[20:21], v[34:35]
	s_add_u32 s33, s33, s68
	v_div_scale_f64 v[28:29], s[2:3], s[16:17], v[12:13], s[16:17]
	v_fma_f64 v[48:49], -v[30:31], v[40:41], 1.0
	v_fmac_f64_e32 v[38:39], v[38:39], v[46:47]
	v_mul_f64 v[44:45], v[24:25], v[36:37]
	v_fma_f64 v[18:19], -v[18:19], v[42:43], v[20:21]
	v_div_scale_f64 v[32:33], s[6:7], s[16:17], v[14:15], s[16:17]
	s_addc_u32 s64, s64, 0
	v_fmac_f64_e32 v[40:41], v[40:41], v[48:49]
	v_mul_f64 v[46:47], v[28:29], v[38:39]
	v_fma_f64 v[20:21], -v[22:23], v[44:45], v[24:25]
	v_div_fmas_f64 v[18:19], v[18:19], v[34:35], v[42:43]
	s_mov_b64 vcc, s[0:1]
	s_add_u32 s65, s65, s68
	v_mul_f64 v[48:49], v[32:33], v[40:41]
	v_fma_f64 v[22:23], -v[26:27], v[46:47], v[28:29]
	v_div_fixup_f64 v[8:9], v[18:19], v[8:9], s[16:17]
	v_div_fmas_f64 v[18:19], v[20:21], v[36:37], v[44:45]
	s_mov_b64 vcc, s[2:3]
	s_addc_u32 s66, s66, 0
	v_fma_f64 v[24:25], -v[30:31], v[48:49], v[32:33]
	v_div_fixup_f64 v[10:11], v[18:19], v[10:11], s[16:17]
	v_div_fmas_f64 v[18:19], v[22:23], v[38:39], v[46:47]
	s_mov_b64 vcc, s[6:7]
	s_and_b64 s[8:9], exec, s[62:63]
	v_div_fixup_f64 v[12:13], v[18:19], v[12:13], s[16:17]
	v_div_fmas_f64 v[18:19], v[24:25], v[40:41], v[48:49]
	s_or_b64 s[28:29], s[8:9], s[28:29]
	v_div_fixup_f64 v[14:15], v[18:19], v[14:15], s[16:17]
	global_store_dwordx4 v[16:17], v[8:11], off
	global_store_dwordx4 v[16:17], v[12:15], off offset:16
	s_andn2_b64 exec, exec, s[28:29]
	s_cbranch_execnz .LBB246_3
.LBB246_4:
	s_or_b64 exec, exec, s[26:27]
	s_mov_b64 s[2:3], 0
.LBB246_5:
	s_andn2_b64 vcc, exec, s[2:3]
	s_cbranch_vccnz .LBB246_25
; %bb.6:
	v_cmp_lt_i64_e64 s[0:1], s[20:21], 1
	s_and_b64 vcc, exec, s[0:1]
	s_cbranch_vccnz .LBB246_25
; %bb.7:
	s_load_dword s0, s[4:5], 0xc64
	v_mov_b32_e32 v2, 0x10000
	v_mov_b32_e32 v3, 0
	v_cmp_lt_u64_e32 vcc, s[20:21], v[2:3]
	v_lshlrev_b32_e32 v10, 3, v0
	s_waitcnt lgkmcnt(0)
	s_and_b32 s2, s0, 0xffff
	s_and_b64 s[0:1], vcc, exec
	v_mov_b32_e32 v13, s25
	v_add_co_u32_e32 v2, vcc, s24, v10
	v_addc_co_u32_e32 v1, vcc, 0, v13, vcc
	v_mov_b32_e32 v11, 0
	v_mov_b32_e32 v15, s23
	v_add_co_u32_e32 v4, vcc, s22, v10
	v_addc_co_u32_e32 v3, vcc, 0, v15, vcc
	v_mad_u64_u32 v[8:9], s[0:1], s2, 24, v[10:11]
	v_add_co_u32_e32 v6, vcc, s24, v8
	v_addc_co_u32_e32 v5, vcc, v13, v9, vcc
	v_add_co_u32_e32 v8, vcc, s22, v8
	s_mul_i32 s4, s2, 3
	v_addc_co_u32_e32 v7, vcc, v15, v9, vcc
	v_add_co_u32_e32 v17, vcc, s4, v0
	v_addc_co_u32_e64 v44, s[0:1], 0, 0, vcc
	s_cselect_b32 s9, s21, 0
	s_cselect_b32 s8, s20, 0x10000
	s_lshl_b32 s0, s2, 4
	v_add_co_u32_e32 v11, vcc, s0, v10
	v_addc_co_u32_e64 v14, s[0:1], 0, 0, vcc
	v_add_co_u32_e32 v10, vcc, s24, v11
	v_addc_co_u32_e32 v9, vcc, v13, v14, vcc
	v_add_co_u32_e32 v12, vcc, s22, v11
	s_lshl_b32 s3, s2, 1
	v_addc_co_u32_e32 v11, vcc, v15, v14, vcc
	v_add_co_u32_e32 v45, vcc, s3, v0
	v_addc_co_u32_e64 v46, s[0:1], 0, 0, vcc
	v_add_co_u32_e32 v47, vcc, s2, v0
	v_lshlrev_b32_e32 v16, 3, v47
	v_addc_co_u32_e64 v48, s[0:1], 0, 0, vcc
	v_add_co_u32_e32 v14, vcc, s24, v16
	v_addc_co_u32_e32 v13, vcc, 0, v13, vcc
	v_add_co_u32_e32 v16, vcc, s22, v16
	s_mov_b32 s12, 0x652b82fe
	s_mov_b32 s14, 0xfefa39ef
	;; [unrolled: 1-line block ×7, first 2 shown]
	s_lshl_b32 s34, s2, 2
	s_lshl_b32 s35, s2, 5
	v_addc_co_u32_e32 v15, vcc, 0, v15, vcc
	s_mov_b64 s[10:11], 0
	s_mov_b32 s13, 0xbff71547
	s_mov_b32 s15, 0xbfe62e42
	;; [unrolled: 1-line block ×6, first 2 shown]
	v_mov_b32_e32 v18, 0xfca7ab0c
	v_mov_b32_e32 v19, 0x3e928af3
	;; [unrolled: 1-line block ×19, first 2 shown]
	s_branch .LBB246_9
.LBB246_8:                              ;   in Loop: Header=BB246_9 Depth=1
	s_or_b64 exec, exec, s[2:3]
	s_add_u32 s10, s10, s34
	s_addc_u32 s11, s11, 0
	s_waitcnt vmcnt(0)
	v_pk_mov_b32 v[36:37], s[20:21], s[20:21] op_sel:[0,1]
	v_cmp_ge_i64_e32 vcc, s[10:11], v[36:37]
	v_mov_b32_e32 v36, 0xffff
	v_mov_b32_e32 v37, 0
	v_cmp_gt_u64_e64 s[0:1], s[10:11], v[36:37]
	s_or_b64 s[0:1], vcc, s[0:1]
	v_mov_b32_e32 v36, s33
	v_add_co_u32_e32 v2, vcc, s35, v2
	v_addc_co_u32_e32 v1, vcc, v1, v36, vcc
	v_add_co_u32_e32 v4, vcc, s35, v4
	v_addc_co_u32_e32 v3, vcc, v3, v36, vcc
	;; [unrolled: 2-line block ×8, first 2 shown]
	s_and_b64 vcc, exec, s[0:1]
	s_cbranch_vccnz .LBB246_25
.LBB246_9:                              ; =>This Inner Loop Header: Depth=1
	v_mov_b32_e32 v37, s11
	v_add_co_u32_e32 v36, vcc, s10, v0
	v_addc_co_u32_e32 v37, vcc, 0, v37, vcc
	v_pk_mov_b32 v[40:41], 0, 0
	v_cmp_gt_u64_e32 vcc, s[8:9], v[36:37]
	v_pk_mov_b32 v[42:43], v[40:41], v[40:41] op_sel:[0,1]
	s_and_saveexec_b64 s[2:3], vcc
	s_cbranch_execz .LBB246_11
; %bb.10:                               ;   in Loop: Header=BB246_9 Depth=1
	v_mov_b32_e32 v37, s19
	v_add_co_u32_e64 v36, s[0:1], s18, v2
	v_addc_co_u32_e64 v37, s[0:1], v1, v37, s[0:1]
	global_load_dwordx2 v[42:43], v[36:37], off
.LBB246_11:                             ;   in Loop: Header=BB246_9 Depth=1
	s_or_b64 exec, exec, s[2:3]
	v_mov_b32_e32 v37, s11
	v_add_co_u32_e64 v36, s[0:1], s10, v47
	v_addc_co_u32_e64 v37, s[0:1], v48, v37, s[0:1]
	v_cmp_gt_u64_e64 s[4:5], s[8:9], v[36:37]
	s_and_saveexec_b64 s[2:3], s[4:5]
	s_cbranch_execz .LBB246_13
; %bb.12:                               ;   in Loop: Header=BB246_9 Depth=1
	v_mov_b32_e32 v37, s19
	v_add_co_u32_e64 v36, s[0:1], s18, v14
	v_addc_co_u32_e64 v37, s[0:1], v13, v37, s[0:1]
	global_load_dwordx2 v[40:41], v[36:37], off
.LBB246_13:                             ;   in Loop: Header=BB246_9 Depth=1
	s_or_b64 exec, exec, s[2:3]
	v_mov_b32_e32 v37, s11
	v_add_co_u32_e64 v36, s[0:1], s10, v45
	v_addc_co_u32_e64 v37, s[0:1], v46, v37, s[0:1]
	v_cmp_gt_u64_e64 s[2:3], s[8:9], v[36:37]
	v_pk_mov_b32 v[36:37], 0, 0
	v_pk_mov_b32 v[38:39], v[36:37], v[36:37] op_sel:[0,1]
	s_and_saveexec_b64 s[6:7], s[2:3]
	s_cbranch_execz .LBB246_15
; %bb.14:                               ;   in Loop: Header=BB246_9 Depth=1
	v_mov_b32_e32 v39, s19
	v_add_co_u32_e64 v38, s[0:1], s18, v10
	v_addc_co_u32_e64 v39, s[0:1], v9, v39, s[0:1]
	global_load_dwordx2 v[38:39], v[38:39], off
.LBB246_15:                             ;   in Loop: Header=BB246_9 Depth=1
	s_or_b64 exec, exec, s[6:7]
	v_mov_b32_e32 v51, s11
	v_add_co_u32_e64 v50, s[0:1], s10, v17
	v_addc_co_u32_e64 v51, s[0:1], v44, v51, s[0:1]
	v_cmp_gt_u64_e64 s[0:1], s[8:9], v[50:51]
	s_and_saveexec_b64 s[30:31], s[0:1]
	s_cbranch_execnz .LBB246_20
; %bb.16:                               ;   in Loop: Header=BB246_9 Depth=1
	s_or_b64 exec, exec, s[30:31]
	s_and_saveexec_b64 s[30:31], vcc
	s_cbranch_execnz .LBB246_21
.LBB246_17:                             ;   in Loop: Header=BB246_9 Depth=1
	s_or_b64 exec, exec, s[30:31]
	s_and_saveexec_b64 s[6:7], s[4:5]
	s_cbranch_execnz .LBB246_22
.LBB246_18:                             ;   in Loop: Header=BB246_9 Depth=1
	s_or_b64 exec, exec, s[6:7]
	s_and_saveexec_b64 s[4:5], s[2:3]
	s_cbranch_execnz .LBB246_23
.LBB246_19:                             ;   in Loop: Header=BB246_9 Depth=1
	s_or_b64 exec, exec, s[4:5]
	s_and_saveexec_b64 s[2:3], s[0:1]
	s_cbranch_execz .LBB246_8
	s_branch .LBB246_24
.LBB246_20:                             ;   in Loop: Header=BB246_9 Depth=1
	v_mov_b32_e32 v37, s19
	v_add_co_u32_e64 v36, s[6:7], s18, v6
	v_addc_co_u32_e64 v37, s[6:7], v5, v37, s[6:7]
	global_load_dwordx2 v[36:37], v[36:37], off
	s_or_b64 exec, exec, s[30:31]
	s_and_saveexec_b64 s[30:31], vcc
	s_cbranch_execz .LBB246_17
.LBB246_21:                             ;   in Loop: Header=BB246_9 Depth=1
	s_waitcnt vmcnt(0)
	v_mul_f64 v[50:51], v[42:43], s[12:13]
	v_rndne_f64_e32 v[50:51], v[50:51]
	v_fma_f64 v[52:53], v[50:51], s[14:15], -v[42:43]
	v_fmac_f64_e32 v[52:53], s[22:23], v[50:51]
	v_pk_mov_b32 v[54:55], v[18:19], v[18:19] op_sel:[0,1]
	v_fmac_f64_e32 v[54:55], s[24:25], v[52:53]
	v_pk_mov_b32 v[56:57], v[20:21], v[20:21] op_sel:[0,1]
	;; [unrolled: 2-line block ×9, first 2 shown]
	v_fmac_f64_e32 v[54:55], v[52:53], v[56:57]
	v_fma_f64 v[54:55], v[52:53], v[54:55], 1.0
	v_fma_f64 v[52:53], v[52:53], v[54:55], 1.0
	v_cvt_i32_f64_e32 v50, v[50:51]
	v_ldexp_f64 v[50:51], v[52:53], v50
	v_cmp_ngt_f64_e32 vcc, s[26:27], v[42:43]
	v_cmp_nlt_f64_e64 s[6:7], s[28:29], v[42:43]
	v_cndmask_b32_e32 v51, v49, v51, vcc
	s_and_b64 vcc, s[6:7], vcc
	v_cndmask_b32_e64 v43, 0, v51, s[6:7]
	v_cndmask_b32_e32 v42, 0, v50, vcc
	v_add_f64 v[42:43], v[42:43], s[16:17]
	v_div_scale_f64 v[50:51], s[6:7], v[42:43], v[42:43], s[16:17]
	v_rcp_f64_e32 v[52:53], v[50:51]
	v_fma_f64 v[54:55], -v[50:51], v[52:53], 1.0
	v_fmac_f64_e32 v[52:53], v[52:53], v[54:55]
	v_fma_f64 v[54:55], -v[50:51], v[52:53], 1.0
	v_fmac_f64_e32 v[52:53], v[52:53], v[54:55]
	v_div_scale_f64 v[54:55], vcc, s[16:17], v[42:43], s[16:17]
	v_mul_f64 v[56:57], v[54:55], v[52:53]
	v_fma_f64 v[50:51], -v[50:51], v[56:57], v[54:55]
	s_nop 1
	v_div_fmas_f64 v[50:51], v[50:51], v[52:53], v[56:57]
	v_div_fixup_f64 v[42:43], v[50:51], v[42:43], s[16:17]
	v_mov_b32_e32 v51, s19
	v_add_co_u32_e32 v50, vcc, s18, v4
	v_addc_co_u32_e32 v51, vcc, v3, v51, vcc
	global_store_dwordx2 v[50:51], v[42:43], off
	s_or_b64 exec, exec, s[30:31]
	s_and_saveexec_b64 s[6:7], s[4:5]
	s_cbranch_execz .LBB246_18
.LBB246_22:                             ;   in Loop: Header=BB246_9 Depth=1
	s_waitcnt vmcnt(0)
	v_mul_f64 v[42:43], v[40:41], s[12:13]
	v_rndne_f64_e32 v[42:43], v[42:43]
	v_fma_f64 v[50:51], v[42:43], s[14:15], -v[40:41]
	v_fmac_f64_e32 v[50:51], s[22:23], v[42:43]
	v_pk_mov_b32 v[52:53], v[18:19], v[18:19] op_sel:[0,1]
	v_fmac_f64_e32 v[52:53], s[24:25], v[50:51]
	v_pk_mov_b32 v[54:55], v[20:21], v[20:21] op_sel:[0,1]
	;; [unrolled: 2-line block ×9, first 2 shown]
	v_fmac_f64_e32 v[52:53], v[50:51], v[54:55]
	v_fma_f64 v[52:53], v[50:51], v[52:53], 1.0
	v_fma_f64 v[50:51], v[50:51], v[52:53], 1.0
	v_cvt_i32_f64_e32 v42, v[42:43]
	v_ldexp_f64 v[42:43], v[50:51], v42
	v_cmp_ngt_f64_e32 vcc, s[26:27], v[40:41]
	v_cmp_nlt_f64_e64 s[4:5], s[28:29], v[40:41]
	v_cndmask_b32_e32 v43, v49, v43, vcc
	s_and_b64 vcc, s[4:5], vcc
	v_cndmask_b32_e64 v41, 0, v43, s[4:5]
	v_cndmask_b32_e32 v40, 0, v42, vcc
	v_add_f64 v[40:41], v[40:41], s[16:17]
	v_div_scale_f64 v[42:43], s[4:5], v[40:41], v[40:41], s[16:17]
	v_rcp_f64_e32 v[50:51], v[42:43]
	v_fma_f64 v[52:53], -v[42:43], v[50:51], 1.0
	v_fmac_f64_e32 v[50:51], v[50:51], v[52:53]
	v_fma_f64 v[52:53], -v[42:43], v[50:51], 1.0
	v_fmac_f64_e32 v[50:51], v[50:51], v[52:53]
	v_div_scale_f64 v[52:53], vcc, s[16:17], v[40:41], s[16:17]
	v_mul_f64 v[54:55], v[52:53], v[50:51]
	v_fma_f64 v[42:43], -v[42:43], v[54:55], v[52:53]
	s_nop 1
	v_div_fmas_f64 v[42:43], v[42:43], v[50:51], v[54:55]
	v_div_fixup_f64 v[40:41], v[42:43], v[40:41], s[16:17]
	v_mov_b32_e32 v43, s19
	v_add_co_u32_e32 v42, vcc, s18, v16
	v_addc_co_u32_e32 v43, vcc, v15, v43, vcc
	global_store_dwordx2 v[42:43], v[40:41], off
	s_or_b64 exec, exec, s[6:7]
	s_and_saveexec_b64 s[4:5], s[2:3]
	s_cbranch_execz .LBB246_19
.LBB246_23:                             ;   in Loop: Header=BB246_9 Depth=1
	s_waitcnt vmcnt(0)
	v_mul_f64 v[40:41], v[38:39], s[12:13]
	v_rndne_f64_e32 v[40:41], v[40:41]
	v_fma_f64 v[42:43], v[40:41], s[14:15], -v[38:39]
	v_fmac_f64_e32 v[42:43], s[22:23], v[40:41]
	v_pk_mov_b32 v[50:51], v[18:19], v[18:19] op_sel:[0,1]
	v_fmac_f64_e32 v[50:51], s[24:25], v[42:43]
	v_pk_mov_b32 v[52:53], v[20:21], v[20:21] op_sel:[0,1]
	;; [unrolled: 2-line block ×9, first 2 shown]
	v_fmac_f64_e32 v[50:51], v[42:43], v[52:53]
	v_fma_f64 v[50:51], v[42:43], v[50:51], 1.0
	v_fma_f64 v[42:43], v[42:43], v[50:51], 1.0
	v_cvt_i32_f64_e32 v40, v[40:41]
	v_ldexp_f64 v[40:41], v[42:43], v40
	v_cmp_ngt_f64_e32 vcc, s[26:27], v[38:39]
	v_cmp_nlt_f64_e64 s[2:3], s[28:29], v[38:39]
	v_cndmask_b32_e32 v41, v49, v41, vcc
	s_and_b64 vcc, s[2:3], vcc
	v_cndmask_b32_e64 v39, 0, v41, s[2:3]
	v_cndmask_b32_e32 v38, 0, v40, vcc
	v_add_f64 v[38:39], v[38:39], s[16:17]
	v_div_scale_f64 v[40:41], s[2:3], v[38:39], v[38:39], s[16:17]
	v_rcp_f64_e32 v[42:43], v[40:41]
	v_fma_f64 v[50:51], -v[40:41], v[42:43], 1.0
	v_fmac_f64_e32 v[42:43], v[42:43], v[50:51]
	v_fma_f64 v[50:51], -v[40:41], v[42:43], 1.0
	v_fmac_f64_e32 v[42:43], v[42:43], v[50:51]
	v_div_scale_f64 v[50:51], vcc, s[16:17], v[38:39], s[16:17]
	v_mul_f64 v[52:53], v[50:51], v[42:43]
	v_fma_f64 v[40:41], -v[40:41], v[52:53], v[50:51]
	s_nop 1
	v_div_fmas_f64 v[40:41], v[40:41], v[42:43], v[52:53]
	v_div_fixup_f64 v[38:39], v[40:41], v[38:39], s[16:17]
	v_mov_b32_e32 v41, s19
	v_add_co_u32_e32 v40, vcc, s18, v12
	v_addc_co_u32_e32 v41, vcc, v11, v41, vcc
	global_store_dwordx2 v[40:41], v[38:39], off
	s_or_b64 exec, exec, s[4:5]
	s_and_saveexec_b64 s[2:3], s[0:1]
	s_cbranch_execz .LBB246_8
.LBB246_24:                             ;   in Loop: Header=BB246_9 Depth=1
	s_waitcnt vmcnt(0)
	v_mul_f64 v[38:39], v[36:37], s[12:13]
	v_rndne_f64_e32 v[38:39], v[38:39]
	v_fma_f64 v[40:41], v[38:39], s[14:15], -v[36:37]
	v_fmac_f64_e32 v[40:41], s[22:23], v[38:39]
	v_pk_mov_b32 v[42:43], v[18:19], v[18:19] op_sel:[0,1]
	v_fmac_f64_e32 v[42:43], s[24:25], v[40:41]
	v_pk_mov_b32 v[50:51], v[20:21], v[20:21] op_sel:[0,1]
	;; [unrolled: 2-line block ×9, first 2 shown]
	v_fmac_f64_e32 v[42:43], v[40:41], v[50:51]
	v_fma_f64 v[42:43], v[40:41], v[42:43], 1.0
	v_fma_f64 v[40:41], v[40:41], v[42:43], 1.0
	v_cvt_i32_f64_e32 v38, v[38:39]
	v_ldexp_f64 v[38:39], v[40:41], v38
	v_cmp_ngt_f64_e32 vcc, s[26:27], v[36:37]
	v_cmp_nlt_f64_e64 s[0:1], s[28:29], v[36:37]
	v_cndmask_b32_e32 v39, v49, v39, vcc
	s_and_b64 vcc, s[0:1], vcc
	v_cndmask_b32_e64 v37, 0, v39, s[0:1]
	v_cndmask_b32_e32 v36, 0, v38, vcc
	v_add_f64 v[36:37], v[36:37], s[16:17]
	v_div_scale_f64 v[38:39], s[0:1], v[36:37], v[36:37], s[16:17]
	v_rcp_f64_e32 v[40:41], v[38:39]
	v_fma_f64 v[42:43], -v[38:39], v[40:41], 1.0
	v_fmac_f64_e32 v[40:41], v[40:41], v[42:43]
	v_fma_f64 v[42:43], -v[38:39], v[40:41], 1.0
	v_fmac_f64_e32 v[40:41], v[40:41], v[42:43]
	v_div_scale_f64 v[42:43], vcc, s[16:17], v[36:37], s[16:17]
	v_mul_f64 v[50:51], v[42:43], v[40:41]
	v_fma_f64 v[38:39], -v[38:39], v[50:51], v[42:43]
	s_nop 1
	v_div_fmas_f64 v[38:39], v[38:39], v[40:41], v[50:51]
	v_div_fixup_f64 v[36:37], v[38:39], v[36:37], s[16:17]
	v_mov_b32_e32 v39, s19
	v_add_co_u32_e32 v38, vcc, s18, v8
	v_addc_co_u32_e32 v39, vcc, v7, v39, vcc
	global_store_dwordx2 v[38:39], v[36:37], off
	s_branch .LBB246_8
.LBB246_25:
	s_endpgm
	.section	.rodata,"a",@progbits
	.p2align	6, 0x0
	.amdhsa_kernel _ZN2at6native12_GLOBAL__N_125multi_tensor_apply_kernelINS1_18TensorListMetadataILi2EEENS1_14UnaryOpFunctorIdLi2ELi1ELi1EEEJNS0_7SigmoidIdEEEEEvT_T0_DpT1_
		.amdhsa_group_segment_fixed_size 0
		.amdhsa_private_segment_fixed_size 0
		.amdhsa_kernarg_size 3416
		.amdhsa_user_sgpr_count 6
		.amdhsa_user_sgpr_private_segment_buffer 1
		.amdhsa_user_sgpr_dispatch_ptr 0
		.amdhsa_user_sgpr_queue_ptr 0
		.amdhsa_user_sgpr_kernarg_segment_ptr 1
		.amdhsa_user_sgpr_dispatch_id 0
		.amdhsa_user_sgpr_flat_scratch_init 0
		.amdhsa_user_sgpr_kernarg_preload_length 0
		.amdhsa_user_sgpr_kernarg_preload_offset 0
		.amdhsa_user_sgpr_private_segment_size 0
		.amdhsa_uses_dynamic_stack 0
		.amdhsa_system_sgpr_private_segment_wavefront_offset 0
		.amdhsa_system_sgpr_workgroup_id_x 1
		.amdhsa_system_sgpr_workgroup_id_y 0
		.amdhsa_system_sgpr_workgroup_id_z 0
		.amdhsa_system_sgpr_workgroup_info 0
		.amdhsa_system_vgpr_workitem_id 0
		.amdhsa_next_free_vgpr 58
		.amdhsa_next_free_sgpr 69
		.amdhsa_accum_offset 60
		.amdhsa_reserve_vcc 1
		.amdhsa_reserve_flat_scratch 0
		.amdhsa_float_round_mode_32 0
		.amdhsa_float_round_mode_16_64 0
		.amdhsa_float_denorm_mode_32 3
		.amdhsa_float_denorm_mode_16_64 3
		.amdhsa_dx10_clamp 1
		.amdhsa_ieee_mode 1
		.amdhsa_fp16_overflow 0
		.amdhsa_tg_split 0
		.amdhsa_exception_fp_ieee_invalid_op 0
		.amdhsa_exception_fp_denorm_src 0
		.amdhsa_exception_fp_ieee_div_zero 0
		.amdhsa_exception_fp_ieee_overflow 0
		.amdhsa_exception_fp_ieee_underflow 0
		.amdhsa_exception_fp_ieee_inexact 0
		.amdhsa_exception_int_div_zero 0
	.end_amdhsa_kernel
	.section	.text._ZN2at6native12_GLOBAL__N_125multi_tensor_apply_kernelINS1_18TensorListMetadataILi2EEENS1_14UnaryOpFunctorIdLi2ELi1ELi1EEEJNS0_7SigmoidIdEEEEEvT_T0_DpT1_,"axG",@progbits,_ZN2at6native12_GLOBAL__N_125multi_tensor_apply_kernelINS1_18TensorListMetadataILi2EEENS1_14UnaryOpFunctorIdLi2ELi1ELi1EEEJNS0_7SigmoidIdEEEEEvT_T0_DpT1_,comdat
.Lfunc_end246:
	.size	_ZN2at6native12_GLOBAL__N_125multi_tensor_apply_kernelINS1_18TensorListMetadataILi2EEENS1_14UnaryOpFunctorIdLi2ELi1ELi1EEEJNS0_7SigmoidIdEEEEEvT_T0_DpT1_, .Lfunc_end246-_ZN2at6native12_GLOBAL__N_125multi_tensor_apply_kernelINS1_18TensorListMetadataILi2EEENS1_14UnaryOpFunctorIdLi2ELi1ELi1EEEJNS0_7SigmoidIdEEEEEvT_T0_DpT1_
                                        ; -- End function
	.section	.AMDGPU.csdata,"",@progbits
; Kernel info:
; codeLenInByte = 3872
; NumSgprs: 73
; NumVgprs: 58
; NumAgprs: 0
; TotalNumVgprs: 58
; ScratchSize: 0
; MemoryBound: 0
; FloatMode: 240
; IeeeMode: 1
; LDSByteSize: 0 bytes/workgroup (compile time only)
; SGPRBlocks: 9
; VGPRBlocks: 7
; NumSGPRsForWavesPerEU: 73
; NumVGPRsForWavesPerEU: 58
; AccumOffset: 60
; Occupancy: 8
; WaveLimiterHint : 0
; COMPUTE_PGM_RSRC2:SCRATCH_EN: 0
; COMPUTE_PGM_RSRC2:USER_SGPR: 6
; COMPUTE_PGM_RSRC2:TRAP_HANDLER: 0
; COMPUTE_PGM_RSRC2:TGID_X_EN: 1
; COMPUTE_PGM_RSRC2:TGID_Y_EN: 0
; COMPUTE_PGM_RSRC2:TGID_Z_EN: 0
; COMPUTE_PGM_RSRC2:TIDIG_COMP_CNT: 0
; COMPUTE_PGM_RSRC3_GFX90A:ACCUM_OFFSET: 14
; COMPUTE_PGM_RSRC3_GFX90A:TG_SPLIT: 0
	.section	.text._ZN2at6native12_GLOBAL__N_125multi_tensor_apply_kernelINS1_18TensorListMetadataILi2EEENS1_14UnaryOpFunctorIfLi2ELi1ELi1EEEJNS0_7SigmoidIfEEEEEvT_T0_DpT1_,"axG",@progbits,_ZN2at6native12_GLOBAL__N_125multi_tensor_apply_kernelINS1_18TensorListMetadataILi2EEENS1_14UnaryOpFunctorIfLi2ELi1ELi1EEEJNS0_7SigmoidIfEEEEEvT_T0_DpT1_,comdat
	.globl	_ZN2at6native12_GLOBAL__N_125multi_tensor_apply_kernelINS1_18TensorListMetadataILi2EEENS1_14UnaryOpFunctorIfLi2ELi1ELi1EEEJNS0_7SigmoidIfEEEEEvT_T0_DpT1_ ; -- Begin function _ZN2at6native12_GLOBAL__N_125multi_tensor_apply_kernelINS1_18TensorListMetadataILi2EEENS1_14UnaryOpFunctorIfLi2ELi1ELi1EEEJNS0_7SigmoidIfEEEEEvT_T0_DpT1_
	.p2align	8
	.type	_ZN2at6native12_GLOBAL__N_125multi_tensor_apply_kernelINS1_18TensorListMetadataILi2EEENS1_14UnaryOpFunctorIfLi2ELi1ELi1EEEJNS0_7SigmoidIfEEEEEvT_T0_DpT1_,@function
_ZN2at6native12_GLOBAL__N_125multi_tensor_apply_kernelINS1_18TensorListMetadataILi2EEENS1_14UnaryOpFunctorIfLi2ELi1ELi1EEEJNS0_7SigmoidIfEEEEEvT_T0_DpT1_: ; @_ZN2at6native12_GLOBAL__N_125multi_tensor_apply_kernelINS1_18TensorListMetadataILi2EEENS1_14UnaryOpFunctorIfLi2ELi1ELi1EEEJNS0_7SigmoidIfEEEEEvT_T0_DpT1_
; %bb.0:
	v_mov_b32_e32 v1, s6
	global_load_ubyte v1, v1, s[4:5] offset:1536
	s_add_u32 s0, s4, s6
	s_mul_hi_u32 s2, s6, 3
	s_mul_i32 s6, s6, 3
	s_addc_u32 s7, s5, 0
	s_add_u32 s6, s0, s6
	s_addc_u32 s7, s7, s2
	s_load_dword s6, s[6:7], 0x740
	s_mov_b32 s1, 0
	s_mov_b32 s19, s1
	;; [unrolled: 1-line block ×3, first 2 shown]
	s_waitcnt lgkmcnt(0)
	s_ashr_i32 s7, s6, 31
	s_lshl_b64 s[10:11], s[6:7], 18
	s_lshl_b64 s[6:7], s[6:7], 16
	s_waitcnt vmcnt(0)
	v_readfirstlane_b32 s0, v1
	s_lshl_b32 s0, s0, 3
	s_load_dwordx2 s[16:17], s[4:5], s0 offset:0x0
	s_load_dword s8, s[4:5], 0xc4c
	s_load_dwordx2 s[12:13], s[4:5], s0 offset:0x400
	s_load_dwordx2 s[14:15], s[4:5], s0 offset:0x200
	s_waitcnt lgkmcnt(0)
	s_and_b32 s0, s16, 15
	s_and_b32 s18, s12, 3
	;; [unrolled: 1-line block ×3, first 2 shown]
	s_or_b64 s[18:19], s[0:1], s[18:19]
	s_or_b64 s[2:3], s[2:3], s[18:19]
	s_sub_u32 s12, s12, s6
	s_subb_u32 s13, s13, s7
	s_cmp_eq_u64 s[2:3], 0
	s_mov_b64 s[2:3], -1
	s_cbranch_scc0 .LBB247_5
; %bb.1:
	v_mov_b32_e32 v3, 0
	v_lshlrev_b32_e32 v2, 2, v0
	v_cmp_gt_i64_e32 vcc, s[12:13], v[2:3]
	s_and_saveexec_b64 s[18:19], vcc
	s_cbranch_execz .LBB247_4
; %bb.2:
	s_load_dword s0, s[4:5], 0xc5c
	v_lshlrev_b32_e32 v1, 4, v0
	v_mov_b32_e32 v4, s11
	v_add_co_u32_e32 v1, vcc, s10, v1
	v_addc_co_u32_e32 v5, vcc, 0, v4, vcc
	s_waitcnt lgkmcnt(0)
	s_and_b32 s0, s0, 0xffff
	v_add_co_u32_e32 v4, vcc, 8, v1
	s_mov_b32 s9, s8
	v_add_lshl_u32 v2, v0, s0, 2
	s_lshl_b32 s24, s0, 2
	v_addc_co_u32_e32 v1, vcc, 0, v5, vcc
	s_lshl_b32 s25, s0, 4
	s_mov_b64 s[20:21], 0
	v_mov_b32_e32 v5, s17
	v_mov_b32_e32 v6, s15
	s_mov_b32 s26, 0xbfb8aa3b
	s_mov_b32 s27, 0x42ce8ed0
	;; [unrolled: 1-line block ×3, first 2 shown]
	v_mov_b32_e32 v7, 0x7f800000
	s_mov_b64 s[22:23], 0xffff
	v_mov_b32_e32 v8, s1
	v_mov_b32_e32 v9, s1
.LBB247_3:                              ; =>This Inner Loop Header: Depth=1
	v_add_co_u32_e32 v10, vcc, s16, v4
	v_addc_co_u32_e32 v11, vcc, v5, v1, vcc
	global_load_dwordx4 v[10:13], v[10:11], off offset:-8
	v_add_co_u32_e32 v14, vcc, s14, v4
	v_addc_co_u32_e32 v15, vcc, v6, v1, vcc
	v_cmp_le_i64_e32 vcc, s[12:13], v[2:3]
	v_cmp_lt_u64_e64 s[0:1], s[22:23], v[2:3]
	v_add_co_u32_e64 v2, s[2:3], s24, v2
	v_addc_co_u32_e64 v3, s[2:3], v3, v8, s[2:3]
	v_add_co_u32_e64 v4, s[2:3], s25, v4
	s_or_b64 s[0:1], vcc, s[0:1]
	v_addc_co_u32_e64 v1, s[2:3], v1, v9, s[2:3]
	s_and_b64 s[0:1], exec, s[0:1]
	s_or_b64 s[20:21], s[0:1], s[20:21]
	s_waitcnt vmcnt(0)
	v_mul_f32_e32 v16, 0xbfb8aa3b, v11
	v_mul_f32_e32 v17, 0xbfb8aa3b, v10
	v_fma_f32 v20, v11, s26, -v16
	v_rndne_f32_e32 v21, v16
	v_fma_f32 v22, v10, s26, -v17
	v_rndne_f32_e32 v23, v17
	v_mul_f32_e32 v18, 0xbfb8aa3b, v13
	v_mul_f32_e32 v19, 0xbfb8aa3b, v12
	v_fmac_f32_e32 v20, 0xb2a5705f, v11
	v_sub_f32_e32 v16, v16, v21
	v_fmac_f32_e32 v22, 0xb2a5705f, v10
	v_sub_f32_e32 v17, v17, v23
	v_fma_f32 v24, v13, s26, -v18
	v_rndne_f32_e32 v25, v18
	v_fma_f32 v26, v12, s26, -v19
	v_rndne_f32_e32 v27, v19
	v_add_f32_e32 v16, v16, v20
	v_add_f32_e32 v17, v17, v22
	v_cvt_i32_f32_e32 v21, v21
	v_cvt_i32_f32_e32 v23, v23
	v_fmac_f32_e32 v24, 0xb2a5705f, v13
	v_sub_f32_e32 v18, v18, v25
	v_fmac_f32_e32 v26, 0xb2a5705f, v12
	v_sub_f32_e32 v19, v19, v27
	v_exp_f32_e32 v16, v16
	v_exp_f32_e32 v17, v17
	v_add_f32_e32 v18, v18, v24
	v_add_f32_e32 v19, v19, v26
	v_cvt_i32_f32_e32 v25, v25
	v_cvt_i32_f32_e32 v27, v27
	v_exp_f32_e32 v18, v18
	v_exp_f32_e32 v19, v19
	v_ldexp_f32 v16, v16, v21
	v_ldexp_f32 v17, v17, v23
	v_cmp_nlt_f32_e32 vcc, s27, v10
	v_cmp_nlt_f32_e64 s[6:7], s27, v11
	v_cndmask_b32_e64 v16, 0, v16, s[6:7]
	v_cndmask_b32_e32 v17, 0, v17, vcc
	v_cmp_ngt_f32_e32 vcc, s28, v10
	v_cmp_ngt_f32_e64 s[6:7], s28, v11
	v_ldexp_f32 v18, v18, v25
	v_cmp_nlt_f32_e64 s[0:1], s27, v13
	v_ldexp_f32 v19, v19, v27
	v_cmp_nlt_f32_e64 s[2:3], s27, v12
	v_cndmask_b32_e64 v11, v7, v16, s[6:7]
	v_cndmask_b32_e32 v10, v7, v17, vcc
	v_cndmask_b32_e64 v18, 0, v18, s[0:1]
	v_cmp_ngt_f32_e64 s[0:1], s28, v13
	v_cndmask_b32_e64 v19, 0, v19, s[2:3]
	v_cmp_ngt_f32_e64 s[2:3], s28, v12
	v_pk_add_f32 v[10:11], v[10:11], s[8:9]
	v_cndmask_b32_e64 v13, v7, v18, s[0:1]
	v_cndmask_b32_e64 v12, v7, v19, s[2:3]
	v_div_scale_f32 v16, s[0:1], v11, v11, s9
	v_pk_add_f32 v[12:13], v[12:13], s[8:9]
	v_div_scale_f32 v18, s[0:1], v10, v10, s8
	v_rcp_f32_e32 v24, v16
	v_div_scale_f32 v20, s[2:3], v13, v13, s9
	v_rcp_f32_e32 v25, v18
	;; [unrolled: 2-line block ×3, first 2 shown]
	v_rcp_f32_e32 v27, v22
	v_fma_f32 v28, -v16, v24, 1.0
	v_div_scale_f32 v17, vcc, s9, v11, s9
	v_fma_f32 v29, -v18, v25, 1.0
	v_fmac_f32_e32 v24, v28, v24
	v_div_scale_f32 v19, s[0:1], s8, v10, s8
	v_fma_f32 v30, -v20, v26, 1.0
	v_fmac_f32_e32 v25, v29, v25
	v_mul_f32_e32 v28, v17, v24
	v_div_scale_f32 v21, s[2:3], s9, v13, s9
	v_fma_f32 v31, -v22, v27, 1.0
	v_fmac_f32_e32 v26, v30, v26
	v_mul_f32_e32 v29, v19, v25
	v_fma_f32 v32, -v16, v28, v17
	v_div_scale_f32 v23, s[6:7], s8, v12, s8
	v_fmac_f32_e32 v27, v31, v27
	v_mul_f32_e32 v30, v21, v26
	v_fma_f32 v33, -v18, v29, v19
	v_fmac_f32_e32 v28, v32, v24
	v_mul_f32_e32 v31, v23, v27
	v_fma_f32 v34, -v20, v30, v21
	v_fmac_f32_e32 v29, v33, v25
	v_fma_f32 v16, -v16, v28, v17
	v_fma_f32 v35, -v22, v31, v23
	v_fmac_f32_e32 v30, v34, v26
	v_fma_f32 v17, -v18, v29, v19
	v_div_fmas_f32 v16, v16, v24, v28
	s_mov_b64 vcc, s[0:1]
	v_fmac_f32_e32 v31, v35, v27
	v_fma_f32 v18, -v20, v30, v21
	v_div_fixup_f32 v11, v16, v11, s9
	v_div_fmas_f32 v16, v17, v25, v29
	s_mov_b64 vcc, s[2:3]
	v_fma_f32 v19, -v22, v31, v23
	v_div_fixup_f32 v10, v16, v10, s8
	v_div_fmas_f32 v16, v18, v26, v30
	s_mov_b64 vcc, s[6:7]
	v_div_fixup_f32 v13, v16, v13, s9
	v_div_fmas_f32 v16, v19, v27, v31
	v_div_fixup_f32 v12, v16, v12, s8
	global_store_dwordx4 v[14:15], v[10:13], off offset:-8
	s_andn2_b64 exec, exec, s[20:21]
	s_cbranch_execnz .LBB247_3
.LBB247_4:
	s_or_b64 exec, exec, s[18:19]
	s_mov_b64 s[2:3], 0
.LBB247_5:
	s_andn2_b64 vcc, exec, s[2:3]
	s_cbranch_vccnz .LBB247_25
; %bb.6:
	v_cmp_lt_i64_e64 s[0:1], s[12:13], 1
	s_and_b64 vcc, exec, s[0:1]
	s_cbranch_vccnz .LBB247_25
; %bb.7:
	s_load_dword s0, s[4:5], 0xc5c
	v_mov_b32_e32 v2, 0x10000
	v_mov_b32_e32 v3, 0
	v_cmp_lt_u64_e32 vcc, s[12:13], v[2:3]
	v_lshlrev_b32_e32 v10, 2, v0
	s_waitcnt lgkmcnt(0)
	s_and_b32 s2, s0, 0xffff
	s_and_b64 s[0:1], vcc, exec
	v_mov_b32_e32 v13, s17
	v_add_co_u32_e32 v2, vcc, s16, v10
	v_addc_co_u32_e32 v1, vcc, 0, v13, vcc
	v_mov_b32_e32 v11, 0
	v_mov_b32_e32 v15, s15
	v_add_co_u32_e32 v4, vcc, s14, v10
	v_addc_co_u32_e32 v3, vcc, 0, v15, vcc
	v_mad_u64_u32 v[8:9], s[0:1], s2, 12, v[10:11]
	v_add_co_u32_e32 v6, vcc, s16, v8
	v_addc_co_u32_e32 v5, vcc, v13, v9, vcc
	v_add_co_u32_e32 v8, vcc, s14, v8
	s_mul_i32 s4, s2, 3
	v_addc_co_u32_e32 v7, vcc, v15, v9, vcc
	v_add_co_u32_e32 v17, vcc, s4, v0
	v_addc_co_u32_e64 v18, s[0:1], 0, 0, vcc
	s_cselect_b32 s19, s13, 0
	s_cselect_b32 s18, s12, 0x10000
	s_lshl_b32 s0, s2, 3
	v_add_co_u32_e32 v11, vcc, s0, v10
	v_addc_co_u32_e64 v14, s[0:1], 0, 0, vcc
	v_add_co_u32_e32 v10, vcc, s16, v11
	v_addc_co_u32_e32 v9, vcc, v13, v14, vcc
	v_add_co_u32_e32 v12, vcc, s14, v11
	s_lshl_b32 s3, s2, 1
	v_addc_co_u32_e32 v11, vcc, v15, v14, vcc
	v_add_co_u32_e32 v19, vcc, s3, v0
	v_addc_co_u32_e64 v20, s[0:1], 0, 0, vcc
	v_add_co_u32_e32 v21, vcc, s2, v0
	v_lshlrev_b32_e32 v16, 2, v21
	v_addc_co_u32_e64 v22, s[0:1], 0, 0, vcc
	v_add_co_u32_e32 v14, vcc, s16, v16
	v_addc_co_u32_e32 v13, vcc, 0, v13, vcc
	v_add_co_u32_e32 v16, vcc, s14, v16
	s_mov_b32 s9, 0
	s_lshl_b32 s20, s2, 2
	s_lshl_b32 s21, s2, 4
	v_addc_co_u32_e32 v15, vcc, 0, v15, vcc
	s_mov_b64 s[14:15], 0
	s_mov_b32 s22, 0xbfb8aa3b
	s_mov_b32 s23, 0x42ce8ed0
	;; [unrolled: 1-line block ×3, first 2 shown]
	v_mov_b32_e32 v23, 0x7f800000
	s_branch .LBB247_9
.LBB247_8:                              ;   in Loop: Header=BB247_9 Depth=1
	s_or_b64 exec, exec, s[2:3]
	s_add_u32 s14, s14, s20
	s_addc_u32 s15, s15, 0
	s_waitcnt vmcnt(0)
	v_pk_mov_b32 v[24:25], s[12:13], s[12:13] op_sel:[0,1]
	v_cmp_ge_i64_e32 vcc, s[14:15], v[24:25]
	v_mov_b32_e32 v24, 0xffff
	v_mov_b32_e32 v25, 0
	v_cmp_gt_u64_e64 s[0:1], s[14:15], v[24:25]
	s_or_b64 s[0:1], vcc, s[0:1]
	v_mov_b32_e32 v24, s9
	v_add_co_u32_e32 v2, vcc, s21, v2
	v_addc_co_u32_e32 v1, vcc, v1, v24, vcc
	v_add_co_u32_e32 v4, vcc, s21, v4
	v_addc_co_u32_e32 v3, vcc, v3, v24, vcc
	;; [unrolled: 2-line block ×8, first 2 shown]
	s_and_b64 vcc, exec, s[0:1]
	s_cbranch_vccnz .LBB247_25
.LBB247_9:                              ; =>This Inner Loop Header: Depth=1
	v_mov_b32_e32 v25, s15
	v_add_co_u32_e32 v24, vcc, s14, v0
	v_addc_co_u32_e32 v25, vcc, 0, v25, vcc
	v_cmp_gt_u64_e32 vcc, s[18:19], v[24:25]
	v_mov_b32_e32 v27, 0
	s_and_saveexec_b64 s[2:3], vcc
	s_cbranch_execz .LBB247_11
; %bb.10:                               ;   in Loop: Header=BB247_9 Depth=1
	v_mov_b32_e32 v25, s11
	v_add_co_u32_e64 v24, s[0:1], s10, v2
	v_addc_co_u32_e64 v25, s[0:1], v1, v25, s[0:1]
	global_load_dword v27, v[24:25], off
.LBB247_11:                             ;   in Loop: Header=BB247_9 Depth=1
	s_or_b64 exec, exec, s[2:3]
	v_mov_b32_e32 v25, s15
	v_add_co_u32_e64 v24, s[0:1], s14, v21
	v_addc_co_u32_e64 v25, s[0:1], v22, v25, s[0:1]
	v_cmp_gt_u64_e64 s[4:5], s[18:19], v[24:25]
	v_mov_b32_e32 v26, 0
	s_and_saveexec_b64 s[2:3], s[4:5]
	s_cbranch_execz .LBB247_13
; %bb.12:                               ;   in Loop: Header=BB247_9 Depth=1
	v_mov_b32_e32 v25, s11
	v_add_co_u32_e64 v24, s[0:1], s10, v14
	v_addc_co_u32_e64 v25, s[0:1], v13, v25, s[0:1]
	global_load_dword v26, v[24:25], off
.LBB247_13:                             ;   in Loop: Header=BB247_9 Depth=1
	s_or_b64 exec, exec, s[2:3]
	v_mov_b32_e32 v25, s15
	v_add_co_u32_e64 v24, s[0:1], s14, v19
	v_addc_co_u32_e64 v25, s[0:1], v20, v25, s[0:1]
	v_cmp_gt_u64_e64 s[2:3], s[18:19], v[24:25]
	v_mov_b32_e32 v24, 0
	v_mov_b32_e32 v25, 0
	s_and_saveexec_b64 s[6:7], s[2:3]
	s_cbranch_execz .LBB247_15
; %bb.14:                               ;   in Loop: Header=BB247_9 Depth=1
	v_mov_b32_e32 v25, s11
	v_add_co_u32_e64 v28, s[0:1], s10, v10
	v_addc_co_u32_e64 v29, s[0:1], v9, v25, s[0:1]
	global_load_dword v25, v[28:29], off
.LBB247_15:                             ;   in Loop: Header=BB247_9 Depth=1
	s_or_b64 exec, exec, s[6:7]
	v_mov_b32_e32 v29, s15
	v_add_co_u32_e64 v28, s[0:1], s14, v17
	v_addc_co_u32_e64 v29, s[0:1], v18, v29, s[0:1]
	v_cmp_gt_u64_e64 s[0:1], s[18:19], v[28:29]
	s_and_saveexec_b64 s[16:17], s[0:1]
	s_cbranch_execnz .LBB247_20
; %bb.16:                               ;   in Loop: Header=BB247_9 Depth=1
	s_or_b64 exec, exec, s[16:17]
	s_and_saveexec_b64 s[6:7], vcc
	s_cbranch_execnz .LBB247_21
.LBB247_17:                             ;   in Loop: Header=BB247_9 Depth=1
	s_or_b64 exec, exec, s[6:7]
	s_and_saveexec_b64 s[6:7], s[4:5]
	s_cbranch_execnz .LBB247_22
.LBB247_18:                             ;   in Loop: Header=BB247_9 Depth=1
	s_or_b64 exec, exec, s[6:7]
	s_and_saveexec_b64 s[4:5], s[2:3]
	s_cbranch_execnz .LBB247_23
.LBB247_19:                             ;   in Loop: Header=BB247_9 Depth=1
	s_or_b64 exec, exec, s[4:5]
	s_and_saveexec_b64 s[2:3], s[0:1]
	s_cbranch_execz .LBB247_8
	s_branch .LBB247_24
.LBB247_20:                             ;   in Loop: Header=BB247_9 Depth=1
	v_mov_b32_e32 v24, s11
	v_add_co_u32_e64 v28, s[6:7], s10, v6
	v_addc_co_u32_e64 v29, s[6:7], v5, v24, s[6:7]
	global_load_dword v24, v[28:29], off
	s_or_b64 exec, exec, s[16:17]
	s_and_saveexec_b64 s[6:7], vcc
	s_cbranch_execz .LBB247_17
.LBB247_21:                             ;   in Loop: Header=BB247_9 Depth=1
	s_waitcnt vmcnt(0)
	v_mul_f32_e32 v28, 0xbfb8aa3b, v27
	v_rndne_f32_e32 v29, v28
	v_sub_f32_e32 v30, v28, v29
	v_fma_f32 v28, v27, s22, -v28
	v_fmac_f32_e32 v28, 0xb2a5705f, v27
	v_add_f32_e32 v28, v30, v28
	v_cvt_i32_f32_e32 v29, v29
	v_exp_f32_e32 v28, v28
	v_cmp_nlt_f32_e32 vcc, s23, v27
	v_ldexp_f32 v28, v28, v29
	v_cndmask_b32_e32 v28, 0, v28, vcc
	v_cmp_ngt_f32_e32 vcc, s24, v27
	v_cndmask_b32_e32 v27, v23, v28, vcc
	v_add_f32_e32 v27, s8, v27
	v_div_scale_f32 v28, s[16:17], v27, v27, s8
	v_rcp_f32_e32 v29, v28
	v_fma_f32 v30, -v28, v29, 1.0
	v_fmac_f32_e32 v29, v30, v29
	v_div_scale_f32 v30, vcc, s8, v27, s8
	v_mul_f32_e32 v31, v30, v29
	v_fma_f32 v32, -v28, v31, v30
	v_fmac_f32_e32 v31, v32, v29
	v_fma_f32 v28, -v28, v31, v30
	v_div_fmas_f32 v28, v28, v29, v31
	v_div_fixup_f32 v27, v28, v27, s8
	v_mov_b32_e32 v29, s11
	v_add_co_u32_e32 v28, vcc, s10, v4
	v_addc_co_u32_e32 v29, vcc, v3, v29, vcc
	global_store_dword v[28:29], v27, off
	s_or_b64 exec, exec, s[6:7]
	s_and_saveexec_b64 s[6:7], s[4:5]
	s_cbranch_execz .LBB247_18
.LBB247_22:                             ;   in Loop: Header=BB247_9 Depth=1
	s_waitcnt vmcnt(0)
	v_mul_f32_e32 v27, 0xbfb8aa3b, v26
	v_rndne_f32_e32 v28, v27
	v_sub_f32_e32 v29, v27, v28
	v_fma_f32 v27, v26, s22, -v27
	v_fmac_f32_e32 v27, 0xb2a5705f, v26
	v_add_f32_e32 v27, v29, v27
	v_cvt_i32_f32_e32 v28, v28
	v_exp_f32_e32 v27, v27
	v_cmp_nlt_f32_e32 vcc, s23, v26
	v_ldexp_f32 v27, v27, v28
	v_cndmask_b32_e32 v27, 0, v27, vcc
	v_cmp_ngt_f32_e32 vcc, s24, v26
	v_cndmask_b32_e32 v26, v23, v27, vcc
	v_add_f32_e32 v26, s8, v26
	v_div_scale_f32 v27, s[4:5], v26, v26, s8
	v_rcp_f32_e32 v28, v27
	v_fma_f32 v29, -v27, v28, 1.0
	v_fmac_f32_e32 v28, v29, v28
	v_div_scale_f32 v29, vcc, s8, v26, s8
	v_mul_f32_e32 v30, v29, v28
	v_fma_f32 v31, -v27, v30, v29
	v_fmac_f32_e32 v30, v31, v28
	v_fma_f32 v27, -v27, v30, v29
	v_div_fmas_f32 v27, v27, v28, v30
	v_div_fixup_f32 v28, v27, v26, s8
	v_mov_b32_e32 v27, s11
	v_add_co_u32_e32 v26, vcc, s10, v16
	v_addc_co_u32_e32 v27, vcc, v15, v27, vcc
	global_store_dword v[26:27], v28, off
	s_or_b64 exec, exec, s[6:7]
	s_and_saveexec_b64 s[4:5], s[2:3]
	s_cbranch_execz .LBB247_19
.LBB247_23:                             ;   in Loop: Header=BB247_9 Depth=1
	s_waitcnt vmcnt(0)
	v_mul_f32_e32 v26, 0xbfb8aa3b, v25
	v_rndne_f32_e32 v27, v26
	v_sub_f32_e32 v28, v26, v27
	v_fma_f32 v26, v25, s22, -v26
	v_fmac_f32_e32 v26, 0xb2a5705f, v25
	v_add_f32_e32 v26, v28, v26
	v_cvt_i32_f32_e32 v27, v27
	v_exp_f32_e32 v26, v26
	v_cmp_nlt_f32_e32 vcc, s23, v25
	v_ldexp_f32 v26, v26, v27
	v_cndmask_b32_e32 v26, 0, v26, vcc
	v_cmp_ngt_f32_e32 vcc, s24, v25
	v_cndmask_b32_e32 v25, v23, v26, vcc
	v_add_f32_e32 v25, s8, v25
	v_div_scale_f32 v26, s[2:3], v25, v25, s8
	v_rcp_f32_e32 v27, v26
	v_fma_f32 v28, -v26, v27, 1.0
	v_fmac_f32_e32 v27, v28, v27
	v_div_scale_f32 v28, vcc, s8, v25, s8
	v_mul_f32_e32 v29, v28, v27
	v_fma_f32 v30, -v26, v29, v28
	v_fmac_f32_e32 v29, v30, v27
	v_fma_f32 v26, -v26, v29, v28
	v_div_fmas_f32 v26, v26, v27, v29
	v_div_fixup_f32 v25, v26, v25, s8
	v_mov_b32_e32 v27, s11
	v_add_co_u32_e32 v26, vcc, s10, v12
	v_addc_co_u32_e32 v27, vcc, v11, v27, vcc
	global_store_dword v[26:27], v25, off
	s_or_b64 exec, exec, s[4:5]
	s_and_saveexec_b64 s[2:3], s[0:1]
	s_cbranch_execz .LBB247_8
.LBB247_24:                             ;   in Loop: Header=BB247_9 Depth=1
	s_waitcnt vmcnt(0)
	v_mul_f32_e32 v25, 0xbfb8aa3b, v24
	v_rndne_f32_e32 v26, v25
	v_sub_f32_e32 v27, v25, v26
	v_fma_f32 v25, v24, s22, -v25
	v_fmac_f32_e32 v25, 0xb2a5705f, v24
	v_add_f32_e32 v25, v27, v25
	v_cvt_i32_f32_e32 v26, v26
	v_exp_f32_e32 v25, v25
	v_cmp_nlt_f32_e32 vcc, s23, v24
	v_ldexp_f32 v25, v25, v26
	v_cndmask_b32_e32 v25, 0, v25, vcc
	v_cmp_ngt_f32_e32 vcc, s24, v24
	v_cndmask_b32_e32 v24, v23, v25, vcc
	v_add_f32_e32 v24, s8, v24
	v_div_scale_f32 v25, s[0:1], v24, v24, s8
	v_rcp_f32_e32 v26, v25
	v_fma_f32 v27, -v25, v26, 1.0
	v_fmac_f32_e32 v26, v27, v26
	v_div_scale_f32 v27, vcc, s8, v24, s8
	v_mul_f32_e32 v28, v27, v26
	v_fma_f32 v29, -v25, v28, v27
	v_fmac_f32_e32 v28, v29, v26
	v_fma_f32 v25, -v25, v28, v27
	v_div_fmas_f32 v25, v25, v26, v28
	v_div_fixup_f32 v26, v25, v24, s8
	v_mov_b32_e32 v25, s11
	v_add_co_u32_e32 v24, vcc, s10, v8
	v_addc_co_u32_e32 v25, vcc, v7, v25, vcc
	global_store_dword v[24:25], v26, off
	s_branch .LBB247_8
.LBB247_25:
	s_endpgm
	.section	.rodata,"a",@progbits
	.p2align	6, 0x0
	.amdhsa_kernel _ZN2at6native12_GLOBAL__N_125multi_tensor_apply_kernelINS1_18TensorListMetadataILi2EEENS1_14UnaryOpFunctorIfLi2ELi1ELi1EEEJNS0_7SigmoidIfEEEEEvT_T0_DpT1_
		.amdhsa_group_segment_fixed_size 0
		.amdhsa_private_segment_fixed_size 0
		.amdhsa_kernarg_size 3408
		.amdhsa_user_sgpr_count 6
		.amdhsa_user_sgpr_private_segment_buffer 1
		.amdhsa_user_sgpr_dispatch_ptr 0
		.amdhsa_user_sgpr_queue_ptr 0
		.amdhsa_user_sgpr_kernarg_segment_ptr 1
		.amdhsa_user_sgpr_dispatch_id 0
		.amdhsa_user_sgpr_flat_scratch_init 0
		.amdhsa_user_sgpr_kernarg_preload_length 0
		.amdhsa_user_sgpr_kernarg_preload_offset 0
		.amdhsa_user_sgpr_private_segment_size 0
		.amdhsa_uses_dynamic_stack 0
		.amdhsa_system_sgpr_private_segment_wavefront_offset 0
		.amdhsa_system_sgpr_workgroup_id_x 1
		.amdhsa_system_sgpr_workgroup_id_y 0
		.amdhsa_system_sgpr_workgroup_id_z 0
		.amdhsa_system_sgpr_workgroup_info 0
		.amdhsa_system_vgpr_workitem_id 0
		.amdhsa_next_free_vgpr 36
		.amdhsa_next_free_sgpr 29
		.amdhsa_accum_offset 36
		.amdhsa_reserve_vcc 1
		.amdhsa_reserve_flat_scratch 0
		.amdhsa_float_round_mode_32 0
		.amdhsa_float_round_mode_16_64 0
		.amdhsa_float_denorm_mode_32 3
		.amdhsa_float_denorm_mode_16_64 3
		.amdhsa_dx10_clamp 1
		.amdhsa_ieee_mode 1
		.amdhsa_fp16_overflow 0
		.amdhsa_tg_split 0
		.amdhsa_exception_fp_ieee_invalid_op 0
		.amdhsa_exception_fp_denorm_src 0
		.amdhsa_exception_fp_ieee_div_zero 0
		.amdhsa_exception_fp_ieee_overflow 0
		.amdhsa_exception_fp_ieee_underflow 0
		.amdhsa_exception_fp_ieee_inexact 0
		.amdhsa_exception_int_div_zero 0
	.end_amdhsa_kernel
	.section	.text._ZN2at6native12_GLOBAL__N_125multi_tensor_apply_kernelINS1_18TensorListMetadataILi2EEENS1_14UnaryOpFunctorIfLi2ELi1ELi1EEEJNS0_7SigmoidIfEEEEEvT_T0_DpT1_,"axG",@progbits,_ZN2at6native12_GLOBAL__N_125multi_tensor_apply_kernelINS1_18TensorListMetadataILi2EEENS1_14UnaryOpFunctorIfLi2ELi1ELi1EEEJNS0_7SigmoidIfEEEEEvT_T0_DpT1_,comdat
.Lfunc_end247:
	.size	_ZN2at6native12_GLOBAL__N_125multi_tensor_apply_kernelINS1_18TensorListMetadataILi2EEENS1_14UnaryOpFunctorIfLi2ELi1ELi1EEEJNS0_7SigmoidIfEEEEEvT_T0_DpT1_, .Lfunc_end247-_ZN2at6native12_GLOBAL__N_125multi_tensor_apply_kernelINS1_18TensorListMetadataILi2EEENS1_14UnaryOpFunctorIfLi2ELi1ELi1EEEJNS0_7SigmoidIfEEEEEvT_T0_DpT1_
                                        ; -- End function
	.section	.AMDGPU.csdata,"",@progbits
; Kernel info:
; codeLenInByte = 2508
; NumSgprs: 33
; NumVgprs: 36
; NumAgprs: 0
; TotalNumVgprs: 36
; ScratchSize: 0
; MemoryBound: 0
; FloatMode: 240
; IeeeMode: 1
; LDSByteSize: 0 bytes/workgroup (compile time only)
; SGPRBlocks: 4
; VGPRBlocks: 4
; NumSGPRsForWavesPerEU: 33
; NumVGPRsForWavesPerEU: 36
; AccumOffset: 36
; Occupancy: 8
; WaveLimiterHint : 0
; COMPUTE_PGM_RSRC2:SCRATCH_EN: 0
; COMPUTE_PGM_RSRC2:USER_SGPR: 6
; COMPUTE_PGM_RSRC2:TRAP_HANDLER: 0
; COMPUTE_PGM_RSRC2:TGID_X_EN: 1
; COMPUTE_PGM_RSRC2:TGID_Y_EN: 0
; COMPUTE_PGM_RSRC2:TGID_Z_EN: 0
; COMPUTE_PGM_RSRC2:TIDIG_COMP_CNT: 0
; COMPUTE_PGM_RSRC3_GFX90A:ACCUM_OFFSET: 8
; COMPUTE_PGM_RSRC3_GFX90A:TG_SPLIT: 0
	.section	.text._ZN2at6native12_GLOBAL__N_125multi_tensor_apply_kernelINS1_18TensorListMetadataILi2EEENS1_14UnaryOpFunctorIN3c107complexIdEELi2ELi1ELi1EEEJNS0_7SigmoidIS8_EEEEEvT_T0_DpT1_,"axG",@progbits,_ZN2at6native12_GLOBAL__N_125multi_tensor_apply_kernelINS1_18TensorListMetadataILi2EEENS1_14UnaryOpFunctorIN3c107complexIdEELi2ELi1ELi1EEEJNS0_7SigmoidIS8_EEEEEvT_T0_DpT1_,comdat
	.globl	_ZN2at6native12_GLOBAL__N_125multi_tensor_apply_kernelINS1_18TensorListMetadataILi2EEENS1_14UnaryOpFunctorIN3c107complexIdEELi2ELi1ELi1EEEJNS0_7SigmoidIS8_EEEEEvT_T0_DpT1_ ; -- Begin function _ZN2at6native12_GLOBAL__N_125multi_tensor_apply_kernelINS1_18TensorListMetadataILi2EEENS1_14UnaryOpFunctorIN3c107complexIdEELi2ELi1ELi1EEEJNS0_7SigmoidIS8_EEEEEvT_T0_DpT1_
	.p2align	8
	.type	_ZN2at6native12_GLOBAL__N_125multi_tensor_apply_kernelINS1_18TensorListMetadataILi2EEENS1_14UnaryOpFunctorIN3c107complexIdEELi2ELi1ELi1EEEJNS0_7SigmoidIS8_EEEEEvT_T0_DpT1_,@function
_ZN2at6native12_GLOBAL__N_125multi_tensor_apply_kernelINS1_18TensorListMetadataILi2EEENS1_14UnaryOpFunctorIN3c107complexIdEELi2ELi1ELi1EEEJNS0_7SigmoidIS8_EEEEEvT_T0_DpT1_: ; @_ZN2at6native12_GLOBAL__N_125multi_tensor_apply_kernelINS1_18TensorListMetadataILi2EEENS1_14UnaryOpFunctorIN3c107complexIdEELi2ELi1ELi1EEEJNS0_7SigmoidIS8_EEEEEvT_T0_DpT1_
; %bb.0:
	v_mov_b32_e32 v1, s6
	global_load_ubyte v1, v1, s[4:5] offset:1536
	s_add_u32 s0, s4, s6
	s_mul_hi_u32 s3, s6, 3
	s_mul_i32 s6, s6, 3
	s_addc_u32 s7, s5, 0
	s_add_u32 s2, s0, s6
	s_addc_u32 s3, s7, s3
	s_load_dword s2, s[2:3], 0x740
                                        ; implicit-def: $vgpr86 : SGPR spill to VGPR lane
	s_mov_b32 s11, 0
	s_load_dwordx4 s[12:15], s[4:5], 0xc50
	s_mov_b32 s1, s11
	s_waitcnt lgkmcnt(0)
	s_ashr_i32 s3, s2, 31
	s_lshl_b64 s[16:17], s[2:3], 20
	s_waitcnt vmcnt(0)
	v_readfirstlane_b32 s0, v1
	s_lshl_b32 s0, s0, 3
	s_load_dwordx2 s[18:19], s[4:5], s0 offset:0x0
	s_load_dwordx2 s[8:9], s[4:5], s0 offset:0x400
	s_load_dwordx2 s[6:7], s[4:5], s0 offset:0x200
	s_waitcnt lgkmcnt(0)
	s_add_u32 s33, s18, s16
	v_writelane_b32 v86, s18, 0
	v_writelane_b32 v86, s19, 1
	s_addc_u32 s20, s19, s17
	s_add_u32 s21, s6, s16
	v_writelane_b32 v86, s6, 2
	v_writelane_b32 v86, s7, 3
	s_addc_u32 s6, s7, s17
	s_and_b32 s0, s33, 63
	s_and_b32 s18, s8, 3
	s_mov_b32 s19, s11
	s_and_b32 s10, s21, 63
	s_or_b64 s[0:1], s[0:1], s[18:19]
	s_lshl_b64 s[2:3], s[2:3], 16
	s_or_b64 s[0:1], s[10:11], s[0:1]
	s_sub_u32 s18, s8, s2
	s_subb_u32 s19, s9, s3
	s_cmp_eq_u64 s[0:1], 0
	s_mov_b64 s[0:1], -1
	s_cbranch_scc0 .LBB248_213
; %bb.1:
	v_mov_b32_e32 v18, 0
	v_lshlrev_b32_e32 v2, 2, v0
	v_mov_b32_e32 v3, v18
	v_cmp_gt_i64_e32 vcc, s[18:19], v[2:3]
	s_mov_b64 s[0:1], exec
	v_writelane_b32 v86, s0, 4
	v_writelane_b32 v86, s1, 5
	s_and_b64 s[0:1], s[0:1], vcc
	s_mov_b64 exec, s[0:1]
	s_cbranch_execz .LBB248_212
; %bb.2:
	s_load_dword s0, s[4:5], 0xc6c
	s_mov_b32 s24, 0
	s_mov_b32 s26, 0
	;; [unrolled: 1-line block ×4, first 2 shown]
	s_waitcnt lgkmcnt(0)
	s_and_b32 s0, s0, 0xffff
	s_mov_b32 s40, 0x6dc9c883
	s_mov_b32 s42, 0x33145c00
	;; [unrolled: 1-line block ×20, first 2 shown]
	v_mov_b32_e32 v21, v18
	v_lshlrev_b32_e32 v22, 6, v0
	v_add_lshl_u32 v20, v0, s0, 2
	s_lshl_b32 s7, s0, 2
	s_lshl_b32 s10, s0, 6
	s_mov_b64 s[22:23], 0
	s_mov_b32 s8, 0x7ff00000
	s_mov_b32 s91, 0x108aa2
	;; [unrolled: 1-line block ×4, first 2 shown]
	s_movk_i32 s9, 0xff80
	s_mov_b32 s29, 0x7ff00000
	s_mov_b32 s31, 0x3ff921fb
	s_mov_b32 s35, 0xbff921fb
	s_mov_b32 s37, 0x3c91a626
	s_mov_b32 s38, 0x33145c07
	s_mov_b32 s41, 0x3fe45f30
	s_mov_b32 s43, 0xbc91a626
	s_mov_b32 s45, 0xb97b839a
	s_mov_b32 s47, 0xbff71547
	s_mov_b32 s49, 0x3ff71547
	s_mov_b32 s51, 0xbfe62e42
	s_mov_b32 s53, 0xbc7abc9e
	s_mov_b32 s55, 0x3e5ade15
	s_mov_b32 s57, 0x3f811111
	s_mov_b32 s59, 0x3fa55555
	s_mov_b32 s61, 0xc0900000
	s_mov_b32 s63, 0x4090cc00
	s_mov_b32 s65, 0x3e21eeb6
	s_mov_b32 s67, 0xbda907db
	s_mov_b32 s69, 0xbe927e4f
	s_mov_b32 s71, 0x3efa01a0
	s_mov_b32 s73, 0xbf56c16c
	s_mov_b32 s75, 0xbe5ae600
	s_mov_b32 s77, 0x3de5e0b2
	s_mov_b32 s79, 0x3ec71de3
	s_mov_b32 s81, 0xbf2a01a0
	s_mov_b32 s83, 0xbfc55555
	s_movk_i32 s90, 0x1f8
	v_mov_b32_e32 v1, 0x40100000
	v_mov_b32_e32 v23, 0x3ff00000
	;; [unrolled: 1-line block ×22, first 2 shown]
	s_branch .LBB248_4
.LBB248_3:                              ;   in Loop: Header=BB248_4 Depth=1
	s_or_b64 exec, exec, s[0:1]
	v_mov_b32_e32 v19, s6
	v_add_co_u32_e32 v42, vcc, s21, v22
	v_addc_co_u32_e32 v43, vcc, 0, v19, vcc
	s_mov_b64 s[0:1], 0xffff
	v_cmp_le_i64_e32 vcc, s[18:19], v[20:21]
	v_cmp_lt_u64_e64 s[0:1], s[0:1], v[20:21]
	s_or_b64 s[0:1], vcc, s[0:1]
	s_add_u32 s33, s33, s10
	s_addc_u32 s20, s20, 0
	s_add_u32 s21, s21, s10
	s_addc_u32 s6, s6, 0
	global_store_dwordx4 v[42:43], v[6:9], off
	global_store_dwordx4 v[42:43], v[14:17], off offset:16
	global_store_dwordx4 v[42:43], v[10:13], off offset:32
	;; [unrolled: 1-line block ×3, first 2 shown]
	s_and_b64 s[0:1], exec, s[0:1]
	v_mov_b32_e32 v2, s11
	v_add_co_u32_e32 v20, vcc, s7, v20
	s_or_b64 s[22:23], s[0:1], s[22:23]
	v_addc_co_u32_e32 v21, vcc, v21, v2, vcc
	s_andn2_b64 exec, exec, s[22:23]
	s_cbranch_execz .LBB248_212
.LBB248_4:                              ; =>This Inner Loop Header: Depth=1
	v_mov_b32_e32 v2, s20
	v_add_co_u32_e32 v10, vcc, s33, v22
	v_addc_co_u32_e32 v11, vcc, 0, v2, vcc
	global_load_dwordx4 v[6:9], v[10:11], off
	global_load_dwordx4 v[14:17], v[10:11], off offset:16
	global_load_dwordx4 v[2:5], v[10:11], off offset:48
	s_nop 0
	global_load_dwordx4 v[10:13], v[10:11], off offset:32
                                        ; implicit-def: $vgpr44_vgpr45
	s_waitcnt vmcnt(3)
	v_xor_b32_e32 v43, 0x80000000, v9
	v_and_b32_e32 v48, 0x7fffffff, v43
	v_or_b32_e32 v19, v48, v8
	v_mov_b32_e32 v42, v8
	v_cmp_ne_u32_e32 vcc, 0, v19
	s_and_saveexec_b64 s[0:1], vcc
	s_xor_b64 s[92:93], exec, s[0:1]
	s_cbranch_execz .LBB248_46
; %bb.5:                                ;   in Loop: Header=BB248_4 Depth=1
	v_xor_b32_e32 v47, 0x80000000, v7
	v_mov_b32_e32 v46, v6
	v_and_b32_e32 v19, 0x7fffffff, v47
	v_or_b32_e32 v42, v19, v46
	v_cmp_ne_u32_e32 vcc, 0, v42
                                        ; implicit-def: $vgpr44_vgpr45
	s_and_saveexec_b64 s[0:1], vcc
	s_xor_b64 s[94:95], exec, s[0:1]
	s_cbranch_execz .LBB248_35
; %bb.6:                                ;   in Loop: Header=BB248_4 Depth=1
	v_cmp_gt_u32_e32 vcc, s8, v48
                                        ; implicit-def: $vgpr44_vgpr45
	s_and_saveexec_b64 s[0:1], vcc
	s_xor_b64 s[84:85], exec, s[0:1]
	s_cbranch_execz .LBB248_28
; %bb.7:                                ;   in Loop: Header=BB248_4 Depth=1
	v_add_u32_e32 v19, 0xbf79d1be, v47
	v_cmp_lt_u32_e32 vcc, s91, v19
                                        ; implicit-def: $vgpr44_vgpr45
	s_and_saveexec_b64 s[0:1], vcc
	s_xor_b64 s[2:3], exec, s[0:1]
	s_cbranch_execz .LBB248_17
; %bb.8:                                ;   in Loop: Header=BB248_4 Depth=1
	v_cmp_nlt_f64_e64 s[86:87], |v[8:9]|, s[24:25]
                                        ; implicit-def: $vgpr42
                                        ; implicit-def: $vgpr44_vgpr45
                                        ; implicit-def: $vgpr46_vgpr47
	s_and_saveexec_b64 s[0:1], s[86:87]
	s_xor_b64 s[88:89], exec, s[0:1]
	s_cbranch_execz .LBB248_10
; %bb.9:                                ;   in Loop: Header=BB248_4 Depth=1
	v_and_b32_e32 v19, 0x7fffffff, v9
	v_ldexp_f64 v[48:49], |v[8:9]|, s9
	v_cmp_ge_f64_e64 vcc, |v[8:9]|, s[26:27]
	v_trig_preop_f64 v[44:45], |v[8:9]|, 0
	v_cndmask_b32_e32 v49, v19, v49, vcc
	v_cndmask_b32_e32 v48, v8, v48, vcc
	v_trig_preop_f64 v[46:47], |v[8:9]|, 1
	v_mul_f64 v[52:53], v[44:45], v[48:49]
	v_mul_f64 v[50:51], v[46:47], v[48:49]
	v_fma_f64 v[44:45], v[44:45], v[48:49], -v[52:53]
	v_add_f64 v[54:55], v[50:51], v[44:45]
	v_add_f64 v[56:57], v[52:53], v[54:55]
	v_ldexp_f64 v[60:61], v[56:57], -2
	v_fract_f64_e32 v[62:63], v[60:61]
	v_cmp_neq_f64_e64 vcc, |v[60:61]|, s[28:29]
	v_cndmask_b32_e32 v61, 0, v63, vcc
	v_cndmask_b32_e32 v60, 0, v62, vcc
	v_add_f64 v[62:63], v[54:55], -v[50:51]
	v_add_f64 v[44:45], v[44:45], -v[62:63]
	;; [unrolled: 1-line block ×4, first 2 shown]
	v_fma_f64 v[46:47], v[46:47], v[48:49], -v[50:51]
	v_trig_preop_f64 v[50:51], |v[8:9]|, 2
	v_add_f64 v[44:45], v[44:45], v[62:63]
	v_mul_f64 v[62:63], v[50:51], v[48:49]
	v_add_f64 v[64:65], v[62:63], v[46:47]
	v_add_f64 v[66:67], v[64:65], v[44:45]
	v_add_f64 v[52:53], v[56:57], -v[52:53]
	v_add_f64 v[56:57], v[66:67], -v[64:65]
	;; [unrolled: 1-line block ×5, first 2 shown]
	v_add_f64 v[44:45], v[44:45], v[56:57]
	v_add_f64 v[56:57], v[64:65], -v[62:63]
	v_add_f64 v[46:47], v[46:47], -v[56:57]
	;; [unrolled: 1-line block ×4, first 2 shown]
	v_add_f64 v[46:47], v[46:47], v[56:57]
	v_add_f64 v[52:53], v[54:55], -v[52:53]
	v_add_f64 v[44:45], v[46:47], v[44:45]
	v_fma_f64 v[46:47], v[50:51], v[48:49], -v[62:63]
	v_add_f64 v[54:55], v[52:53], v[66:67]
	v_add_f64 v[44:45], v[46:47], v[44:45]
	v_ldexp_f64 v[46:47], v[60:61], 2
	v_add_f64 v[48:49], v[54:55], v[46:47]
	v_cmp_gt_f64_e32 vcc, 0, v[48:49]
	v_cndmask_b32_e32 v19, 0, v1, vcc
	v_add_f64 v[46:47], v[46:47], v[18:19]
	v_add_f64 v[48:49], v[54:55], v[46:47]
	v_cvt_i32_f64_e32 v19, v[48:49]
	v_cvt_f64_i32_e32 v[48:49], v19
	v_add_f64 v[46:47], v[46:47], -v[48:49]
	v_add_f64 v[52:53], v[54:55], -v[52:53]
	v_add_f64 v[48:49], v[54:55], v[46:47]
	v_add_f64 v[52:53], v[66:67], -v[52:53]
	v_add_f64 v[46:47], v[48:49], -v[46:47]
	v_cmp_le_f64_e32 vcc, 0.5, v[48:49]
	v_add_f64 v[44:45], v[52:53], v[44:45]
	v_add_f64 v[46:47], v[54:55], -v[46:47]
	v_addc_co_u32_e64 v42, s[0:1], 0, v19, vcc
	v_cndmask_b32_e32 v19, 0, v23, vcc
	v_add_f64 v[44:45], v[44:45], v[46:47]
	v_add_f64 v[46:47], v[48:49], -v[18:19]
	v_add_f64 v[48:49], v[46:47], v[44:45]
	v_add_f64 v[46:47], v[48:49], -v[46:47]
	s_mov_b32 s30, s34
	v_add_f64 v[44:45], v[44:45], -v[46:47]
	v_mul_f64 v[46:47], v[48:49], s[30:31]
	v_fma_f64 v[50:51], v[48:49], s[30:31], -v[46:47]
	s_mov_b32 s39, s37
	v_fmac_f64_e32 v[50:51], s[38:39], v[48:49]
	v_fmac_f64_e32 v[50:51], s[30:31], v[44:45]
	v_add_f64 v[44:45], v[46:47], v[50:51]
	v_add_f64 v[46:47], v[44:45], -v[46:47]
	v_add_f64 v[46:47], v[50:51], -v[46:47]
	s_andn2_saveexec_b64 s[0:1], s[88:89]
	s_cbranch_execz .LBB248_12
	s_branch .LBB248_11
.LBB248_10:                             ;   in Loop: Header=BB248_4 Depth=1
	s_andn2_saveexec_b64 s[0:1], s[88:89]
	s_cbranch_execz .LBB248_12
.LBB248_11:                             ;   in Loop: Header=BB248_4 Depth=1
	v_mul_f64 v[44:45], |v[8:9]|, s[40:41]
	v_rndne_f64_e32 v[48:49], v[44:45]
	v_fma_f64 v[44:45], v[48:49], s[34:35], |v[8:9]|
	v_mul_f64 v[50:51], v[48:49], s[42:43]
	v_add_f64 v[54:55], v[44:45], v[50:51]
	v_fma_f64 v[46:47], s[42:43], v[48:49], v[44:45]
	s_mov_b32 s36, s42
	v_add_f64 v[44:45], v[44:45], -v[54:55]
	v_fma_f64 v[52:53], s[36:37], v[48:49], v[50:51]
	v_add_f64 v[44:45], v[44:45], v[50:51]
	v_add_f64 v[50:51], v[54:55], -v[46:47]
	v_add_f64 v[44:45], v[50:51], v[44:45]
	v_add_f64 v[50:51], v[44:45], -v[52:53]
	v_fmac_f64_e32 v[50:51], s[44:45], v[48:49]
	v_add_f64 v[44:45], v[46:47], v[50:51]
	v_add_f64 v[46:47], v[44:45], -v[46:47]
	v_add_f64 v[46:47], v[50:51], -v[46:47]
	v_cvt_i32_f64_e32 v42, v[48:49]
.LBB248_12:                             ;   in Loop: Header=BB248_4 Depth=1
	s_or_b64 exec, exec, s[0:1]
                                        ; implicit-def: $vgpr52
                                        ; implicit-def: $vgpr48_vgpr49
                                        ; implicit-def: $vgpr50_vgpr51
	s_and_saveexec_b64 s[0:1], s[86:87]
	s_xor_b64 s[86:87], exec, s[0:1]
	s_cbranch_execz .LBB248_14
; %bb.13:                               ;   in Loop: Header=BB248_4 Depth=1
	v_and_b32_e32 v19, 0x7fffffff, v9
	v_ldexp_f64 v[52:53], |v[8:9]|, s9
	v_cmp_ge_f64_e64 vcc, |v[8:9]|, s[26:27]
	v_trig_preop_f64 v[48:49], |v[8:9]|, 0
	v_cndmask_b32_e32 v53, v19, v53, vcc
	v_cndmask_b32_e32 v52, v8, v52, vcc
	v_trig_preop_f64 v[50:51], |v[8:9]|, 1
	v_mul_f64 v[56:57], v[48:49], v[52:53]
	v_mul_f64 v[54:55], v[50:51], v[52:53]
	v_fma_f64 v[48:49], v[48:49], v[52:53], -v[56:57]
	v_add_f64 v[60:61], v[54:55], v[48:49]
	v_add_f64 v[62:63], v[56:57], v[60:61]
	v_ldexp_f64 v[64:65], v[62:63], -2
	v_fract_f64_e32 v[66:67], v[64:65]
	v_cmp_neq_f64_e64 vcc, |v[64:65]|, s[28:29]
	v_cndmask_b32_e32 v65, 0, v67, vcc
	v_cndmask_b32_e32 v64, 0, v66, vcc
	v_add_f64 v[66:67], v[60:61], -v[54:55]
	v_add_f64 v[48:49], v[48:49], -v[66:67]
	;; [unrolled: 1-line block ×4, first 2 shown]
	v_fma_f64 v[50:51], v[50:51], v[52:53], -v[54:55]
	v_trig_preop_f64 v[54:55], |v[8:9]|, 2
	v_add_f64 v[48:49], v[48:49], v[66:67]
	v_mul_f64 v[66:67], v[54:55], v[52:53]
	v_add_f64 v[68:69], v[66:67], v[50:51]
	v_add_f64 v[70:71], v[68:69], v[48:49]
	v_add_f64 v[56:57], v[62:63], -v[56:57]
	v_add_f64 v[62:63], v[70:71], -v[68:69]
	;; [unrolled: 1-line block ×5, first 2 shown]
	v_add_f64 v[48:49], v[48:49], v[62:63]
	v_add_f64 v[62:63], v[68:69], -v[66:67]
	v_add_f64 v[50:51], v[50:51], -v[62:63]
	;; [unrolled: 1-line block ×4, first 2 shown]
	v_add_f64 v[50:51], v[50:51], v[62:63]
	v_add_f64 v[56:57], v[60:61], -v[56:57]
	v_add_f64 v[48:49], v[50:51], v[48:49]
	v_fma_f64 v[50:51], v[54:55], v[52:53], -v[66:67]
	v_add_f64 v[60:61], v[56:57], v[70:71]
	v_add_f64 v[48:49], v[50:51], v[48:49]
	v_ldexp_f64 v[50:51], v[64:65], 2
	v_add_f64 v[52:53], v[60:61], v[50:51]
	v_cmp_gt_f64_e32 vcc, 0, v[52:53]
	v_cndmask_b32_e32 v19, 0, v1, vcc
	v_add_f64 v[50:51], v[50:51], v[18:19]
	v_add_f64 v[52:53], v[60:61], v[50:51]
	v_cvt_i32_f64_e32 v19, v[52:53]
	v_cvt_f64_i32_e32 v[52:53], v19
	v_add_f64 v[50:51], v[50:51], -v[52:53]
	v_add_f64 v[56:57], v[60:61], -v[56:57]
	v_add_f64 v[54:55], v[60:61], v[50:51]
	v_add_f64 v[56:57], v[70:71], -v[56:57]
	v_add_f64 v[50:51], v[54:55], -v[50:51]
	v_cmp_le_f64_e32 vcc, 0.5, v[54:55]
	v_add_f64 v[48:49], v[56:57], v[48:49]
	v_add_f64 v[50:51], v[60:61], -v[50:51]
	v_addc_co_u32_e64 v52, s[0:1], 0, v19, vcc
	v_cndmask_b32_e32 v19, 0, v23, vcc
	v_add_f64 v[48:49], v[48:49], v[50:51]
	v_add_f64 v[50:51], v[54:55], -v[18:19]
	v_add_f64 v[54:55], v[50:51], v[48:49]
	v_add_f64 v[50:51], v[54:55], -v[50:51]
	s_mov_b32 s30, s34
	v_add_f64 v[48:49], v[48:49], -v[50:51]
	v_mul_f64 v[50:51], v[54:55], s[30:31]
	v_fma_f64 v[56:57], v[54:55], s[30:31], -v[50:51]
	s_mov_b32 s39, s37
	v_fmac_f64_e32 v[56:57], s[38:39], v[54:55]
	v_fmac_f64_e32 v[56:57], s[30:31], v[48:49]
	v_add_f64 v[48:49], v[50:51], v[56:57]
	v_add_f64 v[50:51], v[48:49], -v[50:51]
	v_add_f64 v[50:51], v[56:57], -v[50:51]
	s_andn2_saveexec_b64 s[0:1], s[86:87]
	s_cbranch_execnz .LBB248_15
	s_branch .LBB248_16
.LBB248_14:                             ;   in Loop: Header=BB248_4 Depth=1
	s_andn2_saveexec_b64 s[0:1], s[86:87]
	s_cbranch_execz .LBB248_16
.LBB248_15:                             ;   in Loop: Header=BB248_4 Depth=1
	v_mul_f64 v[48:49], |v[8:9]|, s[40:41]
	v_rndne_f64_e32 v[52:53], v[48:49]
	v_fma_f64 v[48:49], v[52:53], s[34:35], |v[8:9]|
	v_mul_f64 v[54:55], v[52:53], s[42:43]
	v_add_f64 v[60:61], v[48:49], v[54:55]
	v_fma_f64 v[50:51], s[42:43], v[52:53], v[48:49]
	s_mov_b32 s36, s42
	v_add_f64 v[48:49], v[48:49], -v[60:61]
	v_fma_f64 v[56:57], s[36:37], v[52:53], v[54:55]
	v_add_f64 v[48:49], v[48:49], v[54:55]
	v_add_f64 v[54:55], v[60:61], -v[50:51]
	v_add_f64 v[48:49], v[54:55], v[48:49]
	v_add_f64 v[54:55], v[48:49], -v[56:57]
	v_fmac_f64_e32 v[54:55], s[44:45], v[52:53]
	v_add_f64 v[48:49], v[50:51], v[54:55]
	v_add_f64 v[50:51], v[48:49], -v[50:51]
	v_add_f64 v[50:51], v[54:55], -v[50:51]
	v_cvt_i32_f64_e32 v52, v[52:53]
.LBB248_16:                             ;   in Loop: Header=BB248_4 Depth=1
	s_or_b64 exec, exec, s[0:1]
	s_mov_b32 s46, s48
	v_mul_f64 v[54:55], v[6:7], s[46:47]
	v_rndne_f64_e32 v[54:55], v[54:55]
	v_fma_f64 v[56:57], v[54:55], s[50:51], -v[6:7]
	v_fmac_f64_e32 v[56:57], s[52:53], v[54:55]
	v_pk_mov_b32 v[60:61], v[24:25], v[24:25] op_sel:[0,1]
	v_fmac_f64_e32 v[60:61], s[54:55], v[56:57]
	v_pk_mov_b32 v[62:63], v[26:27], v[26:27] op_sel:[0,1]
	;; [unrolled: 2-line block ×9, first 2 shown]
	v_fmac_f64_e32 v[60:61], v[56:57], v[62:63]
	v_fma_f64 v[60:61], v[56:57], v[60:61], 1.0
	v_fma_f64 v[56:57], v[56:57], v[60:61], 1.0
	v_cvt_i32_f64_e32 v19, v[54:55]
	v_ldexp_f64 v[54:55], v[56:57], v19
	v_cmp_ngt_f64_e32 vcc, s[60:61], v[6:7]
	v_cmp_nlt_f64_e64 s[0:1], s[62:63], v[6:7]
	v_cndmask_b32_e32 v19, v58, v55, vcc
	s_and_b64 vcc, s[0:1], vcc
	v_cndmask_b32_e32 v6, 0, v54, vcc
	v_mul_f64 v[54:55], v[44:45], v[44:45]
	v_pk_mov_b32 v[64:65], s[64:65], s[64:65] op_sel:[0,1]
	v_mul_f64 v[56:57], v[54:55], 0.5
	v_fma_f64 v[66:67], s[66:67], v[54:55], v[64:65]
	v_add_f64 v[60:61], -v[56:57], 1.0
	v_fma_f64 v[66:67], v[54:55], v[66:67], s[68:69]
	v_add_f64 v[62:63], -v[60:61], 1.0
	v_fma_f64 v[66:67], v[54:55], v[66:67], s[70:71]
	v_add_f64 v[56:57], v[62:63], -v[56:57]
	v_fma_f64 v[66:67], v[54:55], v[66:67], s[72:73]
	v_mul_f64 v[62:63], v[54:55], v[54:55]
	v_fma_f64 v[66:67], v[54:55], v[66:67], s[58:59]
	v_fma_f64 v[56:57], v[44:45], -v[46:47], v[56:57]
	v_fmac_f64_e32 v[56:57], v[62:63], v[66:67]
	v_add_f64 v[56:57], v[60:61], v[56:57]
	v_pk_mov_b32 v[60:61], s[74:75], s[74:75] op_sel:[0,1]
	v_fma_f64 v[62:63], s[76:77], v[54:55], v[60:61]
	v_fma_f64 v[62:63], v[54:55], v[62:63], s[78:79]
	;; [unrolled: 1-line block ×4, first 2 shown]
	v_mul_f64 v[66:67], v[44:45], -v[54:55]
	v_mul_f64 v[68:69], v[46:47], 0.5
	v_fmac_f64_e32 v[68:69], v[66:67], v[62:63]
	v_fma_f64 v[46:47], v[54:55], v[68:69], -v[46:47]
	s_mov_b32 s82, s58
	v_fmac_f64_e32 v[46:47], s[82:83], v[66:67]
	v_add_f64 v[44:45], v[44:45], -v[46:47]
	v_cndmask_b32_e64 v7, 0, v19, s[0:1]
	v_xor_b32_e32 v19, 0x80000000, v45
	v_and_b32_e32 v45, 1, v42
	v_cmp_eq_u32_e32 vcc, 0, v45
	v_lshlrev_b32_e32 v42, 30, v42
	v_cndmask_b32_e32 v19, v19, v57, vcc
	v_and_b32_e32 v42, 0x80000000, v42
	v_cndmask_b32_e32 v44, v44, v56, vcc
	v_xor_b32_e32 v19, v19, v42
	v_cmp_class_f64_e64 vcc, v[8:9], s90
	v_cndmask_b32_e32 v8, 0, v44, vcc
	v_cndmask_b32_e32 v9, v59, v19, vcc
	v_mul_f64 v[44:45], v[6:7], v[8:9]
	v_mul_f64 v[8:9], v[48:49], v[48:49]
	v_mul_f64 v[46:47], v[8:9], 0.5
	v_fmac_f64_e32 v[64:65], s[66:67], v[8:9]
	v_add_f64 v[54:55], -v[46:47], 1.0
	v_fma_f64 v[62:63], v[8:9], v[64:65], s[68:69]
	v_add_f64 v[56:57], -v[54:55], 1.0
	v_fma_f64 v[62:63], v[8:9], v[62:63], s[70:71]
	v_add_f64 v[46:47], v[56:57], -v[46:47]
	v_fma_f64 v[62:63], v[8:9], v[62:63], s[72:73]
	v_mul_f64 v[56:57], v[8:9], v[8:9]
	v_fma_f64 v[62:63], v[8:9], v[62:63], s[58:59]
	v_fma_f64 v[46:47], v[48:49], -v[50:51], v[46:47]
	v_fmac_f64_e32 v[46:47], v[56:57], v[62:63]
	v_fmac_f64_e32 v[60:61], s[76:77], v[8:9]
	v_add_f64 v[46:47], v[54:55], v[46:47]
	v_fma_f64 v[54:55], v[8:9], v[60:61], s[78:79]
	v_fma_f64 v[54:55], v[8:9], v[54:55], s[80:81]
	;; [unrolled: 1-line block ×3, first 2 shown]
	v_mul_f64 v[56:57], v[48:49], -v[8:9]
	v_mul_f64 v[60:61], v[50:51], 0.5
	v_fmac_f64_e32 v[60:61], v[56:57], v[54:55]
	v_fma_f64 v[8:9], v[8:9], v[60:61], -v[50:51]
	v_and_b32_e32 v19, 1, v52
	v_fmac_f64_e32 v[8:9], s[82:83], v[56:57]
	v_cmp_eq_u32_e64 s[0:1], 0, v19
	v_lshlrev_b32_e32 v19, 30, v52
	v_add_f64 v[8:9], v[48:49], -v[8:9]
	v_xor_b32_e32 v19, v19, v43
	v_cndmask_b32_e64 v9, v47, v9, s[0:1]
	v_and_b32_e32 v19, 0x80000000, v19
	v_cndmask_b32_e64 v8, v46, v8, s[0:1]
	v_xor_b32_e32 v9, v9, v19
	v_cndmask_b32_e32 v8, 0, v8, vcc
	v_cndmask_b32_e32 v9, v59, v9, vcc
	v_mul_f64 v[42:43], v[6:7], v[8:9]
                                        ; implicit-def: $vgpr8_vgpr9
.LBB248_17:                             ;   in Loop: Header=BB248_4 Depth=1
	s_andn2_saveexec_b64 s[86:87], s[2:3]
	s_cbranch_execz .LBB248_20
; %bb.18:                               ;   in Loop: Header=BB248_4 Depth=1
	v_cmp_nlt_f64_e64 s[2:3], |v[8:9]|, s[24:25]
                                        ; implicit-def: $vgpr42
                                        ; implicit-def: $vgpr44_vgpr45
                                        ; implicit-def: $vgpr46_vgpr47
	s_and_saveexec_b64 s[0:1], s[2:3]
	s_xor_b64 s[88:89], exec, s[0:1]
	s_cbranch_execz .LBB248_21
; %bb.19:                               ;   in Loop: Header=BB248_4 Depth=1
	v_and_b32_e32 v19, 0x7fffffff, v9
	v_ldexp_f64 v[48:49], |v[8:9]|, s9
	v_cmp_ge_f64_e64 vcc, |v[8:9]|, s[26:27]
	v_trig_preop_f64 v[44:45], |v[8:9]|, 0
	v_cndmask_b32_e32 v49, v19, v49, vcc
	v_cndmask_b32_e32 v48, v8, v48, vcc
	v_trig_preop_f64 v[46:47], |v[8:9]|, 1
	v_mul_f64 v[52:53], v[44:45], v[48:49]
	v_mul_f64 v[50:51], v[46:47], v[48:49]
	v_fma_f64 v[44:45], v[44:45], v[48:49], -v[52:53]
	v_add_f64 v[54:55], v[50:51], v[44:45]
	v_add_f64 v[56:57], v[52:53], v[54:55]
	v_ldexp_f64 v[60:61], v[56:57], -2
	v_fract_f64_e32 v[62:63], v[60:61]
	v_cmp_neq_f64_e64 vcc, |v[60:61]|, s[28:29]
	v_cndmask_b32_e32 v61, 0, v63, vcc
	v_cndmask_b32_e32 v60, 0, v62, vcc
	v_add_f64 v[62:63], v[54:55], -v[50:51]
	v_add_f64 v[44:45], v[44:45], -v[62:63]
	;; [unrolled: 1-line block ×4, first 2 shown]
	v_fma_f64 v[46:47], v[46:47], v[48:49], -v[50:51]
	v_trig_preop_f64 v[50:51], |v[8:9]|, 2
	v_add_f64 v[44:45], v[44:45], v[62:63]
	v_mul_f64 v[62:63], v[50:51], v[48:49]
	v_add_f64 v[64:65], v[62:63], v[46:47]
	v_add_f64 v[66:67], v[64:65], v[44:45]
	v_add_f64 v[52:53], v[56:57], -v[52:53]
	v_add_f64 v[56:57], v[66:67], -v[64:65]
	;; [unrolled: 1-line block ×5, first 2 shown]
	v_add_f64 v[44:45], v[44:45], v[56:57]
	v_add_f64 v[56:57], v[64:65], -v[62:63]
	v_add_f64 v[46:47], v[46:47], -v[56:57]
	;; [unrolled: 1-line block ×4, first 2 shown]
	v_add_f64 v[46:47], v[46:47], v[56:57]
	v_add_f64 v[52:53], v[54:55], -v[52:53]
	v_add_f64 v[44:45], v[46:47], v[44:45]
	v_fma_f64 v[46:47], v[50:51], v[48:49], -v[62:63]
	v_add_f64 v[54:55], v[52:53], v[66:67]
	v_add_f64 v[44:45], v[46:47], v[44:45]
	v_ldexp_f64 v[46:47], v[60:61], 2
	v_add_f64 v[48:49], v[54:55], v[46:47]
	v_cmp_gt_f64_e32 vcc, 0, v[48:49]
	v_cndmask_b32_e32 v19, 0, v1, vcc
	v_add_f64 v[46:47], v[46:47], v[18:19]
	v_add_f64 v[48:49], v[54:55], v[46:47]
	v_cvt_i32_f64_e32 v19, v[48:49]
	v_cvt_f64_i32_e32 v[48:49], v19
	v_add_f64 v[46:47], v[46:47], -v[48:49]
	v_add_f64 v[52:53], v[54:55], -v[52:53]
	v_add_f64 v[48:49], v[54:55], v[46:47]
	v_add_f64 v[52:53], v[66:67], -v[52:53]
	v_add_f64 v[46:47], v[48:49], -v[46:47]
	v_cmp_le_f64_e32 vcc, 0.5, v[48:49]
	v_add_f64 v[44:45], v[52:53], v[44:45]
	v_add_f64 v[46:47], v[54:55], -v[46:47]
	v_addc_co_u32_e64 v42, s[0:1], 0, v19, vcc
	v_cndmask_b32_e32 v19, 0, v23, vcc
	v_add_f64 v[44:45], v[44:45], v[46:47]
	v_add_f64 v[46:47], v[48:49], -v[18:19]
	v_add_f64 v[48:49], v[46:47], v[44:45]
	v_add_f64 v[46:47], v[48:49], -v[46:47]
	s_mov_b32 s30, s34
	v_add_f64 v[44:45], v[44:45], -v[46:47]
	v_mul_f64 v[46:47], v[48:49], s[30:31]
	v_fma_f64 v[50:51], v[48:49], s[30:31], -v[46:47]
	s_mov_b32 s39, s37
	v_fmac_f64_e32 v[50:51], s[38:39], v[48:49]
	v_fmac_f64_e32 v[50:51], s[30:31], v[44:45]
	v_add_f64 v[44:45], v[46:47], v[50:51]
	v_add_f64 v[46:47], v[44:45], -v[46:47]
	v_add_f64 v[46:47], v[50:51], -v[46:47]
	s_andn2_saveexec_b64 s[0:1], s[88:89]
	s_cbranch_execz .LBB248_23
	s_branch .LBB248_22
.LBB248_20:                             ;   in Loop: Header=BB248_4 Depth=1
	s_or_b64 exec, exec, s[86:87]
                                        ; implicit-def: $vgpr46_vgpr47
                                        ; implicit-def: $vgpr6_vgpr7
                                        ; implicit-def: $vgpr19
	s_andn2_saveexec_b64 s[2:3], s[84:85]
	s_cbranch_execnz .LBB248_29
	s_branch .LBB248_34
.LBB248_21:                             ;   in Loop: Header=BB248_4 Depth=1
	s_andn2_saveexec_b64 s[0:1], s[88:89]
	s_cbranch_execz .LBB248_23
.LBB248_22:                             ;   in Loop: Header=BB248_4 Depth=1
	v_mul_f64 v[44:45], |v[8:9]|, s[40:41]
	v_rndne_f64_e32 v[48:49], v[44:45]
	v_fma_f64 v[44:45], v[48:49], s[34:35], |v[8:9]|
	v_mul_f64 v[50:51], v[48:49], s[42:43]
	v_add_f64 v[54:55], v[44:45], v[50:51]
	v_fma_f64 v[46:47], s[42:43], v[48:49], v[44:45]
	s_mov_b32 s36, s42
	v_add_f64 v[44:45], v[44:45], -v[54:55]
	v_fma_f64 v[52:53], s[36:37], v[48:49], v[50:51]
	v_add_f64 v[44:45], v[44:45], v[50:51]
	v_add_f64 v[50:51], v[54:55], -v[46:47]
	v_add_f64 v[44:45], v[50:51], v[44:45]
	v_add_f64 v[50:51], v[44:45], -v[52:53]
	v_fmac_f64_e32 v[50:51], s[44:45], v[48:49]
	v_add_f64 v[44:45], v[46:47], v[50:51]
	v_add_f64 v[46:47], v[44:45], -v[46:47]
	v_add_f64 v[46:47], v[50:51], -v[46:47]
	v_cvt_i32_f64_e32 v42, v[48:49]
.LBB248_23:                             ;   in Loop: Header=BB248_4 Depth=1
	s_or_b64 exec, exec, s[0:1]
                                        ; implicit-def: $vgpr52
                                        ; implicit-def: $vgpr48_vgpr49
                                        ; implicit-def: $vgpr50_vgpr51
	s_and_saveexec_b64 s[0:1], s[2:3]
	s_xor_b64 s[2:3], exec, s[0:1]
	s_cbranch_execz .LBB248_25
; %bb.24:                               ;   in Loop: Header=BB248_4 Depth=1
	v_and_b32_e32 v19, 0x7fffffff, v9
	v_ldexp_f64 v[52:53], |v[8:9]|, s9
	v_cmp_ge_f64_e64 vcc, |v[8:9]|, s[26:27]
	v_trig_preop_f64 v[48:49], |v[8:9]|, 0
	v_cndmask_b32_e32 v53, v19, v53, vcc
	v_cndmask_b32_e32 v52, v8, v52, vcc
	v_trig_preop_f64 v[50:51], |v[8:9]|, 1
	v_mul_f64 v[56:57], v[48:49], v[52:53]
	v_mul_f64 v[54:55], v[50:51], v[52:53]
	v_fma_f64 v[48:49], v[48:49], v[52:53], -v[56:57]
	v_add_f64 v[60:61], v[54:55], v[48:49]
	v_add_f64 v[62:63], v[56:57], v[60:61]
	v_ldexp_f64 v[64:65], v[62:63], -2
	v_fract_f64_e32 v[66:67], v[64:65]
	v_cmp_neq_f64_e64 vcc, |v[64:65]|, s[28:29]
	v_cndmask_b32_e32 v65, 0, v67, vcc
	v_cndmask_b32_e32 v64, 0, v66, vcc
	v_add_f64 v[66:67], v[60:61], -v[54:55]
	v_add_f64 v[48:49], v[48:49], -v[66:67]
	;; [unrolled: 1-line block ×4, first 2 shown]
	v_fma_f64 v[50:51], v[50:51], v[52:53], -v[54:55]
	v_trig_preop_f64 v[54:55], |v[8:9]|, 2
	v_add_f64 v[48:49], v[48:49], v[66:67]
	v_mul_f64 v[66:67], v[54:55], v[52:53]
	v_add_f64 v[68:69], v[66:67], v[50:51]
	v_add_f64 v[70:71], v[68:69], v[48:49]
	v_add_f64 v[56:57], v[62:63], -v[56:57]
	v_add_f64 v[62:63], v[70:71], -v[68:69]
	;; [unrolled: 1-line block ×5, first 2 shown]
	v_add_f64 v[48:49], v[48:49], v[62:63]
	v_add_f64 v[62:63], v[68:69], -v[66:67]
	v_add_f64 v[50:51], v[50:51], -v[62:63]
	;; [unrolled: 1-line block ×4, first 2 shown]
	v_add_f64 v[50:51], v[50:51], v[62:63]
	v_add_f64 v[56:57], v[60:61], -v[56:57]
	v_add_f64 v[48:49], v[50:51], v[48:49]
	v_fma_f64 v[50:51], v[54:55], v[52:53], -v[66:67]
	v_add_f64 v[60:61], v[56:57], v[70:71]
	v_add_f64 v[48:49], v[50:51], v[48:49]
	v_ldexp_f64 v[50:51], v[64:65], 2
	v_add_f64 v[52:53], v[60:61], v[50:51]
	v_cmp_gt_f64_e32 vcc, 0, v[52:53]
	v_cndmask_b32_e32 v19, 0, v1, vcc
	v_add_f64 v[50:51], v[50:51], v[18:19]
	v_add_f64 v[52:53], v[60:61], v[50:51]
	v_cvt_i32_f64_e32 v19, v[52:53]
	v_cvt_f64_i32_e32 v[52:53], v19
	v_add_f64 v[50:51], v[50:51], -v[52:53]
	v_add_f64 v[56:57], v[60:61], -v[56:57]
	v_add_f64 v[54:55], v[60:61], v[50:51]
	v_add_f64 v[56:57], v[70:71], -v[56:57]
	v_add_f64 v[50:51], v[54:55], -v[50:51]
	v_cmp_le_f64_e32 vcc, 0.5, v[54:55]
	v_add_f64 v[48:49], v[56:57], v[48:49]
	v_add_f64 v[50:51], v[60:61], -v[50:51]
	v_addc_co_u32_e64 v52, s[0:1], 0, v19, vcc
	v_cndmask_b32_e32 v19, 0, v23, vcc
	v_add_f64 v[48:49], v[48:49], v[50:51]
	v_add_f64 v[50:51], v[54:55], -v[18:19]
	v_add_f64 v[54:55], v[50:51], v[48:49]
	v_add_f64 v[50:51], v[54:55], -v[50:51]
	s_mov_b32 s30, s34
	v_add_f64 v[48:49], v[48:49], -v[50:51]
	v_mul_f64 v[50:51], v[54:55], s[30:31]
	v_fma_f64 v[56:57], v[54:55], s[30:31], -v[50:51]
	s_mov_b32 s39, s37
	v_fmac_f64_e32 v[56:57], s[38:39], v[54:55]
	v_fmac_f64_e32 v[56:57], s[30:31], v[48:49]
	v_add_f64 v[48:49], v[50:51], v[56:57]
	v_add_f64 v[50:51], v[48:49], -v[50:51]
	v_add_f64 v[50:51], v[56:57], -v[50:51]
	s_andn2_saveexec_b64 s[0:1], s[2:3]
	s_cbranch_execnz .LBB248_26
	s_branch .LBB248_27
.LBB248_25:                             ;   in Loop: Header=BB248_4 Depth=1
	s_andn2_saveexec_b64 s[0:1], s[2:3]
	s_cbranch_execz .LBB248_27
.LBB248_26:                             ;   in Loop: Header=BB248_4 Depth=1
	v_mul_f64 v[48:49], |v[8:9]|, s[40:41]
	v_rndne_f64_e32 v[52:53], v[48:49]
	v_fma_f64 v[48:49], v[52:53], s[34:35], |v[8:9]|
	v_mul_f64 v[54:55], v[52:53], s[42:43]
	v_add_f64 v[60:61], v[48:49], v[54:55]
	v_fma_f64 v[50:51], s[42:43], v[52:53], v[48:49]
	s_mov_b32 s36, s42
	v_add_f64 v[48:49], v[48:49], -v[60:61]
	v_fma_f64 v[56:57], s[36:37], v[52:53], v[54:55]
	v_add_f64 v[48:49], v[48:49], v[54:55]
	v_add_f64 v[54:55], v[60:61], -v[50:51]
	v_add_f64 v[48:49], v[54:55], v[48:49]
	v_add_f64 v[54:55], v[48:49], -v[56:57]
	v_fmac_f64_e32 v[54:55], s[44:45], v[52:53]
	v_add_f64 v[48:49], v[50:51], v[54:55]
	v_add_f64 v[50:51], v[48:49], -v[50:51]
	v_add_f64 v[50:51], v[54:55], -v[50:51]
	v_cvt_i32_f64_e32 v52, v[52:53]
.LBB248_27:                             ;   in Loop: Header=BB248_4 Depth=1
	s_or_b64 exec, exec, s[0:1]
	v_mul_f64 v[54:55], v[44:45], v[44:45]
	v_pk_mov_b32 v[64:65], s[64:65], s[64:65] op_sel:[0,1]
	v_mul_f64 v[56:57], v[54:55], 0.5
	v_fma_f64 v[66:67], s[66:67], v[54:55], v[64:65]
	v_add_f64 v[60:61], -v[56:57], 1.0
	v_fma_f64 v[66:67], v[54:55], v[66:67], s[68:69]
	v_fma_f64 v[66:67], v[54:55], v[66:67], s[70:71]
	v_add_f64 v[68:69], -v[60:61], 1.0
	v_fma_f64 v[66:67], v[54:55], v[66:67], s[72:73]
	v_add_f64 v[56:57], v[68:69], -v[56:57]
	v_mul_f64 v[62:63], v[54:55], v[54:55]
	v_fma_f64 v[66:67], v[54:55], v[66:67], s[58:59]
	v_fma_f64 v[56:57], v[44:45], -v[46:47], v[56:57]
	v_fmac_f64_e32 v[56:57], v[62:63], v[66:67]
	v_pk_mov_b32 v[62:63], s[74:75], s[74:75] op_sel:[0,1]
	v_fma_f64 v[66:67], s[76:77], v[54:55], v[62:63]
	v_fma_f64 v[66:67], v[54:55], v[66:67], s[78:79]
	;; [unrolled: 1-line block ×3, first 2 shown]
	v_add_f64 v[56:57], v[60:61], v[56:57]
	v_mul_f64 v[60:61], v[44:45], -v[54:55]
	v_fma_f64 v[66:67], v[54:55], v[66:67], s[56:57]
	v_mul_f64 v[68:69], v[46:47], 0.5
	v_fmac_f64_e32 v[68:69], v[60:61], v[66:67]
	v_fma_f64 v[46:47], v[54:55], v[68:69], -v[46:47]
	s_mov_b32 s82, s58
	v_fmac_f64_e32 v[46:47], s[82:83], v[60:61]
	v_and_b32_e32 v19, 1, v42
	v_add_f64 v[44:45], v[44:45], -v[46:47]
	s_mov_b32 s0, 0x19ba0da4
	v_xor_b32_e32 v45, 0x80000000, v45
	v_cmp_eq_u32_e32 vcc, 0, v19
	v_lshlrev_b32_e32 v42, 30, v42
	s_mov_b32 s1, 0xc0937be3
	v_cndmask_b32_e32 v19, v44, v56, vcc
	v_cndmask_b32_e32 v44, v45, v57, vcc
	v_and_b32_e32 v42, 0x80000000, v42
	v_add_f64 v[6:7], -v[6:7], s[0:1]
	v_xor_b32_e32 v42, v44, v42
	v_mul_f64 v[44:45], v[6:7], s[48:49]
	v_rndne_f64_e32 v[44:45], v[44:45]
	v_fma_f64 v[46:47], s[50:51], v[44:45], v[6:7]
	v_fmac_f64_e32 v[46:47], s[52:53], v[44:45]
	v_pk_mov_b32 v[54:55], v[24:25], v[24:25] op_sel:[0,1]
	v_fmac_f64_e32 v[54:55], s[54:55], v[46:47]
	v_pk_mov_b32 v[56:57], v[26:27], v[26:27] op_sel:[0,1]
	;; [unrolled: 2-line block ×9, first 2 shown]
	v_fmac_f64_e32 v[54:55], v[46:47], v[56:57]
	v_cmp_class_f64_e64 vcc, v[8:9], s90
	v_fma_f64 v[54:55], v[46:47], v[54:55], 1.0
	s_mov_b32 s0, 0
	v_cndmask_b32_e32 v8, 0, v19, vcc
	v_fma_f64 v[46:47], v[46:47], v[54:55], 1.0
	v_cvt_i32_f64_e32 v19, v[44:45]
	s_mov_b32 s1, 0x40900000
	s_mov_b32 s2, 0
	v_ldexp_f64 v[44:45], v[46:47], v19
	v_cmp_nlt_f64_e64 s[0:1], s[0:1], v[6:7]
	s_mov_b32 s3, 0xc090cc00
	v_cndmask_b32_e64 v19, v58, v45, s[0:1]
	v_cmp_ngt_f64_e64 s[2:3], s[2:3], v[6:7]
	v_cndmask_b32_e64 v19, 0, v19, s[2:3]
	v_and_b32_e32 v7, 0xfffff, v19
	v_lshrrev_b32_e32 v19, 20, v19
	v_cndmask_b32_e32 v9, v59, v42, vcc
	v_add_u32_e32 v42, 0xffffff09, v19
	v_lshrrev_b16_e32 v19, 15, v42
	v_add_u16_e32 v19, v42, v19
	s_and_b64 s[0:1], s[2:3], s[0:1]
	v_ashrrev_i16_e32 v19, 1, v19
	v_cndmask_b32_e64 v6, 0, v44, s[0:1]
	v_or_b32_e32 v7, 0x7fe00000, v7
	v_bfe_i32 v44, v19, 0, 16
	v_mul_f64 v[8:9], v[6:7], v[8:9]
	v_lshl_add_u32 v19, v44, 20, v23
	v_sub_u32_e32 v42, v42, v44
	v_mul_f64 v[8:9], v[8:9], v[18:19]
	v_lshl_add_u32 v47, v42, 20, v23
	v_mov_b32_e32 v46, v18
	v_mul_f64 v[44:45], v[8:9], v[46:47]
	v_mul_f64 v[8:9], v[48:49], v[48:49]
	v_mul_f64 v[54:55], v[8:9], 0.5
	v_fmac_f64_e32 v[64:65], s[66:67], v[8:9]
	v_add_f64 v[56:57], -v[54:55], 1.0
	v_fma_f64 v[64:65], v[8:9], v[64:65], s[68:69]
	v_add_f64 v[60:61], -v[56:57], 1.0
	v_fma_f64 v[64:65], v[8:9], v[64:65], s[70:71]
	v_add_f64 v[54:55], v[60:61], -v[54:55]
	v_fma_f64 v[64:65], v[8:9], v[64:65], s[72:73]
	v_mul_f64 v[60:61], v[8:9], v[8:9]
	v_fma_f64 v[64:65], v[8:9], v[64:65], s[58:59]
	v_fma_f64 v[54:55], v[48:49], -v[50:51], v[54:55]
	v_fmac_f64_e32 v[54:55], v[60:61], v[64:65]
	v_fmac_f64_e32 v[62:63], s[76:77], v[8:9]
	v_add_f64 v[54:55], v[56:57], v[54:55]
	v_fma_f64 v[56:57], v[8:9], v[62:63], s[78:79]
	v_fma_f64 v[56:57], v[8:9], v[56:57], s[80:81]
	;; [unrolled: 1-line block ×3, first 2 shown]
	v_mul_f64 v[60:61], v[48:49], -v[8:9]
	v_mul_f64 v[62:63], v[50:51], 0.5
	v_fmac_f64_e32 v[62:63], v[60:61], v[56:57]
	v_fma_f64 v[8:9], v[8:9], v[62:63], -v[50:51]
	v_and_b32_e32 v42, 1, v52
	v_fmac_f64_e32 v[8:9], s[82:83], v[60:61]
	v_cmp_eq_u32_e64 s[0:1], 0, v42
	v_lshlrev_b32_e32 v42, 30, v52
	v_add_f64 v[8:9], v[48:49], -v[8:9]
	v_xor_b32_e32 v42, v42, v43
	v_cndmask_b32_e64 v9, v55, v9, s[0:1]
	v_and_b32_e32 v42, 0x80000000, v42
	v_cndmask_b32_e64 v8, v54, v8, s[0:1]
	v_xor_b32_e32 v9, v9, v42
	v_cndmask_b32_e32 v8, 0, v8, vcc
	v_cndmask_b32_e32 v9, v59, v9, vcc
	v_mul_f64 v[6:7], v[6:7], v[8:9]
	v_mul_f64 v[6:7], v[6:7], v[18:19]
	;; [unrolled: 1-line block ×3, first 2 shown]
	s_or_b64 exec, exec, s[86:87]
                                        ; implicit-def: $vgpr46_vgpr47
                                        ; implicit-def: $vgpr6_vgpr7
                                        ; implicit-def: $vgpr19
.LBB248_28:                             ;   in Loop: Header=BB248_4 Depth=1
	s_andn2_saveexec_b64 s[2:3], s[84:85]
	s_cbranch_execz .LBB248_34
.LBB248_29:                             ;   in Loop: Header=BB248_4 Depth=1
	v_cmp_ne_u32_e32 vcc, 0, v46
	v_cmp_ne_u32_e64 s[0:1], s8, v19
	s_or_b64 s[0:1], vcc, s[0:1]
	v_add_f64 v[42:43], v[8:9], -v[8:9]
	s_and_saveexec_b64 s[84:85], s[0:1]
	s_xor_b64 s[0:1], exec, s[84:85]
; %bb.30:                               ;   in Loop: Header=BB248_4 Depth=1
                                        ; implicit-def: $vgpr46_vgpr47
                                        ; implicit-def: $vgpr6_vgpr7
; %bb.31:                               ;   in Loop: Header=BB248_4 Depth=1
	s_or_saveexec_b64 s[0:1], s[0:1]
	v_pk_mov_b32 v[44:45], v[42:43], v[42:43] op_sel:[0,1]
	s_xor_b64 exec, exec, s[0:1]
; %bb.32:                               ;   in Loop: Header=BB248_4 Depth=1
	v_cmp_lt_i64_e32 vcc, -1, v[46:47]
	v_cndmask_b32_e32 v45, 0, v47, vcc
	v_cndmask_b32_e32 v44, 0, v6, vcc
	v_cndmask_b32_e32 v43, 0, v43, vcc
	v_cndmask_b32_e32 v42, 0, v42, vcc
; %bb.33:                               ;   in Loop: Header=BB248_4 Depth=1
	s_or_b64 exec, exec, s[0:1]
.LBB248_34:                             ;   in Loop: Header=BB248_4 Depth=1
	s_or_b64 exec, exec, s[2:3]
                                        ; implicit-def: $vgpr8_vgpr9
.LBB248_35:                             ;   in Loop: Header=BB248_4 Depth=1
	s_andn2_saveexec_b64 s[2:3], s[94:95]
	s_cbranch_execz .LBB248_45
; %bb.36:                               ;   in Loop: Header=BB248_4 Depth=1
	v_cmp_nlt_f64_e64 s[84:85], |v[8:9]|, s[24:25]
	v_trig_preop_f64 v[50:51], |v[8:9]|, 0
	v_trig_preop_f64 v[48:49], |v[8:9]|, 1
	v_ldexp_f64 v[52:53], |v[8:9]|, s9
	v_trig_preop_f64 v[46:47], |v[8:9]|, 2
	v_and_b32_e32 v60, 0x7fffffff, v9
                                        ; implicit-def: $vgpr42
                                        ; implicit-def: $vgpr6_vgpr7
                                        ; implicit-def: $vgpr44_vgpr45
	s_and_saveexec_b64 s[0:1], s[84:85]
	s_xor_b64 s[86:87], exec, s[0:1]
	s_cbranch_execz .LBB248_38
; %bb.37:                               ;   in Loop: Header=BB248_4 Depth=1
	v_cmp_ge_f64_e64 vcc, |v[8:9]|, s[26:27]
	v_cndmask_b32_e32 v7, v60, v53, vcc
	v_cndmask_b32_e32 v6, v8, v52, vcc
	v_mul_f64 v[54:55], v[50:51], v[6:7]
	v_mul_f64 v[44:45], v[48:49], v[6:7]
	v_fma_f64 v[56:57], v[50:51], v[6:7], -v[54:55]
	v_add_f64 v[62:63], v[44:45], v[56:57]
	v_add_f64 v[64:65], v[54:55], v[62:63]
	v_ldexp_f64 v[66:67], v[64:65], -2
	v_fract_f64_e32 v[68:69], v[66:67]
	v_cmp_neq_f64_e64 vcc, |v[66:67]|, s[28:29]
	v_cndmask_b32_e32 v67, 0, v69, vcc
	v_cndmask_b32_e32 v66, 0, v68, vcc
	v_add_f64 v[68:69], v[62:63], -v[44:45]
	v_add_f64 v[56:57], v[56:57], -v[68:69]
	v_add_f64 v[68:69], v[62:63], -v[68:69]
	v_add_f64 v[68:69], v[44:45], -v[68:69]
	v_add_f64 v[56:57], v[56:57], v[68:69]
	v_fma_f64 v[44:45], v[48:49], v[6:7], -v[44:45]
	v_mul_f64 v[68:69], v[46:47], v[6:7]
	v_add_f64 v[70:71], v[68:69], v[44:45]
	v_add_f64 v[72:73], v[70:71], v[56:57]
	v_add_f64 v[54:55], v[64:65], -v[54:55]
	v_add_f64 v[64:65], v[72:73], -v[70:71]
	v_add_f64 v[56:57], v[56:57], -v[64:65]
	v_add_f64 v[64:65], v[72:73], -v[64:65]
	v_add_f64 v[64:65], v[70:71], -v[64:65]
	v_add_f64 v[56:57], v[56:57], v[64:65]
	v_add_f64 v[64:65], v[70:71], -v[68:69]
	v_add_f64 v[44:45], v[44:45], -v[64:65]
	;; [unrolled: 1-line block ×5, first 2 shown]
	v_add_f64 v[62:63], v[54:55], v[72:73]
	v_add_f64 v[44:45], v[44:45], v[64:65]
	v_add_f64 v[54:55], v[62:63], -v[54:55]
	v_add_f64 v[44:45], v[44:45], v[56:57]
	v_fma_f64 v[6:7], v[46:47], v[6:7], -v[68:69]
	v_add_f64 v[54:55], v[72:73], -v[54:55]
	v_add_f64 v[6:7], v[6:7], v[44:45]
	v_ldexp_f64 v[44:45], v[66:67], 2
	v_add_f64 v[6:7], v[54:55], v[6:7]
	v_add_f64 v[54:55], v[62:63], v[44:45]
	v_cmp_gt_f64_e32 vcc, 0, v[54:55]
	v_cndmask_b32_e32 v19, 0, v1, vcc
	v_add_f64 v[44:45], v[44:45], v[18:19]
	v_add_f64 v[54:55], v[62:63], v[44:45]
	v_cvt_i32_f64_e32 v19, v[54:55]
	v_cvt_f64_i32_e32 v[54:55], v19
	v_add_f64 v[44:45], v[44:45], -v[54:55]
	v_add_f64 v[54:55], v[62:63], v[44:45]
	v_add_f64 v[44:45], v[54:55], -v[44:45]
	v_cmp_le_f64_e32 vcc, 0.5, v[54:55]
	v_add_f64 v[44:45], v[62:63], -v[44:45]
	v_addc_co_u32_e64 v42, s[0:1], 0, v19, vcc
	v_cndmask_b32_e32 v19, 0, v23, vcc
	v_add_f64 v[6:7], v[6:7], v[44:45]
	v_add_f64 v[44:45], v[54:55], -v[18:19]
	v_add_f64 v[54:55], v[44:45], v[6:7]
	v_add_f64 v[44:45], v[54:55], -v[44:45]
	s_mov_b32 s30, s34
	v_add_f64 v[6:7], v[6:7], -v[44:45]
	v_mul_f64 v[44:45], v[54:55], s[30:31]
	v_fma_f64 v[56:57], v[54:55], s[30:31], -v[44:45]
	s_mov_b32 s39, s37
	v_fmac_f64_e32 v[56:57], s[38:39], v[54:55]
	v_fmac_f64_e32 v[56:57], s[30:31], v[6:7]
	v_add_f64 v[6:7], v[44:45], v[56:57]
	v_add_f64 v[44:45], v[6:7], -v[44:45]
	v_add_f64 v[44:45], v[56:57], -v[44:45]
	s_andn2_saveexec_b64 s[0:1], s[86:87]
	s_cbranch_execz .LBB248_40
	s_branch .LBB248_39
.LBB248_38:                             ;   in Loop: Header=BB248_4 Depth=1
	s_andn2_saveexec_b64 s[0:1], s[86:87]
	s_cbranch_execz .LBB248_40
.LBB248_39:                             ;   in Loop: Header=BB248_4 Depth=1
	v_mul_f64 v[6:7], |v[8:9]|, s[40:41]
	v_rndne_f64_e32 v[54:55], v[6:7]
	v_fma_f64 v[6:7], v[54:55], s[34:35], |v[8:9]|
	v_mul_f64 v[56:57], v[54:55], s[42:43]
	v_add_f64 v[64:65], v[6:7], v[56:57]
	v_fma_f64 v[44:45], s[42:43], v[54:55], v[6:7]
	s_mov_b32 s36, s42
	v_add_f64 v[6:7], v[6:7], -v[64:65]
	v_fma_f64 v[62:63], s[36:37], v[54:55], v[56:57]
	v_add_f64 v[6:7], v[6:7], v[56:57]
	v_add_f64 v[56:57], v[64:65], -v[44:45]
	v_add_f64 v[6:7], v[56:57], v[6:7]
	v_add_f64 v[56:57], v[6:7], -v[62:63]
	v_fmac_f64_e32 v[56:57], s[44:45], v[54:55]
	v_add_f64 v[6:7], v[44:45], v[56:57]
	v_add_f64 v[44:45], v[6:7], -v[44:45]
	v_add_f64 v[44:45], v[56:57], -v[44:45]
	v_cvt_i32_f64_e32 v42, v[54:55]
.LBB248_40:                             ;   in Loop: Header=BB248_4 Depth=1
	s_or_b64 exec, exec, s[0:1]
                                        ; implicit-def: $vgpr61
                                        ; implicit-def: $vgpr54_vgpr55
                                        ; implicit-def: $vgpr56_vgpr57
	s_and_saveexec_b64 s[0:1], s[84:85]
	s_xor_b64 s[84:85], exec, s[0:1]
	s_cbranch_execz .LBB248_42
; %bb.41:                               ;   in Loop: Header=BB248_4 Depth=1
	v_cmp_ge_f64_e64 vcc, |v[8:9]|, s[26:27]
	v_cndmask_b32_e32 v53, v60, v53, vcc
	v_cndmask_b32_e32 v52, v8, v52, vcc
	v_mul_f64 v[56:57], v[50:51], v[52:53]
	v_mul_f64 v[54:55], v[48:49], v[52:53]
	v_fma_f64 v[50:51], v[50:51], v[52:53], -v[56:57]
	v_add_f64 v[60:61], v[54:55], v[50:51]
	v_add_f64 v[62:63], v[56:57], v[60:61]
	v_ldexp_f64 v[64:65], v[62:63], -2
	v_fract_f64_e32 v[66:67], v[64:65]
	v_cmp_neq_f64_e64 vcc, |v[64:65]|, s[28:29]
	v_cndmask_b32_e32 v65, 0, v67, vcc
	v_cndmask_b32_e32 v64, 0, v66, vcc
	v_add_f64 v[66:67], v[60:61], -v[54:55]
	v_add_f64 v[50:51], v[50:51], -v[66:67]
	;; [unrolled: 1-line block ×4, first 2 shown]
	v_fma_f64 v[48:49], v[48:49], v[52:53], -v[54:55]
	v_mul_f64 v[54:55], v[46:47], v[52:53]
	v_add_f64 v[50:51], v[50:51], v[66:67]
	v_add_f64 v[66:67], v[54:55], v[48:49]
	;; [unrolled: 1-line block ×3, first 2 shown]
	v_add_f64 v[56:57], v[62:63], -v[56:57]
	v_add_f64 v[62:63], v[68:69], -v[66:67]
	v_add_f64 v[50:51], v[50:51], -v[62:63]
	v_add_f64 v[62:63], v[68:69], -v[62:63]
	v_add_f64 v[62:63], v[66:67], -v[62:63]
	v_add_f64 v[50:51], v[50:51], v[62:63]
	v_add_f64 v[62:63], v[66:67], -v[54:55]
	v_add_f64 v[48:49], v[48:49], -v[62:63]
	;; [unrolled: 1-line block ×4, first 2 shown]
	v_add_f64 v[48:49], v[48:49], v[62:63]
	v_add_f64 v[56:57], v[60:61], -v[56:57]
	v_add_f64 v[48:49], v[48:49], v[50:51]
	v_fma_f64 v[46:47], v[46:47], v[52:53], -v[54:55]
	v_add_f64 v[60:61], v[56:57], v[68:69]
	v_add_f64 v[46:47], v[46:47], v[48:49]
	v_ldexp_f64 v[48:49], v[64:65], 2
	v_add_f64 v[50:51], v[60:61], v[48:49]
	v_cmp_gt_f64_e32 vcc, 0, v[50:51]
	v_cndmask_b32_e32 v19, 0, v1, vcc
	v_add_f64 v[48:49], v[48:49], v[18:19]
	v_add_f64 v[50:51], v[60:61], v[48:49]
	v_cvt_i32_f64_e32 v19, v[50:51]
	v_cvt_f64_i32_e32 v[50:51], v19
	v_add_f64 v[48:49], v[48:49], -v[50:51]
	v_add_f64 v[56:57], v[60:61], -v[56:57]
	v_add_f64 v[50:51], v[60:61], v[48:49]
	v_add_f64 v[56:57], v[68:69], -v[56:57]
	v_add_f64 v[48:49], v[50:51], -v[48:49]
	v_cmp_le_f64_e32 vcc, 0.5, v[50:51]
	v_add_f64 v[46:47], v[56:57], v[46:47]
	v_add_f64 v[48:49], v[60:61], -v[48:49]
	v_addc_co_u32_e64 v61, s[0:1], 0, v19, vcc
	v_cndmask_b32_e32 v19, 0, v23, vcc
	v_add_f64 v[46:47], v[46:47], v[48:49]
	v_add_f64 v[48:49], v[50:51], -v[18:19]
	v_add_f64 v[50:51], v[48:49], v[46:47]
	v_add_f64 v[48:49], v[50:51], -v[48:49]
	s_mov_b32 s30, s34
	v_add_f64 v[46:47], v[46:47], -v[48:49]
	v_mul_f64 v[48:49], v[50:51], s[30:31]
	v_fma_f64 v[52:53], v[50:51], s[30:31], -v[48:49]
	s_mov_b32 s39, s37
	v_fmac_f64_e32 v[52:53], s[38:39], v[50:51]
	v_fmac_f64_e32 v[52:53], s[30:31], v[46:47]
	v_add_f64 v[54:55], v[48:49], v[52:53]
	v_add_f64 v[46:47], v[54:55], -v[48:49]
	v_add_f64 v[56:57], v[52:53], -v[46:47]
	s_andn2_saveexec_b64 s[0:1], s[84:85]
	s_cbranch_execnz .LBB248_43
	s_branch .LBB248_44
.LBB248_42:                             ;   in Loop: Header=BB248_4 Depth=1
	s_andn2_saveexec_b64 s[0:1], s[84:85]
	s_cbranch_execz .LBB248_44
.LBB248_43:                             ;   in Loop: Header=BB248_4 Depth=1
	v_mul_f64 v[46:47], |v[8:9]|, s[40:41]
	v_rndne_f64_e32 v[46:47], v[46:47]
	v_fma_f64 v[48:49], v[46:47], s[34:35], |v[8:9]|
	v_mul_f64 v[52:53], v[46:47], s[42:43]
	v_add_f64 v[56:57], v[48:49], v[52:53]
	v_fma_f64 v[50:51], s[42:43], v[46:47], v[48:49]
	s_mov_b32 s36, s42
	v_add_f64 v[48:49], v[48:49], -v[56:57]
	v_fma_f64 v[54:55], s[36:37], v[46:47], v[52:53]
	v_add_f64 v[48:49], v[48:49], v[52:53]
	v_add_f64 v[52:53], v[56:57], -v[50:51]
	v_add_f64 v[48:49], v[52:53], v[48:49]
	v_add_f64 v[48:49], v[48:49], -v[54:55]
	v_fmac_f64_e32 v[48:49], s[44:45], v[46:47]
	v_add_f64 v[54:55], v[50:51], v[48:49]
	v_add_f64 v[50:51], v[54:55], -v[50:51]
	v_add_f64 v[56:57], v[48:49], -v[50:51]
	v_cvt_i32_f64_e32 v61, v[46:47]
.LBB248_44:                             ;   in Loop: Header=BB248_4 Depth=1
	s_or_b64 exec, exec, s[0:1]
	v_mul_f64 v[46:47], v[6:7], v[6:7]
	v_pk_mov_b32 v[62:63], s[64:65], s[64:65] op_sel:[0,1]
	v_mul_f64 v[48:49], v[46:47], 0.5
	v_fma_f64 v[64:65], s[66:67], v[46:47], v[62:63]
	v_add_f64 v[50:51], -v[48:49], 1.0
	v_fma_f64 v[64:65], v[46:47], v[64:65], s[68:69]
	v_add_f64 v[52:53], -v[50:51], 1.0
	v_fma_f64 v[64:65], v[46:47], v[64:65], s[70:71]
	v_add_f64 v[48:49], v[52:53], -v[48:49]
	v_fma_f64 v[64:65], v[46:47], v[64:65], s[72:73]
	v_mul_f64 v[52:53], v[46:47], v[46:47]
	v_fma_f64 v[64:65], v[46:47], v[64:65], s[58:59]
	v_fma_f64 v[48:49], v[6:7], -v[44:45], v[48:49]
	v_fmac_f64_e32 v[48:49], v[52:53], v[64:65]
	v_add_f64 v[48:49], v[50:51], v[48:49]
	v_pk_mov_b32 v[50:51], s[74:75], s[74:75] op_sel:[0,1]
	v_fma_f64 v[52:53], s[76:77], v[46:47], v[50:51]
	v_fma_f64 v[52:53], v[46:47], v[52:53], s[78:79]
	;; [unrolled: 1-line block ×4, first 2 shown]
	v_mul_f64 v[64:65], v[6:7], -v[46:47]
	v_mul_f64 v[66:67], v[44:45], 0.5
	v_fmac_f64_e32 v[66:67], v[64:65], v[52:53]
	v_fma_f64 v[44:45], v[46:47], v[66:67], -v[44:45]
	s_mov_b32 s82, s58
	v_fmac_f64_e32 v[44:45], s[82:83], v[64:65]
	v_add_f64 v[6:7], v[6:7], -v[44:45]
	v_and_b32_e32 v19, 1, v42
	v_xor_b32_e32 v7, 0x80000000, v7
	v_cmp_eq_u32_e32 vcc, 0, v19
	v_lshlrev_b32_e32 v19, 30, v42
	v_cndmask_b32_e32 v7, v7, v49, vcc
	v_and_b32_e32 v19, 0x80000000, v19
	v_cndmask_b32_e32 v6, v6, v48, vcc
	v_xor_b32_e32 v7, v7, v19
	v_cmp_class_f64_e64 vcc, v[8:9], s90
	v_cndmask_b32_e32 v44, 0, v6, vcc
	v_cndmask_b32_e32 v45, v59, v7, vcc
	v_mul_f64 v[6:7], v[54:55], v[54:55]
	v_mul_f64 v[8:9], v[6:7], 0.5
	v_fmac_f64_e32 v[62:63], s[66:67], v[6:7]
	v_add_f64 v[46:47], -v[8:9], 1.0
	v_fma_f64 v[52:53], v[6:7], v[62:63], s[68:69]
	v_add_f64 v[48:49], -v[46:47], 1.0
	v_fma_f64 v[52:53], v[6:7], v[52:53], s[70:71]
	v_add_f64 v[8:9], v[48:49], -v[8:9]
	v_fma_f64 v[52:53], v[6:7], v[52:53], s[72:73]
	v_mul_f64 v[48:49], v[6:7], v[6:7]
	v_fma_f64 v[52:53], v[6:7], v[52:53], s[58:59]
	v_fma_f64 v[8:9], v[54:55], -v[56:57], v[8:9]
	v_fmac_f64_e32 v[8:9], v[48:49], v[52:53]
	v_fmac_f64_e32 v[50:51], s[76:77], v[6:7]
	v_add_f64 v[8:9], v[46:47], v[8:9]
	v_fma_f64 v[46:47], v[6:7], v[50:51], s[78:79]
	v_fma_f64 v[46:47], v[6:7], v[46:47], s[80:81]
	;; [unrolled: 1-line block ×3, first 2 shown]
	v_mul_f64 v[48:49], v[54:55], -v[6:7]
	v_mul_f64 v[50:51], v[56:57], 0.5
	v_fmac_f64_e32 v[50:51], v[48:49], v[46:47]
	v_fma_f64 v[6:7], v[6:7], v[50:51], -v[56:57]
	v_fmac_f64_e32 v[6:7], s[82:83], v[48:49]
	v_and_b32_e32 v19, 1, v61
	v_add_f64 v[6:7], v[54:55], -v[6:7]
	v_cmp_eq_u32_e64 s[0:1], 0, v19
	v_cndmask_b32_e64 v6, v8, v6, s[0:1]
	v_lshlrev_b32_e32 v8, 30, v61
	v_xor_b32_e32 v8, v8, v43
	v_cndmask_b32_e64 v7, v9, v7, s[0:1]
	v_and_b32_e32 v8, 0x80000000, v8
	v_xor_b32_e32 v7, v7, v8
	v_cndmask_b32_e32 v42, 0, v6, vcc
	v_cndmask_b32_e32 v43, v59, v7, vcc
.LBB248_45:                             ;   in Loop: Header=BB248_4 Depth=1
	s_or_b64 exec, exec, s[2:3]
                                        ; implicit-def: $vgpr6_vgpr7
.LBB248_46:                             ;   in Loop: Header=BB248_4 Depth=1
	s_andn2_saveexec_b64 s[2:3], s[92:93]
	s_cbranch_execz .LBB248_48
; %bb.47:                               ;   in Loop: Header=BB248_4 Depth=1
	s_mov_b32 s46, s48
	v_mul_f64 v[8:9], v[6:7], s[46:47]
	v_rndne_f64_e32 v[8:9], v[8:9]
	v_fma_f64 v[44:45], v[8:9], s[50:51], -v[6:7]
	v_fmac_f64_e32 v[44:45], s[52:53], v[8:9]
	v_pk_mov_b32 v[46:47], v[24:25], v[24:25] op_sel:[0,1]
	v_fmac_f64_e32 v[46:47], s[54:55], v[44:45]
	v_pk_mov_b32 v[48:49], v[26:27], v[26:27] op_sel:[0,1]
	;; [unrolled: 2-line block ×9, first 2 shown]
	v_fmac_f64_e32 v[46:47], v[44:45], v[48:49]
	v_fma_f64 v[46:47], v[44:45], v[46:47], 1.0
	v_fma_f64 v[44:45], v[44:45], v[46:47], 1.0
	v_cvt_i32_f64_e32 v8, v[8:9]
	v_ldexp_f64 v[8:9], v[44:45], v8
	v_cmp_ngt_f64_e32 vcc, s[60:61], v[6:7]
	v_cmp_nlt_f64_e64 s[0:1], s[62:63], v[6:7]
	v_cndmask_b32_e32 v9, v58, v9, vcc
	s_and_b64 vcc, s[0:1], vcc
	v_cndmask_b32_e64 v45, 0, v9, s[0:1]
	v_cndmask_b32_e32 v44, 0, v8, vcc
.LBB248_48:                             ;   in Loop: Header=BB248_4 Depth=1
	s_or_b64 exec, exec, s[2:3]
	v_add_f64 v[44:45], s[12:13], v[44:45]
	v_add_f64 v[42:43], s[14:15], v[42:43]
	v_xor_b32_e32 v6, 0x80000000, v45
	v_cmp_gt_f64_e32 vcc, 0, v[44:45]
	v_cndmask_b32_e32 v49, v45, v6, vcc
	v_cndmask_b32_e32 v48, v44, v44, vcc
	v_xor_b32_e32 v6, 0x80000000, v43
	v_cmp_gt_f64_e32 vcc, 0, v[42:43]
	v_cndmask_b32_e32 v47, v43, v6, vcc
	v_cndmask_b32_e32 v46, v42, v42, vcc
	v_cmp_ge_f64_e32 vcc, v[48:49], v[46:47]
                                        ; implicit-def: $vgpr8_vgpr9
	s_and_saveexec_b64 s[0:1], vcc
	s_xor_b64 s[2:3], exec, s[0:1]
	s_cbranch_execz .LBB248_54
; %bb.49:                               ;   in Loop: Header=BB248_4 Depth=1
	v_cmp_neq_f64_e32 vcc, 0, v[44:45]
	v_cmp_neq_f64_e64 s[0:1], 0, v[42:43]
	s_or_b64 s[0:1], vcc, s[0:1]
                                        ; implicit-def: $vgpr8_vgpr9
	s_and_saveexec_b64 s[84:85], s[0:1]
	s_xor_b64 s[0:1], exec, s[84:85]
	s_cbranch_execz .LBB248_51
; %bb.50:                               ;   in Loop: Header=BB248_4 Depth=1
	v_div_scale_f64 v[6:7], s[84:85], v[44:45], v[44:45], v[42:43]
	v_rcp_f64_e32 v[8:9], v[6:7]
	v_div_scale_f64 v[46:47], vcc, v[42:43], v[44:45], v[42:43]
	v_fma_f64 v[48:49], -v[6:7], v[8:9], 1.0
	v_fmac_f64_e32 v[8:9], v[8:9], v[48:49]
	v_fma_f64 v[48:49], -v[6:7], v[8:9], 1.0
	v_fmac_f64_e32 v[8:9], v[8:9], v[48:49]
	v_mul_f64 v[48:49], v[46:47], v[8:9]
	v_fma_f64 v[6:7], -v[6:7], v[48:49], v[46:47]
	v_div_fmas_f64 v[6:7], v[6:7], v[8:9], v[48:49]
	v_div_fixup_f64 v[8:9], v[6:7], v[44:45], v[42:43]
	v_fmac_f64_e32 v[44:45], v[42:43], v[8:9]
	v_div_scale_f64 v[6:7], s[84:85], v[44:45], v[44:45], 1.0
	v_rcp_f64_e32 v[42:43], v[6:7]
	v_fma_f64 v[46:47], -v[6:7], v[42:43], 1.0
	v_fmac_f64_e32 v[42:43], v[42:43], v[46:47]
	v_fma_f64 v[46:47], -v[6:7], v[42:43], 1.0
	v_fmac_f64_e32 v[42:43], v[42:43], v[46:47]
	v_div_scale_f64 v[46:47], vcc, 1.0, v[44:45], 1.0
	v_mul_f64 v[48:49], v[46:47], v[42:43]
	v_fma_f64 v[6:7], -v[6:7], v[48:49], v[46:47]
                                        ; implicit-def: $vgpr46_vgpr47
	s_nop 1
	v_div_fmas_f64 v[6:7], v[6:7], v[42:43], v[48:49]
	v_div_fixup_f64 v[42:43], v[6:7], v[44:45], 1.0
	v_pk_mov_b32 v[6:7], s[12:13], s[12:13] op_sel:[0,1]
	v_pk_mov_b32 v[44:45], s[14:15], s[14:15] op_sel:[0,1]
	v_fma_f64 v[6:7], s[14:15], v[8:9], v[6:7]
	v_fma_f64 v[8:9], -s[12:13], v[8:9], v[44:45]
	v_mul_f64 v[6:7], v[6:7], v[42:43]
	v_mul_f64 v[8:9], v[8:9], v[42:43]
                                        ; implicit-def: $vgpr48_vgpr49
.LBB248_51:                             ;   in Loop: Header=BB248_4 Depth=1
	s_andn2_saveexec_b64 s[0:1], s[0:1]
	s_cbranch_execz .LBB248_53
; %bb.52:                               ;   in Loop: Header=BB248_4 Depth=1
	v_div_scale_f64 v[6:7], s[84:85], v[48:49], v[48:49], s[12:13]
	v_rcp_f64_e32 v[8:9], v[6:7]
	v_div_scale_f64 v[42:43], vcc, s[12:13], v[48:49], s[12:13]
	v_fma_f64 v[44:45], -v[6:7], v[8:9], 1.0
	v_fmac_f64_e32 v[8:9], v[8:9], v[44:45]
	v_fma_f64 v[44:45], -v[6:7], v[8:9], 1.0
	v_fmac_f64_e32 v[8:9], v[8:9], v[44:45]
	v_mul_f64 v[44:45], v[42:43], v[8:9]
	v_fma_f64 v[6:7], -v[6:7], v[44:45], v[42:43]
	v_div_scale_f64 v[42:43], s[84:85], v[46:47], v[46:47], s[14:15]
	v_rcp_f64_e32 v[50:51], v[42:43]
	v_div_fmas_f64 v[6:7], v[6:7], v[8:9], v[44:45]
	v_div_fixup_f64 v[6:7], v[6:7], v[48:49], s[12:13]
	v_fma_f64 v[8:9], -v[42:43], v[50:51], 1.0
	v_fmac_f64_e32 v[50:51], v[50:51], v[8:9]
	v_fma_f64 v[8:9], -v[42:43], v[50:51], 1.0
	v_fmac_f64_e32 v[50:51], v[50:51], v[8:9]
	v_div_scale_f64 v[8:9], vcc, s[14:15], v[46:47], s[14:15]
	v_mul_f64 v[44:45], v[8:9], v[50:51]
	v_fma_f64 v[8:9], -v[42:43], v[44:45], v[8:9]
	s_nop 1
	v_div_fmas_f64 v[8:9], v[8:9], v[50:51], v[44:45]
	v_div_fixup_f64 v[8:9], v[8:9], v[46:47], s[14:15]
.LBB248_53:                             ;   in Loop: Header=BB248_4 Depth=1
	s_or_b64 exec, exec, s[0:1]
                                        ; implicit-def: $vgpr42_vgpr43
                                        ; implicit-def: $vgpr44_vgpr45
.LBB248_54:                             ;   in Loop: Header=BB248_4 Depth=1
	s_andn2_saveexec_b64 s[0:1], s[2:3]
	s_cbranch_execz .LBB248_56
; %bb.55:                               ;   in Loop: Header=BB248_4 Depth=1
	v_div_scale_f64 v[6:7], s[2:3], v[42:43], v[42:43], v[44:45]
	v_rcp_f64_e32 v[8:9], v[6:7]
	v_div_scale_f64 v[46:47], vcc, v[44:45], v[42:43], v[44:45]
	v_fma_f64 v[48:49], -v[6:7], v[8:9], 1.0
	v_fmac_f64_e32 v[8:9], v[8:9], v[48:49]
	v_fma_f64 v[48:49], -v[6:7], v[8:9], 1.0
	v_fmac_f64_e32 v[8:9], v[8:9], v[48:49]
	v_mul_f64 v[48:49], v[46:47], v[8:9]
	v_fma_f64 v[6:7], -v[6:7], v[48:49], v[46:47]
	v_div_fmas_f64 v[6:7], v[6:7], v[8:9], v[48:49]
	v_div_fixup_f64 v[8:9], v[6:7], v[42:43], v[44:45]
	v_fmac_f64_e32 v[42:43], v[44:45], v[8:9]
	v_div_scale_f64 v[6:7], s[2:3], v[42:43], v[42:43], 1.0
	v_rcp_f64_e32 v[44:45], v[6:7]
	v_fma_f64 v[46:47], -v[6:7], v[44:45], 1.0
	v_fmac_f64_e32 v[44:45], v[44:45], v[46:47]
	v_fma_f64 v[46:47], -v[6:7], v[44:45], 1.0
	v_fmac_f64_e32 v[44:45], v[44:45], v[46:47]
	v_div_scale_f64 v[46:47], vcc, 1.0, v[42:43], 1.0
	v_mul_f64 v[48:49], v[46:47], v[44:45]
	v_fma_f64 v[6:7], -v[6:7], v[48:49], v[46:47]
	s_nop 1
	v_div_fmas_f64 v[6:7], v[6:7], v[44:45], v[48:49]
	v_div_fixup_f64 v[42:43], v[6:7], v[42:43], 1.0
	v_pk_mov_b32 v[6:7], s[14:15], s[14:15] op_sel:[0,1]
	v_pk_mov_b32 v[44:45], s[12:13], s[12:13] op_sel:[0,1]
	v_fma_f64 v[6:7], s[12:13], v[8:9], v[6:7]
	v_fma_f64 v[8:9], s[14:15], v[8:9], -v[44:45]
	v_mul_f64 v[6:7], v[6:7], v[42:43]
	v_mul_f64 v[8:9], v[8:9], v[42:43]
.LBB248_56:                             ;   in Loop: Header=BB248_4 Depth=1
	s_or_b64 exec, exec, s[0:1]
	s_waitcnt vmcnt(2)
	v_xor_b32_e32 v43, 0x80000000, v17
	v_and_b32_e32 v48, 0x7fffffff, v43
	v_or_b32_e32 v19, v48, v16
	v_mov_b32_e32 v42, v16
	v_cmp_ne_u32_e32 vcc, 0, v19
                                        ; implicit-def: $vgpr44_vgpr45
	s_and_saveexec_b64 s[0:1], vcc
	s_xor_b64 s[92:93], exec, s[0:1]
	s_cbranch_execz .LBB248_98
; %bb.57:                               ;   in Loop: Header=BB248_4 Depth=1
	v_xor_b32_e32 v47, 0x80000000, v15
	v_mov_b32_e32 v46, v14
	v_and_b32_e32 v19, 0x7fffffff, v47
	v_or_b32_e32 v42, v19, v46
	v_cmp_ne_u32_e32 vcc, 0, v42
                                        ; implicit-def: $vgpr44_vgpr45
	s_and_saveexec_b64 s[0:1], vcc
	s_xor_b64 s[94:95], exec, s[0:1]
	s_cbranch_execz .LBB248_87
; %bb.58:                               ;   in Loop: Header=BB248_4 Depth=1
	v_cmp_gt_u32_e32 vcc, s8, v48
                                        ; implicit-def: $vgpr44_vgpr45
	s_and_saveexec_b64 s[0:1], vcc
	s_xor_b64 s[84:85], exec, s[0:1]
	s_cbranch_execz .LBB248_80
; %bb.59:                               ;   in Loop: Header=BB248_4 Depth=1
	v_add_u32_e32 v19, 0xbf79d1be, v47
	v_cmp_lt_u32_e32 vcc, s91, v19
                                        ; implicit-def: $vgpr44_vgpr45
	s_and_saveexec_b64 s[0:1], vcc
	s_xor_b64 s[2:3], exec, s[0:1]
	s_cbranch_execz .LBB248_69
; %bb.60:                               ;   in Loop: Header=BB248_4 Depth=1
	v_cmp_nlt_f64_e64 s[86:87], |v[16:17]|, s[24:25]
                                        ; implicit-def: $vgpr42
                                        ; implicit-def: $vgpr44_vgpr45
                                        ; implicit-def: $vgpr46_vgpr47
	s_and_saveexec_b64 s[0:1], s[86:87]
	s_xor_b64 s[88:89], exec, s[0:1]
	s_cbranch_execz .LBB248_62
; %bb.61:                               ;   in Loop: Header=BB248_4 Depth=1
	v_and_b32_e32 v19, 0x7fffffff, v17
	v_ldexp_f64 v[48:49], |v[16:17]|, s9
	v_cmp_ge_f64_e64 vcc, |v[16:17]|, s[26:27]
	v_trig_preop_f64 v[44:45], |v[16:17]|, 0
	v_cndmask_b32_e32 v49, v19, v49, vcc
	v_cndmask_b32_e32 v48, v16, v48, vcc
	v_trig_preop_f64 v[46:47], |v[16:17]|, 1
	v_mul_f64 v[52:53], v[44:45], v[48:49]
	v_mul_f64 v[50:51], v[46:47], v[48:49]
	v_fma_f64 v[44:45], v[44:45], v[48:49], -v[52:53]
	v_add_f64 v[54:55], v[50:51], v[44:45]
	v_add_f64 v[56:57], v[52:53], v[54:55]
	v_ldexp_f64 v[60:61], v[56:57], -2
	v_fract_f64_e32 v[62:63], v[60:61]
	v_cmp_neq_f64_e64 vcc, |v[60:61]|, s[28:29]
	v_cndmask_b32_e32 v61, 0, v63, vcc
	v_cndmask_b32_e32 v60, 0, v62, vcc
	v_add_f64 v[62:63], v[54:55], -v[50:51]
	v_add_f64 v[44:45], v[44:45], -v[62:63]
	;; [unrolled: 1-line block ×4, first 2 shown]
	v_fma_f64 v[46:47], v[46:47], v[48:49], -v[50:51]
	v_trig_preop_f64 v[50:51], |v[16:17]|, 2
	v_add_f64 v[44:45], v[44:45], v[62:63]
	v_mul_f64 v[62:63], v[50:51], v[48:49]
	v_add_f64 v[64:65], v[62:63], v[46:47]
	v_add_f64 v[66:67], v[64:65], v[44:45]
	v_add_f64 v[52:53], v[56:57], -v[52:53]
	v_add_f64 v[56:57], v[66:67], -v[64:65]
	;; [unrolled: 1-line block ×5, first 2 shown]
	v_add_f64 v[44:45], v[44:45], v[56:57]
	v_add_f64 v[56:57], v[64:65], -v[62:63]
	v_add_f64 v[46:47], v[46:47], -v[56:57]
	;; [unrolled: 1-line block ×4, first 2 shown]
	v_add_f64 v[46:47], v[46:47], v[56:57]
	v_add_f64 v[52:53], v[54:55], -v[52:53]
	v_add_f64 v[44:45], v[46:47], v[44:45]
	v_fma_f64 v[46:47], v[50:51], v[48:49], -v[62:63]
	v_add_f64 v[54:55], v[52:53], v[66:67]
	v_add_f64 v[44:45], v[46:47], v[44:45]
	v_ldexp_f64 v[46:47], v[60:61], 2
	v_add_f64 v[48:49], v[54:55], v[46:47]
	v_cmp_gt_f64_e32 vcc, 0, v[48:49]
	v_cndmask_b32_e32 v19, 0, v1, vcc
	v_add_f64 v[46:47], v[46:47], v[18:19]
	v_add_f64 v[48:49], v[54:55], v[46:47]
	v_cvt_i32_f64_e32 v19, v[48:49]
	v_cvt_f64_i32_e32 v[48:49], v19
	v_add_f64 v[46:47], v[46:47], -v[48:49]
	v_add_f64 v[52:53], v[54:55], -v[52:53]
	v_add_f64 v[48:49], v[54:55], v[46:47]
	v_add_f64 v[52:53], v[66:67], -v[52:53]
	v_add_f64 v[46:47], v[48:49], -v[46:47]
	v_cmp_le_f64_e32 vcc, 0.5, v[48:49]
	v_add_f64 v[44:45], v[52:53], v[44:45]
	v_add_f64 v[46:47], v[54:55], -v[46:47]
	v_addc_co_u32_e64 v42, s[0:1], 0, v19, vcc
	v_cndmask_b32_e32 v19, 0, v23, vcc
	v_add_f64 v[44:45], v[44:45], v[46:47]
	v_add_f64 v[46:47], v[48:49], -v[18:19]
	v_add_f64 v[48:49], v[46:47], v[44:45]
	v_add_f64 v[46:47], v[48:49], -v[46:47]
	s_mov_b32 s30, s34
	v_add_f64 v[44:45], v[44:45], -v[46:47]
	v_mul_f64 v[46:47], v[48:49], s[30:31]
	v_fma_f64 v[50:51], v[48:49], s[30:31], -v[46:47]
	s_mov_b32 s39, s37
	v_fmac_f64_e32 v[50:51], s[38:39], v[48:49]
	v_fmac_f64_e32 v[50:51], s[30:31], v[44:45]
	v_add_f64 v[44:45], v[46:47], v[50:51]
	v_add_f64 v[46:47], v[44:45], -v[46:47]
	v_add_f64 v[46:47], v[50:51], -v[46:47]
	s_andn2_saveexec_b64 s[0:1], s[88:89]
	s_cbranch_execz .LBB248_64
	s_branch .LBB248_63
.LBB248_62:                             ;   in Loop: Header=BB248_4 Depth=1
	s_andn2_saveexec_b64 s[0:1], s[88:89]
	s_cbranch_execz .LBB248_64
.LBB248_63:                             ;   in Loop: Header=BB248_4 Depth=1
	v_mul_f64 v[44:45], |v[16:17]|, s[40:41]
	v_rndne_f64_e32 v[48:49], v[44:45]
	v_fma_f64 v[44:45], v[48:49], s[34:35], |v[16:17]|
	v_mul_f64 v[50:51], v[48:49], s[42:43]
	v_add_f64 v[54:55], v[44:45], v[50:51]
	v_fma_f64 v[46:47], s[42:43], v[48:49], v[44:45]
	s_mov_b32 s36, s42
	v_add_f64 v[44:45], v[44:45], -v[54:55]
	v_fma_f64 v[52:53], s[36:37], v[48:49], v[50:51]
	v_add_f64 v[44:45], v[44:45], v[50:51]
	v_add_f64 v[50:51], v[54:55], -v[46:47]
	v_add_f64 v[44:45], v[50:51], v[44:45]
	v_add_f64 v[50:51], v[44:45], -v[52:53]
	v_fmac_f64_e32 v[50:51], s[44:45], v[48:49]
	v_add_f64 v[44:45], v[46:47], v[50:51]
	v_add_f64 v[46:47], v[44:45], -v[46:47]
	v_add_f64 v[46:47], v[50:51], -v[46:47]
	v_cvt_i32_f64_e32 v42, v[48:49]
.LBB248_64:                             ;   in Loop: Header=BB248_4 Depth=1
	s_or_b64 exec, exec, s[0:1]
                                        ; implicit-def: $vgpr52
                                        ; implicit-def: $vgpr48_vgpr49
                                        ; implicit-def: $vgpr50_vgpr51
	s_and_saveexec_b64 s[0:1], s[86:87]
	s_xor_b64 s[86:87], exec, s[0:1]
	s_cbranch_execz .LBB248_66
; %bb.65:                               ;   in Loop: Header=BB248_4 Depth=1
	v_and_b32_e32 v19, 0x7fffffff, v17
	v_ldexp_f64 v[52:53], |v[16:17]|, s9
	v_cmp_ge_f64_e64 vcc, |v[16:17]|, s[26:27]
	v_trig_preop_f64 v[48:49], |v[16:17]|, 0
	v_cndmask_b32_e32 v53, v19, v53, vcc
	v_cndmask_b32_e32 v52, v16, v52, vcc
	v_trig_preop_f64 v[50:51], |v[16:17]|, 1
	v_mul_f64 v[56:57], v[48:49], v[52:53]
	v_mul_f64 v[54:55], v[50:51], v[52:53]
	v_fma_f64 v[48:49], v[48:49], v[52:53], -v[56:57]
	v_add_f64 v[60:61], v[54:55], v[48:49]
	v_add_f64 v[62:63], v[56:57], v[60:61]
	v_ldexp_f64 v[64:65], v[62:63], -2
	v_fract_f64_e32 v[66:67], v[64:65]
	v_cmp_neq_f64_e64 vcc, |v[64:65]|, s[28:29]
	v_cndmask_b32_e32 v65, 0, v67, vcc
	v_cndmask_b32_e32 v64, 0, v66, vcc
	v_add_f64 v[66:67], v[60:61], -v[54:55]
	v_add_f64 v[48:49], v[48:49], -v[66:67]
	v_add_f64 v[66:67], v[60:61], -v[66:67]
	v_add_f64 v[66:67], v[54:55], -v[66:67]
	v_fma_f64 v[50:51], v[50:51], v[52:53], -v[54:55]
	v_trig_preop_f64 v[54:55], |v[16:17]|, 2
	v_add_f64 v[48:49], v[48:49], v[66:67]
	v_mul_f64 v[66:67], v[54:55], v[52:53]
	v_add_f64 v[68:69], v[66:67], v[50:51]
	v_add_f64 v[70:71], v[68:69], v[48:49]
	v_add_f64 v[56:57], v[62:63], -v[56:57]
	v_add_f64 v[62:63], v[70:71], -v[68:69]
	;; [unrolled: 1-line block ×5, first 2 shown]
	v_add_f64 v[48:49], v[48:49], v[62:63]
	v_add_f64 v[62:63], v[68:69], -v[66:67]
	v_add_f64 v[50:51], v[50:51], -v[62:63]
	;; [unrolled: 1-line block ×4, first 2 shown]
	v_add_f64 v[50:51], v[50:51], v[62:63]
	v_add_f64 v[56:57], v[60:61], -v[56:57]
	v_add_f64 v[48:49], v[50:51], v[48:49]
	v_fma_f64 v[50:51], v[54:55], v[52:53], -v[66:67]
	v_add_f64 v[60:61], v[56:57], v[70:71]
	v_add_f64 v[48:49], v[50:51], v[48:49]
	v_ldexp_f64 v[50:51], v[64:65], 2
	v_add_f64 v[52:53], v[60:61], v[50:51]
	v_cmp_gt_f64_e32 vcc, 0, v[52:53]
	v_cndmask_b32_e32 v19, 0, v1, vcc
	v_add_f64 v[50:51], v[50:51], v[18:19]
	v_add_f64 v[52:53], v[60:61], v[50:51]
	v_cvt_i32_f64_e32 v19, v[52:53]
	v_cvt_f64_i32_e32 v[52:53], v19
	v_add_f64 v[50:51], v[50:51], -v[52:53]
	v_add_f64 v[56:57], v[60:61], -v[56:57]
	v_add_f64 v[54:55], v[60:61], v[50:51]
	v_add_f64 v[56:57], v[70:71], -v[56:57]
	v_add_f64 v[50:51], v[54:55], -v[50:51]
	v_cmp_le_f64_e32 vcc, 0.5, v[54:55]
	v_add_f64 v[48:49], v[56:57], v[48:49]
	v_add_f64 v[50:51], v[60:61], -v[50:51]
	v_addc_co_u32_e64 v52, s[0:1], 0, v19, vcc
	v_cndmask_b32_e32 v19, 0, v23, vcc
	v_add_f64 v[48:49], v[48:49], v[50:51]
	v_add_f64 v[50:51], v[54:55], -v[18:19]
	v_add_f64 v[54:55], v[50:51], v[48:49]
	v_add_f64 v[50:51], v[54:55], -v[50:51]
	s_mov_b32 s30, s34
	v_add_f64 v[48:49], v[48:49], -v[50:51]
	v_mul_f64 v[50:51], v[54:55], s[30:31]
	v_fma_f64 v[56:57], v[54:55], s[30:31], -v[50:51]
	s_mov_b32 s39, s37
	v_fmac_f64_e32 v[56:57], s[38:39], v[54:55]
	v_fmac_f64_e32 v[56:57], s[30:31], v[48:49]
	v_add_f64 v[48:49], v[50:51], v[56:57]
	v_add_f64 v[50:51], v[48:49], -v[50:51]
	v_add_f64 v[50:51], v[56:57], -v[50:51]
	s_andn2_saveexec_b64 s[0:1], s[86:87]
	s_cbranch_execnz .LBB248_67
	s_branch .LBB248_68
.LBB248_66:                             ;   in Loop: Header=BB248_4 Depth=1
	s_andn2_saveexec_b64 s[0:1], s[86:87]
	s_cbranch_execz .LBB248_68
.LBB248_67:                             ;   in Loop: Header=BB248_4 Depth=1
	v_mul_f64 v[48:49], |v[16:17]|, s[40:41]
	v_rndne_f64_e32 v[52:53], v[48:49]
	v_fma_f64 v[48:49], v[52:53], s[34:35], |v[16:17]|
	v_mul_f64 v[54:55], v[52:53], s[42:43]
	v_add_f64 v[60:61], v[48:49], v[54:55]
	v_fma_f64 v[50:51], s[42:43], v[52:53], v[48:49]
	s_mov_b32 s36, s42
	v_add_f64 v[48:49], v[48:49], -v[60:61]
	v_fma_f64 v[56:57], s[36:37], v[52:53], v[54:55]
	v_add_f64 v[48:49], v[48:49], v[54:55]
	v_add_f64 v[54:55], v[60:61], -v[50:51]
	v_add_f64 v[48:49], v[54:55], v[48:49]
	v_add_f64 v[54:55], v[48:49], -v[56:57]
	v_fmac_f64_e32 v[54:55], s[44:45], v[52:53]
	v_add_f64 v[48:49], v[50:51], v[54:55]
	v_add_f64 v[50:51], v[48:49], -v[50:51]
	v_add_f64 v[50:51], v[54:55], -v[50:51]
	v_cvt_i32_f64_e32 v52, v[52:53]
.LBB248_68:                             ;   in Loop: Header=BB248_4 Depth=1
	s_or_b64 exec, exec, s[0:1]
	s_mov_b32 s46, s48
	v_mul_f64 v[54:55], v[14:15], s[46:47]
	v_rndne_f64_e32 v[54:55], v[54:55]
	v_fma_f64 v[56:57], v[54:55], s[50:51], -v[14:15]
	v_fmac_f64_e32 v[56:57], s[52:53], v[54:55]
	v_pk_mov_b32 v[60:61], v[24:25], v[24:25] op_sel:[0,1]
	v_fmac_f64_e32 v[60:61], s[54:55], v[56:57]
	v_pk_mov_b32 v[62:63], v[26:27], v[26:27] op_sel:[0,1]
	;; [unrolled: 2-line block ×9, first 2 shown]
	v_fmac_f64_e32 v[60:61], v[56:57], v[62:63]
	v_fma_f64 v[60:61], v[56:57], v[60:61], 1.0
	v_fma_f64 v[56:57], v[56:57], v[60:61], 1.0
	v_cvt_i32_f64_e32 v19, v[54:55]
	v_ldexp_f64 v[54:55], v[56:57], v19
	v_cmp_ngt_f64_e32 vcc, s[60:61], v[14:15]
	v_cmp_nlt_f64_e64 s[0:1], s[62:63], v[14:15]
	v_cndmask_b32_e32 v19, v58, v55, vcc
	s_and_b64 vcc, s[0:1], vcc
	v_cndmask_b32_e32 v14, 0, v54, vcc
	v_mul_f64 v[54:55], v[44:45], v[44:45]
	v_pk_mov_b32 v[64:65], s[64:65], s[64:65] op_sel:[0,1]
	v_mul_f64 v[56:57], v[54:55], 0.5
	v_fma_f64 v[66:67], s[66:67], v[54:55], v[64:65]
	v_add_f64 v[60:61], -v[56:57], 1.0
	v_fma_f64 v[66:67], v[54:55], v[66:67], s[68:69]
	v_add_f64 v[62:63], -v[60:61], 1.0
	v_fma_f64 v[66:67], v[54:55], v[66:67], s[70:71]
	v_add_f64 v[56:57], v[62:63], -v[56:57]
	v_fma_f64 v[66:67], v[54:55], v[66:67], s[72:73]
	v_mul_f64 v[62:63], v[54:55], v[54:55]
	v_fma_f64 v[66:67], v[54:55], v[66:67], s[58:59]
	v_fma_f64 v[56:57], v[44:45], -v[46:47], v[56:57]
	v_fmac_f64_e32 v[56:57], v[62:63], v[66:67]
	v_add_f64 v[56:57], v[60:61], v[56:57]
	v_pk_mov_b32 v[60:61], s[74:75], s[74:75] op_sel:[0,1]
	v_fma_f64 v[62:63], s[76:77], v[54:55], v[60:61]
	v_fma_f64 v[62:63], v[54:55], v[62:63], s[78:79]
	;; [unrolled: 1-line block ×4, first 2 shown]
	v_mul_f64 v[66:67], v[44:45], -v[54:55]
	v_mul_f64 v[68:69], v[46:47], 0.5
	v_fmac_f64_e32 v[68:69], v[66:67], v[62:63]
	v_fma_f64 v[46:47], v[54:55], v[68:69], -v[46:47]
	s_mov_b32 s82, s58
	v_fmac_f64_e32 v[46:47], s[82:83], v[66:67]
	v_add_f64 v[44:45], v[44:45], -v[46:47]
	v_cndmask_b32_e64 v15, 0, v19, s[0:1]
	v_xor_b32_e32 v19, 0x80000000, v45
	v_and_b32_e32 v45, 1, v42
	v_cmp_eq_u32_e32 vcc, 0, v45
	v_lshlrev_b32_e32 v42, 30, v42
	v_cndmask_b32_e32 v19, v19, v57, vcc
	v_and_b32_e32 v42, 0x80000000, v42
	v_cndmask_b32_e32 v44, v44, v56, vcc
	v_xor_b32_e32 v19, v19, v42
	v_cmp_class_f64_e64 vcc, v[16:17], s90
	v_cndmask_b32_e32 v16, 0, v44, vcc
	v_cndmask_b32_e32 v17, v59, v19, vcc
	v_mul_f64 v[44:45], v[14:15], v[16:17]
	v_mul_f64 v[16:17], v[48:49], v[48:49]
	v_mul_f64 v[46:47], v[16:17], 0.5
	v_fmac_f64_e32 v[64:65], s[66:67], v[16:17]
	v_add_f64 v[54:55], -v[46:47], 1.0
	v_fma_f64 v[62:63], v[16:17], v[64:65], s[68:69]
	v_add_f64 v[56:57], -v[54:55], 1.0
	v_fma_f64 v[62:63], v[16:17], v[62:63], s[70:71]
	v_add_f64 v[46:47], v[56:57], -v[46:47]
	v_fma_f64 v[62:63], v[16:17], v[62:63], s[72:73]
	v_mul_f64 v[56:57], v[16:17], v[16:17]
	v_fma_f64 v[62:63], v[16:17], v[62:63], s[58:59]
	v_fma_f64 v[46:47], v[48:49], -v[50:51], v[46:47]
	v_fmac_f64_e32 v[46:47], v[56:57], v[62:63]
	v_fmac_f64_e32 v[60:61], s[76:77], v[16:17]
	v_add_f64 v[46:47], v[54:55], v[46:47]
	v_fma_f64 v[54:55], v[16:17], v[60:61], s[78:79]
	v_fma_f64 v[54:55], v[16:17], v[54:55], s[80:81]
	v_fma_f64 v[54:55], v[16:17], v[54:55], s[56:57]
	v_mul_f64 v[56:57], v[48:49], -v[16:17]
	v_mul_f64 v[60:61], v[50:51], 0.5
	v_fmac_f64_e32 v[60:61], v[56:57], v[54:55]
	v_fma_f64 v[16:17], v[16:17], v[60:61], -v[50:51]
	v_and_b32_e32 v19, 1, v52
	v_fmac_f64_e32 v[16:17], s[82:83], v[56:57]
	v_cmp_eq_u32_e64 s[0:1], 0, v19
	v_lshlrev_b32_e32 v19, 30, v52
	v_add_f64 v[16:17], v[48:49], -v[16:17]
	v_xor_b32_e32 v19, v19, v43
	v_cndmask_b32_e64 v17, v47, v17, s[0:1]
	v_and_b32_e32 v19, 0x80000000, v19
	v_cndmask_b32_e64 v16, v46, v16, s[0:1]
	v_xor_b32_e32 v17, v17, v19
	v_cndmask_b32_e32 v16, 0, v16, vcc
	v_cndmask_b32_e32 v17, v59, v17, vcc
	v_mul_f64 v[42:43], v[14:15], v[16:17]
                                        ; implicit-def: $vgpr16_vgpr17
.LBB248_69:                             ;   in Loop: Header=BB248_4 Depth=1
	s_andn2_saveexec_b64 s[86:87], s[2:3]
	s_cbranch_execz .LBB248_79
; %bb.70:                               ;   in Loop: Header=BB248_4 Depth=1
	v_cmp_nlt_f64_e64 s[2:3], |v[16:17]|, s[24:25]
                                        ; implicit-def: $vgpr42
                                        ; implicit-def: $vgpr44_vgpr45
                                        ; implicit-def: $vgpr46_vgpr47
	s_and_saveexec_b64 s[0:1], s[2:3]
	s_xor_b64 s[88:89], exec, s[0:1]
	s_cbranch_execz .LBB248_72
; %bb.71:                               ;   in Loop: Header=BB248_4 Depth=1
	v_and_b32_e32 v19, 0x7fffffff, v17
	v_ldexp_f64 v[48:49], |v[16:17]|, s9
	v_cmp_ge_f64_e64 vcc, |v[16:17]|, s[26:27]
	v_trig_preop_f64 v[44:45], |v[16:17]|, 0
	v_cndmask_b32_e32 v49, v19, v49, vcc
	v_cndmask_b32_e32 v48, v16, v48, vcc
	v_trig_preop_f64 v[46:47], |v[16:17]|, 1
	v_mul_f64 v[52:53], v[44:45], v[48:49]
	v_mul_f64 v[50:51], v[46:47], v[48:49]
	v_fma_f64 v[44:45], v[44:45], v[48:49], -v[52:53]
	v_add_f64 v[54:55], v[50:51], v[44:45]
	v_add_f64 v[56:57], v[52:53], v[54:55]
	v_ldexp_f64 v[60:61], v[56:57], -2
	v_fract_f64_e32 v[62:63], v[60:61]
	v_cmp_neq_f64_e64 vcc, |v[60:61]|, s[28:29]
	v_cndmask_b32_e32 v61, 0, v63, vcc
	v_cndmask_b32_e32 v60, 0, v62, vcc
	v_add_f64 v[62:63], v[54:55], -v[50:51]
	v_add_f64 v[44:45], v[44:45], -v[62:63]
	;; [unrolled: 1-line block ×4, first 2 shown]
	v_fma_f64 v[46:47], v[46:47], v[48:49], -v[50:51]
	v_trig_preop_f64 v[50:51], |v[16:17]|, 2
	v_add_f64 v[44:45], v[44:45], v[62:63]
	v_mul_f64 v[62:63], v[50:51], v[48:49]
	v_add_f64 v[64:65], v[62:63], v[46:47]
	v_add_f64 v[66:67], v[64:65], v[44:45]
	v_add_f64 v[52:53], v[56:57], -v[52:53]
	v_add_f64 v[56:57], v[66:67], -v[64:65]
	;; [unrolled: 1-line block ×5, first 2 shown]
	v_add_f64 v[44:45], v[44:45], v[56:57]
	v_add_f64 v[56:57], v[64:65], -v[62:63]
	v_add_f64 v[46:47], v[46:47], -v[56:57]
	;; [unrolled: 1-line block ×4, first 2 shown]
	v_add_f64 v[46:47], v[46:47], v[56:57]
	v_add_f64 v[52:53], v[54:55], -v[52:53]
	v_add_f64 v[44:45], v[46:47], v[44:45]
	v_fma_f64 v[46:47], v[50:51], v[48:49], -v[62:63]
	v_add_f64 v[54:55], v[52:53], v[66:67]
	v_add_f64 v[44:45], v[46:47], v[44:45]
	v_ldexp_f64 v[46:47], v[60:61], 2
	v_add_f64 v[48:49], v[54:55], v[46:47]
	v_cmp_gt_f64_e32 vcc, 0, v[48:49]
	v_cndmask_b32_e32 v19, 0, v1, vcc
	v_add_f64 v[46:47], v[46:47], v[18:19]
	v_add_f64 v[48:49], v[54:55], v[46:47]
	v_cvt_i32_f64_e32 v19, v[48:49]
	v_cvt_f64_i32_e32 v[48:49], v19
	v_add_f64 v[46:47], v[46:47], -v[48:49]
	v_add_f64 v[52:53], v[54:55], -v[52:53]
	v_add_f64 v[48:49], v[54:55], v[46:47]
	v_add_f64 v[52:53], v[66:67], -v[52:53]
	v_add_f64 v[46:47], v[48:49], -v[46:47]
	v_cmp_le_f64_e32 vcc, 0.5, v[48:49]
	v_add_f64 v[44:45], v[52:53], v[44:45]
	v_add_f64 v[46:47], v[54:55], -v[46:47]
	v_addc_co_u32_e64 v42, s[0:1], 0, v19, vcc
	v_cndmask_b32_e32 v19, 0, v23, vcc
	v_add_f64 v[44:45], v[44:45], v[46:47]
	v_add_f64 v[46:47], v[48:49], -v[18:19]
	v_add_f64 v[48:49], v[46:47], v[44:45]
	v_add_f64 v[46:47], v[48:49], -v[46:47]
	s_mov_b32 s30, s34
	v_add_f64 v[44:45], v[44:45], -v[46:47]
	v_mul_f64 v[46:47], v[48:49], s[30:31]
	v_fma_f64 v[50:51], v[48:49], s[30:31], -v[46:47]
	s_mov_b32 s39, s37
	v_fmac_f64_e32 v[50:51], s[38:39], v[48:49]
	v_fmac_f64_e32 v[50:51], s[30:31], v[44:45]
	v_add_f64 v[44:45], v[46:47], v[50:51]
	v_add_f64 v[46:47], v[44:45], -v[46:47]
	v_add_f64 v[46:47], v[50:51], -v[46:47]
	s_andn2_saveexec_b64 s[0:1], s[88:89]
	s_cbranch_execz .LBB248_74
	s_branch .LBB248_73
.LBB248_72:                             ;   in Loop: Header=BB248_4 Depth=1
	s_andn2_saveexec_b64 s[0:1], s[88:89]
	s_cbranch_execz .LBB248_74
.LBB248_73:                             ;   in Loop: Header=BB248_4 Depth=1
	v_mul_f64 v[44:45], |v[16:17]|, s[40:41]
	v_rndne_f64_e32 v[48:49], v[44:45]
	v_fma_f64 v[44:45], v[48:49], s[34:35], |v[16:17]|
	v_mul_f64 v[50:51], v[48:49], s[42:43]
	v_add_f64 v[54:55], v[44:45], v[50:51]
	v_fma_f64 v[46:47], s[42:43], v[48:49], v[44:45]
	s_mov_b32 s36, s42
	v_add_f64 v[44:45], v[44:45], -v[54:55]
	v_fma_f64 v[52:53], s[36:37], v[48:49], v[50:51]
	v_add_f64 v[44:45], v[44:45], v[50:51]
	v_add_f64 v[50:51], v[54:55], -v[46:47]
	v_add_f64 v[44:45], v[50:51], v[44:45]
	v_add_f64 v[50:51], v[44:45], -v[52:53]
	v_fmac_f64_e32 v[50:51], s[44:45], v[48:49]
	v_add_f64 v[44:45], v[46:47], v[50:51]
	v_add_f64 v[46:47], v[44:45], -v[46:47]
	v_add_f64 v[46:47], v[50:51], -v[46:47]
	v_cvt_i32_f64_e32 v42, v[48:49]
.LBB248_74:                             ;   in Loop: Header=BB248_4 Depth=1
	s_or_b64 exec, exec, s[0:1]
                                        ; implicit-def: $vgpr52
                                        ; implicit-def: $vgpr48_vgpr49
                                        ; implicit-def: $vgpr50_vgpr51
	s_and_saveexec_b64 s[0:1], s[2:3]
	s_xor_b64 s[2:3], exec, s[0:1]
	s_cbranch_execz .LBB248_76
; %bb.75:                               ;   in Loop: Header=BB248_4 Depth=1
	v_and_b32_e32 v19, 0x7fffffff, v17
	v_ldexp_f64 v[52:53], |v[16:17]|, s9
	v_cmp_ge_f64_e64 vcc, |v[16:17]|, s[26:27]
	v_trig_preop_f64 v[48:49], |v[16:17]|, 0
	v_cndmask_b32_e32 v53, v19, v53, vcc
	v_cndmask_b32_e32 v52, v16, v52, vcc
	v_trig_preop_f64 v[50:51], |v[16:17]|, 1
	v_mul_f64 v[56:57], v[48:49], v[52:53]
	v_mul_f64 v[54:55], v[50:51], v[52:53]
	v_fma_f64 v[48:49], v[48:49], v[52:53], -v[56:57]
	v_add_f64 v[60:61], v[54:55], v[48:49]
	v_add_f64 v[62:63], v[56:57], v[60:61]
	v_ldexp_f64 v[64:65], v[62:63], -2
	v_fract_f64_e32 v[66:67], v[64:65]
	v_cmp_neq_f64_e64 vcc, |v[64:65]|, s[28:29]
	v_cndmask_b32_e32 v65, 0, v67, vcc
	v_cndmask_b32_e32 v64, 0, v66, vcc
	v_add_f64 v[66:67], v[60:61], -v[54:55]
	v_add_f64 v[48:49], v[48:49], -v[66:67]
	;; [unrolled: 1-line block ×4, first 2 shown]
	v_fma_f64 v[50:51], v[50:51], v[52:53], -v[54:55]
	v_trig_preop_f64 v[54:55], |v[16:17]|, 2
	v_add_f64 v[48:49], v[48:49], v[66:67]
	v_mul_f64 v[66:67], v[54:55], v[52:53]
	v_add_f64 v[68:69], v[66:67], v[50:51]
	v_add_f64 v[70:71], v[68:69], v[48:49]
	v_add_f64 v[56:57], v[62:63], -v[56:57]
	v_add_f64 v[62:63], v[70:71], -v[68:69]
	;; [unrolled: 1-line block ×5, first 2 shown]
	v_add_f64 v[48:49], v[48:49], v[62:63]
	v_add_f64 v[62:63], v[68:69], -v[66:67]
	v_add_f64 v[50:51], v[50:51], -v[62:63]
	;; [unrolled: 1-line block ×4, first 2 shown]
	v_add_f64 v[50:51], v[50:51], v[62:63]
	v_add_f64 v[56:57], v[60:61], -v[56:57]
	v_add_f64 v[48:49], v[50:51], v[48:49]
	v_fma_f64 v[50:51], v[54:55], v[52:53], -v[66:67]
	v_add_f64 v[60:61], v[56:57], v[70:71]
	v_add_f64 v[48:49], v[50:51], v[48:49]
	v_ldexp_f64 v[50:51], v[64:65], 2
	v_add_f64 v[52:53], v[60:61], v[50:51]
	v_cmp_gt_f64_e32 vcc, 0, v[52:53]
	v_cndmask_b32_e32 v19, 0, v1, vcc
	v_add_f64 v[50:51], v[50:51], v[18:19]
	v_add_f64 v[52:53], v[60:61], v[50:51]
	v_cvt_i32_f64_e32 v19, v[52:53]
	v_cvt_f64_i32_e32 v[52:53], v19
	v_add_f64 v[50:51], v[50:51], -v[52:53]
	v_add_f64 v[56:57], v[60:61], -v[56:57]
	v_add_f64 v[54:55], v[60:61], v[50:51]
	v_add_f64 v[56:57], v[70:71], -v[56:57]
	v_add_f64 v[50:51], v[54:55], -v[50:51]
	v_cmp_le_f64_e32 vcc, 0.5, v[54:55]
	v_add_f64 v[48:49], v[56:57], v[48:49]
	v_add_f64 v[50:51], v[60:61], -v[50:51]
	v_addc_co_u32_e64 v52, s[0:1], 0, v19, vcc
	v_cndmask_b32_e32 v19, 0, v23, vcc
	v_add_f64 v[48:49], v[48:49], v[50:51]
	v_add_f64 v[50:51], v[54:55], -v[18:19]
	v_add_f64 v[54:55], v[50:51], v[48:49]
	v_add_f64 v[50:51], v[54:55], -v[50:51]
	s_mov_b32 s30, s34
	v_add_f64 v[48:49], v[48:49], -v[50:51]
	v_mul_f64 v[50:51], v[54:55], s[30:31]
	v_fma_f64 v[56:57], v[54:55], s[30:31], -v[50:51]
	s_mov_b32 s39, s37
	v_fmac_f64_e32 v[56:57], s[38:39], v[54:55]
	v_fmac_f64_e32 v[56:57], s[30:31], v[48:49]
	v_add_f64 v[48:49], v[50:51], v[56:57]
	v_add_f64 v[50:51], v[48:49], -v[50:51]
	v_add_f64 v[50:51], v[56:57], -v[50:51]
	s_andn2_saveexec_b64 s[0:1], s[2:3]
	s_cbranch_execnz .LBB248_77
	s_branch .LBB248_78
.LBB248_76:                             ;   in Loop: Header=BB248_4 Depth=1
	s_andn2_saveexec_b64 s[0:1], s[2:3]
	s_cbranch_execz .LBB248_78
.LBB248_77:                             ;   in Loop: Header=BB248_4 Depth=1
	v_mul_f64 v[48:49], |v[16:17]|, s[40:41]
	v_rndne_f64_e32 v[52:53], v[48:49]
	v_fma_f64 v[48:49], v[52:53], s[34:35], |v[16:17]|
	v_mul_f64 v[54:55], v[52:53], s[42:43]
	v_add_f64 v[60:61], v[48:49], v[54:55]
	v_fma_f64 v[50:51], s[42:43], v[52:53], v[48:49]
	s_mov_b32 s36, s42
	v_add_f64 v[48:49], v[48:49], -v[60:61]
	v_fma_f64 v[56:57], s[36:37], v[52:53], v[54:55]
	v_add_f64 v[48:49], v[48:49], v[54:55]
	v_add_f64 v[54:55], v[60:61], -v[50:51]
	v_add_f64 v[48:49], v[54:55], v[48:49]
	v_add_f64 v[54:55], v[48:49], -v[56:57]
	v_fmac_f64_e32 v[54:55], s[44:45], v[52:53]
	v_add_f64 v[48:49], v[50:51], v[54:55]
	v_add_f64 v[50:51], v[48:49], -v[50:51]
	v_add_f64 v[50:51], v[54:55], -v[50:51]
	v_cvt_i32_f64_e32 v52, v[52:53]
.LBB248_78:                             ;   in Loop: Header=BB248_4 Depth=1
	s_or_b64 exec, exec, s[0:1]
	v_mul_f64 v[54:55], v[44:45], v[44:45]
	v_pk_mov_b32 v[64:65], s[64:65], s[64:65] op_sel:[0,1]
	v_mul_f64 v[56:57], v[54:55], 0.5
	v_fma_f64 v[66:67], s[66:67], v[54:55], v[64:65]
	v_add_f64 v[60:61], -v[56:57], 1.0
	v_fma_f64 v[66:67], v[54:55], v[66:67], s[68:69]
	v_fma_f64 v[66:67], v[54:55], v[66:67], s[70:71]
	v_add_f64 v[68:69], -v[60:61], 1.0
	v_fma_f64 v[66:67], v[54:55], v[66:67], s[72:73]
	v_add_f64 v[56:57], v[68:69], -v[56:57]
	v_mul_f64 v[62:63], v[54:55], v[54:55]
	v_fma_f64 v[66:67], v[54:55], v[66:67], s[58:59]
	v_fma_f64 v[56:57], v[44:45], -v[46:47], v[56:57]
	v_fmac_f64_e32 v[56:57], v[62:63], v[66:67]
	v_pk_mov_b32 v[62:63], s[74:75], s[74:75] op_sel:[0,1]
	v_fma_f64 v[66:67], s[76:77], v[54:55], v[62:63]
	v_fma_f64 v[66:67], v[54:55], v[66:67], s[78:79]
	;; [unrolled: 1-line block ×3, first 2 shown]
	v_add_f64 v[56:57], v[60:61], v[56:57]
	v_mul_f64 v[60:61], v[44:45], -v[54:55]
	v_fma_f64 v[66:67], v[54:55], v[66:67], s[56:57]
	v_mul_f64 v[68:69], v[46:47], 0.5
	v_fmac_f64_e32 v[68:69], v[60:61], v[66:67]
	v_fma_f64 v[46:47], v[54:55], v[68:69], -v[46:47]
	s_mov_b32 s82, s58
	v_fmac_f64_e32 v[46:47], s[82:83], v[60:61]
	v_and_b32_e32 v19, 1, v42
	v_add_f64 v[44:45], v[44:45], -v[46:47]
	s_mov_b32 s0, 0x19ba0da4
	v_xor_b32_e32 v45, 0x80000000, v45
	v_cmp_eq_u32_e32 vcc, 0, v19
	v_lshlrev_b32_e32 v42, 30, v42
	s_mov_b32 s1, 0xc0937be3
	v_cndmask_b32_e32 v19, v44, v56, vcc
	v_cndmask_b32_e32 v44, v45, v57, vcc
	v_and_b32_e32 v42, 0x80000000, v42
	v_add_f64 v[14:15], -v[14:15], s[0:1]
	v_xor_b32_e32 v42, v44, v42
	v_mul_f64 v[44:45], v[14:15], s[48:49]
	v_rndne_f64_e32 v[44:45], v[44:45]
	v_fma_f64 v[46:47], s[50:51], v[44:45], v[14:15]
	v_fmac_f64_e32 v[46:47], s[52:53], v[44:45]
	v_pk_mov_b32 v[54:55], v[24:25], v[24:25] op_sel:[0,1]
	v_fmac_f64_e32 v[54:55], s[54:55], v[46:47]
	v_pk_mov_b32 v[56:57], v[26:27], v[26:27] op_sel:[0,1]
	;; [unrolled: 2-line block ×9, first 2 shown]
	v_fmac_f64_e32 v[54:55], v[46:47], v[56:57]
	v_cmp_class_f64_e64 vcc, v[16:17], s90
	v_fma_f64 v[54:55], v[46:47], v[54:55], 1.0
	s_mov_b32 s0, 0
	v_cndmask_b32_e32 v16, 0, v19, vcc
	v_fma_f64 v[46:47], v[46:47], v[54:55], 1.0
	v_cvt_i32_f64_e32 v19, v[44:45]
	s_mov_b32 s1, 0x40900000
	s_mov_b32 s2, 0
	v_ldexp_f64 v[44:45], v[46:47], v19
	v_cmp_nlt_f64_e64 s[0:1], s[0:1], v[14:15]
	s_mov_b32 s3, 0xc090cc00
	v_cndmask_b32_e64 v19, v58, v45, s[0:1]
	v_cmp_ngt_f64_e64 s[2:3], s[2:3], v[14:15]
	v_cndmask_b32_e64 v19, 0, v19, s[2:3]
	v_and_b32_e32 v15, 0xfffff, v19
	v_lshrrev_b32_e32 v19, 20, v19
	v_cndmask_b32_e32 v17, v59, v42, vcc
	v_add_u32_e32 v42, 0xffffff09, v19
	v_lshrrev_b16_e32 v19, 15, v42
	v_add_u16_e32 v19, v42, v19
	s_and_b64 s[0:1], s[2:3], s[0:1]
	v_ashrrev_i16_e32 v19, 1, v19
	v_cndmask_b32_e64 v14, 0, v44, s[0:1]
	v_or_b32_e32 v15, 0x7fe00000, v15
	v_bfe_i32 v44, v19, 0, 16
	v_mul_f64 v[16:17], v[14:15], v[16:17]
	v_lshl_add_u32 v19, v44, 20, v23
	v_sub_u32_e32 v42, v42, v44
	v_mul_f64 v[16:17], v[16:17], v[18:19]
	v_lshl_add_u32 v47, v42, 20, v23
	v_mov_b32_e32 v46, v18
	v_mul_f64 v[44:45], v[16:17], v[46:47]
	v_mul_f64 v[16:17], v[48:49], v[48:49]
	v_mul_f64 v[54:55], v[16:17], 0.5
	v_fmac_f64_e32 v[64:65], s[66:67], v[16:17]
	v_add_f64 v[56:57], -v[54:55], 1.0
	v_fma_f64 v[64:65], v[16:17], v[64:65], s[68:69]
	v_add_f64 v[60:61], -v[56:57], 1.0
	v_fma_f64 v[64:65], v[16:17], v[64:65], s[70:71]
	v_add_f64 v[54:55], v[60:61], -v[54:55]
	v_fma_f64 v[64:65], v[16:17], v[64:65], s[72:73]
	v_mul_f64 v[60:61], v[16:17], v[16:17]
	v_fma_f64 v[64:65], v[16:17], v[64:65], s[58:59]
	v_fma_f64 v[54:55], v[48:49], -v[50:51], v[54:55]
	v_fmac_f64_e32 v[54:55], v[60:61], v[64:65]
	v_fmac_f64_e32 v[62:63], s[76:77], v[16:17]
	v_add_f64 v[54:55], v[56:57], v[54:55]
	v_fma_f64 v[56:57], v[16:17], v[62:63], s[78:79]
	v_fma_f64 v[56:57], v[16:17], v[56:57], s[80:81]
	;; [unrolled: 1-line block ×3, first 2 shown]
	v_mul_f64 v[60:61], v[48:49], -v[16:17]
	v_mul_f64 v[62:63], v[50:51], 0.5
	v_fmac_f64_e32 v[62:63], v[60:61], v[56:57]
	v_fma_f64 v[16:17], v[16:17], v[62:63], -v[50:51]
	v_and_b32_e32 v42, 1, v52
	v_fmac_f64_e32 v[16:17], s[82:83], v[60:61]
	v_cmp_eq_u32_e64 s[0:1], 0, v42
	v_lshlrev_b32_e32 v42, 30, v52
	v_add_f64 v[16:17], v[48:49], -v[16:17]
	v_xor_b32_e32 v42, v42, v43
	v_cndmask_b32_e64 v17, v55, v17, s[0:1]
	v_and_b32_e32 v42, 0x80000000, v42
	v_cndmask_b32_e64 v16, v54, v16, s[0:1]
	v_xor_b32_e32 v17, v17, v42
	v_cndmask_b32_e32 v16, 0, v16, vcc
	v_cndmask_b32_e32 v17, v59, v17, vcc
	v_mul_f64 v[14:15], v[14:15], v[16:17]
	v_mul_f64 v[14:15], v[14:15], v[18:19]
	;; [unrolled: 1-line block ×3, first 2 shown]
.LBB248_79:                             ;   in Loop: Header=BB248_4 Depth=1
	s_or_b64 exec, exec, s[86:87]
                                        ; implicit-def: $vgpr46_vgpr47
                                        ; implicit-def: $vgpr14_vgpr15
                                        ; implicit-def: $vgpr19
.LBB248_80:                             ;   in Loop: Header=BB248_4 Depth=1
	s_andn2_saveexec_b64 s[2:3], s[84:85]
	s_cbranch_execz .LBB248_86
; %bb.81:                               ;   in Loop: Header=BB248_4 Depth=1
	v_cmp_ne_u32_e32 vcc, 0, v46
	v_cmp_ne_u32_e64 s[0:1], s8, v19
	s_or_b64 s[0:1], vcc, s[0:1]
	v_add_f64 v[42:43], v[16:17], -v[16:17]
	s_and_saveexec_b64 s[84:85], s[0:1]
	s_xor_b64 s[0:1], exec, s[84:85]
; %bb.82:                               ;   in Loop: Header=BB248_4 Depth=1
                                        ; implicit-def: $vgpr46_vgpr47
                                        ; implicit-def: $vgpr14_vgpr15
; %bb.83:                               ;   in Loop: Header=BB248_4 Depth=1
	s_or_saveexec_b64 s[0:1], s[0:1]
	v_pk_mov_b32 v[44:45], v[42:43], v[42:43] op_sel:[0,1]
	s_xor_b64 exec, exec, s[0:1]
; %bb.84:                               ;   in Loop: Header=BB248_4 Depth=1
	v_cmp_lt_i64_e32 vcc, -1, v[46:47]
	v_cndmask_b32_e32 v45, 0, v47, vcc
	v_cndmask_b32_e32 v44, 0, v14, vcc
	;; [unrolled: 1-line block ×4, first 2 shown]
; %bb.85:                               ;   in Loop: Header=BB248_4 Depth=1
	s_or_b64 exec, exec, s[0:1]
.LBB248_86:                             ;   in Loop: Header=BB248_4 Depth=1
	s_or_b64 exec, exec, s[2:3]
                                        ; implicit-def: $vgpr16_vgpr17
.LBB248_87:                             ;   in Loop: Header=BB248_4 Depth=1
	s_andn2_saveexec_b64 s[2:3], s[94:95]
	s_cbranch_execz .LBB248_97
; %bb.88:                               ;   in Loop: Header=BB248_4 Depth=1
	v_cmp_nlt_f64_e64 s[84:85], |v[16:17]|, s[24:25]
	v_trig_preop_f64 v[50:51], |v[16:17]|, 0
	v_trig_preop_f64 v[48:49], |v[16:17]|, 1
	v_ldexp_f64 v[52:53], |v[16:17]|, s9
	v_trig_preop_f64 v[46:47], |v[16:17]|, 2
	v_and_b32_e32 v60, 0x7fffffff, v17
                                        ; implicit-def: $vgpr42
                                        ; implicit-def: $vgpr14_vgpr15
                                        ; implicit-def: $vgpr44_vgpr45
	s_and_saveexec_b64 s[0:1], s[84:85]
	s_xor_b64 s[86:87], exec, s[0:1]
	s_cbranch_execz .LBB248_90
; %bb.89:                               ;   in Loop: Header=BB248_4 Depth=1
	v_cmp_ge_f64_e64 vcc, |v[16:17]|, s[26:27]
	v_cndmask_b32_e32 v15, v60, v53, vcc
	v_cndmask_b32_e32 v14, v16, v52, vcc
	v_mul_f64 v[54:55], v[50:51], v[14:15]
	v_mul_f64 v[44:45], v[48:49], v[14:15]
	v_fma_f64 v[56:57], v[50:51], v[14:15], -v[54:55]
	v_add_f64 v[62:63], v[44:45], v[56:57]
	v_add_f64 v[64:65], v[54:55], v[62:63]
	v_ldexp_f64 v[66:67], v[64:65], -2
	v_fract_f64_e32 v[68:69], v[66:67]
	v_cmp_neq_f64_e64 vcc, |v[66:67]|, s[28:29]
	v_cndmask_b32_e32 v67, 0, v69, vcc
	v_cndmask_b32_e32 v66, 0, v68, vcc
	v_add_f64 v[68:69], v[62:63], -v[44:45]
	v_add_f64 v[56:57], v[56:57], -v[68:69]
	;; [unrolled: 1-line block ×4, first 2 shown]
	v_add_f64 v[56:57], v[56:57], v[68:69]
	v_fma_f64 v[44:45], v[48:49], v[14:15], -v[44:45]
	v_mul_f64 v[68:69], v[46:47], v[14:15]
	v_add_f64 v[70:71], v[68:69], v[44:45]
	v_add_f64 v[72:73], v[70:71], v[56:57]
	v_add_f64 v[54:55], v[64:65], -v[54:55]
	v_add_f64 v[64:65], v[72:73], -v[70:71]
	;; [unrolled: 1-line block ×5, first 2 shown]
	v_add_f64 v[56:57], v[56:57], v[64:65]
	v_add_f64 v[64:65], v[70:71], -v[68:69]
	v_add_f64 v[44:45], v[44:45], -v[64:65]
	;; [unrolled: 1-line block ×5, first 2 shown]
	v_add_f64 v[62:63], v[54:55], v[72:73]
	v_add_f64 v[44:45], v[44:45], v[64:65]
	v_add_f64 v[54:55], v[62:63], -v[54:55]
	v_add_f64 v[44:45], v[44:45], v[56:57]
	v_fma_f64 v[14:15], v[46:47], v[14:15], -v[68:69]
	v_add_f64 v[54:55], v[72:73], -v[54:55]
	v_add_f64 v[14:15], v[14:15], v[44:45]
	v_ldexp_f64 v[44:45], v[66:67], 2
	v_add_f64 v[14:15], v[54:55], v[14:15]
	v_add_f64 v[54:55], v[62:63], v[44:45]
	v_cmp_gt_f64_e32 vcc, 0, v[54:55]
	v_cndmask_b32_e32 v19, 0, v1, vcc
	v_add_f64 v[44:45], v[44:45], v[18:19]
	v_add_f64 v[54:55], v[62:63], v[44:45]
	v_cvt_i32_f64_e32 v19, v[54:55]
	v_cvt_f64_i32_e32 v[54:55], v19
	v_add_f64 v[44:45], v[44:45], -v[54:55]
	v_add_f64 v[54:55], v[62:63], v[44:45]
	v_add_f64 v[44:45], v[54:55], -v[44:45]
	v_cmp_le_f64_e32 vcc, 0.5, v[54:55]
	v_add_f64 v[44:45], v[62:63], -v[44:45]
	v_addc_co_u32_e64 v42, s[0:1], 0, v19, vcc
	v_cndmask_b32_e32 v19, 0, v23, vcc
	v_add_f64 v[14:15], v[14:15], v[44:45]
	v_add_f64 v[44:45], v[54:55], -v[18:19]
	v_add_f64 v[54:55], v[44:45], v[14:15]
	v_add_f64 v[44:45], v[54:55], -v[44:45]
	s_mov_b32 s30, s34
	v_add_f64 v[14:15], v[14:15], -v[44:45]
	v_mul_f64 v[44:45], v[54:55], s[30:31]
	v_fma_f64 v[56:57], v[54:55], s[30:31], -v[44:45]
	s_mov_b32 s39, s37
	v_fmac_f64_e32 v[56:57], s[38:39], v[54:55]
	v_fmac_f64_e32 v[56:57], s[30:31], v[14:15]
	v_add_f64 v[14:15], v[44:45], v[56:57]
	v_add_f64 v[44:45], v[14:15], -v[44:45]
	v_add_f64 v[44:45], v[56:57], -v[44:45]
	s_andn2_saveexec_b64 s[0:1], s[86:87]
	s_cbranch_execz .LBB248_92
	s_branch .LBB248_91
.LBB248_90:                             ;   in Loop: Header=BB248_4 Depth=1
	s_andn2_saveexec_b64 s[0:1], s[86:87]
	s_cbranch_execz .LBB248_92
.LBB248_91:                             ;   in Loop: Header=BB248_4 Depth=1
	v_mul_f64 v[14:15], |v[16:17]|, s[40:41]
	v_rndne_f64_e32 v[54:55], v[14:15]
	v_fma_f64 v[14:15], v[54:55], s[34:35], |v[16:17]|
	v_mul_f64 v[56:57], v[54:55], s[42:43]
	v_add_f64 v[64:65], v[14:15], v[56:57]
	v_fma_f64 v[44:45], s[42:43], v[54:55], v[14:15]
	s_mov_b32 s36, s42
	v_add_f64 v[14:15], v[14:15], -v[64:65]
	v_fma_f64 v[62:63], s[36:37], v[54:55], v[56:57]
	v_add_f64 v[14:15], v[14:15], v[56:57]
	v_add_f64 v[56:57], v[64:65], -v[44:45]
	v_add_f64 v[14:15], v[56:57], v[14:15]
	v_add_f64 v[56:57], v[14:15], -v[62:63]
	v_fmac_f64_e32 v[56:57], s[44:45], v[54:55]
	v_add_f64 v[14:15], v[44:45], v[56:57]
	v_add_f64 v[44:45], v[14:15], -v[44:45]
	v_add_f64 v[44:45], v[56:57], -v[44:45]
	v_cvt_i32_f64_e32 v42, v[54:55]
.LBB248_92:                             ;   in Loop: Header=BB248_4 Depth=1
	s_or_b64 exec, exec, s[0:1]
                                        ; implicit-def: $vgpr61
                                        ; implicit-def: $vgpr54_vgpr55
                                        ; implicit-def: $vgpr56_vgpr57
	s_and_saveexec_b64 s[0:1], s[84:85]
	s_xor_b64 s[84:85], exec, s[0:1]
	s_cbranch_execz .LBB248_94
; %bb.93:                               ;   in Loop: Header=BB248_4 Depth=1
	v_cmp_ge_f64_e64 vcc, |v[16:17]|, s[26:27]
	v_cndmask_b32_e32 v53, v60, v53, vcc
	v_cndmask_b32_e32 v52, v16, v52, vcc
	v_mul_f64 v[56:57], v[50:51], v[52:53]
	v_mul_f64 v[54:55], v[48:49], v[52:53]
	v_fma_f64 v[50:51], v[50:51], v[52:53], -v[56:57]
	v_add_f64 v[60:61], v[54:55], v[50:51]
	v_add_f64 v[62:63], v[56:57], v[60:61]
	v_ldexp_f64 v[64:65], v[62:63], -2
	v_fract_f64_e32 v[66:67], v[64:65]
	v_cmp_neq_f64_e64 vcc, |v[64:65]|, s[28:29]
	v_cndmask_b32_e32 v65, 0, v67, vcc
	v_cndmask_b32_e32 v64, 0, v66, vcc
	v_add_f64 v[66:67], v[60:61], -v[54:55]
	v_add_f64 v[50:51], v[50:51], -v[66:67]
	;; [unrolled: 1-line block ×4, first 2 shown]
	v_fma_f64 v[48:49], v[48:49], v[52:53], -v[54:55]
	v_mul_f64 v[54:55], v[46:47], v[52:53]
	v_add_f64 v[50:51], v[50:51], v[66:67]
	v_add_f64 v[66:67], v[54:55], v[48:49]
	;; [unrolled: 1-line block ×3, first 2 shown]
	v_add_f64 v[56:57], v[62:63], -v[56:57]
	v_add_f64 v[62:63], v[68:69], -v[66:67]
	;; [unrolled: 1-line block ×5, first 2 shown]
	v_add_f64 v[50:51], v[50:51], v[62:63]
	v_add_f64 v[62:63], v[66:67], -v[54:55]
	v_add_f64 v[48:49], v[48:49], -v[62:63]
	;; [unrolled: 1-line block ×4, first 2 shown]
	v_add_f64 v[48:49], v[48:49], v[62:63]
	v_add_f64 v[56:57], v[60:61], -v[56:57]
	v_add_f64 v[48:49], v[48:49], v[50:51]
	v_fma_f64 v[46:47], v[46:47], v[52:53], -v[54:55]
	v_add_f64 v[60:61], v[56:57], v[68:69]
	v_add_f64 v[46:47], v[46:47], v[48:49]
	v_ldexp_f64 v[48:49], v[64:65], 2
	v_add_f64 v[50:51], v[60:61], v[48:49]
	v_cmp_gt_f64_e32 vcc, 0, v[50:51]
	v_cndmask_b32_e32 v19, 0, v1, vcc
	v_add_f64 v[48:49], v[48:49], v[18:19]
	v_add_f64 v[50:51], v[60:61], v[48:49]
	v_cvt_i32_f64_e32 v19, v[50:51]
	v_cvt_f64_i32_e32 v[50:51], v19
	v_add_f64 v[48:49], v[48:49], -v[50:51]
	v_add_f64 v[56:57], v[60:61], -v[56:57]
	v_add_f64 v[50:51], v[60:61], v[48:49]
	v_add_f64 v[56:57], v[68:69], -v[56:57]
	v_add_f64 v[48:49], v[50:51], -v[48:49]
	v_cmp_le_f64_e32 vcc, 0.5, v[50:51]
	v_add_f64 v[46:47], v[56:57], v[46:47]
	v_add_f64 v[48:49], v[60:61], -v[48:49]
	v_addc_co_u32_e64 v61, s[0:1], 0, v19, vcc
	v_cndmask_b32_e32 v19, 0, v23, vcc
	v_add_f64 v[46:47], v[46:47], v[48:49]
	v_add_f64 v[48:49], v[50:51], -v[18:19]
	v_add_f64 v[50:51], v[48:49], v[46:47]
	v_add_f64 v[48:49], v[50:51], -v[48:49]
	s_mov_b32 s30, s34
	v_add_f64 v[46:47], v[46:47], -v[48:49]
	v_mul_f64 v[48:49], v[50:51], s[30:31]
	v_fma_f64 v[52:53], v[50:51], s[30:31], -v[48:49]
	s_mov_b32 s39, s37
	v_fmac_f64_e32 v[52:53], s[38:39], v[50:51]
	v_fmac_f64_e32 v[52:53], s[30:31], v[46:47]
	v_add_f64 v[54:55], v[48:49], v[52:53]
	v_add_f64 v[46:47], v[54:55], -v[48:49]
	v_add_f64 v[56:57], v[52:53], -v[46:47]
	s_andn2_saveexec_b64 s[0:1], s[84:85]
	s_cbranch_execnz .LBB248_95
	s_branch .LBB248_96
.LBB248_94:                             ;   in Loop: Header=BB248_4 Depth=1
	s_andn2_saveexec_b64 s[0:1], s[84:85]
	s_cbranch_execz .LBB248_96
.LBB248_95:                             ;   in Loop: Header=BB248_4 Depth=1
	v_mul_f64 v[46:47], |v[16:17]|, s[40:41]
	v_rndne_f64_e32 v[46:47], v[46:47]
	v_fma_f64 v[48:49], v[46:47], s[34:35], |v[16:17]|
	v_mul_f64 v[52:53], v[46:47], s[42:43]
	v_add_f64 v[56:57], v[48:49], v[52:53]
	v_fma_f64 v[50:51], s[42:43], v[46:47], v[48:49]
	s_mov_b32 s36, s42
	v_add_f64 v[48:49], v[48:49], -v[56:57]
	v_fma_f64 v[54:55], s[36:37], v[46:47], v[52:53]
	v_add_f64 v[48:49], v[48:49], v[52:53]
	v_add_f64 v[52:53], v[56:57], -v[50:51]
	v_add_f64 v[48:49], v[52:53], v[48:49]
	v_add_f64 v[48:49], v[48:49], -v[54:55]
	v_fmac_f64_e32 v[48:49], s[44:45], v[46:47]
	v_add_f64 v[54:55], v[50:51], v[48:49]
	v_add_f64 v[50:51], v[54:55], -v[50:51]
	v_add_f64 v[56:57], v[48:49], -v[50:51]
	v_cvt_i32_f64_e32 v61, v[46:47]
.LBB248_96:                             ;   in Loop: Header=BB248_4 Depth=1
	s_or_b64 exec, exec, s[0:1]
	v_mul_f64 v[46:47], v[14:15], v[14:15]
	v_pk_mov_b32 v[62:63], s[64:65], s[64:65] op_sel:[0,1]
	v_mul_f64 v[48:49], v[46:47], 0.5
	v_fma_f64 v[64:65], s[66:67], v[46:47], v[62:63]
	v_add_f64 v[50:51], -v[48:49], 1.0
	v_fma_f64 v[64:65], v[46:47], v[64:65], s[68:69]
	v_add_f64 v[52:53], -v[50:51], 1.0
	v_fma_f64 v[64:65], v[46:47], v[64:65], s[70:71]
	v_add_f64 v[48:49], v[52:53], -v[48:49]
	v_fma_f64 v[64:65], v[46:47], v[64:65], s[72:73]
	v_mul_f64 v[52:53], v[46:47], v[46:47]
	v_fma_f64 v[64:65], v[46:47], v[64:65], s[58:59]
	v_fma_f64 v[48:49], v[14:15], -v[44:45], v[48:49]
	v_fmac_f64_e32 v[48:49], v[52:53], v[64:65]
	v_add_f64 v[48:49], v[50:51], v[48:49]
	v_pk_mov_b32 v[50:51], s[74:75], s[74:75] op_sel:[0,1]
	v_fma_f64 v[52:53], s[76:77], v[46:47], v[50:51]
	v_fma_f64 v[52:53], v[46:47], v[52:53], s[78:79]
	;; [unrolled: 1-line block ×4, first 2 shown]
	v_mul_f64 v[64:65], v[14:15], -v[46:47]
	v_mul_f64 v[66:67], v[44:45], 0.5
	v_fmac_f64_e32 v[66:67], v[64:65], v[52:53]
	v_fma_f64 v[44:45], v[46:47], v[66:67], -v[44:45]
	s_mov_b32 s82, s58
	v_fmac_f64_e32 v[44:45], s[82:83], v[64:65]
	v_add_f64 v[14:15], v[14:15], -v[44:45]
	v_and_b32_e32 v19, 1, v42
	v_xor_b32_e32 v15, 0x80000000, v15
	v_cmp_eq_u32_e32 vcc, 0, v19
	v_lshlrev_b32_e32 v19, 30, v42
	v_cndmask_b32_e32 v15, v15, v49, vcc
	v_and_b32_e32 v19, 0x80000000, v19
	v_cndmask_b32_e32 v14, v14, v48, vcc
	v_xor_b32_e32 v15, v15, v19
	v_cmp_class_f64_e64 vcc, v[16:17], s90
	v_cndmask_b32_e32 v44, 0, v14, vcc
	v_cndmask_b32_e32 v45, v59, v15, vcc
	v_mul_f64 v[14:15], v[54:55], v[54:55]
	v_mul_f64 v[16:17], v[14:15], 0.5
	v_fmac_f64_e32 v[62:63], s[66:67], v[14:15]
	v_add_f64 v[46:47], -v[16:17], 1.0
	v_fma_f64 v[52:53], v[14:15], v[62:63], s[68:69]
	v_add_f64 v[48:49], -v[46:47], 1.0
	v_fma_f64 v[52:53], v[14:15], v[52:53], s[70:71]
	v_add_f64 v[16:17], v[48:49], -v[16:17]
	v_fma_f64 v[52:53], v[14:15], v[52:53], s[72:73]
	v_mul_f64 v[48:49], v[14:15], v[14:15]
	v_fma_f64 v[52:53], v[14:15], v[52:53], s[58:59]
	v_fma_f64 v[16:17], v[54:55], -v[56:57], v[16:17]
	v_fmac_f64_e32 v[16:17], v[48:49], v[52:53]
	v_fmac_f64_e32 v[50:51], s[76:77], v[14:15]
	v_add_f64 v[16:17], v[46:47], v[16:17]
	v_fma_f64 v[46:47], v[14:15], v[50:51], s[78:79]
	v_fma_f64 v[46:47], v[14:15], v[46:47], s[80:81]
	;; [unrolled: 1-line block ×3, first 2 shown]
	v_mul_f64 v[48:49], v[54:55], -v[14:15]
	v_mul_f64 v[50:51], v[56:57], 0.5
	v_fmac_f64_e32 v[50:51], v[48:49], v[46:47]
	v_fma_f64 v[14:15], v[14:15], v[50:51], -v[56:57]
	v_fmac_f64_e32 v[14:15], s[82:83], v[48:49]
	v_and_b32_e32 v19, 1, v61
	v_add_f64 v[14:15], v[54:55], -v[14:15]
	v_cmp_eq_u32_e64 s[0:1], 0, v19
	v_cndmask_b32_e64 v14, v16, v14, s[0:1]
	v_lshlrev_b32_e32 v16, 30, v61
	v_xor_b32_e32 v16, v16, v43
	v_cndmask_b32_e64 v15, v17, v15, s[0:1]
	v_and_b32_e32 v16, 0x80000000, v16
	v_xor_b32_e32 v15, v15, v16
	v_cndmask_b32_e32 v42, 0, v14, vcc
	v_cndmask_b32_e32 v43, v59, v15, vcc
.LBB248_97:                             ;   in Loop: Header=BB248_4 Depth=1
	s_or_b64 exec, exec, s[2:3]
                                        ; implicit-def: $vgpr14_vgpr15
.LBB248_98:                             ;   in Loop: Header=BB248_4 Depth=1
	s_andn2_saveexec_b64 s[2:3], s[92:93]
	s_cbranch_execz .LBB248_100
; %bb.99:                               ;   in Loop: Header=BB248_4 Depth=1
	s_mov_b32 s46, s48
	v_mul_f64 v[16:17], v[14:15], s[46:47]
	v_rndne_f64_e32 v[16:17], v[16:17]
	v_fma_f64 v[44:45], v[16:17], s[50:51], -v[14:15]
	v_fmac_f64_e32 v[44:45], s[52:53], v[16:17]
	v_pk_mov_b32 v[46:47], v[24:25], v[24:25] op_sel:[0,1]
	v_fmac_f64_e32 v[46:47], s[54:55], v[44:45]
	v_pk_mov_b32 v[48:49], v[26:27], v[26:27] op_sel:[0,1]
	;; [unrolled: 2-line block ×9, first 2 shown]
	v_fmac_f64_e32 v[46:47], v[44:45], v[48:49]
	v_fma_f64 v[46:47], v[44:45], v[46:47], 1.0
	v_fma_f64 v[44:45], v[44:45], v[46:47], 1.0
	v_cvt_i32_f64_e32 v16, v[16:17]
	v_ldexp_f64 v[16:17], v[44:45], v16
	v_cmp_ngt_f64_e32 vcc, s[60:61], v[14:15]
	v_cmp_nlt_f64_e64 s[0:1], s[62:63], v[14:15]
	v_cndmask_b32_e32 v17, v58, v17, vcc
	s_and_b64 vcc, s[0:1], vcc
	v_cndmask_b32_e64 v45, 0, v17, s[0:1]
	v_cndmask_b32_e32 v44, 0, v16, vcc
.LBB248_100:                            ;   in Loop: Header=BB248_4 Depth=1
	s_or_b64 exec, exec, s[2:3]
	v_add_f64 v[44:45], s[12:13], v[44:45]
	v_add_f64 v[42:43], s[14:15], v[42:43]
	v_xor_b32_e32 v14, 0x80000000, v45
	v_cmp_gt_f64_e32 vcc, 0, v[44:45]
	v_cndmask_b32_e32 v49, v45, v14, vcc
	v_cndmask_b32_e32 v48, v44, v44, vcc
	v_xor_b32_e32 v14, 0x80000000, v43
	v_cmp_gt_f64_e32 vcc, 0, v[42:43]
	v_cndmask_b32_e32 v47, v43, v14, vcc
	v_cndmask_b32_e32 v46, v42, v42, vcc
	v_cmp_ge_f64_e32 vcc, v[48:49], v[46:47]
                                        ; implicit-def: $vgpr16_vgpr17
	s_and_saveexec_b64 s[0:1], vcc
	s_xor_b64 s[2:3], exec, s[0:1]
	s_cbranch_execz .LBB248_106
; %bb.101:                              ;   in Loop: Header=BB248_4 Depth=1
	v_cmp_neq_f64_e32 vcc, 0, v[44:45]
	v_cmp_neq_f64_e64 s[0:1], 0, v[42:43]
	s_or_b64 s[0:1], vcc, s[0:1]
                                        ; implicit-def: $vgpr16_vgpr17
	s_and_saveexec_b64 s[84:85], s[0:1]
	s_xor_b64 s[0:1], exec, s[84:85]
	s_cbranch_execz .LBB248_103
; %bb.102:                              ;   in Loop: Header=BB248_4 Depth=1
	v_div_scale_f64 v[14:15], s[84:85], v[44:45], v[44:45], v[42:43]
	v_rcp_f64_e32 v[16:17], v[14:15]
	v_div_scale_f64 v[46:47], vcc, v[42:43], v[44:45], v[42:43]
	v_fma_f64 v[48:49], -v[14:15], v[16:17], 1.0
	v_fmac_f64_e32 v[16:17], v[16:17], v[48:49]
	v_fma_f64 v[48:49], -v[14:15], v[16:17], 1.0
	v_fmac_f64_e32 v[16:17], v[16:17], v[48:49]
	v_mul_f64 v[48:49], v[46:47], v[16:17]
	v_fma_f64 v[14:15], -v[14:15], v[48:49], v[46:47]
	v_div_fmas_f64 v[14:15], v[14:15], v[16:17], v[48:49]
	v_div_fixup_f64 v[16:17], v[14:15], v[44:45], v[42:43]
	v_fmac_f64_e32 v[44:45], v[42:43], v[16:17]
	v_div_scale_f64 v[14:15], s[84:85], v[44:45], v[44:45], 1.0
	v_rcp_f64_e32 v[42:43], v[14:15]
	v_fma_f64 v[46:47], -v[14:15], v[42:43], 1.0
	v_fmac_f64_e32 v[42:43], v[42:43], v[46:47]
	v_fma_f64 v[46:47], -v[14:15], v[42:43], 1.0
	v_fmac_f64_e32 v[42:43], v[42:43], v[46:47]
	v_div_scale_f64 v[46:47], vcc, 1.0, v[44:45], 1.0
	v_mul_f64 v[48:49], v[46:47], v[42:43]
	v_fma_f64 v[14:15], -v[14:15], v[48:49], v[46:47]
                                        ; implicit-def: $vgpr46_vgpr47
	s_nop 1
	v_div_fmas_f64 v[14:15], v[14:15], v[42:43], v[48:49]
	v_div_fixup_f64 v[42:43], v[14:15], v[44:45], 1.0
	v_pk_mov_b32 v[14:15], s[12:13], s[12:13] op_sel:[0,1]
	v_pk_mov_b32 v[44:45], s[14:15], s[14:15] op_sel:[0,1]
	v_fma_f64 v[14:15], s[14:15], v[16:17], v[14:15]
	v_fma_f64 v[16:17], -s[12:13], v[16:17], v[44:45]
	v_mul_f64 v[14:15], v[14:15], v[42:43]
	v_mul_f64 v[16:17], v[16:17], v[42:43]
                                        ; implicit-def: $vgpr48_vgpr49
.LBB248_103:                            ;   in Loop: Header=BB248_4 Depth=1
	s_andn2_saveexec_b64 s[0:1], s[0:1]
	s_cbranch_execz .LBB248_105
; %bb.104:                              ;   in Loop: Header=BB248_4 Depth=1
	v_div_scale_f64 v[14:15], s[84:85], v[48:49], v[48:49], s[12:13]
	v_rcp_f64_e32 v[16:17], v[14:15]
	v_div_scale_f64 v[42:43], vcc, s[12:13], v[48:49], s[12:13]
	v_fma_f64 v[44:45], -v[14:15], v[16:17], 1.0
	v_fmac_f64_e32 v[16:17], v[16:17], v[44:45]
	v_fma_f64 v[44:45], -v[14:15], v[16:17], 1.0
	v_fmac_f64_e32 v[16:17], v[16:17], v[44:45]
	v_mul_f64 v[44:45], v[42:43], v[16:17]
	v_fma_f64 v[14:15], -v[14:15], v[44:45], v[42:43]
	v_div_scale_f64 v[42:43], s[84:85], v[46:47], v[46:47], s[14:15]
	v_rcp_f64_e32 v[50:51], v[42:43]
	v_div_fmas_f64 v[14:15], v[14:15], v[16:17], v[44:45]
	v_div_fixup_f64 v[14:15], v[14:15], v[48:49], s[12:13]
	v_fma_f64 v[16:17], -v[42:43], v[50:51], 1.0
	v_fmac_f64_e32 v[50:51], v[50:51], v[16:17]
	v_fma_f64 v[16:17], -v[42:43], v[50:51], 1.0
	v_fmac_f64_e32 v[50:51], v[50:51], v[16:17]
	v_div_scale_f64 v[16:17], vcc, s[14:15], v[46:47], s[14:15]
	v_mul_f64 v[44:45], v[16:17], v[50:51]
	v_fma_f64 v[16:17], -v[42:43], v[44:45], v[16:17]
	s_nop 1
	v_div_fmas_f64 v[16:17], v[16:17], v[50:51], v[44:45]
	v_div_fixup_f64 v[16:17], v[16:17], v[46:47], s[14:15]
.LBB248_105:                            ;   in Loop: Header=BB248_4 Depth=1
	s_or_b64 exec, exec, s[0:1]
                                        ; implicit-def: $vgpr42_vgpr43
                                        ; implicit-def: $vgpr44_vgpr45
.LBB248_106:                            ;   in Loop: Header=BB248_4 Depth=1
	s_andn2_saveexec_b64 s[0:1], s[2:3]
	s_cbranch_execz .LBB248_108
; %bb.107:                              ;   in Loop: Header=BB248_4 Depth=1
	v_div_scale_f64 v[14:15], s[2:3], v[42:43], v[42:43], v[44:45]
	v_rcp_f64_e32 v[16:17], v[14:15]
	v_div_scale_f64 v[46:47], vcc, v[44:45], v[42:43], v[44:45]
	v_fma_f64 v[48:49], -v[14:15], v[16:17], 1.0
	v_fmac_f64_e32 v[16:17], v[16:17], v[48:49]
	v_fma_f64 v[48:49], -v[14:15], v[16:17], 1.0
	v_fmac_f64_e32 v[16:17], v[16:17], v[48:49]
	v_mul_f64 v[48:49], v[46:47], v[16:17]
	v_fma_f64 v[14:15], -v[14:15], v[48:49], v[46:47]
	v_div_fmas_f64 v[14:15], v[14:15], v[16:17], v[48:49]
	v_div_fixup_f64 v[16:17], v[14:15], v[42:43], v[44:45]
	v_fmac_f64_e32 v[42:43], v[44:45], v[16:17]
	v_div_scale_f64 v[14:15], s[2:3], v[42:43], v[42:43], 1.0
	v_rcp_f64_e32 v[44:45], v[14:15]
	v_fma_f64 v[46:47], -v[14:15], v[44:45], 1.0
	v_fmac_f64_e32 v[44:45], v[44:45], v[46:47]
	v_fma_f64 v[46:47], -v[14:15], v[44:45], 1.0
	v_fmac_f64_e32 v[44:45], v[44:45], v[46:47]
	v_div_scale_f64 v[46:47], vcc, 1.0, v[42:43], 1.0
	v_mul_f64 v[48:49], v[46:47], v[44:45]
	v_fma_f64 v[14:15], -v[14:15], v[48:49], v[46:47]
	s_nop 1
	v_div_fmas_f64 v[14:15], v[14:15], v[44:45], v[48:49]
	v_div_fixup_f64 v[42:43], v[14:15], v[42:43], 1.0
	v_pk_mov_b32 v[14:15], s[14:15], s[14:15] op_sel:[0,1]
	v_pk_mov_b32 v[44:45], s[12:13], s[12:13] op_sel:[0,1]
	v_fma_f64 v[14:15], s[12:13], v[16:17], v[14:15]
	v_fma_f64 v[16:17], s[14:15], v[16:17], -v[44:45]
	v_mul_f64 v[14:15], v[14:15], v[42:43]
	v_mul_f64 v[16:17], v[16:17], v[42:43]
.LBB248_108:                            ;   in Loop: Header=BB248_4 Depth=1
	s_or_b64 exec, exec, s[0:1]
	s_waitcnt vmcnt(0)
	v_xor_b32_e32 v43, 0x80000000, v13
	v_and_b32_e32 v48, 0x7fffffff, v43
	v_or_b32_e32 v19, v48, v12
	v_mov_b32_e32 v42, v12
	v_cmp_ne_u32_e32 vcc, 0, v19
                                        ; implicit-def: $vgpr44_vgpr45
	s_and_saveexec_b64 s[0:1], vcc
	s_xor_b64 s[92:93], exec, s[0:1]
	s_cbranch_execz .LBB248_150
; %bb.109:                              ;   in Loop: Header=BB248_4 Depth=1
	v_xor_b32_e32 v47, 0x80000000, v11
	v_mov_b32_e32 v46, v10
	v_and_b32_e32 v19, 0x7fffffff, v47
	v_or_b32_e32 v42, v19, v46
	v_cmp_ne_u32_e32 vcc, 0, v42
                                        ; implicit-def: $vgpr44_vgpr45
	s_and_saveexec_b64 s[0:1], vcc
	s_xor_b64 s[94:95], exec, s[0:1]
	s_cbranch_execz .LBB248_139
; %bb.110:                              ;   in Loop: Header=BB248_4 Depth=1
	v_cmp_gt_u32_e32 vcc, s8, v48
                                        ; implicit-def: $vgpr44_vgpr45
	s_and_saveexec_b64 s[0:1], vcc
	s_xor_b64 s[84:85], exec, s[0:1]
	s_cbranch_execz .LBB248_132
; %bb.111:                              ;   in Loop: Header=BB248_4 Depth=1
	v_add_u32_e32 v19, 0xbf79d1be, v47
	v_cmp_lt_u32_e32 vcc, s91, v19
                                        ; implicit-def: $vgpr44_vgpr45
	s_and_saveexec_b64 s[0:1], vcc
	s_xor_b64 s[2:3], exec, s[0:1]
	s_cbranch_execz .LBB248_121
; %bb.112:                              ;   in Loop: Header=BB248_4 Depth=1
	v_cmp_nlt_f64_e64 s[86:87], |v[12:13]|, s[24:25]
                                        ; implicit-def: $vgpr42
                                        ; implicit-def: $vgpr44_vgpr45
                                        ; implicit-def: $vgpr46_vgpr47
	s_and_saveexec_b64 s[0:1], s[86:87]
	s_xor_b64 s[88:89], exec, s[0:1]
	s_cbranch_execz .LBB248_114
; %bb.113:                              ;   in Loop: Header=BB248_4 Depth=1
	v_and_b32_e32 v19, 0x7fffffff, v13
	v_ldexp_f64 v[48:49], |v[12:13]|, s9
	v_cmp_ge_f64_e64 vcc, |v[12:13]|, s[26:27]
	v_trig_preop_f64 v[44:45], |v[12:13]|, 0
	v_cndmask_b32_e32 v49, v19, v49, vcc
	v_cndmask_b32_e32 v48, v12, v48, vcc
	v_trig_preop_f64 v[46:47], |v[12:13]|, 1
	v_mul_f64 v[52:53], v[44:45], v[48:49]
	v_mul_f64 v[50:51], v[46:47], v[48:49]
	v_fma_f64 v[44:45], v[44:45], v[48:49], -v[52:53]
	v_add_f64 v[54:55], v[50:51], v[44:45]
	v_add_f64 v[56:57], v[52:53], v[54:55]
	v_ldexp_f64 v[60:61], v[56:57], -2
	v_fract_f64_e32 v[62:63], v[60:61]
	v_cmp_neq_f64_e64 vcc, |v[60:61]|, s[28:29]
	v_cndmask_b32_e32 v61, 0, v63, vcc
	v_cndmask_b32_e32 v60, 0, v62, vcc
	v_add_f64 v[62:63], v[54:55], -v[50:51]
	v_add_f64 v[44:45], v[44:45], -v[62:63]
	v_add_f64 v[62:63], v[54:55], -v[62:63]
	v_add_f64 v[62:63], v[50:51], -v[62:63]
	v_fma_f64 v[46:47], v[46:47], v[48:49], -v[50:51]
	v_trig_preop_f64 v[50:51], |v[12:13]|, 2
	v_add_f64 v[44:45], v[44:45], v[62:63]
	v_mul_f64 v[62:63], v[50:51], v[48:49]
	v_add_f64 v[64:65], v[62:63], v[46:47]
	v_add_f64 v[66:67], v[64:65], v[44:45]
	v_add_f64 v[52:53], v[56:57], -v[52:53]
	v_add_f64 v[56:57], v[66:67], -v[64:65]
	;; [unrolled: 1-line block ×5, first 2 shown]
	v_add_f64 v[44:45], v[44:45], v[56:57]
	v_add_f64 v[56:57], v[64:65], -v[62:63]
	v_add_f64 v[46:47], v[46:47], -v[56:57]
	;; [unrolled: 1-line block ×4, first 2 shown]
	v_add_f64 v[46:47], v[46:47], v[56:57]
	v_add_f64 v[52:53], v[54:55], -v[52:53]
	v_add_f64 v[44:45], v[46:47], v[44:45]
	v_fma_f64 v[46:47], v[50:51], v[48:49], -v[62:63]
	v_add_f64 v[54:55], v[52:53], v[66:67]
	v_add_f64 v[44:45], v[46:47], v[44:45]
	v_ldexp_f64 v[46:47], v[60:61], 2
	v_add_f64 v[48:49], v[54:55], v[46:47]
	v_cmp_gt_f64_e32 vcc, 0, v[48:49]
	v_cndmask_b32_e32 v19, 0, v1, vcc
	v_add_f64 v[46:47], v[46:47], v[18:19]
	v_add_f64 v[48:49], v[54:55], v[46:47]
	v_cvt_i32_f64_e32 v19, v[48:49]
	v_cvt_f64_i32_e32 v[48:49], v19
	v_add_f64 v[46:47], v[46:47], -v[48:49]
	v_add_f64 v[52:53], v[54:55], -v[52:53]
	v_add_f64 v[48:49], v[54:55], v[46:47]
	v_add_f64 v[52:53], v[66:67], -v[52:53]
	v_add_f64 v[46:47], v[48:49], -v[46:47]
	v_cmp_le_f64_e32 vcc, 0.5, v[48:49]
	v_add_f64 v[44:45], v[52:53], v[44:45]
	v_add_f64 v[46:47], v[54:55], -v[46:47]
	v_addc_co_u32_e64 v42, s[0:1], 0, v19, vcc
	v_cndmask_b32_e32 v19, 0, v23, vcc
	v_add_f64 v[44:45], v[44:45], v[46:47]
	v_add_f64 v[46:47], v[48:49], -v[18:19]
	v_add_f64 v[48:49], v[46:47], v[44:45]
	v_add_f64 v[46:47], v[48:49], -v[46:47]
	s_mov_b32 s30, s34
	v_add_f64 v[44:45], v[44:45], -v[46:47]
	v_mul_f64 v[46:47], v[48:49], s[30:31]
	v_fma_f64 v[50:51], v[48:49], s[30:31], -v[46:47]
	s_mov_b32 s39, s37
	v_fmac_f64_e32 v[50:51], s[38:39], v[48:49]
	v_fmac_f64_e32 v[50:51], s[30:31], v[44:45]
	v_add_f64 v[44:45], v[46:47], v[50:51]
	v_add_f64 v[46:47], v[44:45], -v[46:47]
	v_add_f64 v[46:47], v[50:51], -v[46:47]
	s_andn2_saveexec_b64 s[0:1], s[88:89]
	s_cbranch_execz .LBB248_116
	s_branch .LBB248_115
.LBB248_114:                            ;   in Loop: Header=BB248_4 Depth=1
	s_andn2_saveexec_b64 s[0:1], s[88:89]
	s_cbranch_execz .LBB248_116
.LBB248_115:                            ;   in Loop: Header=BB248_4 Depth=1
	v_mul_f64 v[44:45], |v[12:13]|, s[40:41]
	v_rndne_f64_e32 v[48:49], v[44:45]
	v_fma_f64 v[44:45], v[48:49], s[34:35], |v[12:13]|
	v_mul_f64 v[50:51], v[48:49], s[42:43]
	v_add_f64 v[54:55], v[44:45], v[50:51]
	v_fma_f64 v[46:47], s[42:43], v[48:49], v[44:45]
	s_mov_b32 s36, s42
	v_add_f64 v[44:45], v[44:45], -v[54:55]
	v_fma_f64 v[52:53], s[36:37], v[48:49], v[50:51]
	v_add_f64 v[44:45], v[44:45], v[50:51]
	v_add_f64 v[50:51], v[54:55], -v[46:47]
	v_add_f64 v[44:45], v[50:51], v[44:45]
	v_add_f64 v[50:51], v[44:45], -v[52:53]
	v_fmac_f64_e32 v[50:51], s[44:45], v[48:49]
	v_add_f64 v[44:45], v[46:47], v[50:51]
	v_add_f64 v[46:47], v[44:45], -v[46:47]
	v_add_f64 v[46:47], v[50:51], -v[46:47]
	v_cvt_i32_f64_e32 v42, v[48:49]
.LBB248_116:                            ;   in Loop: Header=BB248_4 Depth=1
	s_or_b64 exec, exec, s[0:1]
                                        ; implicit-def: $vgpr52
                                        ; implicit-def: $vgpr48_vgpr49
                                        ; implicit-def: $vgpr50_vgpr51
	s_and_saveexec_b64 s[0:1], s[86:87]
	s_xor_b64 s[86:87], exec, s[0:1]
	s_cbranch_execz .LBB248_118
; %bb.117:                              ;   in Loop: Header=BB248_4 Depth=1
	v_and_b32_e32 v19, 0x7fffffff, v13
	v_ldexp_f64 v[52:53], |v[12:13]|, s9
	v_cmp_ge_f64_e64 vcc, |v[12:13]|, s[26:27]
	v_trig_preop_f64 v[48:49], |v[12:13]|, 0
	v_cndmask_b32_e32 v53, v19, v53, vcc
	v_cndmask_b32_e32 v52, v12, v52, vcc
	v_trig_preop_f64 v[50:51], |v[12:13]|, 1
	v_mul_f64 v[56:57], v[48:49], v[52:53]
	v_mul_f64 v[54:55], v[50:51], v[52:53]
	v_fma_f64 v[48:49], v[48:49], v[52:53], -v[56:57]
	v_add_f64 v[60:61], v[54:55], v[48:49]
	v_add_f64 v[62:63], v[56:57], v[60:61]
	v_ldexp_f64 v[64:65], v[62:63], -2
	v_fract_f64_e32 v[66:67], v[64:65]
	v_cmp_neq_f64_e64 vcc, |v[64:65]|, s[28:29]
	v_cndmask_b32_e32 v65, 0, v67, vcc
	v_cndmask_b32_e32 v64, 0, v66, vcc
	v_add_f64 v[66:67], v[60:61], -v[54:55]
	v_add_f64 v[48:49], v[48:49], -v[66:67]
	v_add_f64 v[66:67], v[60:61], -v[66:67]
	v_add_f64 v[66:67], v[54:55], -v[66:67]
	v_fma_f64 v[50:51], v[50:51], v[52:53], -v[54:55]
	v_trig_preop_f64 v[54:55], |v[12:13]|, 2
	v_add_f64 v[48:49], v[48:49], v[66:67]
	v_mul_f64 v[66:67], v[54:55], v[52:53]
	v_add_f64 v[68:69], v[66:67], v[50:51]
	v_add_f64 v[70:71], v[68:69], v[48:49]
	v_add_f64 v[56:57], v[62:63], -v[56:57]
	v_add_f64 v[62:63], v[70:71], -v[68:69]
	;; [unrolled: 1-line block ×5, first 2 shown]
	v_add_f64 v[48:49], v[48:49], v[62:63]
	v_add_f64 v[62:63], v[68:69], -v[66:67]
	v_add_f64 v[50:51], v[50:51], -v[62:63]
	;; [unrolled: 1-line block ×4, first 2 shown]
	v_add_f64 v[50:51], v[50:51], v[62:63]
	v_add_f64 v[56:57], v[60:61], -v[56:57]
	v_add_f64 v[48:49], v[50:51], v[48:49]
	v_fma_f64 v[50:51], v[54:55], v[52:53], -v[66:67]
	v_add_f64 v[60:61], v[56:57], v[70:71]
	v_add_f64 v[48:49], v[50:51], v[48:49]
	v_ldexp_f64 v[50:51], v[64:65], 2
	v_add_f64 v[52:53], v[60:61], v[50:51]
	v_cmp_gt_f64_e32 vcc, 0, v[52:53]
	v_cndmask_b32_e32 v19, 0, v1, vcc
	v_add_f64 v[50:51], v[50:51], v[18:19]
	v_add_f64 v[52:53], v[60:61], v[50:51]
	v_cvt_i32_f64_e32 v19, v[52:53]
	v_cvt_f64_i32_e32 v[52:53], v19
	v_add_f64 v[50:51], v[50:51], -v[52:53]
	v_add_f64 v[56:57], v[60:61], -v[56:57]
	v_add_f64 v[54:55], v[60:61], v[50:51]
	v_add_f64 v[56:57], v[70:71], -v[56:57]
	v_add_f64 v[50:51], v[54:55], -v[50:51]
	v_cmp_le_f64_e32 vcc, 0.5, v[54:55]
	v_add_f64 v[48:49], v[56:57], v[48:49]
	v_add_f64 v[50:51], v[60:61], -v[50:51]
	v_addc_co_u32_e64 v52, s[0:1], 0, v19, vcc
	v_cndmask_b32_e32 v19, 0, v23, vcc
	v_add_f64 v[48:49], v[48:49], v[50:51]
	v_add_f64 v[50:51], v[54:55], -v[18:19]
	v_add_f64 v[54:55], v[50:51], v[48:49]
	v_add_f64 v[50:51], v[54:55], -v[50:51]
	s_mov_b32 s30, s34
	v_add_f64 v[48:49], v[48:49], -v[50:51]
	v_mul_f64 v[50:51], v[54:55], s[30:31]
	v_fma_f64 v[56:57], v[54:55], s[30:31], -v[50:51]
	s_mov_b32 s39, s37
	v_fmac_f64_e32 v[56:57], s[38:39], v[54:55]
	v_fmac_f64_e32 v[56:57], s[30:31], v[48:49]
	v_add_f64 v[48:49], v[50:51], v[56:57]
	v_add_f64 v[50:51], v[48:49], -v[50:51]
	v_add_f64 v[50:51], v[56:57], -v[50:51]
	s_andn2_saveexec_b64 s[0:1], s[86:87]
	s_cbranch_execnz .LBB248_119
	s_branch .LBB248_120
.LBB248_118:                            ;   in Loop: Header=BB248_4 Depth=1
	s_andn2_saveexec_b64 s[0:1], s[86:87]
	s_cbranch_execz .LBB248_120
.LBB248_119:                            ;   in Loop: Header=BB248_4 Depth=1
	v_mul_f64 v[48:49], |v[12:13]|, s[40:41]
	v_rndne_f64_e32 v[52:53], v[48:49]
	v_fma_f64 v[48:49], v[52:53], s[34:35], |v[12:13]|
	v_mul_f64 v[54:55], v[52:53], s[42:43]
	v_add_f64 v[60:61], v[48:49], v[54:55]
	v_fma_f64 v[50:51], s[42:43], v[52:53], v[48:49]
	s_mov_b32 s36, s42
	v_add_f64 v[48:49], v[48:49], -v[60:61]
	v_fma_f64 v[56:57], s[36:37], v[52:53], v[54:55]
	v_add_f64 v[48:49], v[48:49], v[54:55]
	v_add_f64 v[54:55], v[60:61], -v[50:51]
	v_add_f64 v[48:49], v[54:55], v[48:49]
	v_add_f64 v[54:55], v[48:49], -v[56:57]
	v_fmac_f64_e32 v[54:55], s[44:45], v[52:53]
	v_add_f64 v[48:49], v[50:51], v[54:55]
	v_add_f64 v[50:51], v[48:49], -v[50:51]
	v_add_f64 v[50:51], v[54:55], -v[50:51]
	v_cvt_i32_f64_e32 v52, v[52:53]
.LBB248_120:                            ;   in Loop: Header=BB248_4 Depth=1
	s_or_b64 exec, exec, s[0:1]
	s_mov_b32 s46, s48
	v_mul_f64 v[54:55], v[10:11], s[46:47]
	v_rndne_f64_e32 v[54:55], v[54:55]
	v_fma_f64 v[56:57], v[54:55], s[50:51], -v[10:11]
	v_fmac_f64_e32 v[56:57], s[52:53], v[54:55]
	v_pk_mov_b32 v[60:61], v[24:25], v[24:25] op_sel:[0,1]
	v_fmac_f64_e32 v[60:61], s[54:55], v[56:57]
	v_pk_mov_b32 v[62:63], v[26:27], v[26:27] op_sel:[0,1]
	;; [unrolled: 2-line block ×9, first 2 shown]
	v_fmac_f64_e32 v[60:61], v[56:57], v[62:63]
	v_fma_f64 v[60:61], v[56:57], v[60:61], 1.0
	v_fma_f64 v[56:57], v[56:57], v[60:61], 1.0
	v_cvt_i32_f64_e32 v19, v[54:55]
	v_ldexp_f64 v[54:55], v[56:57], v19
	v_cmp_ngt_f64_e32 vcc, s[60:61], v[10:11]
	v_cmp_nlt_f64_e64 s[0:1], s[62:63], v[10:11]
	v_cndmask_b32_e32 v19, v58, v55, vcc
	s_and_b64 vcc, s[0:1], vcc
	v_cndmask_b32_e32 v10, 0, v54, vcc
	v_mul_f64 v[54:55], v[44:45], v[44:45]
	v_pk_mov_b32 v[64:65], s[64:65], s[64:65] op_sel:[0,1]
	v_mul_f64 v[56:57], v[54:55], 0.5
	v_fma_f64 v[66:67], s[66:67], v[54:55], v[64:65]
	v_add_f64 v[60:61], -v[56:57], 1.0
	v_fma_f64 v[66:67], v[54:55], v[66:67], s[68:69]
	v_add_f64 v[62:63], -v[60:61], 1.0
	v_fma_f64 v[66:67], v[54:55], v[66:67], s[70:71]
	v_add_f64 v[56:57], v[62:63], -v[56:57]
	v_fma_f64 v[66:67], v[54:55], v[66:67], s[72:73]
	v_mul_f64 v[62:63], v[54:55], v[54:55]
	v_fma_f64 v[66:67], v[54:55], v[66:67], s[58:59]
	v_fma_f64 v[56:57], v[44:45], -v[46:47], v[56:57]
	v_fmac_f64_e32 v[56:57], v[62:63], v[66:67]
	v_add_f64 v[56:57], v[60:61], v[56:57]
	v_pk_mov_b32 v[60:61], s[74:75], s[74:75] op_sel:[0,1]
	v_fma_f64 v[62:63], s[76:77], v[54:55], v[60:61]
	v_fma_f64 v[62:63], v[54:55], v[62:63], s[78:79]
	;; [unrolled: 1-line block ×4, first 2 shown]
	v_mul_f64 v[66:67], v[44:45], -v[54:55]
	v_mul_f64 v[68:69], v[46:47], 0.5
	v_fmac_f64_e32 v[68:69], v[66:67], v[62:63]
	v_fma_f64 v[46:47], v[54:55], v[68:69], -v[46:47]
	s_mov_b32 s82, s58
	v_fmac_f64_e32 v[46:47], s[82:83], v[66:67]
	v_add_f64 v[44:45], v[44:45], -v[46:47]
	v_cndmask_b32_e64 v11, 0, v19, s[0:1]
	v_xor_b32_e32 v19, 0x80000000, v45
	v_and_b32_e32 v45, 1, v42
	v_cmp_eq_u32_e32 vcc, 0, v45
	v_lshlrev_b32_e32 v42, 30, v42
	v_cndmask_b32_e32 v19, v19, v57, vcc
	v_and_b32_e32 v42, 0x80000000, v42
	v_cndmask_b32_e32 v44, v44, v56, vcc
	v_xor_b32_e32 v19, v19, v42
	v_cmp_class_f64_e64 vcc, v[12:13], s90
	v_cndmask_b32_e32 v12, 0, v44, vcc
	v_cndmask_b32_e32 v13, v59, v19, vcc
	v_mul_f64 v[44:45], v[10:11], v[12:13]
	v_mul_f64 v[12:13], v[48:49], v[48:49]
	v_mul_f64 v[46:47], v[12:13], 0.5
	v_fmac_f64_e32 v[64:65], s[66:67], v[12:13]
	v_add_f64 v[54:55], -v[46:47], 1.0
	v_fma_f64 v[62:63], v[12:13], v[64:65], s[68:69]
	v_add_f64 v[56:57], -v[54:55], 1.0
	v_fma_f64 v[62:63], v[12:13], v[62:63], s[70:71]
	v_add_f64 v[46:47], v[56:57], -v[46:47]
	v_fma_f64 v[62:63], v[12:13], v[62:63], s[72:73]
	v_mul_f64 v[56:57], v[12:13], v[12:13]
	v_fma_f64 v[62:63], v[12:13], v[62:63], s[58:59]
	v_fma_f64 v[46:47], v[48:49], -v[50:51], v[46:47]
	v_fmac_f64_e32 v[46:47], v[56:57], v[62:63]
	v_fmac_f64_e32 v[60:61], s[76:77], v[12:13]
	v_add_f64 v[46:47], v[54:55], v[46:47]
	v_fma_f64 v[54:55], v[12:13], v[60:61], s[78:79]
	v_fma_f64 v[54:55], v[12:13], v[54:55], s[80:81]
	;; [unrolled: 1-line block ×3, first 2 shown]
	v_mul_f64 v[56:57], v[48:49], -v[12:13]
	v_mul_f64 v[60:61], v[50:51], 0.5
	v_fmac_f64_e32 v[60:61], v[56:57], v[54:55]
	v_fma_f64 v[12:13], v[12:13], v[60:61], -v[50:51]
	v_and_b32_e32 v19, 1, v52
	v_fmac_f64_e32 v[12:13], s[82:83], v[56:57]
	v_cmp_eq_u32_e64 s[0:1], 0, v19
	v_lshlrev_b32_e32 v19, 30, v52
	v_add_f64 v[12:13], v[48:49], -v[12:13]
	v_xor_b32_e32 v19, v19, v43
	v_cndmask_b32_e64 v13, v47, v13, s[0:1]
	v_and_b32_e32 v19, 0x80000000, v19
	v_cndmask_b32_e64 v12, v46, v12, s[0:1]
	v_xor_b32_e32 v13, v13, v19
	v_cndmask_b32_e32 v12, 0, v12, vcc
	v_cndmask_b32_e32 v13, v59, v13, vcc
	v_mul_f64 v[42:43], v[10:11], v[12:13]
                                        ; implicit-def: $vgpr12_vgpr13
.LBB248_121:                            ;   in Loop: Header=BB248_4 Depth=1
	s_andn2_saveexec_b64 s[86:87], s[2:3]
	s_cbranch_execz .LBB248_131
; %bb.122:                              ;   in Loop: Header=BB248_4 Depth=1
	v_cmp_nlt_f64_e64 s[2:3], |v[12:13]|, s[24:25]
                                        ; implicit-def: $vgpr42
                                        ; implicit-def: $vgpr44_vgpr45
                                        ; implicit-def: $vgpr46_vgpr47
	s_and_saveexec_b64 s[0:1], s[2:3]
	s_xor_b64 s[88:89], exec, s[0:1]
	s_cbranch_execz .LBB248_124
; %bb.123:                              ;   in Loop: Header=BB248_4 Depth=1
	v_and_b32_e32 v19, 0x7fffffff, v13
	v_ldexp_f64 v[48:49], |v[12:13]|, s9
	v_cmp_ge_f64_e64 vcc, |v[12:13]|, s[26:27]
	v_trig_preop_f64 v[44:45], |v[12:13]|, 0
	v_cndmask_b32_e32 v49, v19, v49, vcc
	v_cndmask_b32_e32 v48, v12, v48, vcc
	v_trig_preop_f64 v[46:47], |v[12:13]|, 1
	v_mul_f64 v[52:53], v[44:45], v[48:49]
	v_mul_f64 v[50:51], v[46:47], v[48:49]
	v_fma_f64 v[44:45], v[44:45], v[48:49], -v[52:53]
	v_add_f64 v[54:55], v[50:51], v[44:45]
	v_add_f64 v[56:57], v[52:53], v[54:55]
	v_ldexp_f64 v[60:61], v[56:57], -2
	v_fract_f64_e32 v[62:63], v[60:61]
	v_cmp_neq_f64_e64 vcc, |v[60:61]|, s[28:29]
	v_cndmask_b32_e32 v61, 0, v63, vcc
	v_cndmask_b32_e32 v60, 0, v62, vcc
	v_add_f64 v[62:63], v[54:55], -v[50:51]
	v_add_f64 v[44:45], v[44:45], -v[62:63]
	;; [unrolled: 1-line block ×4, first 2 shown]
	v_fma_f64 v[46:47], v[46:47], v[48:49], -v[50:51]
	v_trig_preop_f64 v[50:51], |v[12:13]|, 2
	v_add_f64 v[44:45], v[44:45], v[62:63]
	v_mul_f64 v[62:63], v[50:51], v[48:49]
	v_add_f64 v[64:65], v[62:63], v[46:47]
	v_add_f64 v[66:67], v[64:65], v[44:45]
	v_add_f64 v[52:53], v[56:57], -v[52:53]
	v_add_f64 v[56:57], v[66:67], -v[64:65]
	;; [unrolled: 1-line block ×5, first 2 shown]
	v_add_f64 v[44:45], v[44:45], v[56:57]
	v_add_f64 v[56:57], v[64:65], -v[62:63]
	v_add_f64 v[46:47], v[46:47], -v[56:57]
	;; [unrolled: 1-line block ×4, first 2 shown]
	v_add_f64 v[46:47], v[46:47], v[56:57]
	v_add_f64 v[52:53], v[54:55], -v[52:53]
	v_add_f64 v[44:45], v[46:47], v[44:45]
	v_fma_f64 v[46:47], v[50:51], v[48:49], -v[62:63]
	v_add_f64 v[54:55], v[52:53], v[66:67]
	v_add_f64 v[44:45], v[46:47], v[44:45]
	v_ldexp_f64 v[46:47], v[60:61], 2
	v_add_f64 v[48:49], v[54:55], v[46:47]
	v_cmp_gt_f64_e32 vcc, 0, v[48:49]
	v_cndmask_b32_e32 v19, 0, v1, vcc
	v_add_f64 v[46:47], v[46:47], v[18:19]
	v_add_f64 v[48:49], v[54:55], v[46:47]
	v_cvt_i32_f64_e32 v19, v[48:49]
	v_cvt_f64_i32_e32 v[48:49], v19
	v_add_f64 v[46:47], v[46:47], -v[48:49]
	v_add_f64 v[52:53], v[54:55], -v[52:53]
	v_add_f64 v[48:49], v[54:55], v[46:47]
	v_add_f64 v[52:53], v[66:67], -v[52:53]
	v_add_f64 v[46:47], v[48:49], -v[46:47]
	v_cmp_le_f64_e32 vcc, 0.5, v[48:49]
	v_add_f64 v[44:45], v[52:53], v[44:45]
	v_add_f64 v[46:47], v[54:55], -v[46:47]
	v_addc_co_u32_e64 v42, s[0:1], 0, v19, vcc
	v_cndmask_b32_e32 v19, 0, v23, vcc
	v_add_f64 v[44:45], v[44:45], v[46:47]
	v_add_f64 v[46:47], v[48:49], -v[18:19]
	v_add_f64 v[48:49], v[46:47], v[44:45]
	v_add_f64 v[46:47], v[48:49], -v[46:47]
	s_mov_b32 s30, s34
	v_add_f64 v[44:45], v[44:45], -v[46:47]
	v_mul_f64 v[46:47], v[48:49], s[30:31]
	v_fma_f64 v[50:51], v[48:49], s[30:31], -v[46:47]
	s_mov_b32 s39, s37
	v_fmac_f64_e32 v[50:51], s[38:39], v[48:49]
	v_fmac_f64_e32 v[50:51], s[30:31], v[44:45]
	v_add_f64 v[44:45], v[46:47], v[50:51]
	v_add_f64 v[46:47], v[44:45], -v[46:47]
	v_add_f64 v[46:47], v[50:51], -v[46:47]
	s_andn2_saveexec_b64 s[0:1], s[88:89]
	s_cbranch_execz .LBB248_126
	s_branch .LBB248_125
.LBB248_124:                            ;   in Loop: Header=BB248_4 Depth=1
	s_andn2_saveexec_b64 s[0:1], s[88:89]
	s_cbranch_execz .LBB248_126
.LBB248_125:                            ;   in Loop: Header=BB248_4 Depth=1
	v_mul_f64 v[44:45], |v[12:13]|, s[40:41]
	v_rndne_f64_e32 v[48:49], v[44:45]
	v_fma_f64 v[44:45], v[48:49], s[34:35], |v[12:13]|
	v_mul_f64 v[50:51], v[48:49], s[42:43]
	v_add_f64 v[54:55], v[44:45], v[50:51]
	v_fma_f64 v[46:47], s[42:43], v[48:49], v[44:45]
	s_mov_b32 s36, s42
	v_add_f64 v[44:45], v[44:45], -v[54:55]
	v_fma_f64 v[52:53], s[36:37], v[48:49], v[50:51]
	v_add_f64 v[44:45], v[44:45], v[50:51]
	v_add_f64 v[50:51], v[54:55], -v[46:47]
	v_add_f64 v[44:45], v[50:51], v[44:45]
	v_add_f64 v[50:51], v[44:45], -v[52:53]
	v_fmac_f64_e32 v[50:51], s[44:45], v[48:49]
	v_add_f64 v[44:45], v[46:47], v[50:51]
	v_add_f64 v[46:47], v[44:45], -v[46:47]
	v_add_f64 v[46:47], v[50:51], -v[46:47]
	v_cvt_i32_f64_e32 v42, v[48:49]
.LBB248_126:                            ;   in Loop: Header=BB248_4 Depth=1
	s_or_b64 exec, exec, s[0:1]
                                        ; implicit-def: $vgpr52
                                        ; implicit-def: $vgpr48_vgpr49
                                        ; implicit-def: $vgpr50_vgpr51
	s_and_saveexec_b64 s[0:1], s[2:3]
	s_xor_b64 s[2:3], exec, s[0:1]
	s_cbranch_execz .LBB248_128
; %bb.127:                              ;   in Loop: Header=BB248_4 Depth=1
	v_and_b32_e32 v19, 0x7fffffff, v13
	v_ldexp_f64 v[52:53], |v[12:13]|, s9
	v_cmp_ge_f64_e64 vcc, |v[12:13]|, s[26:27]
	v_trig_preop_f64 v[48:49], |v[12:13]|, 0
	v_cndmask_b32_e32 v53, v19, v53, vcc
	v_cndmask_b32_e32 v52, v12, v52, vcc
	v_trig_preop_f64 v[50:51], |v[12:13]|, 1
	v_mul_f64 v[56:57], v[48:49], v[52:53]
	v_mul_f64 v[54:55], v[50:51], v[52:53]
	v_fma_f64 v[48:49], v[48:49], v[52:53], -v[56:57]
	v_add_f64 v[60:61], v[54:55], v[48:49]
	v_add_f64 v[62:63], v[56:57], v[60:61]
	v_ldexp_f64 v[64:65], v[62:63], -2
	v_fract_f64_e32 v[66:67], v[64:65]
	v_cmp_neq_f64_e64 vcc, |v[64:65]|, s[28:29]
	v_cndmask_b32_e32 v65, 0, v67, vcc
	v_cndmask_b32_e32 v64, 0, v66, vcc
	v_add_f64 v[66:67], v[60:61], -v[54:55]
	v_add_f64 v[48:49], v[48:49], -v[66:67]
	;; [unrolled: 1-line block ×4, first 2 shown]
	v_fma_f64 v[50:51], v[50:51], v[52:53], -v[54:55]
	v_trig_preop_f64 v[54:55], |v[12:13]|, 2
	v_add_f64 v[48:49], v[48:49], v[66:67]
	v_mul_f64 v[66:67], v[54:55], v[52:53]
	v_add_f64 v[68:69], v[66:67], v[50:51]
	v_add_f64 v[70:71], v[68:69], v[48:49]
	v_add_f64 v[56:57], v[62:63], -v[56:57]
	v_add_f64 v[62:63], v[70:71], -v[68:69]
	;; [unrolled: 1-line block ×5, first 2 shown]
	v_add_f64 v[48:49], v[48:49], v[62:63]
	v_add_f64 v[62:63], v[68:69], -v[66:67]
	v_add_f64 v[50:51], v[50:51], -v[62:63]
	;; [unrolled: 1-line block ×4, first 2 shown]
	v_add_f64 v[50:51], v[50:51], v[62:63]
	v_add_f64 v[56:57], v[60:61], -v[56:57]
	v_add_f64 v[48:49], v[50:51], v[48:49]
	v_fma_f64 v[50:51], v[54:55], v[52:53], -v[66:67]
	v_add_f64 v[60:61], v[56:57], v[70:71]
	v_add_f64 v[48:49], v[50:51], v[48:49]
	v_ldexp_f64 v[50:51], v[64:65], 2
	v_add_f64 v[52:53], v[60:61], v[50:51]
	v_cmp_gt_f64_e32 vcc, 0, v[52:53]
	v_cndmask_b32_e32 v19, 0, v1, vcc
	v_add_f64 v[50:51], v[50:51], v[18:19]
	v_add_f64 v[52:53], v[60:61], v[50:51]
	v_cvt_i32_f64_e32 v19, v[52:53]
	v_cvt_f64_i32_e32 v[52:53], v19
	v_add_f64 v[50:51], v[50:51], -v[52:53]
	v_add_f64 v[56:57], v[60:61], -v[56:57]
	v_add_f64 v[54:55], v[60:61], v[50:51]
	v_add_f64 v[56:57], v[70:71], -v[56:57]
	v_add_f64 v[50:51], v[54:55], -v[50:51]
	v_cmp_le_f64_e32 vcc, 0.5, v[54:55]
	v_add_f64 v[48:49], v[56:57], v[48:49]
	v_add_f64 v[50:51], v[60:61], -v[50:51]
	v_addc_co_u32_e64 v52, s[0:1], 0, v19, vcc
	v_cndmask_b32_e32 v19, 0, v23, vcc
	v_add_f64 v[48:49], v[48:49], v[50:51]
	v_add_f64 v[50:51], v[54:55], -v[18:19]
	v_add_f64 v[54:55], v[50:51], v[48:49]
	v_add_f64 v[50:51], v[54:55], -v[50:51]
	s_mov_b32 s30, s34
	v_add_f64 v[48:49], v[48:49], -v[50:51]
	v_mul_f64 v[50:51], v[54:55], s[30:31]
	v_fma_f64 v[56:57], v[54:55], s[30:31], -v[50:51]
	s_mov_b32 s39, s37
	v_fmac_f64_e32 v[56:57], s[38:39], v[54:55]
	v_fmac_f64_e32 v[56:57], s[30:31], v[48:49]
	v_add_f64 v[48:49], v[50:51], v[56:57]
	v_add_f64 v[50:51], v[48:49], -v[50:51]
	v_add_f64 v[50:51], v[56:57], -v[50:51]
	s_andn2_saveexec_b64 s[0:1], s[2:3]
	s_cbranch_execnz .LBB248_129
	s_branch .LBB248_130
.LBB248_128:                            ;   in Loop: Header=BB248_4 Depth=1
	s_andn2_saveexec_b64 s[0:1], s[2:3]
	s_cbranch_execz .LBB248_130
.LBB248_129:                            ;   in Loop: Header=BB248_4 Depth=1
	v_mul_f64 v[48:49], |v[12:13]|, s[40:41]
	v_rndne_f64_e32 v[52:53], v[48:49]
	v_fma_f64 v[48:49], v[52:53], s[34:35], |v[12:13]|
	v_mul_f64 v[54:55], v[52:53], s[42:43]
	v_add_f64 v[60:61], v[48:49], v[54:55]
	v_fma_f64 v[50:51], s[42:43], v[52:53], v[48:49]
	s_mov_b32 s36, s42
	v_add_f64 v[48:49], v[48:49], -v[60:61]
	v_fma_f64 v[56:57], s[36:37], v[52:53], v[54:55]
	v_add_f64 v[48:49], v[48:49], v[54:55]
	v_add_f64 v[54:55], v[60:61], -v[50:51]
	v_add_f64 v[48:49], v[54:55], v[48:49]
	v_add_f64 v[54:55], v[48:49], -v[56:57]
	v_fmac_f64_e32 v[54:55], s[44:45], v[52:53]
	v_add_f64 v[48:49], v[50:51], v[54:55]
	v_add_f64 v[50:51], v[48:49], -v[50:51]
	v_add_f64 v[50:51], v[54:55], -v[50:51]
	v_cvt_i32_f64_e32 v52, v[52:53]
.LBB248_130:                            ;   in Loop: Header=BB248_4 Depth=1
	s_or_b64 exec, exec, s[0:1]
	v_mul_f64 v[54:55], v[44:45], v[44:45]
	v_pk_mov_b32 v[64:65], s[64:65], s[64:65] op_sel:[0,1]
	v_mul_f64 v[56:57], v[54:55], 0.5
	v_fma_f64 v[66:67], s[66:67], v[54:55], v[64:65]
	v_add_f64 v[60:61], -v[56:57], 1.0
	v_fma_f64 v[66:67], v[54:55], v[66:67], s[68:69]
	v_fma_f64 v[66:67], v[54:55], v[66:67], s[70:71]
	v_add_f64 v[68:69], -v[60:61], 1.0
	v_fma_f64 v[66:67], v[54:55], v[66:67], s[72:73]
	v_add_f64 v[56:57], v[68:69], -v[56:57]
	v_mul_f64 v[62:63], v[54:55], v[54:55]
	v_fma_f64 v[66:67], v[54:55], v[66:67], s[58:59]
	v_fma_f64 v[56:57], v[44:45], -v[46:47], v[56:57]
	v_fmac_f64_e32 v[56:57], v[62:63], v[66:67]
	v_pk_mov_b32 v[62:63], s[74:75], s[74:75] op_sel:[0,1]
	v_fma_f64 v[66:67], s[76:77], v[54:55], v[62:63]
	v_fma_f64 v[66:67], v[54:55], v[66:67], s[78:79]
	;; [unrolled: 1-line block ×3, first 2 shown]
	v_add_f64 v[56:57], v[60:61], v[56:57]
	v_mul_f64 v[60:61], v[44:45], -v[54:55]
	v_fma_f64 v[66:67], v[54:55], v[66:67], s[56:57]
	v_mul_f64 v[68:69], v[46:47], 0.5
	v_fmac_f64_e32 v[68:69], v[60:61], v[66:67]
	v_fma_f64 v[46:47], v[54:55], v[68:69], -v[46:47]
	s_mov_b32 s82, s58
	v_fmac_f64_e32 v[46:47], s[82:83], v[60:61]
	v_and_b32_e32 v19, 1, v42
	v_add_f64 v[44:45], v[44:45], -v[46:47]
	s_mov_b32 s0, 0x19ba0da4
	v_xor_b32_e32 v45, 0x80000000, v45
	v_cmp_eq_u32_e32 vcc, 0, v19
	v_lshlrev_b32_e32 v42, 30, v42
	s_mov_b32 s1, 0xc0937be3
	v_cndmask_b32_e32 v19, v44, v56, vcc
	v_cndmask_b32_e32 v44, v45, v57, vcc
	v_and_b32_e32 v42, 0x80000000, v42
	v_add_f64 v[10:11], -v[10:11], s[0:1]
	v_xor_b32_e32 v42, v44, v42
	v_mul_f64 v[44:45], v[10:11], s[48:49]
	v_rndne_f64_e32 v[44:45], v[44:45]
	v_fma_f64 v[46:47], s[50:51], v[44:45], v[10:11]
	v_fmac_f64_e32 v[46:47], s[52:53], v[44:45]
	v_pk_mov_b32 v[54:55], v[24:25], v[24:25] op_sel:[0,1]
	v_fmac_f64_e32 v[54:55], s[54:55], v[46:47]
	v_pk_mov_b32 v[56:57], v[26:27], v[26:27] op_sel:[0,1]
	;; [unrolled: 2-line block ×9, first 2 shown]
	v_fmac_f64_e32 v[54:55], v[46:47], v[56:57]
	v_cmp_class_f64_e64 vcc, v[12:13], s90
	v_fma_f64 v[54:55], v[46:47], v[54:55], 1.0
	s_mov_b32 s0, 0
	v_cndmask_b32_e32 v12, 0, v19, vcc
	v_fma_f64 v[46:47], v[46:47], v[54:55], 1.0
	v_cvt_i32_f64_e32 v19, v[44:45]
	s_mov_b32 s1, 0x40900000
	s_mov_b32 s2, 0
	v_ldexp_f64 v[44:45], v[46:47], v19
	v_cmp_nlt_f64_e64 s[0:1], s[0:1], v[10:11]
	s_mov_b32 s3, 0xc090cc00
	v_cndmask_b32_e64 v19, v58, v45, s[0:1]
	v_cmp_ngt_f64_e64 s[2:3], s[2:3], v[10:11]
	v_cndmask_b32_e64 v19, 0, v19, s[2:3]
	v_and_b32_e32 v11, 0xfffff, v19
	v_lshrrev_b32_e32 v19, 20, v19
	v_cndmask_b32_e32 v13, v59, v42, vcc
	v_add_u32_e32 v42, 0xffffff09, v19
	v_lshrrev_b16_e32 v19, 15, v42
	v_add_u16_e32 v19, v42, v19
	s_and_b64 s[0:1], s[2:3], s[0:1]
	v_ashrrev_i16_e32 v19, 1, v19
	v_cndmask_b32_e64 v10, 0, v44, s[0:1]
	v_or_b32_e32 v11, 0x7fe00000, v11
	v_bfe_i32 v44, v19, 0, 16
	v_mul_f64 v[12:13], v[10:11], v[12:13]
	v_lshl_add_u32 v19, v44, 20, v23
	v_sub_u32_e32 v42, v42, v44
	v_mul_f64 v[12:13], v[12:13], v[18:19]
	v_lshl_add_u32 v47, v42, 20, v23
	v_mov_b32_e32 v46, v18
	v_mul_f64 v[44:45], v[12:13], v[46:47]
	v_mul_f64 v[12:13], v[48:49], v[48:49]
	v_mul_f64 v[54:55], v[12:13], 0.5
	v_fmac_f64_e32 v[64:65], s[66:67], v[12:13]
	v_add_f64 v[56:57], -v[54:55], 1.0
	v_fma_f64 v[64:65], v[12:13], v[64:65], s[68:69]
	v_add_f64 v[60:61], -v[56:57], 1.0
	v_fma_f64 v[64:65], v[12:13], v[64:65], s[70:71]
	v_add_f64 v[54:55], v[60:61], -v[54:55]
	v_fma_f64 v[64:65], v[12:13], v[64:65], s[72:73]
	v_mul_f64 v[60:61], v[12:13], v[12:13]
	v_fma_f64 v[64:65], v[12:13], v[64:65], s[58:59]
	v_fma_f64 v[54:55], v[48:49], -v[50:51], v[54:55]
	v_fmac_f64_e32 v[54:55], v[60:61], v[64:65]
	v_fmac_f64_e32 v[62:63], s[76:77], v[12:13]
	v_add_f64 v[54:55], v[56:57], v[54:55]
	v_fma_f64 v[56:57], v[12:13], v[62:63], s[78:79]
	v_fma_f64 v[56:57], v[12:13], v[56:57], s[80:81]
	;; [unrolled: 1-line block ×3, first 2 shown]
	v_mul_f64 v[60:61], v[48:49], -v[12:13]
	v_mul_f64 v[62:63], v[50:51], 0.5
	v_fmac_f64_e32 v[62:63], v[60:61], v[56:57]
	v_fma_f64 v[12:13], v[12:13], v[62:63], -v[50:51]
	v_and_b32_e32 v42, 1, v52
	v_fmac_f64_e32 v[12:13], s[82:83], v[60:61]
	v_cmp_eq_u32_e64 s[0:1], 0, v42
	v_lshlrev_b32_e32 v42, 30, v52
	v_add_f64 v[12:13], v[48:49], -v[12:13]
	v_xor_b32_e32 v42, v42, v43
	v_cndmask_b32_e64 v13, v55, v13, s[0:1]
	v_and_b32_e32 v42, 0x80000000, v42
	v_cndmask_b32_e64 v12, v54, v12, s[0:1]
	v_xor_b32_e32 v13, v13, v42
	v_cndmask_b32_e32 v12, 0, v12, vcc
	v_cndmask_b32_e32 v13, v59, v13, vcc
	v_mul_f64 v[10:11], v[10:11], v[12:13]
	v_mul_f64 v[10:11], v[10:11], v[18:19]
	;; [unrolled: 1-line block ×3, first 2 shown]
.LBB248_131:                            ;   in Loop: Header=BB248_4 Depth=1
	s_or_b64 exec, exec, s[86:87]
                                        ; implicit-def: $vgpr46_vgpr47
                                        ; implicit-def: $vgpr10_vgpr11
                                        ; implicit-def: $vgpr19
.LBB248_132:                            ;   in Loop: Header=BB248_4 Depth=1
	s_andn2_saveexec_b64 s[2:3], s[84:85]
	s_cbranch_execz .LBB248_138
; %bb.133:                              ;   in Loop: Header=BB248_4 Depth=1
	v_cmp_ne_u32_e32 vcc, 0, v46
	v_cmp_ne_u32_e64 s[0:1], s8, v19
	s_or_b64 s[0:1], vcc, s[0:1]
	v_add_f64 v[42:43], v[12:13], -v[12:13]
	s_and_saveexec_b64 s[84:85], s[0:1]
	s_xor_b64 s[0:1], exec, s[84:85]
; %bb.134:                              ;   in Loop: Header=BB248_4 Depth=1
                                        ; implicit-def: $vgpr46_vgpr47
                                        ; implicit-def: $vgpr10_vgpr11
; %bb.135:                              ;   in Loop: Header=BB248_4 Depth=1
	s_or_saveexec_b64 s[0:1], s[0:1]
	v_pk_mov_b32 v[44:45], v[42:43], v[42:43] op_sel:[0,1]
	s_xor_b64 exec, exec, s[0:1]
; %bb.136:                              ;   in Loop: Header=BB248_4 Depth=1
	v_cmp_lt_i64_e32 vcc, -1, v[46:47]
	v_cndmask_b32_e32 v45, 0, v47, vcc
	v_cndmask_b32_e32 v44, 0, v10, vcc
	;; [unrolled: 1-line block ×4, first 2 shown]
; %bb.137:                              ;   in Loop: Header=BB248_4 Depth=1
	s_or_b64 exec, exec, s[0:1]
.LBB248_138:                            ;   in Loop: Header=BB248_4 Depth=1
	s_or_b64 exec, exec, s[2:3]
                                        ; implicit-def: $vgpr12_vgpr13
.LBB248_139:                            ;   in Loop: Header=BB248_4 Depth=1
	s_andn2_saveexec_b64 s[2:3], s[94:95]
	s_cbranch_execz .LBB248_149
; %bb.140:                              ;   in Loop: Header=BB248_4 Depth=1
	v_cmp_nlt_f64_e64 s[84:85], |v[12:13]|, s[24:25]
	v_trig_preop_f64 v[50:51], |v[12:13]|, 0
	v_trig_preop_f64 v[48:49], |v[12:13]|, 1
	v_ldexp_f64 v[52:53], |v[12:13]|, s9
	v_trig_preop_f64 v[46:47], |v[12:13]|, 2
	v_and_b32_e32 v60, 0x7fffffff, v13
                                        ; implicit-def: $vgpr42
                                        ; implicit-def: $vgpr10_vgpr11
                                        ; implicit-def: $vgpr44_vgpr45
	s_and_saveexec_b64 s[0:1], s[84:85]
	s_xor_b64 s[86:87], exec, s[0:1]
	s_cbranch_execz .LBB248_142
; %bb.141:                              ;   in Loop: Header=BB248_4 Depth=1
	v_cmp_ge_f64_e64 vcc, |v[12:13]|, s[26:27]
	v_cndmask_b32_e32 v11, v60, v53, vcc
	v_cndmask_b32_e32 v10, v12, v52, vcc
	v_mul_f64 v[54:55], v[50:51], v[10:11]
	v_mul_f64 v[44:45], v[48:49], v[10:11]
	v_fma_f64 v[56:57], v[50:51], v[10:11], -v[54:55]
	v_add_f64 v[62:63], v[44:45], v[56:57]
	v_add_f64 v[64:65], v[54:55], v[62:63]
	v_ldexp_f64 v[66:67], v[64:65], -2
	v_fract_f64_e32 v[68:69], v[66:67]
	v_cmp_neq_f64_e64 vcc, |v[66:67]|, s[28:29]
	v_cndmask_b32_e32 v67, 0, v69, vcc
	v_cndmask_b32_e32 v66, 0, v68, vcc
	v_add_f64 v[68:69], v[62:63], -v[44:45]
	v_add_f64 v[56:57], v[56:57], -v[68:69]
	;; [unrolled: 1-line block ×4, first 2 shown]
	v_add_f64 v[56:57], v[56:57], v[68:69]
	v_fma_f64 v[44:45], v[48:49], v[10:11], -v[44:45]
	v_mul_f64 v[68:69], v[46:47], v[10:11]
	v_add_f64 v[70:71], v[68:69], v[44:45]
	v_add_f64 v[72:73], v[70:71], v[56:57]
	v_add_f64 v[54:55], v[64:65], -v[54:55]
	v_add_f64 v[64:65], v[72:73], -v[70:71]
	;; [unrolled: 1-line block ×5, first 2 shown]
	v_add_f64 v[56:57], v[56:57], v[64:65]
	v_add_f64 v[64:65], v[70:71], -v[68:69]
	v_add_f64 v[44:45], v[44:45], -v[64:65]
	;; [unrolled: 1-line block ×5, first 2 shown]
	v_add_f64 v[62:63], v[54:55], v[72:73]
	v_add_f64 v[44:45], v[44:45], v[64:65]
	v_add_f64 v[54:55], v[62:63], -v[54:55]
	v_add_f64 v[44:45], v[44:45], v[56:57]
	v_fma_f64 v[10:11], v[46:47], v[10:11], -v[68:69]
	v_add_f64 v[54:55], v[72:73], -v[54:55]
	v_add_f64 v[10:11], v[10:11], v[44:45]
	v_ldexp_f64 v[44:45], v[66:67], 2
	v_add_f64 v[10:11], v[54:55], v[10:11]
	v_add_f64 v[54:55], v[62:63], v[44:45]
	v_cmp_gt_f64_e32 vcc, 0, v[54:55]
	v_cndmask_b32_e32 v19, 0, v1, vcc
	v_add_f64 v[44:45], v[44:45], v[18:19]
	v_add_f64 v[54:55], v[62:63], v[44:45]
	v_cvt_i32_f64_e32 v19, v[54:55]
	v_cvt_f64_i32_e32 v[54:55], v19
	v_add_f64 v[44:45], v[44:45], -v[54:55]
	v_add_f64 v[54:55], v[62:63], v[44:45]
	v_add_f64 v[44:45], v[54:55], -v[44:45]
	v_cmp_le_f64_e32 vcc, 0.5, v[54:55]
	v_add_f64 v[44:45], v[62:63], -v[44:45]
	v_addc_co_u32_e64 v42, s[0:1], 0, v19, vcc
	v_cndmask_b32_e32 v19, 0, v23, vcc
	v_add_f64 v[10:11], v[10:11], v[44:45]
	v_add_f64 v[44:45], v[54:55], -v[18:19]
	v_add_f64 v[54:55], v[44:45], v[10:11]
	v_add_f64 v[44:45], v[54:55], -v[44:45]
	s_mov_b32 s30, s34
	v_add_f64 v[10:11], v[10:11], -v[44:45]
	v_mul_f64 v[44:45], v[54:55], s[30:31]
	v_fma_f64 v[56:57], v[54:55], s[30:31], -v[44:45]
	s_mov_b32 s39, s37
	v_fmac_f64_e32 v[56:57], s[38:39], v[54:55]
	v_fmac_f64_e32 v[56:57], s[30:31], v[10:11]
	v_add_f64 v[10:11], v[44:45], v[56:57]
	v_add_f64 v[44:45], v[10:11], -v[44:45]
	v_add_f64 v[44:45], v[56:57], -v[44:45]
	s_andn2_saveexec_b64 s[0:1], s[86:87]
	s_cbranch_execz .LBB248_144
	s_branch .LBB248_143
.LBB248_142:                            ;   in Loop: Header=BB248_4 Depth=1
	s_andn2_saveexec_b64 s[0:1], s[86:87]
	s_cbranch_execz .LBB248_144
.LBB248_143:                            ;   in Loop: Header=BB248_4 Depth=1
	v_mul_f64 v[10:11], |v[12:13]|, s[40:41]
	v_rndne_f64_e32 v[54:55], v[10:11]
	v_fma_f64 v[10:11], v[54:55], s[34:35], |v[12:13]|
	v_mul_f64 v[56:57], v[54:55], s[42:43]
	v_add_f64 v[64:65], v[10:11], v[56:57]
	v_fma_f64 v[44:45], s[42:43], v[54:55], v[10:11]
	s_mov_b32 s36, s42
	v_add_f64 v[10:11], v[10:11], -v[64:65]
	v_fma_f64 v[62:63], s[36:37], v[54:55], v[56:57]
	v_add_f64 v[10:11], v[10:11], v[56:57]
	v_add_f64 v[56:57], v[64:65], -v[44:45]
	v_add_f64 v[10:11], v[56:57], v[10:11]
	v_add_f64 v[56:57], v[10:11], -v[62:63]
	v_fmac_f64_e32 v[56:57], s[44:45], v[54:55]
	v_add_f64 v[10:11], v[44:45], v[56:57]
	v_add_f64 v[44:45], v[10:11], -v[44:45]
	v_add_f64 v[44:45], v[56:57], -v[44:45]
	v_cvt_i32_f64_e32 v42, v[54:55]
.LBB248_144:                            ;   in Loop: Header=BB248_4 Depth=1
	s_or_b64 exec, exec, s[0:1]
                                        ; implicit-def: $vgpr61
                                        ; implicit-def: $vgpr54_vgpr55
                                        ; implicit-def: $vgpr56_vgpr57
	s_and_saveexec_b64 s[0:1], s[84:85]
	s_xor_b64 s[84:85], exec, s[0:1]
	s_cbranch_execz .LBB248_146
; %bb.145:                              ;   in Loop: Header=BB248_4 Depth=1
	v_cmp_ge_f64_e64 vcc, |v[12:13]|, s[26:27]
	v_cndmask_b32_e32 v53, v60, v53, vcc
	v_cndmask_b32_e32 v52, v12, v52, vcc
	v_mul_f64 v[56:57], v[50:51], v[52:53]
	v_mul_f64 v[54:55], v[48:49], v[52:53]
	v_fma_f64 v[50:51], v[50:51], v[52:53], -v[56:57]
	v_add_f64 v[60:61], v[54:55], v[50:51]
	v_add_f64 v[62:63], v[56:57], v[60:61]
	v_ldexp_f64 v[64:65], v[62:63], -2
	v_fract_f64_e32 v[66:67], v[64:65]
	v_cmp_neq_f64_e64 vcc, |v[64:65]|, s[28:29]
	v_cndmask_b32_e32 v65, 0, v67, vcc
	v_cndmask_b32_e32 v64, 0, v66, vcc
	v_add_f64 v[66:67], v[60:61], -v[54:55]
	v_add_f64 v[50:51], v[50:51], -v[66:67]
	;; [unrolled: 1-line block ×4, first 2 shown]
	v_fma_f64 v[48:49], v[48:49], v[52:53], -v[54:55]
	v_mul_f64 v[54:55], v[46:47], v[52:53]
	v_add_f64 v[50:51], v[50:51], v[66:67]
	v_add_f64 v[66:67], v[54:55], v[48:49]
	;; [unrolled: 1-line block ×3, first 2 shown]
	v_add_f64 v[56:57], v[62:63], -v[56:57]
	v_add_f64 v[62:63], v[68:69], -v[66:67]
	;; [unrolled: 1-line block ×5, first 2 shown]
	v_add_f64 v[50:51], v[50:51], v[62:63]
	v_add_f64 v[62:63], v[66:67], -v[54:55]
	v_add_f64 v[48:49], v[48:49], -v[62:63]
	;; [unrolled: 1-line block ×4, first 2 shown]
	v_add_f64 v[48:49], v[48:49], v[62:63]
	v_add_f64 v[56:57], v[60:61], -v[56:57]
	v_add_f64 v[48:49], v[48:49], v[50:51]
	v_fma_f64 v[46:47], v[46:47], v[52:53], -v[54:55]
	v_add_f64 v[60:61], v[56:57], v[68:69]
	v_add_f64 v[46:47], v[46:47], v[48:49]
	v_ldexp_f64 v[48:49], v[64:65], 2
	v_add_f64 v[50:51], v[60:61], v[48:49]
	v_cmp_gt_f64_e32 vcc, 0, v[50:51]
	v_cndmask_b32_e32 v19, 0, v1, vcc
	v_add_f64 v[48:49], v[48:49], v[18:19]
	v_add_f64 v[50:51], v[60:61], v[48:49]
	v_cvt_i32_f64_e32 v19, v[50:51]
	v_cvt_f64_i32_e32 v[50:51], v19
	v_add_f64 v[48:49], v[48:49], -v[50:51]
	v_add_f64 v[56:57], v[60:61], -v[56:57]
	v_add_f64 v[50:51], v[60:61], v[48:49]
	v_add_f64 v[56:57], v[68:69], -v[56:57]
	v_add_f64 v[48:49], v[50:51], -v[48:49]
	v_cmp_le_f64_e32 vcc, 0.5, v[50:51]
	v_add_f64 v[46:47], v[56:57], v[46:47]
	v_add_f64 v[48:49], v[60:61], -v[48:49]
	v_addc_co_u32_e64 v61, s[0:1], 0, v19, vcc
	v_cndmask_b32_e32 v19, 0, v23, vcc
	v_add_f64 v[46:47], v[46:47], v[48:49]
	v_add_f64 v[48:49], v[50:51], -v[18:19]
	v_add_f64 v[50:51], v[48:49], v[46:47]
	v_add_f64 v[48:49], v[50:51], -v[48:49]
	s_mov_b32 s30, s34
	v_add_f64 v[46:47], v[46:47], -v[48:49]
	v_mul_f64 v[48:49], v[50:51], s[30:31]
	v_fma_f64 v[52:53], v[50:51], s[30:31], -v[48:49]
	s_mov_b32 s39, s37
	v_fmac_f64_e32 v[52:53], s[38:39], v[50:51]
	v_fmac_f64_e32 v[52:53], s[30:31], v[46:47]
	v_add_f64 v[54:55], v[48:49], v[52:53]
	v_add_f64 v[46:47], v[54:55], -v[48:49]
	v_add_f64 v[56:57], v[52:53], -v[46:47]
	s_andn2_saveexec_b64 s[0:1], s[84:85]
	s_cbranch_execnz .LBB248_147
	s_branch .LBB248_148
.LBB248_146:                            ;   in Loop: Header=BB248_4 Depth=1
	s_andn2_saveexec_b64 s[0:1], s[84:85]
	s_cbranch_execz .LBB248_148
.LBB248_147:                            ;   in Loop: Header=BB248_4 Depth=1
	v_mul_f64 v[46:47], |v[12:13]|, s[40:41]
	v_rndne_f64_e32 v[46:47], v[46:47]
	v_fma_f64 v[48:49], v[46:47], s[34:35], |v[12:13]|
	v_mul_f64 v[52:53], v[46:47], s[42:43]
	v_add_f64 v[56:57], v[48:49], v[52:53]
	v_fma_f64 v[50:51], s[42:43], v[46:47], v[48:49]
	s_mov_b32 s36, s42
	v_add_f64 v[48:49], v[48:49], -v[56:57]
	v_fma_f64 v[54:55], s[36:37], v[46:47], v[52:53]
	v_add_f64 v[48:49], v[48:49], v[52:53]
	v_add_f64 v[52:53], v[56:57], -v[50:51]
	v_add_f64 v[48:49], v[52:53], v[48:49]
	v_add_f64 v[48:49], v[48:49], -v[54:55]
	v_fmac_f64_e32 v[48:49], s[44:45], v[46:47]
	v_add_f64 v[54:55], v[50:51], v[48:49]
	v_add_f64 v[50:51], v[54:55], -v[50:51]
	v_add_f64 v[56:57], v[48:49], -v[50:51]
	v_cvt_i32_f64_e32 v61, v[46:47]
.LBB248_148:                            ;   in Loop: Header=BB248_4 Depth=1
	s_or_b64 exec, exec, s[0:1]
	v_mul_f64 v[46:47], v[10:11], v[10:11]
	v_pk_mov_b32 v[62:63], s[64:65], s[64:65] op_sel:[0,1]
	v_mul_f64 v[48:49], v[46:47], 0.5
	v_fma_f64 v[64:65], s[66:67], v[46:47], v[62:63]
	v_add_f64 v[50:51], -v[48:49], 1.0
	v_fma_f64 v[64:65], v[46:47], v[64:65], s[68:69]
	v_add_f64 v[52:53], -v[50:51], 1.0
	v_fma_f64 v[64:65], v[46:47], v[64:65], s[70:71]
	v_add_f64 v[48:49], v[52:53], -v[48:49]
	v_fma_f64 v[64:65], v[46:47], v[64:65], s[72:73]
	v_mul_f64 v[52:53], v[46:47], v[46:47]
	v_fma_f64 v[64:65], v[46:47], v[64:65], s[58:59]
	v_fma_f64 v[48:49], v[10:11], -v[44:45], v[48:49]
	v_fmac_f64_e32 v[48:49], v[52:53], v[64:65]
	v_add_f64 v[48:49], v[50:51], v[48:49]
	v_pk_mov_b32 v[50:51], s[74:75], s[74:75] op_sel:[0,1]
	v_fma_f64 v[52:53], s[76:77], v[46:47], v[50:51]
	v_fma_f64 v[52:53], v[46:47], v[52:53], s[78:79]
	;; [unrolled: 1-line block ×4, first 2 shown]
	v_mul_f64 v[64:65], v[10:11], -v[46:47]
	v_mul_f64 v[66:67], v[44:45], 0.5
	v_fmac_f64_e32 v[66:67], v[64:65], v[52:53]
	v_fma_f64 v[44:45], v[46:47], v[66:67], -v[44:45]
	s_mov_b32 s82, s58
	v_fmac_f64_e32 v[44:45], s[82:83], v[64:65]
	v_add_f64 v[10:11], v[10:11], -v[44:45]
	v_and_b32_e32 v19, 1, v42
	v_xor_b32_e32 v11, 0x80000000, v11
	v_cmp_eq_u32_e32 vcc, 0, v19
	v_lshlrev_b32_e32 v19, 30, v42
	v_cndmask_b32_e32 v11, v11, v49, vcc
	v_and_b32_e32 v19, 0x80000000, v19
	v_cndmask_b32_e32 v10, v10, v48, vcc
	v_xor_b32_e32 v11, v11, v19
	v_cmp_class_f64_e64 vcc, v[12:13], s90
	v_cndmask_b32_e32 v44, 0, v10, vcc
	v_cndmask_b32_e32 v45, v59, v11, vcc
	v_mul_f64 v[10:11], v[54:55], v[54:55]
	v_mul_f64 v[12:13], v[10:11], 0.5
	v_fmac_f64_e32 v[62:63], s[66:67], v[10:11]
	v_add_f64 v[46:47], -v[12:13], 1.0
	v_fma_f64 v[52:53], v[10:11], v[62:63], s[68:69]
	v_add_f64 v[48:49], -v[46:47], 1.0
	v_fma_f64 v[52:53], v[10:11], v[52:53], s[70:71]
	v_add_f64 v[12:13], v[48:49], -v[12:13]
	v_fma_f64 v[52:53], v[10:11], v[52:53], s[72:73]
	v_mul_f64 v[48:49], v[10:11], v[10:11]
	v_fma_f64 v[52:53], v[10:11], v[52:53], s[58:59]
	v_fma_f64 v[12:13], v[54:55], -v[56:57], v[12:13]
	v_fmac_f64_e32 v[12:13], v[48:49], v[52:53]
	v_fmac_f64_e32 v[50:51], s[76:77], v[10:11]
	v_add_f64 v[12:13], v[46:47], v[12:13]
	v_fma_f64 v[46:47], v[10:11], v[50:51], s[78:79]
	v_fma_f64 v[46:47], v[10:11], v[46:47], s[80:81]
	;; [unrolled: 1-line block ×3, first 2 shown]
	v_mul_f64 v[48:49], v[54:55], -v[10:11]
	v_mul_f64 v[50:51], v[56:57], 0.5
	v_fmac_f64_e32 v[50:51], v[48:49], v[46:47]
	v_fma_f64 v[10:11], v[10:11], v[50:51], -v[56:57]
	v_fmac_f64_e32 v[10:11], s[82:83], v[48:49]
	v_and_b32_e32 v19, 1, v61
	v_add_f64 v[10:11], v[54:55], -v[10:11]
	v_cmp_eq_u32_e64 s[0:1], 0, v19
	v_cndmask_b32_e64 v10, v12, v10, s[0:1]
	v_lshlrev_b32_e32 v12, 30, v61
	v_xor_b32_e32 v12, v12, v43
	v_cndmask_b32_e64 v11, v13, v11, s[0:1]
	v_and_b32_e32 v12, 0x80000000, v12
	v_xor_b32_e32 v11, v11, v12
	v_cndmask_b32_e32 v42, 0, v10, vcc
	v_cndmask_b32_e32 v43, v59, v11, vcc
.LBB248_149:                            ;   in Loop: Header=BB248_4 Depth=1
	s_or_b64 exec, exec, s[2:3]
                                        ; implicit-def: $vgpr10_vgpr11
.LBB248_150:                            ;   in Loop: Header=BB248_4 Depth=1
	s_andn2_saveexec_b64 s[2:3], s[92:93]
	s_cbranch_execz .LBB248_152
; %bb.151:                              ;   in Loop: Header=BB248_4 Depth=1
	s_mov_b32 s46, s48
	v_mul_f64 v[12:13], v[10:11], s[46:47]
	v_rndne_f64_e32 v[12:13], v[12:13]
	v_fma_f64 v[44:45], v[12:13], s[50:51], -v[10:11]
	v_fmac_f64_e32 v[44:45], s[52:53], v[12:13]
	v_pk_mov_b32 v[46:47], v[24:25], v[24:25] op_sel:[0,1]
	v_fmac_f64_e32 v[46:47], s[54:55], v[44:45]
	v_pk_mov_b32 v[48:49], v[26:27], v[26:27] op_sel:[0,1]
	;; [unrolled: 2-line block ×9, first 2 shown]
	v_fmac_f64_e32 v[46:47], v[44:45], v[48:49]
	v_fma_f64 v[46:47], v[44:45], v[46:47], 1.0
	v_fma_f64 v[44:45], v[44:45], v[46:47], 1.0
	v_cvt_i32_f64_e32 v12, v[12:13]
	v_ldexp_f64 v[12:13], v[44:45], v12
	v_cmp_ngt_f64_e32 vcc, s[60:61], v[10:11]
	v_cmp_nlt_f64_e64 s[0:1], s[62:63], v[10:11]
	v_cndmask_b32_e32 v13, v58, v13, vcc
	s_and_b64 vcc, s[0:1], vcc
	v_cndmask_b32_e64 v45, 0, v13, s[0:1]
	v_cndmask_b32_e32 v44, 0, v12, vcc
.LBB248_152:                            ;   in Loop: Header=BB248_4 Depth=1
	s_or_b64 exec, exec, s[2:3]
	v_add_f64 v[44:45], s[12:13], v[44:45]
	v_add_f64 v[42:43], s[14:15], v[42:43]
	v_xor_b32_e32 v10, 0x80000000, v45
	v_cmp_gt_f64_e32 vcc, 0, v[44:45]
	v_cndmask_b32_e32 v49, v45, v10, vcc
	v_cndmask_b32_e32 v48, v44, v44, vcc
	v_xor_b32_e32 v10, 0x80000000, v43
	v_cmp_gt_f64_e32 vcc, 0, v[42:43]
	v_cndmask_b32_e32 v47, v43, v10, vcc
	v_cndmask_b32_e32 v46, v42, v42, vcc
	v_cmp_ge_f64_e32 vcc, v[48:49], v[46:47]
                                        ; implicit-def: $vgpr12_vgpr13
	s_and_saveexec_b64 s[0:1], vcc
	s_xor_b64 s[2:3], exec, s[0:1]
	s_cbranch_execz .LBB248_158
; %bb.153:                              ;   in Loop: Header=BB248_4 Depth=1
	v_cmp_neq_f64_e32 vcc, 0, v[44:45]
	v_cmp_neq_f64_e64 s[0:1], 0, v[42:43]
	s_or_b64 s[0:1], vcc, s[0:1]
                                        ; implicit-def: $vgpr12_vgpr13
	s_and_saveexec_b64 s[84:85], s[0:1]
	s_xor_b64 s[0:1], exec, s[84:85]
	s_cbranch_execz .LBB248_155
; %bb.154:                              ;   in Loop: Header=BB248_4 Depth=1
	v_div_scale_f64 v[10:11], s[84:85], v[44:45], v[44:45], v[42:43]
	v_rcp_f64_e32 v[12:13], v[10:11]
	v_div_scale_f64 v[46:47], vcc, v[42:43], v[44:45], v[42:43]
	v_fma_f64 v[48:49], -v[10:11], v[12:13], 1.0
	v_fmac_f64_e32 v[12:13], v[12:13], v[48:49]
	v_fma_f64 v[48:49], -v[10:11], v[12:13], 1.0
	v_fmac_f64_e32 v[12:13], v[12:13], v[48:49]
	v_mul_f64 v[48:49], v[46:47], v[12:13]
	v_fma_f64 v[10:11], -v[10:11], v[48:49], v[46:47]
	v_div_fmas_f64 v[10:11], v[10:11], v[12:13], v[48:49]
	v_div_fixup_f64 v[12:13], v[10:11], v[44:45], v[42:43]
	v_fmac_f64_e32 v[44:45], v[42:43], v[12:13]
	v_div_scale_f64 v[10:11], s[84:85], v[44:45], v[44:45], 1.0
	v_rcp_f64_e32 v[42:43], v[10:11]
	v_fma_f64 v[46:47], -v[10:11], v[42:43], 1.0
	v_fmac_f64_e32 v[42:43], v[42:43], v[46:47]
	v_fma_f64 v[46:47], -v[10:11], v[42:43], 1.0
	v_fmac_f64_e32 v[42:43], v[42:43], v[46:47]
	v_div_scale_f64 v[46:47], vcc, 1.0, v[44:45], 1.0
	v_mul_f64 v[48:49], v[46:47], v[42:43]
	v_fma_f64 v[10:11], -v[10:11], v[48:49], v[46:47]
                                        ; implicit-def: $vgpr46_vgpr47
	s_nop 1
	v_div_fmas_f64 v[10:11], v[10:11], v[42:43], v[48:49]
	v_div_fixup_f64 v[42:43], v[10:11], v[44:45], 1.0
	v_pk_mov_b32 v[10:11], s[12:13], s[12:13] op_sel:[0,1]
	v_pk_mov_b32 v[44:45], s[14:15], s[14:15] op_sel:[0,1]
	v_fma_f64 v[10:11], s[14:15], v[12:13], v[10:11]
	v_fma_f64 v[12:13], -s[12:13], v[12:13], v[44:45]
	v_mul_f64 v[10:11], v[10:11], v[42:43]
	v_mul_f64 v[12:13], v[12:13], v[42:43]
                                        ; implicit-def: $vgpr48_vgpr49
.LBB248_155:                            ;   in Loop: Header=BB248_4 Depth=1
	s_andn2_saveexec_b64 s[0:1], s[0:1]
	s_cbranch_execz .LBB248_157
; %bb.156:                              ;   in Loop: Header=BB248_4 Depth=1
	v_div_scale_f64 v[10:11], s[84:85], v[48:49], v[48:49], s[12:13]
	v_rcp_f64_e32 v[12:13], v[10:11]
	v_div_scale_f64 v[42:43], vcc, s[12:13], v[48:49], s[12:13]
	v_fma_f64 v[44:45], -v[10:11], v[12:13], 1.0
	v_fmac_f64_e32 v[12:13], v[12:13], v[44:45]
	v_fma_f64 v[44:45], -v[10:11], v[12:13], 1.0
	v_fmac_f64_e32 v[12:13], v[12:13], v[44:45]
	v_mul_f64 v[44:45], v[42:43], v[12:13]
	v_fma_f64 v[10:11], -v[10:11], v[44:45], v[42:43]
	v_div_scale_f64 v[42:43], s[84:85], v[46:47], v[46:47], s[14:15]
	v_rcp_f64_e32 v[50:51], v[42:43]
	v_div_fmas_f64 v[10:11], v[10:11], v[12:13], v[44:45]
	v_div_fixup_f64 v[10:11], v[10:11], v[48:49], s[12:13]
	v_fma_f64 v[12:13], -v[42:43], v[50:51], 1.0
	v_fmac_f64_e32 v[50:51], v[50:51], v[12:13]
	v_fma_f64 v[12:13], -v[42:43], v[50:51], 1.0
	v_fmac_f64_e32 v[50:51], v[50:51], v[12:13]
	v_div_scale_f64 v[12:13], vcc, s[14:15], v[46:47], s[14:15]
	v_mul_f64 v[44:45], v[12:13], v[50:51]
	v_fma_f64 v[12:13], -v[42:43], v[44:45], v[12:13]
	s_nop 1
	v_div_fmas_f64 v[12:13], v[12:13], v[50:51], v[44:45]
	v_div_fixup_f64 v[12:13], v[12:13], v[46:47], s[14:15]
.LBB248_157:                            ;   in Loop: Header=BB248_4 Depth=1
	s_or_b64 exec, exec, s[0:1]
                                        ; implicit-def: $vgpr42_vgpr43
                                        ; implicit-def: $vgpr44_vgpr45
.LBB248_158:                            ;   in Loop: Header=BB248_4 Depth=1
	s_andn2_saveexec_b64 s[0:1], s[2:3]
	s_cbranch_execz .LBB248_160
; %bb.159:                              ;   in Loop: Header=BB248_4 Depth=1
	v_div_scale_f64 v[10:11], s[2:3], v[42:43], v[42:43], v[44:45]
	v_rcp_f64_e32 v[12:13], v[10:11]
	v_div_scale_f64 v[46:47], vcc, v[44:45], v[42:43], v[44:45]
	v_fma_f64 v[48:49], -v[10:11], v[12:13], 1.0
	v_fmac_f64_e32 v[12:13], v[12:13], v[48:49]
	v_fma_f64 v[48:49], -v[10:11], v[12:13], 1.0
	v_fmac_f64_e32 v[12:13], v[12:13], v[48:49]
	v_mul_f64 v[48:49], v[46:47], v[12:13]
	v_fma_f64 v[10:11], -v[10:11], v[48:49], v[46:47]
	v_div_fmas_f64 v[10:11], v[10:11], v[12:13], v[48:49]
	v_div_fixup_f64 v[12:13], v[10:11], v[42:43], v[44:45]
	v_fmac_f64_e32 v[42:43], v[44:45], v[12:13]
	v_div_scale_f64 v[10:11], s[2:3], v[42:43], v[42:43], 1.0
	v_rcp_f64_e32 v[44:45], v[10:11]
	v_fma_f64 v[46:47], -v[10:11], v[44:45], 1.0
	v_fmac_f64_e32 v[44:45], v[44:45], v[46:47]
	v_fma_f64 v[46:47], -v[10:11], v[44:45], 1.0
	v_fmac_f64_e32 v[44:45], v[44:45], v[46:47]
	v_div_scale_f64 v[46:47], vcc, 1.0, v[42:43], 1.0
	v_mul_f64 v[48:49], v[46:47], v[44:45]
	v_fma_f64 v[10:11], -v[10:11], v[48:49], v[46:47]
	s_nop 1
	v_div_fmas_f64 v[10:11], v[10:11], v[44:45], v[48:49]
	v_div_fixup_f64 v[42:43], v[10:11], v[42:43], 1.0
	v_pk_mov_b32 v[10:11], s[14:15], s[14:15] op_sel:[0,1]
	v_pk_mov_b32 v[44:45], s[12:13], s[12:13] op_sel:[0,1]
	v_fma_f64 v[10:11], s[12:13], v[12:13], v[10:11]
	v_fma_f64 v[12:13], s[14:15], v[12:13], -v[44:45]
	v_mul_f64 v[10:11], v[10:11], v[42:43]
	v_mul_f64 v[12:13], v[12:13], v[42:43]
.LBB248_160:                            ;   in Loop: Header=BB248_4 Depth=1
	s_or_b64 exec, exec, s[0:1]
	v_xor_b32_e32 v43, 0x80000000, v5
	v_and_b32_e32 v48, 0x7fffffff, v43
	v_or_b32_e32 v19, v48, v4
	v_mov_b32_e32 v42, v4
	v_cmp_ne_u32_e32 vcc, 0, v19
                                        ; implicit-def: $vgpr44_vgpr45
	s_and_saveexec_b64 s[0:1], vcc
	s_xor_b64 s[92:93], exec, s[0:1]
	s_cbranch_execz .LBB248_202
; %bb.161:                              ;   in Loop: Header=BB248_4 Depth=1
	v_xor_b32_e32 v47, 0x80000000, v3
	v_mov_b32_e32 v46, v2
	v_and_b32_e32 v19, 0x7fffffff, v47
	v_or_b32_e32 v42, v19, v46
	v_cmp_ne_u32_e32 vcc, 0, v42
                                        ; implicit-def: $vgpr44_vgpr45
	s_and_saveexec_b64 s[0:1], vcc
	s_xor_b64 s[94:95], exec, s[0:1]
	s_cbranch_execz .LBB248_191
; %bb.162:                              ;   in Loop: Header=BB248_4 Depth=1
	v_cmp_gt_u32_e32 vcc, s8, v48
                                        ; implicit-def: $vgpr44_vgpr45
	s_and_saveexec_b64 s[0:1], vcc
	s_xor_b64 s[84:85], exec, s[0:1]
	s_cbranch_execz .LBB248_184
; %bb.163:                              ;   in Loop: Header=BB248_4 Depth=1
	v_add_u32_e32 v19, 0xbf79d1be, v47
	v_cmp_lt_u32_e32 vcc, s91, v19
                                        ; implicit-def: $vgpr44_vgpr45
	s_and_saveexec_b64 s[0:1], vcc
	s_xor_b64 s[2:3], exec, s[0:1]
	s_cbranch_execz .LBB248_173
; %bb.164:                              ;   in Loop: Header=BB248_4 Depth=1
	v_cmp_nlt_f64_e64 s[86:87], |v[4:5]|, s[24:25]
                                        ; implicit-def: $vgpr42
                                        ; implicit-def: $vgpr44_vgpr45
                                        ; implicit-def: $vgpr46_vgpr47
	s_and_saveexec_b64 s[0:1], s[86:87]
	s_xor_b64 s[88:89], exec, s[0:1]
	s_cbranch_execz .LBB248_166
; %bb.165:                              ;   in Loop: Header=BB248_4 Depth=1
	v_and_b32_e32 v19, 0x7fffffff, v5
	v_ldexp_f64 v[48:49], |v[4:5]|, s9
	v_cmp_ge_f64_e64 vcc, |v[4:5]|, s[26:27]
	v_trig_preop_f64 v[44:45], |v[4:5]|, 0
	v_cndmask_b32_e32 v49, v19, v49, vcc
	v_cndmask_b32_e32 v48, v4, v48, vcc
	v_trig_preop_f64 v[46:47], |v[4:5]|, 1
	v_mul_f64 v[52:53], v[44:45], v[48:49]
	v_mul_f64 v[50:51], v[46:47], v[48:49]
	v_fma_f64 v[44:45], v[44:45], v[48:49], -v[52:53]
	v_add_f64 v[54:55], v[50:51], v[44:45]
	v_add_f64 v[56:57], v[52:53], v[54:55]
	v_ldexp_f64 v[60:61], v[56:57], -2
	v_fract_f64_e32 v[62:63], v[60:61]
	v_cmp_neq_f64_e64 vcc, |v[60:61]|, s[28:29]
	v_cndmask_b32_e32 v61, 0, v63, vcc
	v_cndmask_b32_e32 v60, 0, v62, vcc
	v_add_f64 v[62:63], v[54:55], -v[50:51]
	v_add_f64 v[44:45], v[44:45], -v[62:63]
	;; [unrolled: 1-line block ×4, first 2 shown]
	v_fma_f64 v[46:47], v[46:47], v[48:49], -v[50:51]
	v_trig_preop_f64 v[50:51], |v[4:5]|, 2
	v_add_f64 v[44:45], v[44:45], v[62:63]
	v_mul_f64 v[62:63], v[50:51], v[48:49]
	v_add_f64 v[64:65], v[62:63], v[46:47]
	v_add_f64 v[66:67], v[64:65], v[44:45]
	v_add_f64 v[52:53], v[56:57], -v[52:53]
	v_add_f64 v[56:57], v[66:67], -v[64:65]
	v_add_f64 v[44:45], v[44:45], -v[56:57]
	v_add_f64 v[56:57], v[66:67], -v[56:57]
	v_add_f64 v[56:57], v[64:65], -v[56:57]
	v_add_f64 v[44:45], v[44:45], v[56:57]
	v_add_f64 v[56:57], v[64:65], -v[62:63]
	v_add_f64 v[46:47], v[46:47], -v[56:57]
	v_add_f64 v[56:57], v[64:65], -v[56:57]
	v_add_f64 v[56:57], v[62:63], -v[56:57]
	v_add_f64 v[46:47], v[46:47], v[56:57]
	v_add_f64 v[52:53], v[54:55], -v[52:53]
	v_add_f64 v[44:45], v[46:47], v[44:45]
	v_fma_f64 v[46:47], v[50:51], v[48:49], -v[62:63]
	v_add_f64 v[54:55], v[52:53], v[66:67]
	v_add_f64 v[44:45], v[46:47], v[44:45]
	v_ldexp_f64 v[46:47], v[60:61], 2
	v_add_f64 v[48:49], v[54:55], v[46:47]
	v_cmp_gt_f64_e32 vcc, 0, v[48:49]
	v_cndmask_b32_e32 v19, 0, v1, vcc
	v_add_f64 v[46:47], v[46:47], v[18:19]
	v_add_f64 v[48:49], v[54:55], v[46:47]
	v_cvt_i32_f64_e32 v19, v[48:49]
	v_cvt_f64_i32_e32 v[48:49], v19
	v_add_f64 v[46:47], v[46:47], -v[48:49]
	v_add_f64 v[52:53], v[54:55], -v[52:53]
	v_add_f64 v[48:49], v[54:55], v[46:47]
	v_add_f64 v[52:53], v[66:67], -v[52:53]
	v_add_f64 v[46:47], v[48:49], -v[46:47]
	v_cmp_le_f64_e32 vcc, 0.5, v[48:49]
	v_add_f64 v[44:45], v[52:53], v[44:45]
	v_add_f64 v[46:47], v[54:55], -v[46:47]
	v_addc_co_u32_e64 v42, s[0:1], 0, v19, vcc
	v_cndmask_b32_e32 v19, 0, v23, vcc
	v_add_f64 v[44:45], v[44:45], v[46:47]
	v_add_f64 v[46:47], v[48:49], -v[18:19]
	v_add_f64 v[48:49], v[46:47], v[44:45]
	v_add_f64 v[46:47], v[48:49], -v[46:47]
	s_mov_b32 s30, s34
	v_add_f64 v[44:45], v[44:45], -v[46:47]
	v_mul_f64 v[46:47], v[48:49], s[30:31]
	v_fma_f64 v[50:51], v[48:49], s[30:31], -v[46:47]
	s_mov_b32 s39, s37
	v_fmac_f64_e32 v[50:51], s[38:39], v[48:49]
	v_fmac_f64_e32 v[50:51], s[30:31], v[44:45]
	v_add_f64 v[44:45], v[46:47], v[50:51]
	v_add_f64 v[46:47], v[44:45], -v[46:47]
	v_add_f64 v[46:47], v[50:51], -v[46:47]
	s_andn2_saveexec_b64 s[0:1], s[88:89]
	s_cbranch_execz .LBB248_168
	s_branch .LBB248_167
.LBB248_166:                            ;   in Loop: Header=BB248_4 Depth=1
	s_andn2_saveexec_b64 s[0:1], s[88:89]
	s_cbranch_execz .LBB248_168
.LBB248_167:                            ;   in Loop: Header=BB248_4 Depth=1
	v_mul_f64 v[44:45], |v[4:5]|, s[40:41]
	v_rndne_f64_e32 v[48:49], v[44:45]
	v_fma_f64 v[44:45], v[48:49], s[34:35], |v[4:5]|
	v_mul_f64 v[50:51], v[48:49], s[42:43]
	v_add_f64 v[54:55], v[44:45], v[50:51]
	v_fma_f64 v[46:47], s[42:43], v[48:49], v[44:45]
	s_mov_b32 s36, s42
	v_add_f64 v[44:45], v[44:45], -v[54:55]
	v_fma_f64 v[52:53], s[36:37], v[48:49], v[50:51]
	v_add_f64 v[44:45], v[44:45], v[50:51]
	v_add_f64 v[50:51], v[54:55], -v[46:47]
	v_add_f64 v[44:45], v[50:51], v[44:45]
	v_add_f64 v[50:51], v[44:45], -v[52:53]
	v_fmac_f64_e32 v[50:51], s[44:45], v[48:49]
	v_add_f64 v[44:45], v[46:47], v[50:51]
	v_add_f64 v[46:47], v[44:45], -v[46:47]
	v_add_f64 v[46:47], v[50:51], -v[46:47]
	v_cvt_i32_f64_e32 v42, v[48:49]
.LBB248_168:                            ;   in Loop: Header=BB248_4 Depth=1
	s_or_b64 exec, exec, s[0:1]
                                        ; implicit-def: $vgpr52
                                        ; implicit-def: $vgpr48_vgpr49
                                        ; implicit-def: $vgpr50_vgpr51
	s_and_saveexec_b64 s[0:1], s[86:87]
	s_xor_b64 s[86:87], exec, s[0:1]
	s_cbranch_execz .LBB248_170
; %bb.169:                              ;   in Loop: Header=BB248_4 Depth=1
	v_and_b32_e32 v19, 0x7fffffff, v5
	v_ldexp_f64 v[52:53], |v[4:5]|, s9
	v_cmp_ge_f64_e64 vcc, |v[4:5]|, s[26:27]
	v_trig_preop_f64 v[48:49], |v[4:5]|, 0
	v_cndmask_b32_e32 v53, v19, v53, vcc
	v_cndmask_b32_e32 v52, v4, v52, vcc
	v_trig_preop_f64 v[50:51], |v[4:5]|, 1
	v_mul_f64 v[56:57], v[48:49], v[52:53]
	v_mul_f64 v[54:55], v[50:51], v[52:53]
	v_fma_f64 v[48:49], v[48:49], v[52:53], -v[56:57]
	v_add_f64 v[60:61], v[54:55], v[48:49]
	v_add_f64 v[62:63], v[56:57], v[60:61]
	v_ldexp_f64 v[64:65], v[62:63], -2
	v_fract_f64_e32 v[66:67], v[64:65]
	v_cmp_neq_f64_e64 vcc, |v[64:65]|, s[28:29]
	v_cndmask_b32_e32 v65, 0, v67, vcc
	v_cndmask_b32_e32 v64, 0, v66, vcc
	v_add_f64 v[66:67], v[60:61], -v[54:55]
	v_add_f64 v[48:49], v[48:49], -v[66:67]
	v_add_f64 v[66:67], v[60:61], -v[66:67]
	v_add_f64 v[66:67], v[54:55], -v[66:67]
	v_fma_f64 v[50:51], v[50:51], v[52:53], -v[54:55]
	v_trig_preop_f64 v[54:55], |v[4:5]|, 2
	v_add_f64 v[48:49], v[48:49], v[66:67]
	v_mul_f64 v[66:67], v[54:55], v[52:53]
	v_add_f64 v[68:69], v[66:67], v[50:51]
	v_add_f64 v[70:71], v[68:69], v[48:49]
	v_add_f64 v[56:57], v[62:63], -v[56:57]
	v_add_f64 v[62:63], v[70:71], -v[68:69]
	;; [unrolled: 1-line block ×5, first 2 shown]
	v_add_f64 v[48:49], v[48:49], v[62:63]
	v_add_f64 v[62:63], v[68:69], -v[66:67]
	v_add_f64 v[50:51], v[50:51], -v[62:63]
	;; [unrolled: 1-line block ×4, first 2 shown]
	v_add_f64 v[50:51], v[50:51], v[62:63]
	v_add_f64 v[56:57], v[60:61], -v[56:57]
	v_add_f64 v[48:49], v[50:51], v[48:49]
	v_fma_f64 v[50:51], v[54:55], v[52:53], -v[66:67]
	v_add_f64 v[60:61], v[56:57], v[70:71]
	v_add_f64 v[48:49], v[50:51], v[48:49]
	v_ldexp_f64 v[50:51], v[64:65], 2
	v_add_f64 v[52:53], v[60:61], v[50:51]
	v_cmp_gt_f64_e32 vcc, 0, v[52:53]
	v_cndmask_b32_e32 v19, 0, v1, vcc
	v_add_f64 v[50:51], v[50:51], v[18:19]
	v_add_f64 v[52:53], v[60:61], v[50:51]
	v_cvt_i32_f64_e32 v19, v[52:53]
	v_cvt_f64_i32_e32 v[52:53], v19
	v_add_f64 v[50:51], v[50:51], -v[52:53]
	v_add_f64 v[56:57], v[60:61], -v[56:57]
	v_add_f64 v[54:55], v[60:61], v[50:51]
	v_add_f64 v[56:57], v[70:71], -v[56:57]
	v_add_f64 v[50:51], v[54:55], -v[50:51]
	v_cmp_le_f64_e32 vcc, 0.5, v[54:55]
	v_add_f64 v[48:49], v[56:57], v[48:49]
	v_add_f64 v[50:51], v[60:61], -v[50:51]
	v_addc_co_u32_e64 v52, s[0:1], 0, v19, vcc
	v_cndmask_b32_e32 v19, 0, v23, vcc
	v_add_f64 v[48:49], v[48:49], v[50:51]
	v_add_f64 v[50:51], v[54:55], -v[18:19]
	v_add_f64 v[54:55], v[50:51], v[48:49]
	v_add_f64 v[50:51], v[54:55], -v[50:51]
	s_mov_b32 s30, s34
	v_add_f64 v[48:49], v[48:49], -v[50:51]
	v_mul_f64 v[50:51], v[54:55], s[30:31]
	v_fma_f64 v[56:57], v[54:55], s[30:31], -v[50:51]
	s_mov_b32 s39, s37
	v_fmac_f64_e32 v[56:57], s[38:39], v[54:55]
	v_fmac_f64_e32 v[56:57], s[30:31], v[48:49]
	v_add_f64 v[48:49], v[50:51], v[56:57]
	v_add_f64 v[50:51], v[48:49], -v[50:51]
	v_add_f64 v[50:51], v[56:57], -v[50:51]
	s_andn2_saveexec_b64 s[0:1], s[86:87]
	s_cbranch_execnz .LBB248_171
	s_branch .LBB248_172
.LBB248_170:                            ;   in Loop: Header=BB248_4 Depth=1
	s_andn2_saveexec_b64 s[0:1], s[86:87]
	s_cbranch_execz .LBB248_172
.LBB248_171:                            ;   in Loop: Header=BB248_4 Depth=1
	v_mul_f64 v[48:49], |v[4:5]|, s[40:41]
	v_rndne_f64_e32 v[52:53], v[48:49]
	v_fma_f64 v[48:49], v[52:53], s[34:35], |v[4:5]|
	v_mul_f64 v[54:55], v[52:53], s[42:43]
	v_add_f64 v[60:61], v[48:49], v[54:55]
	v_fma_f64 v[50:51], s[42:43], v[52:53], v[48:49]
	s_mov_b32 s36, s42
	v_add_f64 v[48:49], v[48:49], -v[60:61]
	v_fma_f64 v[56:57], s[36:37], v[52:53], v[54:55]
	v_add_f64 v[48:49], v[48:49], v[54:55]
	v_add_f64 v[54:55], v[60:61], -v[50:51]
	v_add_f64 v[48:49], v[54:55], v[48:49]
	v_add_f64 v[54:55], v[48:49], -v[56:57]
	v_fmac_f64_e32 v[54:55], s[44:45], v[52:53]
	v_add_f64 v[48:49], v[50:51], v[54:55]
	v_add_f64 v[50:51], v[48:49], -v[50:51]
	v_add_f64 v[50:51], v[54:55], -v[50:51]
	v_cvt_i32_f64_e32 v52, v[52:53]
.LBB248_172:                            ;   in Loop: Header=BB248_4 Depth=1
	s_or_b64 exec, exec, s[0:1]
	s_mov_b32 s46, s48
	v_mul_f64 v[54:55], v[2:3], s[46:47]
	v_rndne_f64_e32 v[54:55], v[54:55]
	v_fma_f64 v[56:57], v[54:55], s[50:51], -v[2:3]
	v_fmac_f64_e32 v[56:57], s[52:53], v[54:55]
	v_pk_mov_b32 v[60:61], v[24:25], v[24:25] op_sel:[0,1]
	v_fmac_f64_e32 v[60:61], s[54:55], v[56:57]
	v_pk_mov_b32 v[62:63], v[26:27], v[26:27] op_sel:[0,1]
	;; [unrolled: 2-line block ×9, first 2 shown]
	v_fmac_f64_e32 v[60:61], v[56:57], v[62:63]
	v_fma_f64 v[60:61], v[56:57], v[60:61], 1.0
	v_fma_f64 v[56:57], v[56:57], v[60:61], 1.0
	v_cvt_i32_f64_e32 v19, v[54:55]
	v_ldexp_f64 v[54:55], v[56:57], v19
	v_cmp_ngt_f64_e32 vcc, s[60:61], v[2:3]
	v_cmp_nlt_f64_e64 s[0:1], s[62:63], v[2:3]
	v_cndmask_b32_e32 v19, v58, v55, vcc
	s_and_b64 vcc, s[0:1], vcc
	v_cndmask_b32_e32 v2, 0, v54, vcc
	v_mul_f64 v[54:55], v[44:45], v[44:45]
	v_pk_mov_b32 v[64:65], s[64:65], s[64:65] op_sel:[0,1]
	v_mul_f64 v[56:57], v[54:55], 0.5
	v_fma_f64 v[66:67], s[66:67], v[54:55], v[64:65]
	v_add_f64 v[60:61], -v[56:57], 1.0
	v_fma_f64 v[66:67], v[54:55], v[66:67], s[68:69]
	v_add_f64 v[62:63], -v[60:61], 1.0
	v_fma_f64 v[66:67], v[54:55], v[66:67], s[70:71]
	v_add_f64 v[56:57], v[62:63], -v[56:57]
	v_fma_f64 v[66:67], v[54:55], v[66:67], s[72:73]
	v_mul_f64 v[62:63], v[54:55], v[54:55]
	v_fma_f64 v[66:67], v[54:55], v[66:67], s[58:59]
	v_fma_f64 v[56:57], v[44:45], -v[46:47], v[56:57]
	v_fmac_f64_e32 v[56:57], v[62:63], v[66:67]
	v_add_f64 v[56:57], v[60:61], v[56:57]
	v_pk_mov_b32 v[60:61], s[74:75], s[74:75] op_sel:[0,1]
	v_fma_f64 v[62:63], s[76:77], v[54:55], v[60:61]
	v_fma_f64 v[62:63], v[54:55], v[62:63], s[78:79]
	;; [unrolled: 1-line block ×4, first 2 shown]
	v_mul_f64 v[66:67], v[44:45], -v[54:55]
	v_mul_f64 v[68:69], v[46:47], 0.5
	v_fmac_f64_e32 v[68:69], v[66:67], v[62:63]
	v_fma_f64 v[46:47], v[54:55], v[68:69], -v[46:47]
	s_mov_b32 s82, s58
	v_fmac_f64_e32 v[46:47], s[82:83], v[66:67]
	v_add_f64 v[44:45], v[44:45], -v[46:47]
	v_cndmask_b32_e64 v3, 0, v19, s[0:1]
	v_xor_b32_e32 v19, 0x80000000, v45
	v_and_b32_e32 v45, 1, v42
	v_cmp_eq_u32_e32 vcc, 0, v45
	v_lshlrev_b32_e32 v42, 30, v42
	v_cndmask_b32_e32 v19, v19, v57, vcc
	v_and_b32_e32 v42, 0x80000000, v42
	v_cndmask_b32_e32 v44, v44, v56, vcc
	v_xor_b32_e32 v19, v19, v42
	v_cmp_class_f64_e64 vcc, v[4:5], s90
	v_cndmask_b32_e32 v4, 0, v44, vcc
	v_cndmask_b32_e32 v5, v59, v19, vcc
	v_mul_f64 v[44:45], v[2:3], v[4:5]
	v_mul_f64 v[4:5], v[48:49], v[48:49]
	v_mul_f64 v[46:47], v[4:5], 0.5
	v_fmac_f64_e32 v[64:65], s[66:67], v[4:5]
	v_add_f64 v[54:55], -v[46:47], 1.0
	v_fma_f64 v[62:63], v[4:5], v[64:65], s[68:69]
	v_add_f64 v[56:57], -v[54:55], 1.0
	v_fma_f64 v[62:63], v[4:5], v[62:63], s[70:71]
	v_add_f64 v[46:47], v[56:57], -v[46:47]
	v_fma_f64 v[62:63], v[4:5], v[62:63], s[72:73]
	v_mul_f64 v[56:57], v[4:5], v[4:5]
	v_fma_f64 v[62:63], v[4:5], v[62:63], s[58:59]
	v_fma_f64 v[46:47], v[48:49], -v[50:51], v[46:47]
	v_fmac_f64_e32 v[46:47], v[56:57], v[62:63]
	v_fmac_f64_e32 v[60:61], s[76:77], v[4:5]
	v_add_f64 v[46:47], v[54:55], v[46:47]
	v_fma_f64 v[54:55], v[4:5], v[60:61], s[78:79]
	v_fma_f64 v[54:55], v[4:5], v[54:55], s[80:81]
	;; [unrolled: 1-line block ×3, first 2 shown]
	v_mul_f64 v[56:57], v[48:49], -v[4:5]
	v_mul_f64 v[60:61], v[50:51], 0.5
	v_fmac_f64_e32 v[60:61], v[56:57], v[54:55]
	v_fma_f64 v[4:5], v[4:5], v[60:61], -v[50:51]
	v_and_b32_e32 v19, 1, v52
	v_fmac_f64_e32 v[4:5], s[82:83], v[56:57]
	v_cmp_eq_u32_e64 s[0:1], 0, v19
	v_lshlrev_b32_e32 v19, 30, v52
	v_add_f64 v[4:5], v[48:49], -v[4:5]
	v_xor_b32_e32 v19, v19, v43
	v_cndmask_b32_e64 v5, v47, v5, s[0:1]
	v_and_b32_e32 v19, 0x80000000, v19
	v_cndmask_b32_e64 v4, v46, v4, s[0:1]
	v_xor_b32_e32 v5, v5, v19
	v_cndmask_b32_e32 v4, 0, v4, vcc
	v_cndmask_b32_e32 v5, v59, v5, vcc
	v_mul_f64 v[42:43], v[2:3], v[4:5]
                                        ; implicit-def: $vgpr4_vgpr5
.LBB248_173:                            ;   in Loop: Header=BB248_4 Depth=1
	s_andn2_saveexec_b64 s[86:87], s[2:3]
	s_cbranch_execz .LBB248_183
; %bb.174:                              ;   in Loop: Header=BB248_4 Depth=1
	v_cmp_nlt_f64_e64 s[2:3], |v[4:5]|, s[24:25]
                                        ; implicit-def: $vgpr42
                                        ; implicit-def: $vgpr44_vgpr45
                                        ; implicit-def: $vgpr46_vgpr47
	s_and_saveexec_b64 s[0:1], s[2:3]
	s_xor_b64 s[88:89], exec, s[0:1]
	s_cbranch_execz .LBB248_176
; %bb.175:                              ;   in Loop: Header=BB248_4 Depth=1
	v_and_b32_e32 v19, 0x7fffffff, v5
	v_ldexp_f64 v[48:49], |v[4:5]|, s9
	v_cmp_ge_f64_e64 vcc, |v[4:5]|, s[26:27]
	v_trig_preop_f64 v[44:45], |v[4:5]|, 0
	v_cndmask_b32_e32 v49, v19, v49, vcc
	v_cndmask_b32_e32 v48, v4, v48, vcc
	v_trig_preop_f64 v[46:47], |v[4:5]|, 1
	v_mul_f64 v[52:53], v[44:45], v[48:49]
	v_mul_f64 v[50:51], v[46:47], v[48:49]
	v_fma_f64 v[44:45], v[44:45], v[48:49], -v[52:53]
	v_add_f64 v[54:55], v[50:51], v[44:45]
	v_add_f64 v[56:57], v[52:53], v[54:55]
	v_ldexp_f64 v[60:61], v[56:57], -2
	v_fract_f64_e32 v[62:63], v[60:61]
	v_cmp_neq_f64_e64 vcc, |v[60:61]|, s[28:29]
	v_cndmask_b32_e32 v61, 0, v63, vcc
	v_cndmask_b32_e32 v60, 0, v62, vcc
	v_add_f64 v[62:63], v[54:55], -v[50:51]
	v_add_f64 v[44:45], v[44:45], -v[62:63]
	;; [unrolled: 1-line block ×4, first 2 shown]
	v_fma_f64 v[46:47], v[46:47], v[48:49], -v[50:51]
	v_trig_preop_f64 v[50:51], |v[4:5]|, 2
	v_add_f64 v[44:45], v[44:45], v[62:63]
	v_mul_f64 v[62:63], v[50:51], v[48:49]
	v_add_f64 v[64:65], v[62:63], v[46:47]
	v_add_f64 v[66:67], v[64:65], v[44:45]
	v_add_f64 v[52:53], v[56:57], -v[52:53]
	v_add_f64 v[56:57], v[66:67], -v[64:65]
	;; [unrolled: 1-line block ×5, first 2 shown]
	v_add_f64 v[44:45], v[44:45], v[56:57]
	v_add_f64 v[56:57], v[64:65], -v[62:63]
	v_add_f64 v[46:47], v[46:47], -v[56:57]
	;; [unrolled: 1-line block ×4, first 2 shown]
	v_add_f64 v[46:47], v[46:47], v[56:57]
	v_add_f64 v[52:53], v[54:55], -v[52:53]
	v_add_f64 v[44:45], v[46:47], v[44:45]
	v_fma_f64 v[46:47], v[50:51], v[48:49], -v[62:63]
	v_add_f64 v[54:55], v[52:53], v[66:67]
	v_add_f64 v[44:45], v[46:47], v[44:45]
	v_ldexp_f64 v[46:47], v[60:61], 2
	v_add_f64 v[48:49], v[54:55], v[46:47]
	v_cmp_gt_f64_e32 vcc, 0, v[48:49]
	v_cndmask_b32_e32 v19, 0, v1, vcc
	v_add_f64 v[46:47], v[46:47], v[18:19]
	v_add_f64 v[48:49], v[54:55], v[46:47]
	v_cvt_i32_f64_e32 v19, v[48:49]
	v_cvt_f64_i32_e32 v[48:49], v19
	v_add_f64 v[46:47], v[46:47], -v[48:49]
	v_add_f64 v[52:53], v[54:55], -v[52:53]
	v_add_f64 v[48:49], v[54:55], v[46:47]
	v_add_f64 v[52:53], v[66:67], -v[52:53]
	v_add_f64 v[46:47], v[48:49], -v[46:47]
	v_cmp_le_f64_e32 vcc, 0.5, v[48:49]
	v_add_f64 v[44:45], v[52:53], v[44:45]
	v_add_f64 v[46:47], v[54:55], -v[46:47]
	v_addc_co_u32_e64 v42, s[0:1], 0, v19, vcc
	v_cndmask_b32_e32 v19, 0, v23, vcc
	v_add_f64 v[44:45], v[44:45], v[46:47]
	v_add_f64 v[46:47], v[48:49], -v[18:19]
	v_add_f64 v[48:49], v[46:47], v[44:45]
	v_add_f64 v[46:47], v[48:49], -v[46:47]
	s_mov_b32 s30, s34
	v_add_f64 v[44:45], v[44:45], -v[46:47]
	v_mul_f64 v[46:47], v[48:49], s[30:31]
	v_fma_f64 v[50:51], v[48:49], s[30:31], -v[46:47]
	s_mov_b32 s39, s37
	v_fmac_f64_e32 v[50:51], s[38:39], v[48:49]
	v_fmac_f64_e32 v[50:51], s[30:31], v[44:45]
	v_add_f64 v[44:45], v[46:47], v[50:51]
	v_add_f64 v[46:47], v[44:45], -v[46:47]
	v_add_f64 v[46:47], v[50:51], -v[46:47]
	s_andn2_saveexec_b64 s[0:1], s[88:89]
	s_cbranch_execz .LBB248_178
	s_branch .LBB248_177
.LBB248_176:                            ;   in Loop: Header=BB248_4 Depth=1
	s_andn2_saveexec_b64 s[0:1], s[88:89]
	s_cbranch_execz .LBB248_178
.LBB248_177:                            ;   in Loop: Header=BB248_4 Depth=1
	v_mul_f64 v[44:45], |v[4:5]|, s[40:41]
	v_rndne_f64_e32 v[48:49], v[44:45]
	v_fma_f64 v[44:45], v[48:49], s[34:35], |v[4:5]|
	v_mul_f64 v[50:51], v[48:49], s[42:43]
	v_add_f64 v[54:55], v[44:45], v[50:51]
	v_fma_f64 v[46:47], s[42:43], v[48:49], v[44:45]
	s_mov_b32 s36, s42
	v_add_f64 v[44:45], v[44:45], -v[54:55]
	v_fma_f64 v[52:53], s[36:37], v[48:49], v[50:51]
	v_add_f64 v[44:45], v[44:45], v[50:51]
	v_add_f64 v[50:51], v[54:55], -v[46:47]
	v_add_f64 v[44:45], v[50:51], v[44:45]
	v_add_f64 v[50:51], v[44:45], -v[52:53]
	v_fmac_f64_e32 v[50:51], s[44:45], v[48:49]
	v_add_f64 v[44:45], v[46:47], v[50:51]
	v_add_f64 v[46:47], v[44:45], -v[46:47]
	v_add_f64 v[46:47], v[50:51], -v[46:47]
	v_cvt_i32_f64_e32 v42, v[48:49]
.LBB248_178:                            ;   in Loop: Header=BB248_4 Depth=1
	s_or_b64 exec, exec, s[0:1]
                                        ; implicit-def: $vgpr52
                                        ; implicit-def: $vgpr48_vgpr49
                                        ; implicit-def: $vgpr50_vgpr51
	s_and_saveexec_b64 s[0:1], s[2:3]
	s_xor_b64 s[2:3], exec, s[0:1]
	s_cbranch_execz .LBB248_180
; %bb.179:                              ;   in Loop: Header=BB248_4 Depth=1
	v_and_b32_e32 v19, 0x7fffffff, v5
	v_ldexp_f64 v[52:53], |v[4:5]|, s9
	v_cmp_ge_f64_e64 vcc, |v[4:5]|, s[26:27]
	v_trig_preop_f64 v[48:49], |v[4:5]|, 0
	v_cndmask_b32_e32 v53, v19, v53, vcc
	v_cndmask_b32_e32 v52, v4, v52, vcc
	v_trig_preop_f64 v[50:51], |v[4:5]|, 1
	v_mul_f64 v[56:57], v[48:49], v[52:53]
	v_mul_f64 v[54:55], v[50:51], v[52:53]
	v_fma_f64 v[48:49], v[48:49], v[52:53], -v[56:57]
	v_add_f64 v[60:61], v[54:55], v[48:49]
	v_add_f64 v[62:63], v[56:57], v[60:61]
	v_ldexp_f64 v[64:65], v[62:63], -2
	v_fract_f64_e32 v[66:67], v[64:65]
	v_cmp_neq_f64_e64 vcc, |v[64:65]|, s[28:29]
	v_cndmask_b32_e32 v65, 0, v67, vcc
	v_cndmask_b32_e32 v64, 0, v66, vcc
	v_add_f64 v[66:67], v[60:61], -v[54:55]
	v_add_f64 v[48:49], v[48:49], -v[66:67]
	;; [unrolled: 1-line block ×4, first 2 shown]
	v_fma_f64 v[50:51], v[50:51], v[52:53], -v[54:55]
	v_trig_preop_f64 v[54:55], |v[4:5]|, 2
	v_add_f64 v[48:49], v[48:49], v[66:67]
	v_mul_f64 v[66:67], v[54:55], v[52:53]
	v_add_f64 v[68:69], v[66:67], v[50:51]
	v_add_f64 v[70:71], v[68:69], v[48:49]
	v_add_f64 v[56:57], v[62:63], -v[56:57]
	v_add_f64 v[62:63], v[70:71], -v[68:69]
	;; [unrolled: 1-line block ×5, first 2 shown]
	v_add_f64 v[48:49], v[48:49], v[62:63]
	v_add_f64 v[62:63], v[68:69], -v[66:67]
	v_add_f64 v[50:51], v[50:51], -v[62:63]
	;; [unrolled: 1-line block ×4, first 2 shown]
	v_add_f64 v[50:51], v[50:51], v[62:63]
	v_add_f64 v[56:57], v[60:61], -v[56:57]
	v_add_f64 v[48:49], v[50:51], v[48:49]
	v_fma_f64 v[50:51], v[54:55], v[52:53], -v[66:67]
	v_add_f64 v[60:61], v[56:57], v[70:71]
	v_add_f64 v[48:49], v[50:51], v[48:49]
	v_ldexp_f64 v[50:51], v[64:65], 2
	v_add_f64 v[52:53], v[60:61], v[50:51]
	v_cmp_gt_f64_e32 vcc, 0, v[52:53]
	v_cndmask_b32_e32 v19, 0, v1, vcc
	v_add_f64 v[50:51], v[50:51], v[18:19]
	v_add_f64 v[52:53], v[60:61], v[50:51]
	v_cvt_i32_f64_e32 v19, v[52:53]
	v_cvt_f64_i32_e32 v[52:53], v19
	v_add_f64 v[50:51], v[50:51], -v[52:53]
	v_add_f64 v[56:57], v[60:61], -v[56:57]
	v_add_f64 v[54:55], v[60:61], v[50:51]
	v_add_f64 v[56:57], v[70:71], -v[56:57]
	v_add_f64 v[50:51], v[54:55], -v[50:51]
	v_cmp_le_f64_e32 vcc, 0.5, v[54:55]
	v_add_f64 v[48:49], v[56:57], v[48:49]
	v_add_f64 v[50:51], v[60:61], -v[50:51]
	v_addc_co_u32_e64 v52, s[0:1], 0, v19, vcc
	v_cndmask_b32_e32 v19, 0, v23, vcc
	v_add_f64 v[48:49], v[48:49], v[50:51]
	v_add_f64 v[50:51], v[54:55], -v[18:19]
	v_add_f64 v[54:55], v[50:51], v[48:49]
	v_add_f64 v[50:51], v[54:55], -v[50:51]
	s_mov_b32 s30, s34
	v_add_f64 v[48:49], v[48:49], -v[50:51]
	v_mul_f64 v[50:51], v[54:55], s[30:31]
	v_fma_f64 v[56:57], v[54:55], s[30:31], -v[50:51]
	s_mov_b32 s39, s37
	v_fmac_f64_e32 v[56:57], s[38:39], v[54:55]
	v_fmac_f64_e32 v[56:57], s[30:31], v[48:49]
	v_add_f64 v[48:49], v[50:51], v[56:57]
	v_add_f64 v[50:51], v[48:49], -v[50:51]
	v_add_f64 v[50:51], v[56:57], -v[50:51]
	s_andn2_saveexec_b64 s[0:1], s[2:3]
	s_cbranch_execnz .LBB248_181
	s_branch .LBB248_182
.LBB248_180:                            ;   in Loop: Header=BB248_4 Depth=1
	s_andn2_saveexec_b64 s[0:1], s[2:3]
	s_cbranch_execz .LBB248_182
.LBB248_181:                            ;   in Loop: Header=BB248_4 Depth=1
	v_mul_f64 v[48:49], |v[4:5]|, s[40:41]
	v_rndne_f64_e32 v[52:53], v[48:49]
	v_fma_f64 v[48:49], v[52:53], s[34:35], |v[4:5]|
	v_mul_f64 v[54:55], v[52:53], s[42:43]
	v_add_f64 v[60:61], v[48:49], v[54:55]
	v_fma_f64 v[50:51], s[42:43], v[52:53], v[48:49]
	s_mov_b32 s36, s42
	v_add_f64 v[48:49], v[48:49], -v[60:61]
	v_fma_f64 v[56:57], s[36:37], v[52:53], v[54:55]
	v_add_f64 v[48:49], v[48:49], v[54:55]
	v_add_f64 v[54:55], v[60:61], -v[50:51]
	v_add_f64 v[48:49], v[54:55], v[48:49]
	v_add_f64 v[54:55], v[48:49], -v[56:57]
	v_fmac_f64_e32 v[54:55], s[44:45], v[52:53]
	v_add_f64 v[48:49], v[50:51], v[54:55]
	v_add_f64 v[50:51], v[48:49], -v[50:51]
	v_add_f64 v[50:51], v[54:55], -v[50:51]
	v_cvt_i32_f64_e32 v52, v[52:53]
.LBB248_182:                            ;   in Loop: Header=BB248_4 Depth=1
	s_or_b64 exec, exec, s[0:1]
	v_mul_f64 v[54:55], v[44:45], v[44:45]
	v_pk_mov_b32 v[64:65], s[64:65], s[64:65] op_sel:[0,1]
	v_mul_f64 v[56:57], v[54:55], 0.5
	v_fma_f64 v[66:67], s[66:67], v[54:55], v[64:65]
	v_add_f64 v[60:61], -v[56:57], 1.0
	v_fma_f64 v[66:67], v[54:55], v[66:67], s[68:69]
	v_fma_f64 v[66:67], v[54:55], v[66:67], s[70:71]
	v_add_f64 v[68:69], -v[60:61], 1.0
	v_fma_f64 v[66:67], v[54:55], v[66:67], s[72:73]
	v_add_f64 v[56:57], v[68:69], -v[56:57]
	v_mul_f64 v[62:63], v[54:55], v[54:55]
	v_fma_f64 v[66:67], v[54:55], v[66:67], s[58:59]
	v_fma_f64 v[56:57], v[44:45], -v[46:47], v[56:57]
	v_fmac_f64_e32 v[56:57], v[62:63], v[66:67]
	v_pk_mov_b32 v[62:63], s[74:75], s[74:75] op_sel:[0,1]
	v_fma_f64 v[66:67], s[76:77], v[54:55], v[62:63]
	v_fma_f64 v[66:67], v[54:55], v[66:67], s[78:79]
	;; [unrolled: 1-line block ×3, first 2 shown]
	v_add_f64 v[56:57], v[60:61], v[56:57]
	v_mul_f64 v[60:61], v[44:45], -v[54:55]
	v_fma_f64 v[66:67], v[54:55], v[66:67], s[56:57]
	v_mul_f64 v[68:69], v[46:47], 0.5
	v_fmac_f64_e32 v[68:69], v[60:61], v[66:67]
	v_fma_f64 v[46:47], v[54:55], v[68:69], -v[46:47]
	s_mov_b32 s82, s58
	v_fmac_f64_e32 v[46:47], s[82:83], v[60:61]
	v_and_b32_e32 v19, 1, v42
	v_add_f64 v[44:45], v[44:45], -v[46:47]
	s_mov_b32 s0, 0x19ba0da4
	v_xor_b32_e32 v45, 0x80000000, v45
	v_cmp_eq_u32_e32 vcc, 0, v19
	v_lshlrev_b32_e32 v42, 30, v42
	s_mov_b32 s1, 0xc0937be3
	v_cndmask_b32_e32 v19, v44, v56, vcc
	v_cndmask_b32_e32 v44, v45, v57, vcc
	v_and_b32_e32 v42, 0x80000000, v42
	v_add_f64 v[2:3], -v[2:3], s[0:1]
	v_xor_b32_e32 v42, v44, v42
	v_mul_f64 v[44:45], v[2:3], s[48:49]
	v_rndne_f64_e32 v[44:45], v[44:45]
	v_fma_f64 v[46:47], s[50:51], v[44:45], v[2:3]
	v_fmac_f64_e32 v[46:47], s[52:53], v[44:45]
	v_pk_mov_b32 v[54:55], v[24:25], v[24:25] op_sel:[0,1]
	v_fmac_f64_e32 v[54:55], s[54:55], v[46:47]
	v_pk_mov_b32 v[56:57], v[26:27], v[26:27] op_sel:[0,1]
	;; [unrolled: 2-line block ×9, first 2 shown]
	v_fmac_f64_e32 v[54:55], v[46:47], v[56:57]
	v_cmp_class_f64_e64 vcc, v[4:5], s90
	v_fma_f64 v[54:55], v[46:47], v[54:55], 1.0
	s_mov_b32 s0, 0
	v_cndmask_b32_e32 v4, 0, v19, vcc
	v_fma_f64 v[46:47], v[46:47], v[54:55], 1.0
	v_cvt_i32_f64_e32 v19, v[44:45]
	s_mov_b32 s1, 0x40900000
	s_mov_b32 s2, 0
	v_ldexp_f64 v[44:45], v[46:47], v19
	v_cmp_nlt_f64_e64 s[0:1], s[0:1], v[2:3]
	s_mov_b32 s3, 0xc090cc00
	v_cndmask_b32_e64 v19, v58, v45, s[0:1]
	v_cmp_ngt_f64_e64 s[2:3], s[2:3], v[2:3]
	v_cndmask_b32_e64 v19, 0, v19, s[2:3]
	v_and_b32_e32 v3, 0xfffff, v19
	v_lshrrev_b32_e32 v19, 20, v19
	v_cndmask_b32_e32 v5, v59, v42, vcc
	v_add_u32_e32 v42, 0xffffff09, v19
	v_lshrrev_b16_e32 v19, 15, v42
	v_add_u16_e32 v19, v42, v19
	s_and_b64 s[0:1], s[2:3], s[0:1]
	v_ashrrev_i16_e32 v19, 1, v19
	v_cndmask_b32_e64 v2, 0, v44, s[0:1]
	v_or_b32_e32 v3, 0x7fe00000, v3
	v_bfe_i32 v44, v19, 0, 16
	v_mul_f64 v[4:5], v[2:3], v[4:5]
	v_lshl_add_u32 v19, v44, 20, v23
	v_sub_u32_e32 v42, v42, v44
	v_mul_f64 v[4:5], v[4:5], v[18:19]
	v_lshl_add_u32 v47, v42, 20, v23
	v_mov_b32_e32 v46, v18
	v_mul_f64 v[44:45], v[4:5], v[46:47]
	v_mul_f64 v[4:5], v[48:49], v[48:49]
	v_mul_f64 v[54:55], v[4:5], 0.5
	v_fmac_f64_e32 v[64:65], s[66:67], v[4:5]
	v_add_f64 v[56:57], -v[54:55], 1.0
	v_fma_f64 v[64:65], v[4:5], v[64:65], s[68:69]
	v_add_f64 v[60:61], -v[56:57], 1.0
	v_fma_f64 v[64:65], v[4:5], v[64:65], s[70:71]
	v_add_f64 v[54:55], v[60:61], -v[54:55]
	v_fma_f64 v[64:65], v[4:5], v[64:65], s[72:73]
	v_mul_f64 v[60:61], v[4:5], v[4:5]
	v_fma_f64 v[64:65], v[4:5], v[64:65], s[58:59]
	v_fma_f64 v[54:55], v[48:49], -v[50:51], v[54:55]
	v_fmac_f64_e32 v[54:55], v[60:61], v[64:65]
	v_fmac_f64_e32 v[62:63], s[76:77], v[4:5]
	v_add_f64 v[54:55], v[56:57], v[54:55]
	v_fma_f64 v[56:57], v[4:5], v[62:63], s[78:79]
	v_fma_f64 v[56:57], v[4:5], v[56:57], s[80:81]
	;; [unrolled: 1-line block ×3, first 2 shown]
	v_mul_f64 v[60:61], v[48:49], -v[4:5]
	v_mul_f64 v[62:63], v[50:51], 0.5
	v_fmac_f64_e32 v[62:63], v[60:61], v[56:57]
	v_fma_f64 v[4:5], v[4:5], v[62:63], -v[50:51]
	v_and_b32_e32 v42, 1, v52
	v_fmac_f64_e32 v[4:5], s[82:83], v[60:61]
	v_cmp_eq_u32_e64 s[0:1], 0, v42
	v_lshlrev_b32_e32 v42, 30, v52
	v_add_f64 v[4:5], v[48:49], -v[4:5]
	v_xor_b32_e32 v42, v42, v43
	v_cndmask_b32_e64 v5, v55, v5, s[0:1]
	v_and_b32_e32 v42, 0x80000000, v42
	v_cndmask_b32_e64 v4, v54, v4, s[0:1]
	v_xor_b32_e32 v5, v5, v42
	v_cndmask_b32_e32 v4, 0, v4, vcc
	v_cndmask_b32_e32 v5, v59, v5, vcc
	v_mul_f64 v[2:3], v[2:3], v[4:5]
	v_mul_f64 v[2:3], v[2:3], v[18:19]
	;; [unrolled: 1-line block ×3, first 2 shown]
.LBB248_183:                            ;   in Loop: Header=BB248_4 Depth=1
	s_or_b64 exec, exec, s[86:87]
                                        ; implicit-def: $vgpr46_vgpr47
                                        ; implicit-def: $vgpr2_vgpr3
                                        ; implicit-def: $vgpr19
.LBB248_184:                            ;   in Loop: Header=BB248_4 Depth=1
	s_andn2_saveexec_b64 s[2:3], s[84:85]
	s_cbranch_execz .LBB248_190
; %bb.185:                              ;   in Loop: Header=BB248_4 Depth=1
	v_cmp_ne_u32_e32 vcc, 0, v46
	v_cmp_ne_u32_e64 s[0:1], s8, v19
	s_or_b64 s[0:1], vcc, s[0:1]
	v_add_f64 v[42:43], v[4:5], -v[4:5]
	s_and_saveexec_b64 s[84:85], s[0:1]
	s_xor_b64 s[0:1], exec, s[84:85]
; %bb.186:                              ;   in Loop: Header=BB248_4 Depth=1
                                        ; implicit-def: $vgpr46_vgpr47
                                        ; implicit-def: $vgpr2_vgpr3
; %bb.187:                              ;   in Loop: Header=BB248_4 Depth=1
	s_or_saveexec_b64 s[0:1], s[0:1]
	v_pk_mov_b32 v[44:45], v[42:43], v[42:43] op_sel:[0,1]
	s_xor_b64 exec, exec, s[0:1]
; %bb.188:                              ;   in Loop: Header=BB248_4 Depth=1
	v_cmp_lt_i64_e32 vcc, -1, v[46:47]
	v_cndmask_b32_e32 v45, 0, v47, vcc
	v_cndmask_b32_e32 v44, 0, v2, vcc
	v_cndmask_b32_e32 v43, 0, v43, vcc
	v_cndmask_b32_e32 v42, 0, v42, vcc
; %bb.189:                              ;   in Loop: Header=BB248_4 Depth=1
	s_or_b64 exec, exec, s[0:1]
.LBB248_190:                            ;   in Loop: Header=BB248_4 Depth=1
	s_or_b64 exec, exec, s[2:3]
                                        ; implicit-def: $vgpr4_vgpr5
.LBB248_191:                            ;   in Loop: Header=BB248_4 Depth=1
	s_andn2_saveexec_b64 s[2:3], s[94:95]
	s_cbranch_execz .LBB248_201
; %bb.192:                              ;   in Loop: Header=BB248_4 Depth=1
	v_cmp_nlt_f64_e64 s[84:85], |v[4:5]|, s[24:25]
	v_trig_preop_f64 v[50:51], |v[4:5]|, 0
	v_trig_preop_f64 v[48:49], |v[4:5]|, 1
	v_ldexp_f64 v[52:53], |v[4:5]|, s9
	v_trig_preop_f64 v[46:47], |v[4:5]|, 2
	v_and_b32_e32 v60, 0x7fffffff, v5
                                        ; implicit-def: $vgpr42
                                        ; implicit-def: $vgpr2_vgpr3
                                        ; implicit-def: $vgpr44_vgpr45
	s_and_saveexec_b64 s[0:1], s[84:85]
	s_xor_b64 s[86:87], exec, s[0:1]
	s_cbranch_execz .LBB248_194
; %bb.193:                              ;   in Loop: Header=BB248_4 Depth=1
	v_cmp_ge_f64_e64 vcc, |v[4:5]|, s[26:27]
	v_cndmask_b32_e32 v3, v60, v53, vcc
	v_cndmask_b32_e32 v2, v4, v52, vcc
	v_mul_f64 v[54:55], v[50:51], v[2:3]
	v_mul_f64 v[44:45], v[48:49], v[2:3]
	v_fma_f64 v[56:57], v[50:51], v[2:3], -v[54:55]
	v_add_f64 v[62:63], v[44:45], v[56:57]
	v_add_f64 v[64:65], v[54:55], v[62:63]
	v_ldexp_f64 v[66:67], v[64:65], -2
	v_fract_f64_e32 v[68:69], v[66:67]
	v_cmp_neq_f64_e64 vcc, |v[66:67]|, s[28:29]
	v_cndmask_b32_e32 v67, 0, v69, vcc
	v_cndmask_b32_e32 v66, 0, v68, vcc
	v_add_f64 v[68:69], v[62:63], -v[44:45]
	v_add_f64 v[56:57], v[56:57], -v[68:69]
	;; [unrolled: 1-line block ×4, first 2 shown]
	v_add_f64 v[56:57], v[56:57], v[68:69]
	v_fma_f64 v[44:45], v[48:49], v[2:3], -v[44:45]
	v_mul_f64 v[68:69], v[46:47], v[2:3]
	v_add_f64 v[70:71], v[68:69], v[44:45]
	v_add_f64 v[72:73], v[70:71], v[56:57]
	v_add_f64 v[54:55], v[64:65], -v[54:55]
	v_add_f64 v[64:65], v[72:73], -v[70:71]
	;; [unrolled: 1-line block ×5, first 2 shown]
	v_add_f64 v[56:57], v[56:57], v[64:65]
	v_add_f64 v[64:65], v[70:71], -v[68:69]
	v_add_f64 v[44:45], v[44:45], -v[64:65]
	;; [unrolled: 1-line block ×5, first 2 shown]
	v_add_f64 v[62:63], v[54:55], v[72:73]
	v_add_f64 v[44:45], v[44:45], v[64:65]
	v_add_f64 v[54:55], v[62:63], -v[54:55]
	v_add_f64 v[44:45], v[44:45], v[56:57]
	v_fma_f64 v[2:3], v[46:47], v[2:3], -v[68:69]
	v_add_f64 v[54:55], v[72:73], -v[54:55]
	v_add_f64 v[2:3], v[2:3], v[44:45]
	v_ldexp_f64 v[44:45], v[66:67], 2
	v_add_f64 v[2:3], v[54:55], v[2:3]
	v_add_f64 v[54:55], v[62:63], v[44:45]
	v_cmp_gt_f64_e32 vcc, 0, v[54:55]
	v_cndmask_b32_e32 v19, 0, v1, vcc
	v_add_f64 v[44:45], v[44:45], v[18:19]
	v_add_f64 v[54:55], v[62:63], v[44:45]
	v_cvt_i32_f64_e32 v19, v[54:55]
	v_cvt_f64_i32_e32 v[54:55], v19
	v_add_f64 v[44:45], v[44:45], -v[54:55]
	v_add_f64 v[54:55], v[62:63], v[44:45]
	v_add_f64 v[44:45], v[54:55], -v[44:45]
	v_cmp_le_f64_e32 vcc, 0.5, v[54:55]
	v_add_f64 v[44:45], v[62:63], -v[44:45]
	v_addc_co_u32_e64 v42, s[0:1], 0, v19, vcc
	v_cndmask_b32_e32 v19, 0, v23, vcc
	v_add_f64 v[2:3], v[2:3], v[44:45]
	v_add_f64 v[44:45], v[54:55], -v[18:19]
	v_add_f64 v[54:55], v[44:45], v[2:3]
	v_add_f64 v[44:45], v[54:55], -v[44:45]
	s_mov_b32 s30, s34
	v_add_f64 v[2:3], v[2:3], -v[44:45]
	v_mul_f64 v[44:45], v[54:55], s[30:31]
	v_fma_f64 v[56:57], v[54:55], s[30:31], -v[44:45]
	s_mov_b32 s39, s37
	v_fmac_f64_e32 v[56:57], s[38:39], v[54:55]
	v_fmac_f64_e32 v[56:57], s[30:31], v[2:3]
	v_add_f64 v[2:3], v[44:45], v[56:57]
	v_add_f64 v[44:45], v[2:3], -v[44:45]
	v_add_f64 v[44:45], v[56:57], -v[44:45]
	s_andn2_saveexec_b64 s[0:1], s[86:87]
	s_cbranch_execz .LBB248_196
	s_branch .LBB248_195
.LBB248_194:                            ;   in Loop: Header=BB248_4 Depth=1
	s_andn2_saveexec_b64 s[0:1], s[86:87]
	s_cbranch_execz .LBB248_196
.LBB248_195:                            ;   in Loop: Header=BB248_4 Depth=1
	v_mul_f64 v[2:3], |v[4:5]|, s[40:41]
	v_rndne_f64_e32 v[54:55], v[2:3]
	v_fma_f64 v[2:3], v[54:55], s[34:35], |v[4:5]|
	v_mul_f64 v[56:57], v[54:55], s[42:43]
	v_add_f64 v[64:65], v[2:3], v[56:57]
	v_fma_f64 v[44:45], s[42:43], v[54:55], v[2:3]
	s_mov_b32 s36, s42
	v_add_f64 v[2:3], v[2:3], -v[64:65]
	v_fma_f64 v[62:63], s[36:37], v[54:55], v[56:57]
	v_add_f64 v[2:3], v[2:3], v[56:57]
	v_add_f64 v[56:57], v[64:65], -v[44:45]
	v_add_f64 v[2:3], v[56:57], v[2:3]
	v_add_f64 v[56:57], v[2:3], -v[62:63]
	v_fmac_f64_e32 v[56:57], s[44:45], v[54:55]
	v_add_f64 v[2:3], v[44:45], v[56:57]
	v_add_f64 v[44:45], v[2:3], -v[44:45]
	v_add_f64 v[44:45], v[56:57], -v[44:45]
	v_cvt_i32_f64_e32 v42, v[54:55]
.LBB248_196:                            ;   in Loop: Header=BB248_4 Depth=1
	s_or_b64 exec, exec, s[0:1]
                                        ; implicit-def: $vgpr61
                                        ; implicit-def: $vgpr54_vgpr55
                                        ; implicit-def: $vgpr56_vgpr57
	s_and_saveexec_b64 s[0:1], s[84:85]
	s_xor_b64 s[84:85], exec, s[0:1]
	s_cbranch_execz .LBB248_198
; %bb.197:                              ;   in Loop: Header=BB248_4 Depth=1
	v_cmp_ge_f64_e64 vcc, |v[4:5]|, s[26:27]
	v_cndmask_b32_e32 v53, v60, v53, vcc
	v_cndmask_b32_e32 v52, v4, v52, vcc
	v_mul_f64 v[56:57], v[50:51], v[52:53]
	v_mul_f64 v[54:55], v[48:49], v[52:53]
	v_fma_f64 v[50:51], v[50:51], v[52:53], -v[56:57]
	v_add_f64 v[60:61], v[54:55], v[50:51]
	v_add_f64 v[62:63], v[56:57], v[60:61]
	v_ldexp_f64 v[64:65], v[62:63], -2
	v_fract_f64_e32 v[66:67], v[64:65]
	v_cmp_neq_f64_e64 vcc, |v[64:65]|, s[28:29]
	v_cndmask_b32_e32 v65, 0, v67, vcc
	v_cndmask_b32_e32 v64, 0, v66, vcc
	v_add_f64 v[66:67], v[60:61], -v[54:55]
	v_add_f64 v[50:51], v[50:51], -v[66:67]
	v_add_f64 v[66:67], v[60:61], -v[66:67]
	v_add_f64 v[66:67], v[54:55], -v[66:67]
	v_fma_f64 v[48:49], v[48:49], v[52:53], -v[54:55]
	v_mul_f64 v[54:55], v[46:47], v[52:53]
	v_add_f64 v[50:51], v[50:51], v[66:67]
	v_add_f64 v[66:67], v[54:55], v[48:49]
	;; [unrolled: 1-line block ×3, first 2 shown]
	v_add_f64 v[56:57], v[62:63], -v[56:57]
	v_add_f64 v[62:63], v[68:69], -v[66:67]
	;; [unrolled: 1-line block ×5, first 2 shown]
	v_add_f64 v[50:51], v[50:51], v[62:63]
	v_add_f64 v[62:63], v[66:67], -v[54:55]
	v_add_f64 v[48:49], v[48:49], -v[62:63]
	;; [unrolled: 1-line block ×4, first 2 shown]
	v_add_f64 v[48:49], v[48:49], v[62:63]
	v_add_f64 v[56:57], v[60:61], -v[56:57]
	v_add_f64 v[48:49], v[48:49], v[50:51]
	v_fma_f64 v[46:47], v[46:47], v[52:53], -v[54:55]
	v_add_f64 v[60:61], v[56:57], v[68:69]
	v_add_f64 v[46:47], v[46:47], v[48:49]
	v_ldexp_f64 v[48:49], v[64:65], 2
	v_add_f64 v[50:51], v[60:61], v[48:49]
	v_cmp_gt_f64_e32 vcc, 0, v[50:51]
	v_cndmask_b32_e32 v19, 0, v1, vcc
	v_add_f64 v[48:49], v[48:49], v[18:19]
	v_add_f64 v[50:51], v[60:61], v[48:49]
	v_cvt_i32_f64_e32 v19, v[50:51]
	v_cvt_f64_i32_e32 v[50:51], v19
	v_add_f64 v[48:49], v[48:49], -v[50:51]
	v_add_f64 v[56:57], v[60:61], -v[56:57]
	v_add_f64 v[50:51], v[60:61], v[48:49]
	v_add_f64 v[56:57], v[68:69], -v[56:57]
	v_add_f64 v[48:49], v[50:51], -v[48:49]
	v_cmp_le_f64_e32 vcc, 0.5, v[50:51]
	v_add_f64 v[46:47], v[56:57], v[46:47]
	v_add_f64 v[48:49], v[60:61], -v[48:49]
	v_addc_co_u32_e64 v61, s[0:1], 0, v19, vcc
	v_cndmask_b32_e32 v19, 0, v23, vcc
	v_add_f64 v[46:47], v[46:47], v[48:49]
	v_add_f64 v[48:49], v[50:51], -v[18:19]
	v_add_f64 v[50:51], v[48:49], v[46:47]
	v_add_f64 v[48:49], v[50:51], -v[48:49]
	s_mov_b32 s30, s34
	v_add_f64 v[46:47], v[46:47], -v[48:49]
	v_mul_f64 v[48:49], v[50:51], s[30:31]
	v_fma_f64 v[52:53], v[50:51], s[30:31], -v[48:49]
	s_mov_b32 s39, s37
	v_fmac_f64_e32 v[52:53], s[38:39], v[50:51]
	v_fmac_f64_e32 v[52:53], s[30:31], v[46:47]
	v_add_f64 v[54:55], v[48:49], v[52:53]
	v_add_f64 v[46:47], v[54:55], -v[48:49]
	v_add_f64 v[56:57], v[52:53], -v[46:47]
	s_andn2_saveexec_b64 s[0:1], s[84:85]
	s_cbranch_execnz .LBB248_199
	s_branch .LBB248_200
.LBB248_198:                            ;   in Loop: Header=BB248_4 Depth=1
	s_andn2_saveexec_b64 s[0:1], s[84:85]
	s_cbranch_execz .LBB248_200
.LBB248_199:                            ;   in Loop: Header=BB248_4 Depth=1
	v_mul_f64 v[46:47], |v[4:5]|, s[40:41]
	v_rndne_f64_e32 v[46:47], v[46:47]
	v_fma_f64 v[48:49], v[46:47], s[34:35], |v[4:5]|
	v_mul_f64 v[52:53], v[46:47], s[42:43]
	v_add_f64 v[56:57], v[48:49], v[52:53]
	v_fma_f64 v[50:51], s[42:43], v[46:47], v[48:49]
	s_mov_b32 s36, s42
	v_add_f64 v[48:49], v[48:49], -v[56:57]
	v_fma_f64 v[54:55], s[36:37], v[46:47], v[52:53]
	v_add_f64 v[48:49], v[48:49], v[52:53]
	v_add_f64 v[52:53], v[56:57], -v[50:51]
	v_add_f64 v[48:49], v[52:53], v[48:49]
	v_add_f64 v[48:49], v[48:49], -v[54:55]
	v_fmac_f64_e32 v[48:49], s[44:45], v[46:47]
	v_add_f64 v[54:55], v[50:51], v[48:49]
	v_add_f64 v[50:51], v[54:55], -v[50:51]
	v_add_f64 v[56:57], v[48:49], -v[50:51]
	v_cvt_i32_f64_e32 v61, v[46:47]
.LBB248_200:                            ;   in Loop: Header=BB248_4 Depth=1
	s_or_b64 exec, exec, s[0:1]
	v_mul_f64 v[46:47], v[2:3], v[2:3]
	v_pk_mov_b32 v[62:63], s[64:65], s[64:65] op_sel:[0,1]
	v_mul_f64 v[48:49], v[46:47], 0.5
	v_fma_f64 v[64:65], s[66:67], v[46:47], v[62:63]
	v_add_f64 v[50:51], -v[48:49], 1.0
	v_fma_f64 v[64:65], v[46:47], v[64:65], s[68:69]
	v_add_f64 v[52:53], -v[50:51], 1.0
	v_fma_f64 v[64:65], v[46:47], v[64:65], s[70:71]
	v_add_f64 v[48:49], v[52:53], -v[48:49]
	v_fma_f64 v[64:65], v[46:47], v[64:65], s[72:73]
	v_mul_f64 v[52:53], v[46:47], v[46:47]
	v_fma_f64 v[64:65], v[46:47], v[64:65], s[58:59]
	v_fma_f64 v[48:49], v[2:3], -v[44:45], v[48:49]
	v_fmac_f64_e32 v[48:49], v[52:53], v[64:65]
	v_add_f64 v[48:49], v[50:51], v[48:49]
	v_pk_mov_b32 v[50:51], s[74:75], s[74:75] op_sel:[0,1]
	v_fma_f64 v[52:53], s[76:77], v[46:47], v[50:51]
	v_fma_f64 v[52:53], v[46:47], v[52:53], s[78:79]
	;; [unrolled: 1-line block ×4, first 2 shown]
	v_mul_f64 v[64:65], v[2:3], -v[46:47]
	v_mul_f64 v[66:67], v[44:45], 0.5
	v_fmac_f64_e32 v[66:67], v[64:65], v[52:53]
	v_fma_f64 v[44:45], v[46:47], v[66:67], -v[44:45]
	s_mov_b32 s82, s58
	v_fmac_f64_e32 v[44:45], s[82:83], v[64:65]
	v_add_f64 v[2:3], v[2:3], -v[44:45]
	v_and_b32_e32 v19, 1, v42
	v_xor_b32_e32 v3, 0x80000000, v3
	v_cmp_eq_u32_e32 vcc, 0, v19
	v_lshlrev_b32_e32 v19, 30, v42
	v_cndmask_b32_e32 v3, v3, v49, vcc
	v_and_b32_e32 v19, 0x80000000, v19
	v_cndmask_b32_e32 v2, v2, v48, vcc
	v_xor_b32_e32 v3, v3, v19
	v_cmp_class_f64_e64 vcc, v[4:5], s90
	v_cndmask_b32_e32 v44, 0, v2, vcc
	v_cndmask_b32_e32 v45, v59, v3, vcc
	v_mul_f64 v[2:3], v[54:55], v[54:55]
	v_mul_f64 v[4:5], v[2:3], 0.5
	v_fmac_f64_e32 v[62:63], s[66:67], v[2:3]
	v_add_f64 v[46:47], -v[4:5], 1.0
	v_fma_f64 v[52:53], v[2:3], v[62:63], s[68:69]
	v_add_f64 v[48:49], -v[46:47], 1.0
	v_fma_f64 v[52:53], v[2:3], v[52:53], s[70:71]
	v_add_f64 v[4:5], v[48:49], -v[4:5]
	v_fma_f64 v[52:53], v[2:3], v[52:53], s[72:73]
	v_mul_f64 v[48:49], v[2:3], v[2:3]
	v_fma_f64 v[52:53], v[2:3], v[52:53], s[58:59]
	v_fma_f64 v[4:5], v[54:55], -v[56:57], v[4:5]
	v_fmac_f64_e32 v[4:5], v[48:49], v[52:53]
	v_fmac_f64_e32 v[50:51], s[76:77], v[2:3]
	v_add_f64 v[4:5], v[46:47], v[4:5]
	v_fma_f64 v[46:47], v[2:3], v[50:51], s[78:79]
	v_fma_f64 v[46:47], v[2:3], v[46:47], s[80:81]
	;; [unrolled: 1-line block ×3, first 2 shown]
	v_mul_f64 v[48:49], v[54:55], -v[2:3]
	v_mul_f64 v[50:51], v[56:57], 0.5
	v_fmac_f64_e32 v[50:51], v[48:49], v[46:47]
	v_fma_f64 v[2:3], v[2:3], v[50:51], -v[56:57]
	v_fmac_f64_e32 v[2:3], s[82:83], v[48:49]
	v_and_b32_e32 v19, 1, v61
	v_add_f64 v[2:3], v[54:55], -v[2:3]
	v_cmp_eq_u32_e64 s[0:1], 0, v19
	v_cndmask_b32_e64 v2, v4, v2, s[0:1]
	v_lshlrev_b32_e32 v4, 30, v61
	v_xor_b32_e32 v4, v4, v43
	v_cndmask_b32_e64 v3, v5, v3, s[0:1]
	v_and_b32_e32 v4, 0x80000000, v4
	v_xor_b32_e32 v3, v3, v4
	v_cndmask_b32_e32 v42, 0, v2, vcc
	v_cndmask_b32_e32 v43, v59, v3, vcc
.LBB248_201:                            ;   in Loop: Header=BB248_4 Depth=1
	s_or_b64 exec, exec, s[2:3]
                                        ; implicit-def: $vgpr2_vgpr3
.LBB248_202:                            ;   in Loop: Header=BB248_4 Depth=1
	s_andn2_saveexec_b64 s[2:3], s[92:93]
	s_cbranch_execz .LBB248_204
; %bb.203:                              ;   in Loop: Header=BB248_4 Depth=1
	s_mov_b32 s46, s48
	v_mul_f64 v[4:5], v[2:3], s[46:47]
	v_rndne_f64_e32 v[4:5], v[4:5]
	v_fma_f64 v[44:45], v[4:5], s[50:51], -v[2:3]
	v_fmac_f64_e32 v[44:45], s[52:53], v[4:5]
	v_pk_mov_b32 v[46:47], v[24:25], v[24:25] op_sel:[0,1]
	v_fmac_f64_e32 v[46:47], s[54:55], v[44:45]
	v_pk_mov_b32 v[48:49], v[26:27], v[26:27] op_sel:[0,1]
	;; [unrolled: 2-line block ×9, first 2 shown]
	v_fmac_f64_e32 v[46:47], v[44:45], v[48:49]
	v_fma_f64 v[46:47], v[44:45], v[46:47], 1.0
	v_fma_f64 v[44:45], v[44:45], v[46:47], 1.0
	v_cvt_i32_f64_e32 v4, v[4:5]
	v_ldexp_f64 v[4:5], v[44:45], v4
	v_cmp_ngt_f64_e32 vcc, s[60:61], v[2:3]
	v_cmp_nlt_f64_e64 s[0:1], s[62:63], v[2:3]
	v_cndmask_b32_e32 v5, v58, v5, vcc
	s_and_b64 vcc, s[0:1], vcc
	v_cndmask_b32_e64 v45, 0, v5, s[0:1]
	v_cndmask_b32_e32 v44, 0, v4, vcc
.LBB248_204:                            ;   in Loop: Header=BB248_4 Depth=1
	s_or_b64 exec, exec, s[2:3]
	v_add_f64 v[44:45], s[12:13], v[44:45]
	v_add_f64 v[42:43], s[14:15], v[42:43]
	v_xor_b32_e32 v2, 0x80000000, v45
	v_cmp_gt_f64_e32 vcc, 0, v[44:45]
	v_cndmask_b32_e32 v49, v45, v2, vcc
	v_cndmask_b32_e32 v48, v44, v44, vcc
	v_xor_b32_e32 v2, 0x80000000, v43
	v_cmp_gt_f64_e32 vcc, 0, v[42:43]
	v_cndmask_b32_e32 v47, v43, v2, vcc
	v_cndmask_b32_e32 v46, v42, v42, vcc
	v_cmp_ge_f64_e32 vcc, v[48:49], v[46:47]
                                        ; implicit-def: $vgpr4_vgpr5
	s_and_saveexec_b64 s[0:1], vcc
	s_xor_b64 s[2:3], exec, s[0:1]
	s_cbranch_execz .LBB248_210
; %bb.205:                              ;   in Loop: Header=BB248_4 Depth=1
	v_cmp_neq_f64_e32 vcc, 0, v[44:45]
	v_cmp_neq_f64_e64 s[0:1], 0, v[42:43]
	s_or_b64 s[0:1], vcc, s[0:1]
                                        ; implicit-def: $vgpr4_vgpr5
	s_and_saveexec_b64 s[84:85], s[0:1]
	s_xor_b64 s[0:1], exec, s[84:85]
	s_cbranch_execz .LBB248_207
; %bb.206:                              ;   in Loop: Header=BB248_4 Depth=1
	v_div_scale_f64 v[2:3], s[84:85], v[44:45], v[44:45], v[42:43]
	v_rcp_f64_e32 v[4:5], v[2:3]
	v_div_scale_f64 v[46:47], vcc, v[42:43], v[44:45], v[42:43]
	v_fma_f64 v[48:49], -v[2:3], v[4:5], 1.0
	v_fmac_f64_e32 v[4:5], v[4:5], v[48:49]
	v_fma_f64 v[48:49], -v[2:3], v[4:5], 1.0
	v_fmac_f64_e32 v[4:5], v[4:5], v[48:49]
	v_mul_f64 v[48:49], v[46:47], v[4:5]
	v_fma_f64 v[2:3], -v[2:3], v[48:49], v[46:47]
	v_div_fmas_f64 v[2:3], v[2:3], v[4:5], v[48:49]
	v_div_fixup_f64 v[4:5], v[2:3], v[44:45], v[42:43]
	v_fmac_f64_e32 v[44:45], v[42:43], v[4:5]
	v_div_scale_f64 v[2:3], s[84:85], v[44:45], v[44:45], 1.0
	v_rcp_f64_e32 v[42:43], v[2:3]
	v_fma_f64 v[46:47], -v[2:3], v[42:43], 1.0
	v_fmac_f64_e32 v[42:43], v[42:43], v[46:47]
	v_fma_f64 v[46:47], -v[2:3], v[42:43], 1.0
	v_fmac_f64_e32 v[42:43], v[42:43], v[46:47]
	v_div_scale_f64 v[46:47], vcc, 1.0, v[44:45], 1.0
	v_mul_f64 v[48:49], v[46:47], v[42:43]
	v_fma_f64 v[2:3], -v[2:3], v[48:49], v[46:47]
                                        ; implicit-def: $vgpr46_vgpr47
	s_nop 1
	v_div_fmas_f64 v[2:3], v[2:3], v[42:43], v[48:49]
	v_div_fixup_f64 v[42:43], v[2:3], v[44:45], 1.0
	v_pk_mov_b32 v[2:3], s[12:13], s[12:13] op_sel:[0,1]
	v_pk_mov_b32 v[44:45], s[14:15], s[14:15] op_sel:[0,1]
	v_fma_f64 v[2:3], s[14:15], v[4:5], v[2:3]
	v_fma_f64 v[4:5], -s[12:13], v[4:5], v[44:45]
	v_mul_f64 v[2:3], v[2:3], v[42:43]
	v_mul_f64 v[4:5], v[4:5], v[42:43]
                                        ; implicit-def: $vgpr48_vgpr49
.LBB248_207:                            ;   in Loop: Header=BB248_4 Depth=1
	s_andn2_saveexec_b64 s[0:1], s[0:1]
	s_cbranch_execz .LBB248_209
; %bb.208:                              ;   in Loop: Header=BB248_4 Depth=1
	v_div_scale_f64 v[2:3], s[84:85], v[48:49], v[48:49], s[12:13]
	v_rcp_f64_e32 v[4:5], v[2:3]
	v_div_scale_f64 v[42:43], vcc, s[12:13], v[48:49], s[12:13]
	v_fma_f64 v[44:45], -v[2:3], v[4:5], 1.0
	v_fmac_f64_e32 v[4:5], v[4:5], v[44:45]
	v_fma_f64 v[44:45], -v[2:3], v[4:5], 1.0
	v_fmac_f64_e32 v[4:5], v[4:5], v[44:45]
	v_mul_f64 v[44:45], v[42:43], v[4:5]
	v_fma_f64 v[2:3], -v[2:3], v[44:45], v[42:43]
	v_div_scale_f64 v[42:43], s[84:85], v[46:47], v[46:47], s[14:15]
	v_rcp_f64_e32 v[50:51], v[42:43]
	v_div_fmas_f64 v[2:3], v[2:3], v[4:5], v[44:45]
	v_div_fixup_f64 v[2:3], v[2:3], v[48:49], s[12:13]
	v_fma_f64 v[4:5], -v[42:43], v[50:51], 1.0
	v_fmac_f64_e32 v[50:51], v[50:51], v[4:5]
	v_fma_f64 v[4:5], -v[42:43], v[50:51], 1.0
	v_fmac_f64_e32 v[50:51], v[50:51], v[4:5]
	v_div_scale_f64 v[4:5], vcc, s[14:15], v[46:47], s[14:15]
	v_mul_f64 v[44:45], v[4:5], v[50:51]
	v_fma_f64 v[4:5], -v[42:43], v[44:45], v[4:5]
	s_nop 1
	v_div_fmas_f64 v[4:5], v[4:5], v[50:51], v[44:45]
	v_div_fixup_f64 v[4:5], v[4:5], v[46:47], s[14:15]
.LBB248_209:                            ;   in Loop: Header=BB248_4 Depth=1
	s_or_b64 exec, exec, s[0:1]
                                        ; implicit-def: $vgpr42_vgpr43
                                        ; implicit-def: $vgpr44_vgpr45
.LBB248_210:                            ;   in Loop: Header=BB248_4 Depth=1
	s_andn2_saveexec_b64 s[0:1], s[2:3]
	s_cbranch_execz .LBB248_3
; %bb.211:                              ;   in Loop: Header=BB248_4 Depth=1
	v_div_scale_f64 v[2:3], s[2:3], v[42:43], v[42:43], v[44:45]
	v_rcp_f64_e32 v[4:5], v[2:3]
	v_div_scale_f64 v[46:47], vcc, v[44:45], v[42:43], v[44:45]
	v_fma_f64 v[48:49], -v[2:3], v[4:5], 1.0
	v_fmac_f64_e32 v[4:5], v[4:5], v[48:49]
	v_fma_f64 v[48:49], -v[2:3], v[4:5], 1.0
	v_fmac_f64_e32 v[4:5], v[4:5], v[48:49]
	v_mul_f64 v[48:49], v[46:47], v[4:5]
	v_fma_f64 v[2:3], -v[2:3], v[48:49], v[46:47]
	v_div_fmas_f64 v[2:3], v[2:3], v[4:5], v[48:49]
	v_div_fixup_f64 v[4:5], v[2:3], v[42:43], v[44:45]
	v_fmac_f64_e32 v[42:43], v[44:45], v[4:5]
	v_div_scale_f64 v[2:3], s[2:3], v[42:43], v[42:43], 1.0
	v_rcp_f64_e32 v[44:45], v[2:3]
	v_fma_f64 v[46:47], -v[2:3], v[44:45], 1.0
	v_fmac_f64_e32 v[44:45], v[44:45], v[46:47]
	v_fma_f64 v[46:47], -v[2:3], v[44:45], 1.0
	v_fmac_f64_e32 v[44:45], v[44:45], v[46:47]
	v_div_scale_f64 v[46:47], vcc, 1.0, v[42:43], 1.0
	v_mul_f64 v[48:49], v[46:47], v[44:45]
	v_fma_f64 v[2:3], -v[2:3], v[48:49], v[46:47]
	s_nop 1
	v_div_fmas_f64 v[2:3], v[2:3], v[44:45], v[48:49]
	v_div_fixup_f64 v[42:43], v[2:3], v[42:43], 1.0
	v_pk_mov_b32 v[2:3], s[14:15], s[14:15] op_sel:[0,1]
	v_pk_mov_b32 v[44:45], s[12:13], s[12:13] op_sel:[0,1]
	v_fma_f64 v[2:3], s[12:13], v[4:5], v[2:3]
	v_fma_f64 v[4:5], s[14:15], v[4:5], -v[44:45]
	v_mul_f64 v[2:3], v[2:3], v[42:43]
	v_mul_f64 v[4:5], v[4:5], v[42:43]
	s_branch .LBB248_3
.LBB248_212:
	v_readlane_b32 s0, v86, 4
	v_readlane_b32 s1, v86, 5
	s_or_b64 exec, exec, s[0:1]
	s_mov_b64 s[0:1], 0
.LBB248_213:
	s_andn2_b64 vcc, exec, s[0:1]
	s_cbranch_vccnz .LBB248_441
; %bb.214:
	v_cmp_lt_i64_e64 s[0:1], s[18:19], 1
	s_and_b64 vcc, exec, s[0:1]
	s_cbranch_vccnz .LBB248_441
; %bb.215:
	s_load_dword s0, s[4:5], 0xc6c
	v_mov_b32_e32 v2, 0x10000
	v_mov_b32_e32 v3, 0
	v_readlane_b32 s4, v86, 0
	v_cmp_lt_u64_e32 vcc, s[18:19], v[2:3]
	s_waitcnt lgkmcnt(0)
	s_and_b32 s33, s0, 0xffff
	v_lshl_or_b32 v2, v0, 4, 8
	v_readlane_b32 s5, v86, 1
	s_and_b64 s[0:1], vcc, exec
	v_mov_b32_e32 v6, s5
	v_add_co_u32_e32 v20, vcc, s4, v2
	v_readlane_b32 s2, v86, 2
	v_addc_co_u32_e32 v21, vcc, 0, v6, vcc
	v_readlane_b32 s3, v86, 3
	v_mov_b32_e32 v7, s3
	v_add_co_u32_e32 v22, vcc, s2, v2
	v_mov_b32_e32 v18, 0
	v_addc_co_u32_e32 v23, vcc, 0, v7, vcc
	v_add_lshl_u32 v8, v0, s33, 4
	v_mov_b32_e32 v3, v18
	v_add_co_u32_e32 v24, vcc, s2, v8
	v_addc_co_u32_e32 v25, vcc, 0, v7, vcc
	v_mad_u64_u32 v[4:5], s[0:1], s33, 48, v[2:3]
	v_add_co_u32_e32 v26, vcc, s4, v4
	v_addc_co_u32_e32 v27, vcc, v6, v5, vcc
	v_add_co_u32_e32 v28, vcc, s4, v8
	v_addc_co_u32_e32 v29, vcc, 0, v6, vcc
	v_add_co_u32_e32 v30, vcc, s2, v4
	s_cselect_b32 s21, s19, 0
	s_cselect_b32 s20, s18, 0x10000
	v_addc_co_u32_e32 v31, vcc, v7, v5, vcc
	s_lshl_b32 s0, s33, 5
	v_add_co_u32_e32 v2, vcc, s0, v2
	v_addc_co_u32_e64 v3, s[0:1], 0, 0, vcc
	v_add_co_u32_e32 v32, vcc, s4, v2
	s_mov_b32 s28, 0
	v_addc_co_u32_e32 v33, vcc, v6, v3, vcc
	s_lshl_b32 s22, s33, 2
	s_mov_b32 s23, s28
	v_add_co_u32_e32 v34, vcc, s2, v2
	s_mov_b32 s34, 0x54442d18
	s_mov_b32 s40, 0x6dc9c883
	;; [unrolled: 1-line block ×21, first 2 shown]
	v_mov_b32_e32 v1, v18
	s_lshl_b32 s24, s33, 1
	s_mov_b32 s25, s28
	s_mov_b32 s26, s28
	s_lshl_b32 s27, s33, 6
	v_addc_co_u32_e32 v35, vcc, v7, v3, vcc
	s_mov_b32 s31, 0x3ff921fb
	s_mov_b32 s35, 0xbff921fb
	;; [unrolled: 1-line block ×26, first 2 shown]
	s_movk_i32 s29, 0x1f8
	v_mov_b32_e32 v64, 0x40100000
	v_mov_b32_e32 v65, 0x3ff00000
	;; [unrolled: 1-line block ×22, first 2 shown]
	s_mov_b64 s[90:91], s[22:23]
	s_branch .LBB248_217
.LBB248_216:                            ;   in Loop: Header=BB248_217 Depth=1
	s_or_b64 exec, exec, s[0:1]
	v_pk_mov_b32 v[2:3], s[18:19], s[18:19] op_sel:[0,1]
	v_cmp_ge_i64_e32 vcc, s[90:91], v[2:3]
	v_mov_b32_e32 v2, 0xffff
	v_mov_b32_e32 v3, 0
	v_cmp_gt_u64_e64 s[0:1], s[90:91], v[2:3]
	s_or_b64 s[0:1], vcc, s[0:1]
	v_mov_b32_e32 v2, s23
	v_add_co_u32_e32 v0, vcc, s22, v0
	v_addc_co_u32_e32 v1, vcc, v1, v2, vcc
	v_mov_b32_e32 v2, s28
	v_add_co_u32_e32 v20, vcc, s27, v20
	v_addc_co_u32_e32 v21, vcc, v21, v2, vcc
	v_add_co_u32_e32 v22, vcc, s27, v22
	v_addc_co_u32_e32 v23, vcc, v23, v2, vcc
	;; [unrolled: 2-line block ×7, first 2 shown]
	v_add_co_u32_e32 v34, vcc, s27, v34
	s_add_u32 s90, s90, s22
	v_addc_co_u32_e32 v35, vcc, v35, v2, vcc
	s_addc_u32 s91, s91, 0
	s_and_b64 vcc, exec, s[0:1]
	s_cbranch_vccnz .LBB248_441
.LBB248_217:                            ; =>This Inner Loop Header: Depth=1
	v_pk_mov_b32 v[16:17], 0, 0
	v_cmp_gt_u64_e64 s[0:1], s[20:21], v[0:1]
	v_pk_mov_b32 v[8:9], v[16:17], v[16:17] op_sel:[0,1]
	v_pk_mov_b32 v[6:7], v[16:17], v[16:17] op_sel:[0,1]
	s_and_saveexec_b64 s[2:3], s[0:1]
	s_cbranch_execz .LBB248_219
; %bb.218:                              ;   in Loop: Header=BB248_217 Depth=1
	v_mov_b32_e32 v3, s17
	v_add_co_u32_e32 v2, vcc, s16, v20
	v_addc_co_u32_e32 v3, vcc, v21, v3, vcc
	global_load_dwordx4 v[6:9], v[2:3], off offset:-8
.LBB248_219:                            ;   in Loop: Header=BB248_217 Depth=1
	s_or_b64 exec, exec, s[2:3]
	s_mov_b32 s2, 0
	v_mov_b32_e32 v3, s2
	v_add_co_u32_e32 v2, vcc, s33, v0
	v_addc_co_u32_e32 v3, vcc, v3, v1, vcc
	v_cmp_gt_u64_e64 s[2:3], s[20:21], v[2:3]
	v_pk_mov_b32 v[14:15], v[16:17], v[16:17] op_sel:[0,1]
	s_and_saveexec_b64 s[4:5], s[2:3]
	s_cbranch_execz .LBB248_221
; %bb.220:                              ;   in Loop: Header=BB248_217 Depth=1
	v_mov_b32_e32 v3, s17
	v_add_co_u32_e32 v2, vcc, s16, v28
	v_addc_co_u32_e32 v3, vcc, v29, v3, vcc
	global_load_dwordx4 v[14:17], v[2:3], off
.LBB248_221:                            ;   in Loop: Header=BB248_217 Depth=1
	s_or_b64 exec, exec, s[4:5]
	v_mov_b32_e32 v3, s25
	v_add_co_u32_e32 v2, vcc, s24, v0
	v_addc_co_u32_e32 v3, vcc, v3, v1, vcc
	v_pk_mov_b32 v[4:5], 0, 0
	v_cmp_gt_u64_e64 s[4:5], s[20:21], v[2:3]
	v_pk_mov_b32 v[12:13], v[4:5], v[4:5] op_sel:[0,1]
	v_pk_mov_b32 v[10:11], v[4:5], v[4:5] op_sel:[0,1]
	s_and_saveexec_b64 s[6:7], s[4:5]
	s_cbranch_execz .LBB248_223
; %bb.222:                              ;   in Loop: Header=BB248_217 Depth=1
	v_mov_b32_e32 v3, s17
	v_add_co_u32_e32 v2, vcc, s16, v32
	v_addc_co_u32_e32 v3, vcc, v33, v3, vcc
	global_load_dwordx4 v[10:13], v[2:3], off offset:-8
.LBB248_223:                            ;   in Loop: Header=BB248_217 Depth=1
	s_or_b64 exec, exec, s[6:7]
	s_mul_i32 s6, s33, 3
	v_mov_b32_e32 v3, s26
	v_add_co_u32_e32 v2, vcc, s6, v0
	v_addc_co_u32_e32 v3, vcc, v3, v1, vcc
	v_cmp_gt_u64_e64 s[6:7], s[20:21], v[2:3]
	v_pk_mov_b32 v[2:3], v[4:5], v[4:5] op_sel:[0,1]
	s_and_saveexec_b64 s[8:9], s[6:7]
	s_cbranch_execz .LBB248_225
; %bb.224:                              ;   in Loop: Header=BB248_217 Depth=1
	v_mov_b32_e32 v3, s17
	v_add_co_u32_e32 v2, vcc, s16, v26
	v_addc_co_u32_e32 v3, vcc, v27, v3, vcc
	global_load_dwordx4 v[2:5], v[2:3], off offset:-8
.LBB248_225:                            ;   in Loop: Header=BB248_217 Depth=1
	s_or_b64 exec, exec, s[8:9]
	s_waitcnt vmcnt(0)
	v_xor_b32_e32 v55, 0x80000000, v9
	v_mov_b32_e32 v54, v8
	v_and_b32_e32 v60, 0x7fffffff, v55
	v_or_b32_e32 v19, v60, v54
	v_cmp_ne_u32_e32 vcc, 0, v19
                                        ; implicit-def: $vgpr56_vgpr57
	s_and_saveexec_b64 s[8:9], vcc
	s_xor_b64 s[92:93], exec, s[8:9]
	s_cbranch_execz .LBB248_266
; %bb.226:                              ;   in Loop: Header=BB248_217 Depth=1
	v_xor_b32_e32 v59, 0x80000000, v7
	v_mov_b32_e32 v58, v6
	v_and_b32_e32 v19, 0x7fffffff, v59
	v_or_b32_e32 v54, v19, v58
	v_cmp_ne_u32_e32 vcc, 0, v54
                                        ; implicit-def: $vgpr56_vgpr57
	s_and_saveexec_b64 s[8:9], vcc
	s_xor_b64 s[94:95], exec, s[8:9]
	s_cbranch_execz .LBB248_255
; %bb.227:                              ;   in Loop: Header=BB248_217 Depth=1
	s_mov_b32 s8, 0x7ff00000
	v_cmp_gt_u32_e32 vcc, s8, v60
                                        ; implicit-def: $vgpr56_vgpr57
	s_and_saveexec_b64 s[8:9], vcc
	s_xor_b64 s[84:85], exec, s[8:9]
	s_cbranch_execz .LBB248_248
; %bb.228:                              ;   in Loop: Header=BB248_217 Depth=1
	v_add_u32_e32 v19, 0xbf79d1be, v59
	s_mov_b32 s8, 0x108aa2
	v_cmp_lt_u32_e32 vcc, s8, v19
                                        ; implicit-def: $vgpr56_vgpr57
	s_and_saveexec_b64 s[8:9], vcc
	s_xor_b64 s[10:11], exec, s[8:9]
	s_cbranch_execz .LBB248_238
; %bb.229:                              ;   in Loop: Header=BB248_217 Depth=1
	s_mov_b32 s8, 0
	s_mov_b32 s9, 0x41d00000
	v_cmp_nlt_f64_e64 s[86:87], |v[8:9]|, s[8:9]
                                        ; implicit-def: $vgpr54
                                        ; implicit-def: $vgpr56_vgpr57
                                        ; implicit-def: $vgpr58_vgpr59
	s_and_saveexec_b64 s[8:9], s[86:87]
	s_xor_b64 s[88:89], exec, s[8:9]
	s_cbranch_execz .LBB248_231
; %bb.230:                              ;   in Loop: Header=BB248_217 Depth=1
	s_movk_i32 s8, 0xff80
	v_ldexp_f64 v[60:61], |v[8:9]|, s8
	s_mov_b32 s8, 0
	s_mov_b32 s9, 0x7b000000
	v_and_b32_e32 v19, 0x7fffffff, v9
	v_cmp_ge_f64_e64 vcc, |v[8:9]|, s[8:9]
	v_trig_preop_f64 v[56:57], |v[8:9]|, 0
	v_cndmask_b32_e32 v61, v19, v61, vcc
	v_cndmask_b32_e32 v60, v8, v60, vcc
	v_trig_preop_f64 v[58:59], |v[8:9]|, 1
	v_mul_f64 v[68:69], v[56:57], v[60:61]
	v_mul_f64 v[62:63], v[58:59], v[60:61]
	v_fma_f64 v[56:57], v[56:57], v[60:61], -v[68:69]
	v_add_f64 v[70:71], v[62:63], v[56:57]
	v_add_f64 v[72:73], v[68:69], v[70:71]
	s_mov_b32 s8, 0
	v_ldexp_f64 v[74:75], v[72:73], -2
	s_mov_b32 s9, 0x7ff00000
	v_fract_f64_e32 v[76:77], v[74:75]
	v_cmp_neq_f64_e64 vcc, |v[74:75]|, s[8:9]
	v_cndmask_b32_e32 v75, 0, v77, vcc
	v_cndmask_b32_e32 v74, 0, v76, vcc
	v_add_f64 v[76:77], v[70:71], -v[62:63]
	v_add_f64 v[56:57], v[56:57], -v[76:77]
	;; [unrolled: 1-line block ×4, first 2 shown]
	v_fma_f64 v[58:59], v[58:59], v[60:61], -v[62:63]
	v_trig_preop_f64 v[62:63], |v[8:9]|, 2
	v_add_f64 v[56:57], v[56:57], v[76:77]
	v_mul_f64 v[76:77], v[62:63], v[60:61]
	v_add_f64 v[78:79], v[76:77], v[58:59]
	v_add_f64 v[80:81], v[78:79], v[56:57]
	v_add_f64 v[68:69], v[72:73], -v[68:69]
	v_add_f64 v[72:73], v[80:81], -v[78:79]
	;; [unrolled: 1-line block ×5, first 2 shown]
	v_add_f64 v[56:57], v[56:57], v[72:73]
	v_add_f64 v[72:73], v[78:79], -v[76:77]
	v_add_f64 v[58:59], v[58:59], -v[72:73]
	;; [unrolled: 1-line block ×4, first 2 shown]
	v_add_f64 v[58:59], v[58:59], v[72:73]
	v_add_f64 v[68:69], v[70:71], -v[68:69]
	v_add_f64 v[56:57], v[58:59], v[56:57]
	v_fma_f64 v[58:59], v[62:63], v[60:61], -v[76:77]
	v_add_f64 v[70:71], v[68:69], v[80:81]
	v_add_f64 v[56:57], v[58:59], v[56:57]
	v_ldexp_f64 v[58:59], v[74:75], 2
	v_add_f64 v[60:61], v[70:71], v[58:59]
	v_cmp_gt_f64_e32 vcc, 0, v[60:61]
	v_cndmask_b32_e32 v19, 0, v64, vcc
	v_add_f64 v[58:59], v[58:59], v[18:19]
	v_add_f64 v[60:61], v[70:71], v[58:59]
	v_cvt_i32_f64_e32 v19, v[60:61]
	v_cvt_f64_i32_e32 v[60:61], v19
	v_add_f64 v[58:59], v[58:59], -v[60:61]
	v_add_f64 v[68:69], v[70:71], -v[68:69]
	v_add_f64 v[60:61], v[70:71], v[58:59]
	v_add_f64 v[68:69], v[80:81], -v[68:69]
	v_add_f64 v[58:59], v[60:61], -v[58:59]
	v_cmp_le_f64_e32 vcc, 0.5, v[60:61]
	v_add_f64 v[56:57], v[68:69], v[56:57]
	v_add_f64 v[58:59], v[70:71], -v[58:59]
	v_addc_co_u32_e64 v54, s[8:9], 0, v19, vcc
	v_cndmask_b32_e32 v19, 0, v65, vcc
	v_add_f64 v[56:57], v[56:57], v[58:59]
	v_add_f64 v[58:59], v[60:61], -v[18:19]
	v_add_f64 v[60:61], v[58:59], v[56:57]
	v_add_f64 v[58:59], v[60:61], -v[58:59]
	s_mov_b32 s30, s34
	v_add_f64 v[56:57], v[56:57], -v[58:59]
	v_mul_f64 v[58:59], v[60:61], s[30:31]
	v_fma_f64 v[62:63], v[60:61], s[30:31], -v[58:59]
	s_mov_b32 s39, s37
	v_fmac_f64_e32 v[62:63], s[38:39], v[60:61]
	v_fmac_f64_e32 v[62:63], s[30:31], v[56:57]
	v_add_f64 v[56:57], v[58:59], v[62:63]
	v_add_f64 v[58:59], v[56:57], -v[58:59]
	v_add_f64 v[58:59], v[62:63], -v[58:59]
	s_andn2_saveexec_b64 s[8:9], s[88:89]
	s_cbranch_execz .LBB248_233
	s_branch .LBB248_232
.LBB248_231:                            ;   in Loop: Header=BB248_217 Depth=1
	s_andn2_saveexec_b64 s[8:9], s[88:89]
	s_cbranch_execz .LBB248_233
.LBB248_232:                            ;   in Loop: Header=BB248_217 Depth=1
	v_mul_f64 v[56:57], |v[8:9]|, s[40:41]
	v_rndne_f64_e32 v[60:61], v[56:57]
	v_fma_f64 v[56:57], v[60:61], s[34:35], |v[8:9]|
	v_mul_f64 v[62:63], v[60:61], s[42:43]
	v_add_f64 v[70:71], v[56:57], v[62:63]
	v_fma_f64 v[58:59], s[42:43], v[60:61], v[56:57]
	s_mov_b32 s36, s42
	v_add_f64 v[56:57], v[56:57], -v[70:71]
	v_fma_f64 v[68:69], s[36:37], v[60:61], v[62:63]
	v_add_f64 v[56:57], v[56:57], v[62:63]
	v_add_f64 v[62:63], v[70:71], -v[58:59]
	v_add_f64 v[56:57], v[62:63], v[56:57]
	v_add_f64 v[62:63], v[56:57], -v[68:69]
	v_fmac_f64_e32 v[62:63], s[44:45], v[60:61]
	v_add_f64 v[56:57], v[58:59], v[62:63]
	v_add_f64 v[58:59], v[56:57], -v[58:59]
	v_add_f64 v[58:59], v[62:63], -v[58:59]
	v_cvt_i32_f64_e32 v54, v[60:61]
.LBB248_233:                            ;   in Loop: Header=BB248_217 Depth=1
	s_or_b64 exec, exec, s[8:9]
                                        ; implicit-def: $vgpr68
                                        ; implicit-def: $vgpr60_vgpr61
                                        ; implicit-def: $vgpr62_vgpr63
	s_and_saveexec_b64 s[8:9], s[86:87]
	s_xor_b64 s[86:87], exec, s[8:9]
	s_cbranch_execz .LBB248_235
; %bb.234:                              ;   in Loop: Header=BB248_217 Depth=1
	s_movk_i32 s8, 0xff80
	v_ldexp_f64 v[68:69], |v[8:9]|, s8
	s_mov_b32 s8, 0
	s_mov_b32 s9, 0x7b000000
	v_and_b32_e32 v19, 0x7fffffff, v9
	v_cmp_ge_f64_e64 vcc, |v[8:9]|, s[8:9]
	v_trig_preop_f64 v[60:61], |v[8:9]|, 0
	v_cndmask_b32_e32 v69, v19, v69, vcc
	v_cndmask_b32_e32 v68, v8, v68, vcc
	v_trig_preop_f64 v[62:63], |v[8:9]|, 1
	v_mul_f64 v[72:73], v[60:61], v[68:69]
	v_mul_f64 v[70:71], v[62:63], v[68:69]
	v_fma_f64 v[60:61], v[60:61], v[68:69], -v[72:73]
	v_add_f64 v[74:75], v[70:71], v[60:61]
	v_add_f64 v[76:77], v[72:73], v[74:75]
	s_mov_b32 s8, 0
	v_ldexp_f64 v[78:79], v[76:77], -2
	s_mov_b32 s9, 0x7ff00000
	v_fract_f64_e32 v[80:81], v[78:79]
	v_cmp_neq_f64_e64 vcc, |v[78:79]|, s[8:9]
	v_cndmask_b32_e32 v79, 0, v81, vcc
	v_cndmask_b32_e32 v78, 0, v80, vcc
	v_add_f64 v[80:81], v[74:75], -v[70:71]
	v_add_f64 v[60:61], v[60:61], -v[80:81]
	;; [unrolled: 1-line block ×4, first 2 shown]
	v_fma_f64 v[62:63], v[62:63], v[68:69], -v[70:71]
	v_trig_preop_f64 v[70:71], |v[8:9]|, 2
	v_add_f64 v[60:61], v[60:61], v[80:81]
	v_mul_f64 v[80:81], v[70:71], v[68:69]
	v_add_f64 v[82:83], v[80:81], v[62:63]
	v_add_f64 v[84:85], v[82:83], v[60:61]
	v_add_f64 v[72:73], v[76:77], -v[72:73]
	v_add_f64 v[76:77], v[84:85], -v[82:83]
	;; [unrolled: 1-line block ×5, first 2 shown]
	v_add_f64 v[60:61], v[60:61], v[76:77]
	v_add_f64 v[76:77], v[82:83], -v[80:81]
	v_add_f64 v[62:63], v[62:63], -v[76:77]
	;; [unrolled: 1-line block ×4, first 2 shown]
	v_add_f64 v[62:63], v[62:63], v[76:77]
	v_add_f64 v[72:73], v[74:75], -v[72:73]
	v_add_f64 v[60:61], v[62:63], v[60:61]
	v_fma_f64 v[62:63], v[70:71], v[68:69], -v[80:81]
	v_add_f64 v[74:75], v[72:73], v[84:85]
	v_add_f64 v[60:61], v[62:63], v[60:61]
	v_ldexp_f64 v[62:63], v[78:79], 2
	v_add_f64 v[68:69], v[74:75], v[62:63]
	v_cmp_gt_f64_e32 vcc, 0, v[68:69]
	v_cndmask_b32_e32 v19, 0, v64, vcc
	v_add_f64 v[62:63], v[62:63], v[18:19]
	v_add_f64 v[68:69], v[74:75], v[62:63]
	v_cvt_i32_f64_e32 v19, v[68:69]
	v_cvt_f64_i32_e32 v[68:69], v19
	v_add_f64 v[62:63], v[62:63], -v[68:69]
	v_add_f64 v[72:73], v[74:75], -v[72:73]
	v_add_f64 v[70:71], v[74:75], v[62:63]
	v_add_f64 v[72:73], v[84:85], -v[72:73]
	v_add_f64 v[62:63], v[70:71], -v[62:63]
	v_cmp_le_f64_e32 vcc, 0.5, v[70:71]
	v_add_f64 v[60:61], v[72:73], v[60:61]
	v_add_f64 v[62:63], v[74:75], -v[62:63]
	v_addc_co_u32_e64 v68, s[8:9], 0, v19, vcc
	v_cndmask_b32_e32 v19, 0, v65, vcc
	v_add_f64 v[60:61], v[60:61], v[62:63]
	v_add_f64 v[62:63], v[70:71], -v[18:19]
	v_add_f64 v[70:71], v[62:63], v[60:61]
	v_add_f64 v[62:63], v[70:71], -v[62:63]
	s_mov_b32 s30, s34
	v_add_f64 v[60:61], v[60:61], -v[62:63]
	v_mul_f64 v[62:63], v[70:71], s[30:31]
	v_fma_f64 v[72:73], v[70:71], s[30:31], -v[62:63]
	s_mov_b32 s39, s37
	v_fmac_f64_e32 v[72:73], s[38:39], v[70:71]
	v_fmac_f64_e32 v[72:73], s[30:31], v[60:61]
	v_add_f64 v[60:61], v[62:63], v[72:73]
	v_add_f64 v[62:63], v[60:61], -v[62:63]
	v_add_f64 v[62:63], v[72:73], -v[62:63]
	s_andn2_saveexec_b64 s[8:9], s[86:87]
	s_cbranch_execnz .LBB248_236
	s_branch .LBB248_237
.LBB248_235:                            ;   in Loop: Header=BB248_217 Depth=1
	s_andn2_saveexec_b64 s[8:9], s[86:87]
	s_cbranch_execz .LBB248_237
.LBB248_236:                            ;   in Loop: Header=BB248_217 Depth=1
	v_mul_f64 v[60:61], |v[8:9]|, s[40:41]
	v_rndne_f64_e32 v[68:69], v[60:61]
	v_fma_f64 v[60:61], v[68:69], s[34:35], |v[8:9]|
	v_mul_f64 v[70:71], v[68:69], s[42:43]
	v_add_f64 v[74:75], v[60:61], v[70:71]
	v_fma_f64 v[62:63], s[42:43], v[68:69], v[60:61]
	s_mov_b32 s36, s42
	v_add_f64 v[60:61], v[60:61], -v[74:75]
	v_fma_f64 v[72:73], s[36:37], v[68:69], v[70:71]
	v_add_f64 v[60:61], v[60:61], v[70:71]
	v_add_f64 v[70:71], v[74:75], -v[62:63]
	v_add_f64 v[60:61], v[70:71], v[60:61]
	v_add_f64 v[70:71], v[60:61], -v[72:73]
	v_fmac_f64_e32 v[70:71], s[44:45], v[68:69]
	v_add_f64 v[60:61], v[62:63], v[70:71]
	v_add_f64 v[62:63], v[60:61], -v[62:63]
	v_add_f64 v[62:63], v[70:71], -v[62:63]
	v_cvt_i32_f64_e32 v68, v[68:69]
.LBB248_237:                            ;   in Loop: Header=BB248_217 Depth=1
	s_or_b64 exec, exec, s[8:9]
	s_mov_b32 s46, s48
	v_mul_f64 v[70:71], v[6:7], s[46:47]
	v_rndne_f64_e32 v[70:71], v[70:71]
	v_fma_f64 v[72:73], v[70:71], s[50:51], -v[6:7]
	v_fmac_f64_e32 v[72:73], s[52:53], v[70:71]
	v_pk_mov_b32 v[74:75], v[36:37], v[36:37] op_sel:[0,1]
	v_fmac_f64_e32 v[74:75], s[54:55], v[72:73]
	v_pk_mov_b32 v[76:77], v[38:39], v[38:39] op_sel:[0,1]
	;; [unrolled: 2-line block ×9, first 2 shown]
	v_fmac_f64_e32 v[74:75], v[72:73], v[76:77]
	v_fma_f64 v[74:75], v[72:73], v[74:75], 1.0
	v_fma_f64 v[72:73], v[72:73], v[74:75], 1.0
	v_cvt_i32_f64_e32 v19, v[70:71]
	v_ldexp_f64 v[70:71], v[72:73], v19
	v_cmp_ngt_f64_e32 vcc, s[60:61], v[6:7]
	v_cmp_nlt_f64_e64 s[8:9], s[62:63], v[6:7]
	v_cndmask_b32_e32 v19, v66, v71, vcc
	s_and_b64 vcc, s[8:9], vcc
	v_cndmask_b32_e32 v6, 0, v70, vcc
	v_mul_f64 v[70:71], v[56:57], v[56:57]
	v_pk_mov_b32 v[78:79], s[64:65], s[64:65] op_sel:[0,1]
	v_mul_f64 v[72:73], v[70:71], 0.5
	v_fma_f64 v[80:81], s[66:67], v[70:71], v[78:79]
	v_add_f64 v[74:75], -v[72:73], 1.0
	v_fma_f64 v[80:81], v[70:71], v[80:81], s[68:69]
	v_add_f64 v[76:77], -v[74:75], 1.0
	v_fma_f64 v[80:81], v[70:71], v[80:81], s[70:71]
	v_add_f64 v[72:73], v[76:77], -v[72:73]
	v_fma_f64 v[80:81], v[70:71], v[80:81], s[72:73]
	v_mul_f64 v[76:77], v[70:71], v[70:71]
	v_fma_f64 v[80:81], v[70:71], v[80:81], s[58:59]
	v_fma_f64 v[72:73], v[56:57], -v[58:59], v[72:73]
	v_fmac_f64_e32 v[72:73], v[76:77], v[80:81]
	v_add_f64 v[72:73], v[74:75], v[72:73]
	v_pk_mov_b32 v[74:75], s[74:75], s[74:75] op_sel:[0,1]
	v_fma_f64 v[76:77], s[76:77], v[70:71], v[74:75]
	v_fma_f64 v[76:77], v[70:71], v[76:77], s[78:79]
	;; [unrolled: 1-line block ×4, first 2 shown]
	v_mul_f64 v[80:81], v[56:57], -v[70:71]
	v_mul_f64 v[82:83], v[58:59], 0.5
	v_fmac_f64_e32 v[82:83], v[80:81], v[76:77]
	v_fma_f64 v[58:59], v[70:71], v[82:83], -v[58:59]
	s_mov_b32 s82, s58
	v_fmac_f64_e32 v[58:59], s[82:83], v[80:81]
	v_add_f64 v[56:57], v[56:57], -v[58:59]
	v_cndmask_b32_e64 v7, 0, v19, s[8:9]
	v_xor_b32_e32 v19, 0x80000000, v57
	v_and_b32_e32 v57, 1, v54
	v_cmp_eq_u32_e32 vcc, 0, v57
	v_lshlrev_b32_e32 v54, 30, v54
	v_cndmask_b32_e32 v19, v19, v73, vcc
	v_and_b32_e32 v54, 0x80000000, v54
	v_cndmask_b32_e32 v56, v56, v72, vcc
	v_xor_b32_e32 v19, v19, v54
	v_cmp_class_f64_e64 vcc, v[8:9], s29
	v_cndmask_b32_e32 v8, 0, v56, vcc
	v_cndmask_b32_e32 v9, v67, v19, vcc
	v_mul_f64 v[56:57], v[6:7], v[8:9]
	v_mul_f64 v[8:9], v[60:61], v[60:61]
	v_mul_f64 v[58:59], v[8:9], 0.5
	v_fmac_f64_e32 v[78:79], s[66:67], v[8:9]
	v_add_f64 v[70:71], -v[58:59], 1.0
	v_fma_f64 v[76:77], v[8:9], v[78:79], s[68:69]
	v_add_f64 v[72:73], -v[70:71], 1.0
	v_fma_f64 v[76:77], v[8:9], v[76:77], s[70:71]
	v_add_f64 v[58:59], v[72:73], -v[58:59]
	v_fma_f64 v[76:77], v[8:9], v[76:77], s[72:73]
	v_mul_f64 v[72:73], v[8:9], v[8:9]
	v_fma_f64 v[76:77], v[8:9], v[76:77], s[58:59]
	v_fma_f64 v[58:59], v[60:61], -v[62:63], v[58:59]
	v_fmac_f64_e32 v[58:59], v[72:73], v[76:77]
	v_fmac_f64_e32 v[74:75], s[76:77], v[8:9]
	v_add_f64 v[58:59], v[70:71], v[58:59]
	v_fma_f64 v[70:71], v[8:9], v[74:75], s[78:79]
	v_fma_f64 v[70:71], v[8:9], v[70:71], s[80:81]
	v_fma_f64 v[70:71], v[8:9], v[70:71], s[56:57]
	v_mul_f64 v[72:73], v[60:61], -v[8:9]
	v_mul_f64 v[74:75], v[62:63], 0.5
	v_fmac_f64_e32 v[74:75], v[72:73], v[70:71]
	v_fma_f64 v[8:9], v[8:9], v[74:75], -v[62:63]
	v_and_b32_e32 v19, 1, v68
	v_fmac_f64_e32 v[8:9], s[82:83], v[72:73]
	v_cmp_eq_u32_e64 s[8:9], 0, v19
	v_lshlrev_b32_e32 v19, 30, v68
	v_add_f64 v[8:9], v[60:61], -v[8:9]
	v_xor_b32_e32 v19, v19, v55
	v_cndmask_b32_e64 v9, v59, v9, s[8:9]
	v_and_b32_e32 v19, 0x80000000, v19
	v_cndmask_b32_e64 v8, v58, v8, s[8:9]
	v_xor_b32_e32 v9, v9, v19
	v_cndmask_b32_e32 v8, 0, v8, vcc
	v_cndmask_b32_e32 v9, v67, v9, vcc
	v_mul_f64 v[54:55], v[6:7], v[8:9]
                                        ; implicit-def: $vgpr8_vgpr9
.LBB248_238:                            ;   in Loop: Header=BB248_217 Depth=1
	s_andn2_saveexec_b64 s[86:87], s[10:11]
	s_cbranch_execz .LBB248_282
; %bb.239:                              ;   in Loop: Header=BB248_217 Depth=1
	s_mov_b32 s8, 0
	s_mov_b32 s9, 0x41d00000
	v_cmp_nlt_f64_e64 s[10:11], |v[8:9]|, s[8:9]
                                        ; implicit-def: $vgpr54
                                        ; implicit-def: $vgpr56_vgpr57
                                        ; implicit-def: $vgpr58_vgpr59
	s_and_saveexec_b64 s[8:9], s[10:11]
	s_xor_b64 s[88:89], exec, s[8:9]
	s_cbranch_execz .LBB248_241
; %bb.240:                              ;   in Loop: Header=BB248_217 Depth=1
	s_movk_i32 s8, 0xff80
	v_ldexp_f64 v[60:61], |v[8:9]|, s8
	s_mov_b32 s8, 0
	s_mov_b32 s9, 0x7b000000
	v_and_b32_e32 v19, 0x7fffffff, v9
	v_cmp_ge_f64_e64 vcc, |v[8:9]|, s[8:9]
	v_trig_preop_f64 v[56:57], |v[8:9]|, 0
	v_cndmask_b32_e32 v61, v19, v61, vcc
	v_cndmask_b32_e32 v60, v8, v60, vcc
	v_trig_preop_f64 v[58:59], |v[8:9]|, 1
	v_mul_f64 v[68:69], v[56:57], v[60:61]
	v_mul_f64 v[62:63], v[58:59], v[60:61]
	v_fma_f64 v[56:57], v[56:57], v[60:61], -v[68:69]
	v_add_f64 v[70:71], v[62:63], v[56:57]
	v_add_f64 v[72:73], v[68:69], v[70:71]
	s_mov_b32 s8, 0
	v_ldexp_f64 v[74:75], v[72:73], -2
	s_mov_b32 s9, 0x7ff00000
	v_fract_f64_e32 v[76:77], v[74:75]
	v_cmp_neq_f64_e64 vcc, |v[74:75]|, s[8:9]
	v_cndmask_b32_e32 v75, 0, v77, vcc
	v_cndmask_b32_e32 v74, 0, v76, vcc
	v_add_f64 v[76:77], v[70:71], -v[62:63]
	v_add_f64 v[56:57], v[56:57], -v[76:77]
	;; [unrolled: 1-line block ×4, first 2 shown]
	v_fma_f64 v[58:59], v[58:59], v[60:61], -v[62:63]
	v_trig_preop_f64 v[62:63], |v[8:9]|, 2
	v_add_f64 v[56:57], v[56:57], v[76:77]
	v_mul_f64 v[76:77], v[62:63], v[60:61]
	v_add_f64 v[78:79], v[76:77], v[58:59]
	v_add_f64 v[80:81], v[78:79], v[56:57]
	v_add_f64 v[68:69], v[72:73], -v[68:69]
	v_add_f64 v[72:73], v[80:81], -v[78:79]
	;; [unrolled: 1-line block ×5, first 2 shown]
	v_add_f64 v[56:57], v[56:57], v[72:73]
	v_add_f64 v[72:73], v[78:79], -v[76:77]
	v_add_f64 v[58:59], v[58:59], -v[72:73]
	v_add_f64 v[72:73], v[78:79], -v[72:73]
	v_add_f64 v[72:73], v[76:77], -v[72:73]
	v_add_f64 v[58:59], v[58:59], v[72:73]
	v_add_f64 v[68:69], v[70:71], -v[68:69]
	v_add_f64 v[56:57], v[58:59], v[56:57]
	v_fma_f64 v[58:59], v[62:63], v[60:61], -v[76:77]
	v_add_f64 v[70:71], v[68:69], v[80:81]
	v_add_f64 v[56:57], v[58:59], v[56:57]
	v_ldexp_f64 v[58:59], v[74:75], 2
	v_add_f64 v[60:61], v[70:71], v[58:59]
	v_cmp_gt_f64_e32 vcc, 0, v[60:61]
	v_cndmask_b32_e32 v19, 0, v64, vcc
	v_add_f64 v[58:59], v[58:59], v[18:19]
	v_add_f64 v[60:61], v[70:71], v[58:59]
	v_cvt_i32_f64_e32 v19, v[60:61]
	v_cvt_f64_i32_e32 v[60:61], v19
	v_add_f64 v[58:59], v[58:59], -v[60:61]
	v_add_f64 v[68:69], v[70:71], -v[68:69]
	v_add_f64 v[60:61], v[70:71], v[58:59]
	v_add_f64 v[68:69], v[80:81], -v[68:69]
	v_add_f64 v[58:59], v[60:61], -v[58:59]
	v_cmp_le_f64_e32 vcc, 0.5, v[60:61]
	v_add_f64 v[56:57], v[68:69], v[56:57]
	v_add_f64 v[58:59], v[70:71], -v[58:59]
	v_addc_co_u32_e64 v54, s[8:9], 0, v19, vcc
	v_cndmask_b32_e32 v19, 0, v65, vcc
	v_add_f64 v[56:57], v[56:57], v[58:59]
	v_add_f64 v[58:59], v[60:61], -v[18:19]
	v_add_f64 v[60:61], v[58:59], v[56:57]
	v_add_f64 v[58:59], v[60:61], -v[58:59]
	s_mov_b32 s30, s34
	v_add_f64 v[56:57], v[56:57], -v[58:59]
	v_mul_f64 v[58:59], v[60:61], s[30:31]
	v_fma_f64 v[62:63], v[60:61], s[30:31], -v[58:59]
	s_mov_b32 s39, s37
	v_fmac_f64_e32 v[62:63], s[38:39], v[60:61]
	v_fmac_f64_e32 v[62:63], s[30:31], v[56:57]
	v_add_f64 v[56:57], v[58:59], v[62:63]
	v_add_f64 v[58:59], v[56:57], -v[58:59]
	v_add_f64 v[58:59], v[62:63], -v[58:59]
	s_andn2_saveexec_b64 s[8:9], s[88:89]
	s_cbranch_execz .LBB248_243
	s_branch .LBB248_242
.LBB248_241:                            ;   in Loop: Header=BB248_217 Depth=1
	s_andn2_saveexec_b64 s[8:9], s[88:89]
	s_cbranch_execz .LBB248_243
.LBB248_242:                            ;   in Loop: Header=BB248_217 Depth=1
	v_mul_f64 v[56:57], |v[8:9]|, s[40:41]
	v_rndne_f64_e32 v[60:61], v[56:57]
	v_fma_f64 v[56:57], v[60:61], s[34:35], |v[8:9]|
	v_mul_f64 v[62:63], v[60:61], s[42:43]
	v_add_f64 v[70:71], v[56:57], v[62:63]
	v_fma_f64 v[58:59], s[42:43], v[60:61], v[56:57]
	s_mov_b32 s36, s42
	v_add_f64 v[56:57], v[56:57], -v[70:71]
	v_fma_f64 v[68:69], s[36:37], v[60:61], v[62:63]
	v_add_f64 v[56:57], v[56:57], v[62:63]
	v_add_f64 v[62:63], v[70:71], -v[58:59]
	v_add_f64 v[56:57], v[62:63], v[56:57]
	v_add_f64 v[62:63], v[56:57], -v[68:69]
	v_fmac_f64_e32 v[62:63], s[44:45], v[60:61]
	v_add_f64 v[56:57], v[58:59], v[62:63]
	v_add_f64 v[58:59], v[56:57], -v[58:59]
	v_add_f64 v[58:59], v[62:63], -v[58:59]
	v_cvt_i32_f64_e32 v54, v[60:61]
.LBB248_243:                            ;   in Loop: Header=BB248_217 Depth=1
	s_or_b64 exec, exec, s[8:9]
                                        ; implicit-def: $vgpr68
                                        ; implicit-def: $vgpr60_vgpr61
                                        ; implicit-def: $vgpr62_vgpr63
	s_and_saveexec_b64 s[8:9], s[10:11]
	s_xor_b64 s[10:11], exec, s[8:9]
	s_cbranch_execz .LBB248_245
; %bb.244:                              ;   in Loop: Header=BB248_217 Depth=1
	s_movk_i32 s8, 0xff80
	v_ldexp_f64 v[68:69], |v[8:9]|, s8
	s_mov_b32 s8, 0
	s_mov_b32 s9, 0x7b000000
	v_and_b32_e32 v19, 0x7fffffff, v9
	v_cmp_ge_f64_e64 vcc, |v[8:9]|, s[8:9]
	v_trig_preop_f64 v[60:61], |v[8:9]|, 0
	v_cndmask_b32_e32 v69, v19, v69, vcc
	v_cndmask_b32_e32 v68, v8, v68, vcc
	v_trig_preop_f64 v[62:63], |v[8:9]|, 1
	v_mul_f64 v[72:73], v[60:61], v[68:69]
	v_mul_f64 v[70:71], v[62:63], v[68:69]
	v_fma_f64 v[60:61], v[60:61], v[68:69], -v[72:73]
	v_add_f64 v[74:75], v[70:71], v[60:61]
	v_add_f64 v[76:77], v[72:73], v[74:75]
	s_mov_b32 s8, 0
	v_ldexp_f64 v[78:79], v[76:77], -2
	s_mov_b32 s9, 0x7ff00000
	v_fract_f64_e32 v[80:81], v[78:79]
	v_cmp_neq_f64_e64 vcc, |v[78:79]|, s[8:9]
	v_cndmask_b32_e32 v79, 0, v81, vcc
	v_cndmask_b32_e32 v78, 0, v80, vcc
	v_add_f64 v[80:81], v[74:75], -v[70:71]
	v_add_f64 v[60:61], v[60:61], -v[80:81]
	;; [unrolled: 1-line block ×4, first 2 shown]
	v_fma_f64 v[62:63], v[62:63], v[68:69], -v[70:71]
	v_trig_preop_f64 v[70:71], |v[8:9]|, 2
	v_add_f64 v[60:61], v[60:61], v[80:81]
	v_mul_f64 v[80:81], v[70:71], v[68:69]
	v_add_f64 v[82:83], v[80:81], v[62:63]
	v_add_f64 v[84:85], v[82:83], v[60:61]
	v_add_f64 v[72:73], v[76:77], -v[72:73]
	v_add_f64 v[76:77], v[84:85], -v[82:83]
	;; [unrolled: 1-line block ×5, first 2 shown]
	v_add_f64 v[60:61], v[60:61], v[76:77]
	v_add_f64 v[76:77], v[82:83], -v[80:81]
	v_add_f64 v[62:63], v[62:63], -v[76:77]
	;; [unrolled: 1-line block ×4, first 2 shown]
	v_add_f64 v[62:63], v[62:63], v[76:77]
	v_add_f64 v[72:73], v[74:75], -v[72:73]
	v_add_f64 v[60:61], v[62:63], v[60:61]
	v_fma_f64 v[62:63], v[70:71], v[68:69], -v[80:81]
	v_add_f64 v[74:75], v[72:73], v[84:85]
	v_add_f64 v[60:61], v[62:63], v[60:61]
	v_ldexp_f64 v[62:63], v[78:79], 2
	v_add_f64 v[68:69], v[74:75], v[62:63]
	v_cmp_gt_f64_e32 vcc, 0, v[68:69]
	v_cndmask_b32_e32 v19, 0, v64, vcc
	v_add_f64 v[62:63], v[62:63], v[18:19]
	v_add_f64 v[68:69], v[74:75], v[62:63]
	v_cvt_i32_f64_e32 v19, v[68:69]
	v_cvt_f64_i32_e32 v[68:69], v19
	v_add_f64 v[62:63], v[62:63], -v[68:69]
	v_add_f64 v[72:73], v[74:75], -v[72:73]
	v_add_f64 v[70:71], v[74:75], v[62:63]
	v_add_f64 v[72:73], v[84:85], -v[72:73]
	v_add_f64 v[62:63], v[70:71], -v[62:63]
	v_cmp_le_f64_e32 vcc, 0.5, v[70:71]
	v_add_f64 v[60:61], v[72:73], v[60:61]
	v_add_f64 v[62:63], v[74:75], -v[62:63]
	v_addc_co_u32_e64 v68, s[8:9], 0, v19, vcc
	v_cndmask_b32_e32 v19, 0, v65, vcc
	v_add_f64 v[60:61], v[60:61], v[62:63]
	v_add_f64 v[62:63], v[70:71], -v[18:19]
	v_add_f64 v[70:71], v[62:63], v[60:61]
	v_add_f64 v[62:63], v[70:71], -v[62:63]
	s_mov_b32 s30, s34
	v_add_f64 v[60:61], v[60:61], -v[62:63]
	v_mul_f64 v[62:63], v[70:71], s[30:31]
	v_fma_f64 v[72:73], v[70:71], s[30:31], -v[62:63]
	s_mov_b32 s39, s37
	v_fmac_f64_e32 v[72:73], s[38:39], v[70:71]
	v_fmac_f64_e32 v[72:73], s[30:31], v[60:61]
	v_add_f64 v[60:61], v[62:63], v[72:73]
	v_add_f64 v[62:63], v[60:61], -v[62:63]
	v_add_f64 v[62:63], v[72:73], -v[62:63]
	s_andn2_saveexec_b64 s[8:9], s[10:11]
	s_cbranch_execnz .LBB248_246
	s_branch .LBB248_247
.LBB248_245:                            ;   in Loop: Header=BB248_217 Depth=1
	s_andn2_saveexec_b64 s[8:9], s[10:11]
	s_cbranch_execz .LBB248_247
.LBB248_246:                            ;   in Loop: Header=BB248_217 Depth=1
	v_mul_f64 v[60:61], |v[8:9]|, s[40:41]
	v_rndne_f64_e32 v[68:69], v[60:61]
	v_fma_f64 v[60:61], v[68:69], s[34:35], |v[8:9]|
	v_mul_f64 v[70:71], v[68:69], s[42:43]
	v_add_f64 v[74:75], v[60:61], v[70:71]
	v_fma_f64 v[62:63], s[42:43], v[68:69], v[60:61]
	s_mov_b32 s36, s42
	v_add_f64 v[60:61], v[60:61], -v[74:75]
	v_fma_f64 v[72:73], s[36:37], v[68:69], v[70:71]
	v_add_f64 v[60:61], v[60:61], v[70:71]
	v_add_f64 v[70:71], v[74:75], -v[62:63]
	v_add_f64 v[60:61], v[70:71], v[60:61]
	v_add_f64 v[70:71], v[60:61], -v[72:73]
	v_fmac_f64_e32 v[70:71], s[44:45], v[68:69]
	v_add_f64 v[60:61], v[62:63], v[70:71]
	v_add_f64 v[62:63], v[60:61], -v[62:63]
	v_add_f64 v[62:63], v[70:71], -v[62:63]
	v_cvt_i32_f64_e32 v68, v[68:69]
.LBB248_247:                            ;   in Loop: Header=BB248_217 Depth=1
	s_or_b64 exec, exec, s[8:9]
	v_mul_f64 v[70:71], v[56:57], v[56:57]
	v_pk_mov_b32 v[78:79], s[64:65], s[64:65] op_sel:[0,1]
	v_mul_f64 v[72:73], v[70:71], 0.5
	v_fma_f64 v[80:81], s[66:67], v[70:71], v[78:79]
	v_add_f64 v[74:75], -v[72:73], 1.0
	v_fma_f64 v[80:81], v[70:71], v[80:81], s[68:69]
	v_fma_f64 v[80:81], v[70:71], v[80:81], s[70:71]
	v_add_f64 v[82:83], -v[74:75], 1.0
	v_fma_f64 v[80:81], v[70:71], v[80:81], s[72:73]
	v_add_f64 v[72:73], v[82:83], -v[72:73]
	v_mul_f64 v[76:77], v[70:71], v[70:71]
	v_fma_f64 v[80:81], v[70:71], v[80:81], s[58:59]
	v_fma_f64 v[72:73], v[56:57], -v[58:59], v[72:73]
	v_fmac_f64_e32 v[72:73], v[76:77], v[80:81]
	v_pk_mov_b32 v[76:77], s[74:75], s[74:75] op_sel:[0,1]
	v_fma_f64 v[80:81], s[76:77], v[70:71], v[76:77]
	v_fma_f64 v[80:81], v[70:71], v[80:81], s[78:79]
	;; [unrolled: 1-line block ×3, first 2 shown]
	v_add_f64 v[72:73], v[74:75], v[72:73]
	v_mul_f64 v[74:75], v[56:57], -v[70:71]
	v_fma_f64 v[80:81], v[70:71], v[80:81], s[56:57]
	v_mul_f64 v[82:83], v[58:59], 0.5
	v_fmac_f64_e32 v[82:83], v[74:75], v[80:81]
	v_fma_f64 v[58:59], v[70:71], v[82:83], -v[58:59]
	s_mov_b32 s82, s58
	v_fmac_f64_e32 v[58:59], s[82:83], v[74:75]
	v_and_b32_e32 v19, 1, v54
	v_add_f64 v[56:57], v[56:57], -v[58:59]
	s_mov_b32 s8, 0x19ba0da4
	v_xor_b32_e32 v57, 0x80000000, v57
	v_cmp_eq_u32_e32 vcc, 0, v19
	v_lshlrev_b32_e32 v54, 30, v54
	s_mov_b32 s9, 0xc0937be3
	v_cndmask_b32_e32 v19, v56, v72, vcc
	v_cndmask_b32_e32 v56, v57, v73, vcc
	v_and_b32_e32 v54, 0x80000000, v54
	v_add_f64 v[6:7], -v[6:7], s[8:9]
	v_xor_b32_e32 v54, v56, v54
	v_mul_f64 v[56:57], v[6:7], s[48:49]
	v_rndne_f64_e32 v[56:57], v[56:57]
	v_fma_f64 v[58:59], s[50:51], v[56:57], v[6:7]
	v_fmac_f64_e32 v[58:59], s[52:53], v[56:57]
	v_pk_mov_b32 v[70:71], v[36:37], v[36:37] op_sel:[0,1]
	v_fmac_f64_e32 v[70:71], s[54:55], v[58:59]
	v_pk_mov_b32 v[72:73], v[38:39], v[38:39] op_sel:[0,1]
	;; [unrolled: 2-line block ×9, first 2 shown]
	v_fmac_f64_e32 v[70:71], v[58:59], v[72:73]
	v_cmp_class_f64_e64 vcc, v[8:9], s29
	v_fma_f64 v[70:71], v[58:59], v[70:71], 1.0
	s_mov_b32 s8, 0
	v_cndmask_b32_e32 v8, 0, v19, vcc
	v_fma_f64 v[58:59], v[58:59], v[70:71], 1.0
	v_cvt_i32_f64_e32 v19, v[56:57]
	s_mov_b32 s9, 0x40900000
	s_mov_b32 s10, 0
	v_ldexp_f64 v[56:57], v[58:59], v19
	v_cmp_nlt_f64_e64 s[8:9], s[8:9], v[6:7]
	s_mov_b32 s11, 0xc090cc00
	v_cndmask_b32_e64 v19, v66, v57, s[8:9]
	v_cmp_ngt_f64_e64 s[10:11], s[10:11], v[6:7]
	v_cndmask_b32_e64 v19, 0, v19, s[10:11]
	v_and_b32_e32 v7, 0xfffff, v19
	v_lshrrev_b32_e32 v19, 20, v19
	v_cndmask_b32_e32 v9, v67, v54, vcc
	v_add_u32_e32 v54, 0xffffff09, v19
	v_lshrrev_b16_e32 v19, 15, v54
	v_add_u16_e32 v19, v54, v19
	s_and_b64 s[8:9], s[10:11], s[8:9]
	v_ashrrev_i16_e32 v19, 1, v19
	v_cndmask_b32_e64 v6, 0, v56, s[8:9]
	v_or_b32_e32 v7, 0x7fe00000, v7
	v_bfe_i32 v56, v19, 0, 16
	v_mul_f64 v[8:9], v[6:7], v[8:9]
	v_lshl_add_u32 v19, v56, 20, v65
	v_sub_u32_e32 v54, v54, v56
	v_mul_f64 v[8:9], v[8:9], v[18:19]
	v_lshl_add_u32 v59, v54, 20, v65
	v_mov_b32_e32 v58, v18
	v_mul_f64 v[56:57], v[8:9], v[58:59]
	v_mul_f64 v[8:9], v[60:61], v[60:61]
	v_mul_f64 v[70:71], v[8:9], 0.5
	v_fmac_f64_e32 v[78:79], s[66:67], v[8:9]
	v_add_f64 v[72:73], -v[70:71], 1.0
	v_fma_f64 v[78:79], v[8:9], v[78:79], s[68:69]
	v_add_f64 v[74:75], -v[72:73], 1.0
	v_fma_f64 v[78:79], v[8:9], v[78:79], s[70:71]
	v_add_f64 v[70:71], v[74:75], -v[70:71]
	v_fma_f64 v[78:79], v[8:9], v[78:79], s[72:73]
	v_mul_f64 v[74:75], v[8:9], v[8:9]
	v_fma_f64 v[78:79], v[8:9], v[78:79], s[58:59]
	v_fma_f64 v[70:71], v[60:61], -v[62:63], v[70:71]
	v_fmac_f64_e32 v[70:71], v[74:75], v[78:79]
	v_fmac_f64_e32 v[76:77], s[76:77], v[8:9]
	v_add_f64 v[70:71], v[72:73], v[70:71]
	v_fma_f64 v[72:73], v[8:9], v[76:77], s[78:79]
	v_fma_f64 v[72:73], v[8:9], v[72:73], s[80:81]
	;; [unrolled: 1-line block ×3, first 2 shown]
	v_mul_f64 v[74:75], v[60:61], -v[8:9]
	v_mul_f64 v[76:77], v[62:63], 0.5
	v_fmac_f64_e32 v[76:77], v[74:75], v[72:73]
	v_fma_f64 v[8:9], v[8:9], v[76:77], -v[62:63]
	v_and_b32_e32 v54, 1, v68
	v_fmac_f64_e32 v[8:9], s[82:83], v[74:75]
	v_cmp_eq_u32_e64 s[8:9], 0, v54
	v_lshlrev_b32_e32 v54, 30, v68
	v_add_f64 v[8:9], v[60:61], -v[8:9]
	v_xor_b32_e32 v54, v54, v55
	v_cndmask_b32_e64 v9, v71, v9, s[8:9]
	v_and_b32_e32 v54, 0x80000000, v54
	v_cndmask_b32_e64 v8, v70, v8, s[8:9]
	v_xor_b32_e32 v9, v9, v54
	v_cndmask_b32_e32 v8, 0, v8, vcc
	v_cndmask_b32_e32 v9, v67, v9, vcc
	v_mul_f64 v[6:7], v[6:7], v[8:9]
	v_mul_f64 v[6:7], v[6:7], v[18:19]
	;; [unrolled: 1-line block ×3, first 2 shown]
	s_or_b64 exec, exec, s[86:87]
                                        ; implicit-def: $vgpr58_vgpr59
                                        ; implicit-def: $vgpr8_vgpr9
                                        ; implicit-def: $vgpr19
.LBB248_248:                            ;   in Loop: Header=BB248_217 Depth=1
	s_andn2_saveexec_b64 s[10:11], s[84:85]
	s_cbranch_execz .LBB248_254
.LBB248_249:                            ;   in Loop: Header=BB248_217 Depth=1
	s_mov_b32 s8, 0x7ff00000
	v_cmp_ne_u32_e32 vcc, 0, v58
	v_cmp_ne_u32_e64 s[8:9], s8, v19
	s_or_b64 s[8:9], vcc, s[8:9]
                                        ; implicit-def: $vgpr54_vgpr55
	s_and_saveexec_b64 s[84:85], s[8:9]
	s_xor_b64 s[8:9], exec, s[84:85]
; %bb.250:                              ;   in Loop: Header=BB248_217 Depth=1
	v_add_f64 v[54:55], v[8:9], -v[8:9]
                                        ; implicit-def: $vgpr58_vgpr59
                                        ; implicit-def: $vgpr8_vgpr9
; %bb.251:                              ;   in Loop: Header=BB248_217 Depth=1
	s_or_saveexec_b64 s[8:9], s[8:9]
	v_pk_mov_b32 v[56:57], v[54:55], v[54:55] op_sel:[0,1]
	s_xor_b64 exec, exec, s[8:9]
; %bb.252:                              ;   in Loop: Header=BB248_217 Depth=1
	v_add_f64 v[8:9], v[8:9], -v[8:9]
	v_cmp_lt_i64_e32 vcc, -1, v[58:59]
	v_cndmask_b32_e32 v57, 0, v59, vcc
	v_cndmask_b32_e32 v56, 0, v6, vcc
	;; [unrolled: 1-line block ×4, first 2 shown]
; %bb.253:                              ;   in Loop: Header=BB248_217 Depth=1
	s_or_b64 exec, exec, s[8:9]
.LBB248_254:                            ;   in Loop: Header=BB248_217 Depth=1
	s_or_b64 exec, exec, s[10:11]
                                        ; implicit-def: $vgpr8_vgpr9
.LBB248_255:                            ;   in Loop: Header=BB248_217 Depth=1
	s_andn2_saveexec_b64 s[10:11], s[94:95]
	s_cbranch_execz .LBB248_265
; %bb.256:                              ;   in Loop: Header=BB248_217 Depth=1
	s_mov_b32 s8, 0
	s_mov_b32 s9, 0x41d00000
	v_cmp_nlt_f64_e64 s[84:85], |v[8:9]|, s[8:9]
                                        ; implicit-def: $vgpr54
                                        ; implicit-def: $vgpr6_vgpr7
                                        ; implicit-def: $vgpr56_vgpr57
	s_and_saveexec_b64 s[8:9], s[84:85]
	s_xor_b64 s[86:87], exec, s[8:9]
	s_cbranch_execz .LBB248_258
; %bb.257:                              ;   in Loop: Header=BB248_217 Depth=1
	s_movk_i32 s8, 0xff80
	v_ldexp_f64 v[58:59], |v[8:9]|, s8
	s_mov_b32 s8, 0
	s_mov_b32 s9, 0x7b000000
	v_and_b32_e32 v19, 0x7fffffff, v9
	v_cmp_ge_f64_e64 vcc, |v[8:9]|, s[8:9]
	v_trig_preop_f64 v[6:7], |v[8:9]|, 0
	v_cndmask_b32_e32 v59, v19, v59, vcc
	v_cndmask_b32_e32 v58, v8, v58, vcc
	v_trig_preop_f64 v[56:57], |v[8:9]|, 1
	v_mul_f64 v[62:63], v[6:7], v[58:59]
	v_mul_f64 v[60:61], v[56:57], v[58:59]
	v_fma_f64 v[6:7], v[6:7], v[58:59], -v[62:63]
	v_add_f64 v[68:69], v[60:61], v[6:7]
	v_add_f64 v[70:71], v[62:63], v[68:69]
	s_mov_b32 s8, 0
	v_ldexp_f64 v[72:73], v[70:71], -2
	s_mov_b32 s9, 0x7ff00000
	v_fract_f64_e32 v[74:75], v[72:73]
	v_cmp_neq_f64_e64 vcc, |v[72:73]|, s[8:9]
	v_cndmask_b32_e32 v73, 0, v75, vcc
	v_cndmask_b32_e32 v72, 0, v74, vcc
	v_add_f64 v[74:75], v[68:69], -v[60:61]
	v_add_f64 v[6:7], v[6:7], -v[74:75]
	;; [unrolled: 1-line block ×4, first 2 shown]
	v_fma_f64 v[56:57], v[56:57], v[58:59], -v[60:61]
	v_trig_preop_f64 v[60:61], |v[8:9]|, 2
	v_add_f64 v[6:7], v[6:7], v[74:75]
	v_mul_f64 v[74:75], v[60:61], v[58:59]
	v_add_f64 v[76:77], v[74:75], v[56:57]
	v_add_f64 v[78:79], v[76:77], v[6:7]
	v_add_f64 v[62:63], v[70:71], -v[62:63]
	v_add_f64 v[70:71], v[78:79], -v[76:77]
	;; [unrolled: 1-line block ×5, first 2 shown]
	v_add_f64 v[6:7], v[6:7], v[70:71]
	v_add_f64 v[70:71], v[76:77], -v[74:75]
	v_add_f64 v[56:57], v[56:57], -v[70:71]
	;; [unrolled: 1-line block ×4, first 2 shown]
	v_add_f64 v[56:57], v[56:57], v[70:71]
	v_add_f64 v[62:63], v[68:69], -v[62:63]
	v_add_f64 v[6:7], v[56:57], v[6:7]
	v_fma_f64 v[56:57], v[60:61], v[58:59], -v[74:75]
	v_add_f64 v[68:69], v[62:63], v[78:79]
	v_add_f64 v[6:7], v[56:57], v[6:7]
	v_ldexp_f64 v[56:57], v[72:73], 2
	v_add_f64 v[58:59], v[68:69], v[56:57]
	v_cmp_gt_f64_e32 vcc, 0, v[58:59]
	v_cndmask_b32_e32 v19, 0, v64, vcc
	v_add_f64 v[56:57], v[56:57], v[18:19]
	v_add_f64 v[58:59], v[68:69], v[56:57]
	v_cvt_i32_f64_e32 v19, v[58:59]
	v_cvt_f64_i32_e32 v[58:59], v19
	v_add_f64 v[56:57], v[56:57], -v[58:59]
	v_add_f64 v[62:63], v[68:69], -v[62:63]
	v_add_f64 v[58:59], v[68:69], v[56:57]
	v_add_f64 v[62:63], v[78:79], -v[62:63]
	v_add_f64 v[56:57], v[58:59], -v[56:57]
	v_cmp_le_f64_e32 vcc, 0.5, v[58:59]
	v_add_f64 v[6:7], v[62:63], v[6:7]
	v_add_f64 v[56:57], v[68:69], -v[56:57]
	v_addc_co_u32_e64 v54, s[8:9], 0, v19, vcc
	v_cndmask_b32_e32 v19, 0, v65, vcc
	v_add_f64 v[6:7], v[6:7], v[56:57]
	v_add_f64 v[56:57], v[58:59], -v[18:19]
	v_add_f64 v[58:59], v[56:57], v[6:7]
	v_add_f64 v[56:57], v[58:59], -v[56:57]
	s_mov_b32 s30, s34
	v_add_f64 v[6:7], v[6:7], -v[56:57]
	v_mul_f64 v[56:57], v[58:59], s[30:31]
	v_fma_f64 v[60:61], v[58:59], s[30:31], -v[56:57]
	s_mov_b32 s39, s37
	v_fmac_f64_e32 v[60:61], s[38:39], v[58:59]
	v_fmac_f64_e32 v[60:61], s[30:31], v[6:7]
	v_add_f64 v[6:7], v[56:57], v[60:61]
	v_add_f64 v[56:57], v[6:7], -v[56:57]
	v_add_f64 v[56:57], v[60:61], -v[56:57]
	s_andn2_saveexec_b64 s[8:9], s[86:87]
	s_cbranch_execz .LBB248_260
	s_branch .LBB248_259
.LBB248_258:                            ;   in Loop: Header=BB248_217 Depth=1
	s_andn2_saveexec_b64 s[8:9], s[86:87]
	s_cbranch_execz .LBB248_260
.LBB248_259:                            ;   in Loop: Header=BB248_217 Depth=1
	v_mul_f64 v[6:7], |v[8:9]|, s[40:41]
	v_rndne_f64_e32 v[58:59], v[6:7]
	v_fma_f64 v[6:7], v[58:59], s[34:35], |v[8:9]|
	v_mul_f64 v[60:61], v[58:59], s[42:43]
	v_add_f64 v[68:69], v[6:7], v[60:61]
	v_fma_f64 v[56:57], s[42:43], v[58:59], v[6:7]
	s_mov_b32 s36, s42
	v_add_f64 v[6:7], v[6:7], -v[68:69]
	v_fma_f64 v[62:63], s[36:37], v[58:59], v[60:61]
	v_add_f64 v[6:7], v[6:7], v[60:61]
	v_add_f64 v[60:61], v[68:69], -v[56:57]
	v_add_f64 v[6:7], v[60:61], v[6:7]
	v_add_f64 v[60:61], v[6:7], -v[62:63]
	v_fmac_f64_e32 v[60:61], s[44:45], v[58:59]
	v_add_f64 v[6:7], v[56:57], v[60:61]
	v_add_f64 v[56:57], v[6:7], -v[56:57]
	v_add_f64 v[56:57], v[60:61], -v[56:57]
	v_cvt_i32_f64_e32 v54, v[58:59]
.LBB248_260:                            ;   in Loop: Header=BB248_217 Depth=1
	s_or_b64 exec, exec, s[8:9]
                                        ; implicit-def: $vgpr62
                                        ; implicit-def: $vgpr58_vgpr59
                                        ; implicit-def: $vgpr60_vgpr61
	s_and_saveexec_b64 s[8:9], s[84:85]
	s_xor_b64 s[84:85], exec, s[8:9]
	s_cbranch_execz .LBB248_262
; %bb.261:                              ;   in Loop: Header=BB248_217 Depth=1
	s_movk_i32 s8, 0xff80
	v_ldexp_f64 v[62:63], |v[8:9]|, s8
	s_mov_b32 s8, 0
	s_mov_b32 s9, 0x7b000000
	v_and_b32_e32 v19, 0x7fffffff, v9
	v_cmp_ge_f64_e64 vcc, |v[8:9]|, s[8:9]
	v_trig_preop_f64 v[58:59], |v[8:9]|, 0
	v_cndmask_b32_e32 v63, v19, v63, vcc
	v_cndmask_b32_e32 v62, v8, v62, vcc
	v_trig_preop_f64 v[60:61], |v[8:9]|, 1
	v_mul_f64 v[70:71], v[58:59], v[62:63]
	v_mul_f64 v[68:69], v[60:61], v[62:63]
	v_fma_f64 v[58:59], v[58:59], v[62:63], -v[70:71]
	v_add_f64 v[72:73], v[68:69], v[58:59]
	v_add_f64 v[74:75], v[70:71], v[72:73]
	s_mov_b32 s8, 0
	v_ldexp_f64 v[76:77], v[74:75], -2
	s_mov_b32 s9, 0x7ff00000
	v_fract_f64_e32 v[78:79], v[76:77]
	v_cmp_neq_f64_e64 vcc, |v[76:77]|, s[8:9]
	v_cndmask_b32_e32 v77, 0, v79, vcc
	v_cndmask_b32_e32 v76, 0, v78, vcc
	v_add_f64 v[78:79], v[72:73], -v[68:69]
	v_add_f64 v[58:59], v[58:59], -v[78:79]
	;; [unrolled: 1-line block ×4, first 2 shown]
	v_fma_f64 v[60:61], v[60:61], v[62:63], -v[68:69]
	v_trig_preop_f64 v[68:69], |v[8:9]|, 2
	v_add_f64 v[58:59], v[58:59], v[78:79]
	v_mul_f64 v[78:79], v[68:69], v[62:63]
	v_add_f64 v[80:81], v[78:79], v[60:61]
	v_add_f64 v[82:83], v[80:81], v[58:59]
	v_add_f64 v[70:71], v[74:75], -v[70:71]
	v_add_f64 v[74:75], v[82:83], -v[80:81]
	;; [unrolled: 1-line block ×5, first 2 shown]
	v_add_f64 v[58:59], v[58:59], v[74:75]
	v_add_f64 v[74:75], v[80:81], -v[78:79]
	v_add_f64 v[60:61], v[60:61], -v[74:75]
	;; [unrolled: 1-line block ×4, first 2 shown]
	v_add_f64 v[60:61], v[60:61], v[74:75]
	v_add_f64 v[70:71], v[72:73], -v[70:71]
	v_add_f64 v[58:59], v[60:61], v[58:59]
	v_fma_f64 v[60:61], v[68:69], v[62:63], -v[78:79]
	v_add_f64 v[72:73], v[70:71], v[82:83]
	v_add_f64 v[58:59], v[60:61], v[58:59]
	v_ldexp_f64 v[60:61], v[76:77], 2
	v_add_f64 v[62:63], v[72:73], v[60:61]
	v_cmp_gt_f64_e32 vcc, 0, v[62:63]
	v_cndmask_b32_e32 v19, 0, v64, vcc
	v_add_f64 v[60:61], v[60:61], v[18:19]
	v_add_f64 v[62:63], v[72:73], v[60:61]
	v_cvt_i32_f64_e32 v19, v[62:63]
	v_cvt_f64_i32_e32 v[62:63], v19
	v_add_f64 v[60:61], v[60:61], -v[62:63]
	v_add_f64 v[70:71], v[72:73], -v[70:71]
	v_add_f64 v[68:69], v[72:73], v[60:61]
	v_add_f64 v[70:71], v[82:83], -v[70:71]
	v_add_f64 v[60:61], v[68:69], -v[60:61]
	v_cmp_le_f64_e32 vcc, 0.5, v[68:69]
	v_add_f64 v[58:59], v[70:71], v[58:59]
	v_add_f64 v[60:61], v[72:73], -v[60:61]
	v_addc_co_u32_e64 v62, s[8:9], 0, v19, vcc
	v_cndmask_b32_e32 v19, 0, v65, vcc
	v_add_f64 v[58:59], v[58:59], v[60:61]
	v_add_f64 v[60:61], v[68:69], -v[18:19]
	v_add_f64 v[68:69], v[60:61], v[58:59]
	v_add_f64 v[60:61], v[68:69], -v[60:61]
	s_mov_b32 s30, s34
	v_add_f64 v[58:59], v[58:59], -v[60:61]
	v_mul_f64 v[60:61], v[68:69], s[30:31]
	v_fma_f64 v[70:71], v[68:69], s[30:31], -v[60:61]
	s_mov_b32 s39, s37
	v_fmac_f64_e32 v[70:71], s[38:39], v[68:69]
	v_fmac_f64_e32 v[70:71], s[30:31], v[58:59]
	v_add_f64 v[58:59], v[60:61], v[70:71]
	v_add_f64 v[60:61], v[58:59], -v[60:61]
	v_add_f64 v[60:61], v[70:71], -v[60:61]
	s_andn2_saveexec_b64 s[8:9], s[84:85]
	s_cbranch_execnz .LBB248_263
	s_branch .LBB248_264
.LBB248_262:                            ;   in Loop: Header=BB248_217 Depth=1
	s_andn2_saveexec_b64 s[8:9], s[84:85]
	s_cbranch_execz .LBB248_264
.LBB248_263:                            ;   in Loop: Header=BB248_217 Depth=1
	v_mul_f64 v[58:59], |v[8:9]|, s[40:41]
	v_rndne_f64_e32 v[62:63], v[58:59]
	v_fma_f64 v[58:59], v[62:63], s[34:35], |v[8:9]|
	v_mul_f64 v[68:69], v[62:63], s[42:43]
	v_add_f64 v[72:73], v[58:59], v[68:69]
	v_fma_f64 v[60:61], s[42:43], v[62:63], v[58:59]
	s_mov_b32 s36, s42
	v_add_f64 v[58:59], v[58:59], -v[72:73]
	v_fma_f64 v[70:71], s[36:37], v[62:63], v[68:69]
	v_add_f64 v[58:59], v[58:59], v[68:69]
	v_add_f64 v[68:69], v[72:73], -v[60:61]
	v_add_f64 v[58:59], v[68:69], v[58:59]
	v_add_f64 v[68:69], v[58:59], -v[70:71]
	v_fmac_f64_e32 v[68:69], s[44:45], v[62:63]
	v_add_f64 v[58:59], v[60:61], v[68:69]
	v_add_f64 v[60:61], v[58:59], -v[60:61]
	v_add_f64 v[60:61], v[68:69], -v[60:61]
	v_cvt_i32_f64_e32 v62, v[62:63]
.LBB248_264:                            ;   in Loop: Header=BB248_217 Depth=1
	s_or_b64 exec, exec, s[8:9]
	v_mul_f64 v[68:69], v[6:7], v[6:7]
	v_pk_mov_b32 v[76:77], s[64:65], s[64:65] op_sel:[0,1]
	v_mul_f64 v[70:71], v[68:69], 0.5
	v_fma_f64 v[78:79], s[66:67], v[68:69], v[76:77]
	v_add_f64 v[72:73], -v[70:71], 1.0
	v_fma_f64 v[78:79], v[68:69], v[78:79], s[68:69]
	v_add_f64 v[74:75], -v[72:73], 1.0
	v_fma_f64 v[78:79], v[68:69], v[78:79], s[70:71]
	v_add_f64 v[70:71], v[74:75], -v[70:71]
	v_fma_f64 v[78:79], v[68:69], v[78:79], s[72:73]
	v_mul_f64 v[74:75], v[68:69], v[68:69]
	v_fma_f64 v[78:79], v[68:69], v[78:79], s[58:59]
	v_fma_f64 v[70:71], v[6:7], -v[56:57], v[70:71]
	v_fmac_f64_e32 v[70:71], v[74:75], v[78:79]
	v_add_f64 v[70:71], v[72:73], v[70:71]
	v_pk_mov_b32 v[72:73], s[74:75], s[74:75] op_sel:[0,1]
	v_fma_f64 v[74:75], s[76:77], v[68:69], v[72:73]
	v_fma_f64 v[74:75], v[68:69], v[74:75], s[78:79]
	;; [unrolled: 1-line block ×4, first 2 shown]
	v_mul_f64 v[78:79], v[6:7], -v[68:69]
	v_mul_f64 v[80:81], v[56:57], 0.5
	v_fmac_f64_e32 v[80:81], v[78:79], v[74:75]
	v_fma_f64 v[56:57], v[68:69], v[80:81], -v[56:57]
	s_mov_b32 s82, s58
	v_fmac_f64_e32 v[56:57], s[82:83], v[78:79]
	v_add_f64 v[6:7], v[6:7], -v[56:57]
	v_and_b32_e32 v19, 1, v54
	v_xor_b32_e32 v7, 0x80000000, v7
	v_cmp_eq_u32_e32 vcc, 0, v19
	v_lshlrev_b32_e32 v19, 30, v54
	v_cndmask_b32_e32 v7, v7, v71, vcc
	v_and_b32_e32 v19, 0x80000000, v19
	v_cndmask_b32_e32 v6, v6, v70, vcc
	v_xor_b32_e32 v7, v7, v19
	v_cmp_class_f64_e64 vcc, v[8:9], s29
	v_cndmask_b32_e32 v56, 0, v6, vcc
	v_cndmask_b32_e32 v57, v67, v7, vcc
	v_mul_f64 v[6:7], v[58:59], v[58:59]
	v_mul_f64 v[8:9], v[6:7], 0.5
	v_fmac_f64_e32 v[76:77], s[66:67], v[6:7]
	v_add_f64 v[68:69], -v[8:9], 1.0
	v_fma_f64 v[74:75], v[6:7], v[76:77], s[68:69]
	v_add_f64 v[70:71], -v[68:69], 1.0
	v_fma_f64 v[74:75], v[6:7], v[74:75], s[70:71]
	v_add_f64 v[8:9], v[70:71], -v[8:9]
	v_fma_f64 v[74:75], v[6:7], v[74:75], s[72:73]
	v_mul_f64 v[70:71], v[6:7], v[6:7]
	v_fma_f64 v[74:75], v[6:7], v[74:75], s[58:59]
	v_fma_f64 v[8:9], v[58:59], -v[60:61], v[8:9]
	v_fmac_f64_e32 v[8:9], v[70:71], v[74:75]
	v_fmac_f64_e32 v[72:73], s[76:77], v[6:7]
	v_add_f64 v[8:9], v[68:69], v[8:9]
	v_fma_f64 v[68:69], v[6:7], v[72:73], s[78:79]
	v_fma_f64 v[68:69], v[6:7], v[68:69], s[80:81]
	;; [unrolled: 1-line block ×3, first 2 shown]
	v_mul_f64 v[70:71], v[58:59], -v[6:7]
	v_mul_f64 v[72:73], v[60:61], 0.5
	v_fmac_f64_e32 v[72:73], v[70:71], v[68:69]
	v_fma_f64 v[6:7], v[6:7], v[72:73], -v[60:61]
	v_fmac_f64_e32 v[6:7], s[82:83], v[70:71]
	v_and_b32_e32 v19, 1, v62
	v_add_f64 v[6:7], v[58:59], -v[6:7]
	v_cmp_eq_u32_e64 s[8:9], 0, v19
	v_cndmask_b32_e64 v6, v8, v6, s[8:9]
	v_lshlrev_b32_e32 v8, 30, v62
	v_xor_b32_e32 v8, v8, v55
	v_cndmask_b32_e64 v7, v9, v7, s[8:9]
	v_and_b32_e32 v8, 0x80000000, v8
	v_xor_b32_e32 v7, v7, v8
	v_cndmask_b32_e32 v54, 0, v6, vcc
	v_cndmask_b32_e32 v55, v67, v7, vcc
.LBB248_265:                            ;   in Loop: Header=BB248_217 Depth=1
	s_or_b64 exec, exec, s[10:11]
                                        ; implicit-def: $vgpr6_vgpr7
.LBB248_266:                            ;   in Loop: Header=BB248_217 Depth=1
	s_andn2_saveexec_b64 s[10:11], s[92:93]
	s_cbranch_execz .LBB248_268
; %bb.267:                              ;   in Loop: Header=BB248_217 Depth=1
	s_mov_b32 s46, s48
	v_mul_f64 v[8:9], v[6:7], s[46:47]
	v_rndne_f64_e32 v[8:9], v[8:9]
	v_fma_f64 v[56:57], v[8:9], s[50:51], -v[6:7]
	v_fmac_f64_e32 v[56:57], s[52:53], v[8:9]
	v_pk_mov_b32 v[58:59], v[36:37], v[36:37] op_sel:[0,1]
	v_fmac_f64_e32 v[58:59], s[54:55], v[56:57]
	v_pk_mov_b32 v[60:61], v[38:39], v[38:39] op_sel:[0,1]
	;; [unrolled: 2-line block ×9, first 2 shown]
	v_fmac_f64_e32 v[58:59], v[56:57], v[60:61]
	v_fma_f64 v[58:59], v[56:57], v[58:59], 1.0
	v_fma_f64 v[56:57], v[56:57], v[58:59], 1.0
	v_cvt_i32_f64_e32 v8, v[8:9]
	v_ldexp_f64 v[8:9], v[56:57], v8
	v_cmp_ngt_f64_e32 vcc, s[60:61], v[6:7]
	v_cmp_nlt_f64_e64 s[8:9], s[62:63], v[6:7]
	v_cndmask_b32_e32 v9, v66, v9, vcc
	s_and_b64 vcc, s[8:9], vcc
	v_cndmask_b32_e64 v57, 0, v9, s[8:9]
	v_cndmask_b32_e32 v56, 0, v8, vcc
.LBB248_268:                            ;   in Loop: Header=BB248_217 Depth=1
	s_or_b64 exec, exec, s[10:11]
	v_add_f64 v[56:57], s[12:13], v[56:57]
	v_add_f64 v[54:55], s[14:15], v[54:55]
	v_xor_b32_e32 v6, 0x80000000, v57
	v_cmp_gt_f64_e32 vcc, 0, v[56:57]
	v_cndmask_b32_e32 v61, v57, v6, vcc
	v_cndmask_b32_e32 v60, v56, v56, vcc
	v_xor_b32_e32 v6, 0x80000000, v55
	v_cmp_gt_f64_e32 vcc, 0, v[54:55]
	v_cndmask_b32_e32 v59, v55, v6, vcc
	v_cndmask_b32_e32 v58, v54, v54, vcc
	v_cmp_ge_f64_e32 vcc, v[60:61], v[58:59]
                                        ; implicit-def: $vgpr8_vgpr9
	s_and_saveexec_b64 s[8:9], vcc
	s_xor_b64 s[10:11], exec, s[8:9]
	s_cbranch_execz .LBB248_274
; %bb.269:                              ;   in Loop: Header=BB248_217 Depth=1
	v_cmp_neq_f64_e32 vcc, 0, v[56:57]
	v_cmp_neq_f64_e64 s[8:9], 0, v[54:55]
	s_or_b64 s[8:9], vcc, s[8:9]
                                        ; implicit-def: $vgpr8_vgpr9
	s_and_saveexec_b64 s[84:85], s[8:9]
	s_xor_b64 s[8:9], exec, s[84:85]
	s_cbranch_execz .LBB248_271
; %bb.270:                              ;   in Loop: Header=BB248_217 Depth=1
	v_div_scale_f64 v[6:7], s[84:85], v[56:57], v[56:57], v[54:55]
	v_rcp_f64_e32 v[8:9], v[6:7]
	v_div_scale_f64 v[58:59], vcc, v[54:55], v[56:57], v[54:55]
	v_fma_f64 v[60:61], -v[6:7], v[8:9], 1.0
	v_fmac_f64_e32 v[8:9], v[8:9], v[60:61]
	v_fma_f64 v[60:61], -v[6:7], v[8:9], 1.0
	v_fmac_f64_e32 v[8:9], v[8:9], v[60:61]
	v_mul_f64 v[60:61], v[58:59], v[8:9]
	v_fma_f64 v[6:7], -v[6:7], v[60:61], v[58:59]
	v_div_fmas_f64 v[6:7], v[6:7], v[8:9], v[60:61]
	v_div_fixup_f64 v[8:9], v[6:7], v[56:57], v[54:55]
	v_fmac_f64_e32 v[56:57], v[54:55], v[8:9]
	v_div_scale_f64 v[6:7], s[84:85], v[56:57], v[56:57], 1.0
	v_rcp_f64_e32 v[54:55], v[6:7]
	v_fma_f64 v[58:59], -v[6:7], v[54:55], 1.0
	v_fmac_f64_e32 v[54:55], v[54:55], v[58:59]
	v_fma_f64 v[58:59], -v[6:7], v[54:55], 1.0
	v_fmac_f64_e32 v[54:55], v[54:55], v[58:59]
	v_div_scale_f64 v[58:59], vcc, 1.0, v[56:57], 1.0
	v_mul_f64 v[60:61], v[58:59], v[54:55]
	v_fma_f64 v[6:7], -v[6:7], v[60:61], v[58:59]
                                        ; implicit-def: $vgpr58_vgpr59
	s_nop 1
	v_div_fmas_f64 v[6:7], v[6:7], v[54:55], v[60:61]
	v_div_fixup_f64 v[54:55], v[6:7], v[56:57], 1.0
	v_pk_mov_b32 v[6:7], s[12:13], s[12:13] op_sel:[0,1]
	v_pk_mov_b32 v[56:57], s[14:15], s[14:15] op_sel:[0,1]
	v_fma_f64 v[6:7], s[14:15], v[8:9], v[6:7]
	v_fma_f64 v[8:9], -s[12:13], v[8:9], v[56:57]
	v_mul_f64 v[6:7], v[6:7], v[54:55]
	v_mul_f64 v[8:9], v[8:9], v[54:55]
                                        ; implicit-def: $vgpr60_vgpr61
.LBB248_271:                            ;   in Loop: Header=BB248_217 Depth=1
	s_andn2_saveexec_b64 s[8:9], s[8:9]
	s_cbranch_execz .LBB248_273
; %bb.272:                              ;   in Loop: Header=BB248_217 Depth=1
	v_div_scale_f64 v[6:7], s[84:85], v[60:61], v[60:61], s[12:13]
	v_rcp_f64_e32 v[8:9], v[6:7]
	v_div_scale_f64 v[54:55], vcc, s[12:13], v[60:61], s[12:13]
	v_fma_f64 v[56:57], -v[6:7], v[8:9], 1.0
	v_fmac_f64_e32 v[8:9], v[8:9], v[56:57]
	v_fma_f64 v[56:57], -v[6:7], v[8:9], 1.0
	v_fmac_f64_e32 v[8:9], v[8:9], v[56:57]
	v_mul_f64 v[56:57], v[54:55], v[8:9]
	v_fma_f64 v[6:7], -v[6:7], v[56:57], v[54:55]
	v_div_scale_f64 v[54:55], s[84:85], v[58:59], v[58:59], s[14:15]
	v_rcp_f64_e32 v[62:63], v[54:55]
	v_div_fmas_f64 v[6:7], v[6:7], v[8:9], v[56:57]
	v_div_fixup_f64 v[6:7], v[6:7], v[60:61], s[12:13]
	v_fma_f64 v[8:9], -v[54:55], v[62:63], 1.0
	v_fmac_f64_e32 v[62:63], v[62:63], v[8:9]
	v_fma_f64 v[8:9], -v[54:55], v[62:63], 1.0
	v_fmac_f64_e32 v[62:63], v[62:63], v[8:9]
	v_div_scale_f64 v[8:9], vcc, s[14:15], v[58:59], s[14:15]
	v_mul_f64 v[56:57], v[8:9], v[62:63]
	v_fma_f64 v[8:9], -v[54:55], v[56:57], v[8:9]
	s_nop 1
	v_div_fmas_f64 v[8:9], v[8:9], v[62:63], v[56:57]
	v_div_fixup_f64 v[8:9], v[8:9], v[58:59], s[14:15]
.LBB248_273:                            ;   in Loop: Header=BB248_217 Depth=1
	s_or_b64 exec, exec, s[8:9]
                                        ; implicit-def: $vgpr54_vgpr55
                                        ; implicit-def: $vgpr56_vgpr57
.LBB248_274:                            ;   in Loop: Header=BB248_217 Depth=1
	s_andn2_saveexec_b64 s[8:9], s[10:11]
	s_cbranch_execz .LBB248_276
; %bb.275:                              ;   in Loop: Header=BB248_217 Depth=1
	v_div_scale_f64 v[6:7], s[10:11], v[54:55], v[54:55], v[56:57]
	v_rcp_f64_e32 v[8:9], v[6:7]
	v_div_scale_f64 v[58:59], vcc, v[56:57], v[54:55], v[56:57]
	v_fma_f64 v[60:61], -v[6:7], v[8:9], 1.0
	v_fmac_f64_e32 v[8:9], v[8:9], v[60:61]
	v_fma_f64 v[60:61], -v[6:7], v[8:9], 1.0
	v_fmac_f64_e32 v[8:9], v[8:9], v[60:61]
	v_mul_f64 v[60:61], v[58:59], v[8:9]
	v_fma_f64 v[6:7], -v[6:7], v[60:61], v[58:59]
	v_div_fmas_f64 v[6:7], v[6:7], v[8:9], v[60:61]
	v_div_fixup_f64 v[8:9], v[6:7], v[54:55], v[56:57]
	v_fmac_f64_e32 v[54:55], v[56:57], v[8:9]
	v_div_scale_f64 v[6:7], s[10:11], v[54:55], v[54:55], 1.0
	v_rcp_f64_e32 v[56:57], v[6:7]
	v_fma_f64 v[58:59], -v[6:7], v[56:57], 1.0
	v_fmac_f64_e32 v[56:57], v[56:57], v[58:59]
	v_fma_f64 v[58:59], -v[6:7], v[56:57], 1.0
	v_fmac_f64_e32 v[56:57], v[56:57], v[58:59]
	v_div_scale_f64 v[58:59], vcc, 1.0, v[54:55], 1.0
	v_mul_f64 v[60:61], v[58:59], v[56:57]
	v_fma_f64 v[6:7], -v[6:7], v[60:61], v[58:59]
	s_nop 1
	v_div_fmas_f64 v[6:7], v[6:7], v[56:57], v[60:61]
	v_div_fixup_f64 v[54:55], v[6:7], v[54:55], 1.0
	v_pk_mov_b32 v[6:7], s[14:15], s[14:15] op_sel:[0,1]
	v_pk_mov_b32 v[56:57], s[12:13], s[12:13] op_sel:[0,1]
	v_fma_f64 v[6:7], s[12:13], v[8:9], v[6:7]
	v_fma_f64 v[8:9], s[14:15], v[8:9], -v[56:57]
	v_mul_f64 v[6:7], v[6:7], v[54:55]
	v_mul_f64 v[8:9], v[8:9], v[54:55]
.LBB248_276:                            ;   in Loop: Header=BB248_217 Depth=1
	s_or_b64 exec, exec, s[8:9]
	v_xor_b32_e32 v55, 0x80000000, v17
	v_mov_b32_e32 v54, v16
	v_and_b32_e32 v60, 0x7fffffff, v55
	v_or_b32_e32 v19, v60, v54
	v_cmp_ne_u32_e32 vcc, 0, v19
                                        ; implicit-def: $vgpr56_vgpr57
	s_and_saveexec_b64 s[8:9], vcc
	s_xor_b64 s[92:93], exec, s[8:9]
	s_cbranch_execz .LBB248_319
; %bb.277:                              ;   in Loop: Header=BB248_217 Depth=1
	v_xor_b32_e32 v59, 0x80000000, v15
	v_mov_b32_e32 v58, v14
	v_and_b32_e32 v19, 0x7fffffff, v59
	v_or_b32_e32 v54, v19, v58
	v_cmp_ne_u32_e32 vcc, 0, v54
                                        ; implicit-def: $vgpr56_vgpr57
	s_and_saveexec_b64 s[8:9], vcc
	s_xor_b64 s[94:95], exec, s[8:9]
	s_cbranch_execz .LBB248_308
; %bb.278:                              ;   in Loop: Header=BB248_217 Depth=1
	s_mov_b32 s8, 0x7ff00000
	v_cmp_gt_u32_e32 vcc, s8, v60
                                        ; implicit-def: $vgpr56_vgpr57
	s_and_saveexec_b64 s[8:9], vcc
	s_xor_b64 s[84:85], exec, s[8:9]
	s_cbranch_execz .LBB248_301
; %bb.279:                              ;   in Loop: Header=BB248_217 Depth=1
	v_add_u32_e32 v19, 0xbf79d1be, v59
	s_mov_b32 s8, 0x108aa2
	v_cmp_lt_u32_e32 vcc, s8, v19
                                        ; implicit-def: $vgpr56_vgpr57
	s_and_saveexec_b64 s[8:9], vcc
	s_xor_b64 s[10:11], exec, s[8:9]
	s_cbranch_execz .LBB248_290
; %bb.280:                              ;   in Loop: Header=BB248_217 Depth=1
	s_mov_b32 s8, 0
	s_mov_b32 s9, 0x41d00000
	v_cmp_nlt_f64_e64 s[86:87], |v[16:17]|, s[8:9]
                                        ; implicit-def: $vgpr54
                                        ; implicit-def: $vgpr56_vgpr57
                                        ; implicit-def: $vgpr58_vgpr59
	s_and_saveexec_b64 s[8:9], s[86:87]
	s_xor_b64 s[88:89], exec, s[8:9]
	s_cbranch_execz .LBB248_283
; %bb.281:                              ;   in Loop: Header=BB248_217 Depth=1
	s_movk_i32 s8, 0xff80
	v_ldexp_f64 v[60:61], |v[16:17]|, s8
	s_mov_b32 s8, 0
	s_mov_b32 s9, 0x7b000000
	v_and_b32_e32 v19, 0x7fffffff, v17
	v_cmp_ge_f64_e64 vcc, |v[16:17]|, s[8:9]
	v_trig_preop_f64 v[56:57], |v[16:17]|, 0
	v_cndmask_b32_e32 v61, v19, v61, vcc
	v_cndmask_b32_e32 v60, v16, v60, vcc
	v_trig_preop_f64 v[58:59], |v[16:17]|, 1
	v_mul_f64 v[68:69], v[56:57], v[60:61]
	v_mul_f64 v[62:63], v[58:59], v[60:61]
	v_fma_f64 v[56:57], v[56:57], v[60:61], -v[68:69]
	v_add_f64 v[70:71], v[62:63], v[56:57]
	v_add_f64 v[72:73], v[68:69], v[70:71]
	s_mov_b32 s8, 0
	v_ldexp_f64 v[74:75], v[72:73], -2
	s_mov_b32 s9, 0x7ff00000
	v_fract_f64_e32 v[76:77], v[74:75]
	v_cmp_neq_f64_e64 vcc, |v[74:75]|, s[8:9]
	v_cndmask_b32_e32 v75, 0, v77, vcc
	v_cndmask_b32_e32 v74, 0, v76, vcc
	v_add_f64 v[76:77], v[70:71], -v[62:63]
	v_add_f64 v[56:57], v[56:57], -v[76:77]
	;; [unrolled: 1-line block ×4, first 2 shown]
	v_fma_f64 v[58:59], v[58:59], v[60:61], -v[62:63]
	v_trig_preop_f64 v[62:63], |v[16:17]|, 2
	v_add_f64 v[56:57], v[56:57], v[76:77]
	v_mul_f64 v[76:77], v[62:63], v[60:61]
	v_add_f64 v[78:79], v[76:77], v[58:59]
	v_add_f64 v[80:81], v[78:79], v[56:57]
	v_add_f64 v[68:69], v[72:73], -v[68:69]
	v_add_f64 v[72:73], v[80:81], -v[78:79]
	;; [unrolled: 1-line block ×5, first 2 shown]
	v_add_f64 v[56:57], v[56:57], v[72:73]
	v_add_f64 v[72:73], v[78:79], -v[76:77]
	v_add_f64 v[58:59], v[58:59], -v[72:73]
	;; [unrolled: 1-line block ×4, first 2 shown]
	v_add_f64 v[58:59], v[58:59], v[72:73]
	v_add_f64 v[68:69], v[70:71], -v[68:69]
	v_add_f64 v[56:57], v[58:59], v[56:57]
	v_fma_f64 v[58:59], v[62:63], v[60:61], -v[76:77]
	v_add_f64 v[70:71], v[68:69], v[80:81]
	v_add_f64 v[56:57], v[58:59], v[56:57]
	v_ldexp_f64 v[58:59], v[74:75], 2
	v_add_f64 v[60:61], v[70:71], v[58:59]
	v_cmp_gt_f64_e32 vcc, 0, v[60:61]
	v_cndmask_b32_e32 v19, 0, v64, vcc
	v_add_f64 v[58:59], v[58:59], v[18:19]
	v_add_f64 v[60:61], v[70:71], v[58:59]
	v_cvt_i32_f64_e32 v19, v[60:61]
	v_cvt_f64_i32_e32 v[60:61], v19
	v_add_f64 v[58:59], v[58:59], -v[60:61]
	v_add_f64 v[68:69], v[70:71], -v[68:69]
	v_add_f64 v[60:61], v[70:71], v[58:59]
	v_add_f64 v[68:69], v[80:81], -v[68:69]
	v_add_f64 v[58:59], v[60:61], -v[58:59]
	v_cmp_le_f64_e32 vcc, 0.5, v[60:61]
	v_add_f64 v[56:57], v[68:69], v[56:57]
	v_add_f64 v[58:59], v[70:71], -v[58:59]
	v_addc_co_u32_e64 v54, s[8:9], 0, v19, vcc
	v_cndmask_b32_e32 v19, 0, v65, vcc
	v_add_f64 v[56:57], v[56:57], v[58:59]
	v_add_f64 v[58:59], v[60:61], -v[18:19]
	v_add_f64 v[60:61], v[58:59], v[56:57]
	v_add_f64 v[58:59], v[60:61], -v[58:59]
	s_mov_b32 s30, s34
	v_add_f64 v[56:57], v[56:57], -v[58:59]
	v_mul_f64 v[58:59], v[60:61], s[30:31]
	v_fma_f64 v[62:63], v[60:61], s[30:31], -v[58:59]
	s_mov_b32 s39, s37
	v_fmac_f64_e32 v[62:63], s[38:39], v[60:61]
	v_fmac_f64_e32 v[62:63], s[30:31], v[56:57]
	v_add_f64 v[56:57], v[58:59], v[62:63]
	v_add_f64 v[58:59], v[56:57], -v[58:59]
	v_add_f64 v[58:59], v[62:63], -v[58:59]
	s_andn2_saveexec_b64 s[8:9], s[88:89]
	s_cbranch_execz .LBB248_285
	s_branch .LBB248_284
.LBB248_282:                            ;   in Loop: Header=BB248_217 Depth=1
	s_or_b64 exec, exec, s[86:87]
                                        ; implicit-def: $vgpr58_vgpr59
                                        ; implicit-def: $vgpr8_vgpr9
                                        ; implicit-def: $vgpr19
	s_andn2_saveexec_b64 s[10:11], s[84:85]
	s_cbranch_execnz .LBB248_249
	s_branch .LBB248_254
.LBB248_283:                            ;   in Loop: Header=BB248_217 Depth=1
	s_andn2_saveexec_b64 s[8:9], s[88:89]
	s_cbranch_execz .LBB248_285
.LBB248_284:                            ;   in Loop: Header=BB248_217 Depth=1
	v_mul_f64 v[56:57], |v[16:17]|, s[40:41]
	v_rndne_f64_e32 v[60:61], v[56:57]
	v_fma_f64 v[56:57], v[60:61], s[34:35], |v[16:17]|
	v_mul_f64 v[62:63], v[60:61], s[42:43]
	v_add_f64 v[70:71], v[56:57], v[62:63]
	v_fma_f64 v[58:59], s[42:43], v[60:61], v[56:57]
	s_mov_b32 s36, s42
	v_add_f64 v[56:57], v[56:57], -v[70:71]
	v_fma_f64 v[68:69], s[36:37], v[60:61], v[62:63]
	v_add_f64 v[56:57], v[56:57], v[62:63]
	v_add_f64 v[62:63], v[70:71], -v[58:59]
	v_add_f64 v[56:57], v[62:63], v[56:57]
	v_add_f64 v[62:63], v[56:57], -v[68:69]
	v_fmac_f64_e32 v[62:63], s[44:45], v[60:61]
	v_add_f64 v[56:57], v[58:59], v[62:63]
	v_add_f64 v[58:59], v[56:57], -v[58:59]
	v_add_f64 v[58:59], v[62:63], -v[58:59]
	v_cvt_i32_f64_e32 v54, v[60:61]
.LBB248_285:                            ;   in Loop: Header=BB248_217 Depth=1
	s_or_b64 exec, exec, s[8:9]
                                        ; implicit-def: $vgpr68
                                        ; implicit-def: $vgpr60_vgpr61
                                        ; implicit-def: $vgpr62_vgpr63
	s_and_saveexec_b64 s[8:9], s[86:87]
	s_xor_b64 s[86:87], exec, s[8:9]
	s_cbranch_execz .LBB248_287
; %bb.286:                              ;   in Loop: Header=BB248_217 Depth=1
	s_movk_i32 s8, 0xff80
	v_ldexp_f64 v[68:69], |v[16:17]|, s8
	s_mov_b32 s8, 0
	s_mov_b32 s9, 0x7b000000
	v_and_b32_e32 v19, 0x7fffffff, v17
	v_cmp_ge_f64_e64 vcc, |v[16:17]|, s[8:9]
	v_trig_preop_f64 v[60:61], |v[16:17]|, 0
	v_cndmask_b32_e32 v69, v19, v69, vcc
	v_cndmask_b32_e32 v68, v16, v68, vcc
	v_trig_preop_f64 v[62:63], |v[16:17]|, 1
	v_mul_f64 v[72:73], v[60:61], v[68:69]
	v_mul_f64 v[70:71], v[62:63], v[68:69]
	v_fma_f64 v[60:61], v[60:61], v[68:69], -v[72:73]
	v_add_f64 v[74:75], v[70:71], v[60:61]
	v_add_f64 v[76:77], v[72:73], v[74:75]
	s_mov_b32 s8, 0
	v_ldexp_f64 v[78:79], v[76:77], -2
	s_mov_b32 s9, 0x7ff00000
	v_fract_f64_e32 v[80:81], v[78:79]
	v_cmp_neq_f64_e64 vcc, |v[78:79]|, s[8:9]
	v_cndmask_b32_e32 v79, 0, v81, vcc
	v_cndmask_b32_e32 v78, 0, v80, vcc
	v_add_f64 v[80:81], v[74:75], -v[70:71]
	v_add_f64 v[60:61], v[60:61], -v[80:81]
	;; [unrolled: 1-line block ×4, first 2 shown]
	v_fma_f64 v[62:63], v[62:63], v[68:69], -v[70:71]
	v_trig_preop_f64 v[70:71], |v[16:17]|, 2
	v_add_f64 v[60:61], v[60:61], v[80:81]
	v_mul_f64 v[80:81], v[70:71], v[68:69]
	v_add_f64 v[82:83], v[80:81], v[62:63]
	v_add_f64 v[84:85], v[82:83], v[60:61]
	v_add_f64 v[72:73], v[76:77], -v[72:73]
	v_add_f64 v[76:77], v[84:85], -v[82:83]
	;; [unrolled: 1-line block ×5, first 2 shown]
	v_add_f64 v[60:61], v[60:61], v[76:77]
	v_add_f64 v[76:77], v[82:83], -v[80:81]
	v_add_f64 v[62:63], v[62:63], -v[76:77]
	;; [unrolled: 1-line block ×4, first 2 shown]
	v_add_f64 v[62:63], v[62:63], v[76:77]
	v_add_f64 v[72:73], v[74:75], -v[72:73]
	v_add_f64 v[60:61], v[62:63], v[60:61]
	v_fma_f64 v[62:63], v[70:71], v[68:69], -v[80:81]
	v_add_f64 v[74:75], v[72:73], v[84:85]
	v_add_f64 v[60:61], v[62:63], v[60:61]
	v_ldexp_f64 v[62:63], v[78:79], 2
	v_add_f64 v[68:69], v[74:75], v[62:63]
	v_cmp_gt_f64_e32 vcc, 0, v[68:69]
	v_cndmask_b32_e32 v19, 0, v64, vcc
	v_add_f64 v[62:63], v[62:63], v[18:19]
	v_add_f64 v[68:69], v[74:75], v[62:63]
	v_cvt_i32_f64_e32 v19, v[68:69]
	v_cvt_f64_i32_e32 v[68:69], v19
	v_add_f64 v[62:63], v[62:63], -v[68:69]
	v_add_f64 v[72:73], v[74:75], -v[72:73]
	v_add_f64 v[70:71], v[74:75], v[62:63]
	v_add_f64 v[72:73], v[84:85], -v[72:73]
	v_add_f64 v[62:63], v[70:71], -v[62:63]
	v_cmp_le_f64_e32 vcc, 0.5, v[70:71]
	v_add_f64 v[60:61], v[72:73], v[60:61]
	v_add_f64 v[62:63], v[74:75], -v[62:63]
	v_addc_co_u32_e64 v68, s[8:9], 0, v19, vcc
	v_cndmask_b32_e32 v19, 0, v65, vcc
	v_add_f64 v[60:61], v[60:61], v[62:63]
	v_add_f64 v[62:63], v[70:71], -v[18:19]
	v_add_f64 v[70:71], v[62:63], v[60:61]
	v_add_f64 v[62:63], v[70:71], -v[62:63]
	s_mov_b32 s30, s34
	v_add_f64 v[60:61], v[60:61], -v[62:63]
	v_mul_f64 v[62:63], v[70:71], s[30:31]
	v_fma_f64 v[72:73], v[70:71], s[30:31], -v[62:63]
	s_mov_b32 s39, s37
	v_fmac_f64_e32 v[72:73], s[38:39], v[70:71]
	v_fmac_f64_e32 v[72:73], s[30:31], v[60:61]
	v_add_f64 v[60:61], v[62:63], v[72:73]
	v_add_f64 v[62:63], v[60:61], -v[62:63]
	v_add_f64 v[62:63], v[72:73], -v[62:63]
	s_andn2_saveexec_b64 s[8:9], s[86:87]
	s_cbranch_execnz .LBB248_288
	s_branch .LBB248_289
.LBB248_287:                            ;   in Loop: Header=BB248_217 Depth=1
	s_andn2_saveexec_b64 s[8:9], s[86:87]
	s_cbranch_execz .LBB248_289
.LBB248_288:                            ;   in Loop: Header=BB248_217 Depth=1
	v_mul_f64 v[60:61], |v[16:17]|, s[40:41]
	v_rndne_f64_e32 v[68:69], v[60:61]
	v_fma_f64 v[60:61], v[68:69], s[34:35], |v[16:17]|
	v_mul_f64 v[70:71], v[68:69], s[42:43]
	v_add_f64 v[74:75], v[60:61], v[70:71]
	v_fma_f64 v[62:63], s[42:43], v[68:69], v[60:61]
	s_mov_b32 s36, s42
	v_add_f64 v[60:61], v[60:61], -v[74:75]
	v_fma_f64 v[72:73], s[36:37], v[68:69], v[70:71]
	v_add_f64 v[60:61], v[60:61], v[70:71]
	v_add_f64 v[70:71], v[74:75], -v[62:63]
	v_add_f64 v[60:61], v[70:71], v[60:61]
	v_add_f64 v[70:71], v[60:61], -v[72:73]
	v_fmac_f64_e32 v[70:71], s[44:45], v[68:69]
	v_add_f64 v[60:61], v[62:63], v[70:71]
	v_add_f64 v[62:63], v[60:61], -v[62:63]
	v_add_f64 v[62:63], v[70:71], -v[62:63]
	v_cvt_i32_f64_e32 v68, v[68:69]
.LBB248_289:                            ;   in Loop: Header=BB248_217 Depth=1
	s_or_b64 exec, exec, s[8:9]
	s_mov_b32 s46, s48
	v_mul_f64 v[70:71], v[14:15], s[46:47]
	v_rndne_f64_e32 v[70:71], v[70:71]
	v_fma_f64 v[72:73], v[70:71], s[50:51], -v[14:15]
	v_fmac_f64_e32 v[72:73], s[52:53], v[70:71]
	v_pk_mov_b32 v[74:75], v[36:37], v[36:37] op_sel:[0,1]
	v_fmac_f64_e32 v[74:75], s[54:55], v[72:73]
	v_pk_mov_b32 v[76:77], v[38:39], v[38:39] op_sel:[0,1]
	;; [unrolled: 2-line block ×9, first 2 shown]
	v_fmac_f64_e32 v[74:75], v[72:73], v[76:77]
	v_fma_f64 v[74:75], v[72:73], v[74:75], 1.0
	v_fma_f64 v[72:73], v[72:73], v[74:75], 1.0
	v_cvt_i32_f64_e32 v19, v[70:71]
	v_ldexp_f64 v[70:71], v[72:73], v19
	v_cmp_ngt_f64_e32 vcc, s[60:61], v[14:15]
	v_cmp_nlt_f64_e64 s[8:9], s[62:63], v[14:15]
	v_cndmask_b32_e32 v19, v66, v71, vcc
	s_and_b64 vcc, s[8:9], vcc
	v_cndmask_b32_e32 v14, 0, v70, vcc
	v_mul_f64 v[70:71], v[56:57], v[56:57]
	v_pk_mov_b32 v[78:79], s[64:65], s[64:65] op_sel:[0,1]
	v_mul_f64 v[72:73], v[70:71], 0.5
	v_fma_f64 v[80:81], s[66:67], v[70:71], v[78:79]
	v_add_f64 v[74:75], -v[72:73], 1.0
	v_fma_f64 v[80:81], v[70:71], v[80:81], s[68:69]
	v_add_f64 v[76:77], -v[74:75], 1.0
	v_fma_f64 v[80:81], v[70:71], v[80:81], s[70:71]
	v_add_f64 v[72:73], v[76:77], -v[72:73]
	v_fma_f64 v[80:81], v[70:71], v[80:81], s[72:73]
	v_mul_f64 v[76:77], v[70:71], v[70:71]
	v_fma_f64 v[80:81], v[70:71], v[80:81], s[58:59]
	v_fma_f64 v[72:73], v[56:57], -v[58:59], v[72:73]
	v_fmac_f64_e32 v[72:73], v[76:77], v[80:81]
	v_add_f64 v[72:73], v[74:75], v[72:73]
	v_pk_mov_b32 v[74:75], s[74:75], s[74:75] op_sel:[0,1]
	v_fma_f64 v[76:77], s[76:77], v[70:71], v[74:75]
	v_fma_f64 v[76:77], v[70:71], v[76:77], s[78:79]
	;; [unrolled: 1-line block ×4, first 2 shown]
	v_mul_f64 v[80:81], v[56:57], -v[70:71]
	v_mul_f64 v[82:83], v[58:59], 0.5
	v_fmac_f64_e32 v[82:83], v[80:81], v[76:77]
	v_fma_f64 v[58:59], v[70:71], v[82:83], -v[58:59]
	s_mov_b32 s82, s58
	v_fmac_f64_e32 v[58:59], s[82:83], v[80:81]
	v_add_f64 v[56:57], v[56:57], -v[58:59]
	v_cndmask_b32_e64 v15, 0, v19, s[8:9]
	v_xor_b32_e32 v19, 0x80000000, v57
	v_and_b32_e32 v57, 1, v54
	v_cmp_eq_u32_e32 vcc, 0, v57
	v_lshlrev_b32_e32 v54, 30, v54
	v_cndmask_b32_e32 v19, v19, v73, vcc
	v_and_b32_e32 v54, 0x80000000, v54
	v_cndmask_b32_e32 v56, v56, v72, vcc
	v_xor_b32_e32 v19, v19, v54
	v_cmp_class_f64_e64 vcc, v[16:17], s29
	v_cndmask_b32_e32 v16, 0, v56, vcc
	v_cndmask_b32_e32 v17, v67, v19, vcc
	v_mul_f64 v[56:57], v[14:15], v[16:17]
	v_mul_f64 v[16:17], v[60:61], v[60:61]
	v_mul_f64 v[58:59], v[16:17], 0.5
	v_fmac_f64_e32 v[78:79], s[66:67], v[16:17]
	v_add_f64 v[70:71], -v[58:59], 1.0
	v_fma_f64 v[76:77], v[16:17], v[78:79], s[68:69]
	v_add_f64 v[72:73], -v[70:71], 1.0
	v_fma_f64 v[76:77], v[16:17], v[76:77], s[70:71]
	v_add_f64 v[58:59], v[72:73], -v[58:59]
	v_fma_f64 v[76:77], v[16:17], v[76:77], s[72:73]
	v_mul_f64 v[72:73], v[16:17], v[16:17]
	v_fma_f64 v[76:77], v[16:17], v[76:77], s[58:59]
	v_fma_f64 v[58:59], v[60:61], -v[62:63], v[58:59]
	v_fmac_f64_e32 v[58:59], v[72:73], v[76:77]
	v_fmac_f64_e32 v[74:75], s[76:77], v[16:17]
	v_add_f64 v[58:59], v[70:71], v[58:59]
	v_fma_f64 v[70:71], v[16:17], v[74:75], s[78:79]
	v_fma_f64 v[70:71], v[16:17], v[70:71], s[80:81]
	;; [unrolled: 1-line block ×3, first 2 shown]
	v_mul_f64 v[72:73], v[60:61], -v[16:17]
	v_mul_f64 v[74:75], v[62:63], 0.5
	v_fmac_f64_e32 v[74:75], v[72:73], v[70:71]
	v_fma_f64 v[16:17], v[16:17], v[74:75], -v[62:63]
	v_and_b32_e32 v19, 1, v68
	v_fmac_f64_e32 v[16:17], s[82:83], v[72:73]
	v_cmp_eq_u32_e64 s[8:9], 0, v19
	v_lshlrev_b32_e32 v19, 30, v68
	v_add_f64 v[16:17], v[60:61], -v[16:17]
	v_xor_b32_e32 v19, v19, v55
	v_cndmask_b32_e64 v17, v59, v17, s[8:9]
	v_and_b32_e32 v19, 0x80000000, v19
	v_cndmask_b32_e64 v16, v58, v16, s[8:9]
	v_xor_b32_e32 v17, v17, v19
	v_cndmask_b32_e32 v16, 0, v16, vcc
	v_cndmask_b32_e32 v17, v67, v17, vcc
	v_mul_f64 v[54:55], v[14:15], v[16:17]
                                        ; implicit-def: $vgpr16_vgpr17
.LBB248_290:                            ;   in Loop: Header=BB248_217 Depth=1
	s_andn2_saveexec_b64 s[86:87], s[10:11]
	s_cbranch_execz .LBB248_300
; %bb.291:                              ;   in Loop: Header=BB248_217 Depth=1
	s_mov_b32 s8, 0
	s_mov_b32 s9, 0x41d00000
	v_cmp_nlt_f64_e64 s[10:11], |v[16:17]|, s[8:9]
                                        ; implicit-def: $vgpr54
                                        ; implicit-def: $vgpr56_vgpr57
                                        ; implicit-def: $vgpr58_vgpr59
	s_and_saveexec_b64 s[8:9], s[10:11]
	s_xor_b64 s[88:89], exec, s[8:9]
	s_cbranch_execz .LBB248_293
; %bb.292:                              ;   in Loop: Header=BB248_217 Depth=1
	s_movk_i32 s8, 0xff80
	v_ldexp_f64 v[60:61], |v[16:17]|, s8
	s_mov_b32 s8, 0
	s_mov_b32 s9, 0x7b000000
	v_and_b32_e32 v19, 0x7fffffff, v17
	v_cmp_ge_f64_e64 vcc, |v[16:17]|, s[8:9]
	v_trig_preop_f64 v[56:57], |v[16:17]|, 0
	v_cndmask_b32_e32 v61, v19, v61, vcc
	v_cndmask_b32_e32 v60, v16, v60, vcc
	v_trig_preop_f64 v[58:59], |v[16:17]|, 1
	v_mul_f64 v[68:69], v[56:57], v[60:61]
	v_mul_f64 v[62:63], v[58:59], v[60:61]
	v_fma_f64 v[56:57], v[56:57], v[60:61], -v[68:69]
	v_add_f64 v[70:71], v[62:63], v[56:57]
	v_add_f64 v[72:73], v[68:69], v[70:71]
	s_mov_b32 s8, 0
	v_ldexp_f64 v[74:75], v[72:73], -2
	s_mov_b32 s9, 0x7ff00000
	v_fract_f64_e32 v[76:77], v[74:75]
	v_cmp_neq_f64_e64 vcc, |v[74:75]|, s[8:9]
	v_cndmask_b32_e32 v75, 0, v77, vcc
	v_cndmask_b32_e32 v74, 0, v76, vcc
	v_add_f64 v[76:77], v[70:71], -v[62:63]
	v_add_f64 v[56:57], v[56:57], -v[76:77]
	;; [unrolled: 1-line block ×4, first 2 shown]
	v_fma_f64 v[58:59], v[58:59], v[60:61], -v[62:63]
	v_trig_preop_f64 v[62:63], |v[16:17]|, 2
	v_add_f64 v[56:57], v[56:57], v[76:77]
	v_mul_f64 v[76:77], v[62:63], v[60:61]
	v_add_f64 v[78:79], v[76:77], v[58:59]
	v_add_f64 v[80:81], v[78:79], v[56:57]
	v_add_f64 v[68:69], v[72:73], -v[68:69]
	v_add_f64 v[72:73], v[80:81], -v[78:79]
	;; [unrolled: 1-line block ×5, first 2 shown]
	v_add_f64 v[56:57], v[56:57], v[72:73]
	v_add_f64 v[72:73], v[78:79], -v[76:77]
	v_add_f64 v[58:59], v[58:59], -v[72:73]
	v_add_f64 v[72:73], v[78:79], -v[72:73]
	v_add_f64 v[72:73], v[76:77], -v[72:73]
	v_add_f64 v[58:59], v[58:59], v[72:73]
	v_add_f64 v[68:69], v[70:71], -v[68:69]
	v_add_f64 v[56:57], v[58:59], v[56:57]
	v_fma_f64 v[58:59], v[62:63], v[60:61], -v[76:77]
	v_add_f64 v[70:71], v[68:69], v[80:81]
	v_add_f64 v[56:57], v[58:59], v[56:57]
	v_ldexp_f64 v[58:59], v[74:75], 2
	v_add_f64 v[60:61], v[70:71], v[58:59]
	v_cmp_gt_f64_e32 vcc, 0, v[60:61]
	v_cndmask_b32_e32 v19, 0, v64, vcc
	v_add_f64 v[58:59], v[58:59], v[18:19]
	v_add_f64 v[60:61], v[70:71], v[58:59]
	v_cvt_i32_f64_e32 v19, v[60:61]
	v_cvt_f64_i32_e32 v[60:61], v19
	v_add_f64 v[58:59], v[58:59], -v[60:61]
	v_add_f64 v[68:69], v[70:71], -v[68:69]
	v_add_f64 v[60:61], v[70:71], v[58:59]
	v_add_f64 v[68:69], v[80:81], -v[68:69]
	v_add_f64 v[58:59], v[60:61], -v[58:59]
	v_cmp_le_f64_e32 vcc, 0.5, v[60:61]
	v_add_f64 v[56:57], v[68:69], v[56:57]
	v_add_f64 v[58:59], v[70:71], -v[58:59]
	v_addc_co_u32_e64 v54, s[8:9], 0, v19, vcc
	v_cndmask_b32_e32 v19, 0, v65, vcc
	v_add_f64 v[56:57], v[56:57], v[58:59]
	v_add_f64 v[58:59], v[60:61], -v[18:19]
	v_add_f64 v[60:61], v[58:59], v[56:57]
	v_add_f64 v[58:59], v[60:61], -v[58:59]
	s_mov_b32 s30, s34
	v_add_f64 v[56:57], v[56:57], -v[58:59]
	v_mul_f64 v[58:59], v[60:61], s[30:31]
	v_fma_f64 v[62:63], v[60:61], s[30:31], -v[58:59]
	s_mov_b32 s39, s37
	v_fmac_f64_e32 v[62:63], s[38:39], v[60:61]
	v_fmac_f64_e32 v[62:63], s[30:31], v[56:57]
	v_add_f64 v[56:57], v[58:59], v[62:63]
	v_add_f64 v[58:59], v[56:57], -v[58:59]
	v_add_f64 v[58:59], v[62:63], -v[58:59]
	s_andn2_saveexec_b64 s[8:9], s[88:89]
	s_cbranch_execz .LBB248_295
	s_branch .LBB248_294
.LBB248_293:                            ;   in Loop: Header=BB248_217 Depth=1
	s_andn2_saveexec_b64 s[8:9], s[88:89]
	s_cbranch_execz .LBB248_295
.LBB248_294:                            ;   in Loop: Header=BB248_217 Depth=1
	v_mul_f64 v[56:57], |v[16:17]|, s[40:41]
	v_rndne_f64_e32 v[60:61], v[56:57]
	v_fma_f64 v[56:57], v[60:61], s[34:35], |v[16:17]|
	v_mul_f64 v[62:63], v[60:61], s[42:43]
	v_add_f64 v[70:71], v[56:57], v[62:63]
	v_fma_f64 v[58:59], s[42:43], v[60:61], v[56:57]
	s_mov_b32 s36, s42
	v_add_f64 v[56:57], v[56:57], -v[70:71]
	v_fma_f64 v[68:69], s[36:37], v[60:61], v[62:63]
	v_add_f64 v[56:57], v[56:57], v[62:63]
	v_add_f64 v[62:63], v[70:71], -v[58:59]
	v_add_f64 v[56:57], v[62:63], v[56:57]
	v_add_f64 v[62:63], v[56:57], -v[68:69]
	v_fmac_f64_e32 v[62:63], s[44:45], v[60:61]
	v_add_f64 v[56:57], v[58:59], v[62:63]
	v_add_f64 v[58:59], v[56:57], -v[58:59]
	v_add_f64 v[58:59], v[62:63], -v[58:59]
	v_cvt_i32_f64_e32 v54, v[60:61]
.LBB248_295:                            ;   in Loop: Header=BB248_217 Depth=1
	s_or_b64 exec, exec, s[8:9]
                                        ; implicit-def: $vgpr68
                                        ; implicit-def: $vgpr60_vgpr61
                                        ; implicit-def: $vgpr62_vgpr63
	s_and_saveexec_b64 s[8:9], s[10:11]
	s_xor_b64 s[10:11], exec, s[8:9]
	s_cbranch_execz .LBB248_297
; %bb.296:                              ;   in Loop: Header=BB248_217 Depth=1
	s_movk_i32 s8, 0xff80
	v_ldexp_f64 v[68:69], |v[16:17]|, s8
	s_mov_b32 s8, 0
	s_mov_b32 s9, 0x7b000000
	v_and_b32_e32 v19, 0x7fffffff, v17
	v_cmp_ge_f64_e64 vcc, |v[16:17]|, s[8:9]
	v_trig_preop_f64 v[60:61], |v[16:17]|, 0
	v_cndmask_b32_e32 v69, v19, v69, vcc
	v_cndmask_b32_e32 v68, v16, v68, vcc
	v_trig_preop_f64 v[62:63], |v[16:17]|, 1
	v_mul_f64 v[72:73], v[60:61], v[68:69]
	v_mul_f64 v[70:71], v[62:63], v[68:69]
	v_fma_f64 v[60:61], v[60:61], v[68:69], -v[72:73]
	v_add_f64 v[74:75], v[70:71], v[60:61]
	v_add_f64 v[76:77], v[72:73], v[74:75]
	s_mov_b32 s8, 0
	v_ldexp_f64 v[78:79], v[76:77], -2
	s_mov_b32 s9, 0x7ff00000
	v_fract_f64_e32 v[80:81], v[78:79]
	v_cmp_neq_f64_e64 vcc, |v[78:79]|, s[8:9]
	v_cndmask_b32_e32 v79, 0, v81, vcc
	v_cndmask_b32_e32 v78, 0, v80, vcc
	v_add_f64 v[80:81], v[74:75], -v[70:71]
	v_add_f64 v[60:61], v[60:61], -v[80:81]
	;; [unrolled: 1-line block ×4, first 2 shown]
	v_fma_f64 v[62:63], v[62:63], v[68:69], -v[70:71]
	v_trig_preop_f64 v[70:71], |v[16:17]|, 2
	v_add_f64 v[60:61], v[60:61], v[80:81]
	v_mul_f64 v[80:81], v[70:71], v[68:69]
	v_add_f64 v[82:83], v[80:81], v[62:63]
	v_add_f64 v[84:85], v[82:83], v[60:61]
	v_add_f64 v[72:73], v[76:77], -v[72:73]
	v_add_f64 v[76:77], v[84:85], -v[82:83]
	;; [unrolled: 1-line block ×5, first 2 shown]
	v_add_f64 v[60:61], v[60:61], v[76:77]
	v_add_f64 v[76:77], v[82:83], -v[80:81]
	v_add_f64 v[62:63], v[62:63], -v[76:77]
	;; [unrolled: 1-line block ×4, first 2 shown]
	v_add_f64 v[62:63], v[62:63], v[76:77]
	v_add_f64 v[72:73], v[74:75], -v[72:73]
	v_add_f64 v[60:61], v[62:63], v[60:61]
	v_fma_f64 v[62:63], v[70:71], v[68:69], -v[80:81]
	v_add_f64 v[74:75], v[72:73], v[84:85]
	v_add_f64 v[60:61], v[62:63], v[60:61]
	v_ldexp_f64 v[62:63], v[78:79], 2
	v_add_f64 v[68:69], v[74:75], v[62:63]
	v_cmp_gt_f64_e32 vcc, 0, v[68:69]
	v_cndmask_b32_e32 v19, 0, v64, vcc
	v_add_f64 v[62:63], v[62:63], v[18:19]
	v_add_f64 v[68:69], v[74:75], v[62:63]
	v_cvt_i32_f64_e32 v19, v[68:69]
	v_cvt_f64_i32_e32 v[68:69], v19
	v_add_f64 v[62:63], v[62:63], -v[68:69]
	v_add_f64 v[72:73], v[74:75], -v[72:73]
	v_add_f64 v[70:71], v[74:75], v[62:63]
	v_add_f64 v[72:73], v[84:85], -v[72:73]
	v_add_f64 v[62:63], v[70:71], -v[62:63]
	v_cmp_le_f64_e32 vcc, 0.5, v[70:71]
	v_add_f64 v[60:61], v[72:73], v[60:61]
	v_add_f64 v[62:63], v[74:75], -v[62:63]
	v_addc_co_u32_e64 v68, s[8:9], 0, v19, vcc
	v_cndmask_b32_e32 v19, 0, v65, vcc
	v_add_f64 v[60:61], v[60:61], v[62:63]
	v_add_f64 v[62:63], v[70:71], -v[18:19]
	v_add_f64 v[70:71], v[62:63], v[60:61]
	v_add_f64 v[62:63], v[70:71], -v[62:63]
	s_mov_b32 s30, s34
	v_add_f64 v[60:61], v[60:61], -v[62:63]
	v_mul_f64 v[62:63], v[70:71], s[30:31]
	v_fma_f64 v[72:73], v[70:71], s[30:31], -v[62:63]
	s_mov_b32 s39, s37
	v_fmac_f64_e32 v[72:73], s[38:39], v[70:71]
	v_fmac_f64_e32 v[72:73], s[30:31], v[60:61]
	v_add_f64 v[60:61], v[62:63], v[72:73]
	v_add_f64 v[62:63], v[60:61], -v[62:63]
	v_add_f64 v[62:63], v[72:73], -v[62:63]
	s_andn2_saveexec_b64 s[8:9], s[10:11]
	s_cbranch_execnz .LBB248_298
	s_branch .LBB248_299
.LBB248_297:                            ;   in Loop: Header=BB248_217 Depth=1
	s_andn2_saveexec_b64 s[8:9], s[10:11]
	s_cbranch_execz .LBB248_299
.LBB248_298:                            ;   in Loop: Header=BB248_217 Depth=1
	v_mul_f64 v[60:61], |v[16:17]|, s[40:41]
	v_rndne_f64_e32 v[68:69], v[60:61]
	v_fma_f64 v[60:61], v[68:69], s[34:35], |v[16:17]|
	v_mul_f64 v[70:71], v[68:69], s[42:43]
	v_add_f64 v[74:75], v[60:61], v[70:71]
	v_fma_f64 v[62:63], s[42:43], v[68:69], v[60:61]
	s_mov_b32 s36, s42
	v_add_f64 v[60:61], v[60:61], -v[74:75]
	v_fma_f64 v[72:73], s[36:37], v[68:69], v[70:71]
	v_add_f64 v[60:61], v[60:61], v[70:71]
	v_add_f64 v[70:71], v[74:75], -v[62:63]
	v_add_f64 v[60:61], v[70:71], v[60:61]
	v_add_f64 v[70:71], v[60:61], -v[72:73]
	v_fmac_f64_e32 v[70:71], s[44:45], v[68:69]
	v_add_f64 v[60:61], v[62:63], v[70:71]
	v_add_f64 v[62:63], v[60:61], -v[62:63]
	v_add_f64 v[62:63], v[70:71], -v[62:63]
	v_cvt_i32_f64_e32 v68, v[68:69]
.LBB248_299:                            ;   in Loop: Header=BB248_217 Depth=1
	s_or_b64 exec, exec, s[8:9]
	v_mul_f64 v[70:71], v[56:57], v[56:57]
	v_pk_mov_b32 v[78:79], s[64:65], s[64:65] op_sel:[0,1]
	v_mul_f64 v[72:73], v[70:71], 0.5
	v_fma_f64 v[80:81], s[66:67], v[70:71], v[78:79]
	v_add_f64 v[74:75], -v[72:73], 1.0
	v_fma_f64 v[80:81], v[70:71], v[80:81], s[68:69]
	v_fma_f64 v[80:81], v[70:71], v[80:81], s[70:71]
	v_add_f64 v[82:83], -v[74:75], 1.0
	v_fma_f64 v[80:81], v[70:71], v[80:81], s[72:73]
	v_add_f64 v[72:73], v[82:83], -v[72:73]
	v_mul_f64 v[76:77], v[70:71], v[70:71]
	v_fma_f64 v[80:81], v[70:71], v[80:81], s[58:59]
	v_fma_f64 v[72:73], v[56:57], -v[58:59], v[72:73]
	v_fmac_f64_e32 v[72:73], v[76:77], v[80:81]
	v_pk_mov_b32 v[76:77], s[74:75], s[74:75] op_sel:[0,1]
	v_fma_f64 v[80:81], s[76:77], v[70:71], v[76:77]
	v_fma_f64 v[80:81], v[70:71], v[80:81], s[78:79]
	;; [unrolled: 1-line block ×3, first 2 shown]
	v_add_f64 v[72:73], v[74:75], v[72:73]
	v_mul_f64 v[74:75], v[56:57], -v[70:71]
	v_fma_f64 v[80:81], v[70:71], v[80:81], s[56:57]
	v_mul_f64 v[82:83], v[58:59], 0.5
	v_fmac_f64_e32 v[82:83], v[74:75], v[80:81]
	v_fma_f64 v[58:59], v[70:71], v[82:83], -v[58:59]
	s_mov_b32 s82, s58
	v_fmac_f64_e32 v[58:59], s[82:83], v[74:75]
	v_and_b32_e32 v19, 1, v54
	v_add_f64 v[56:57], v[56:57], -v[58:59]
	s_mov_b32 s8, 0x19ba0da4
	v_xor_b32_e32 v57, 0x80000000, v57
	v_cmp_eq_u32_e32 vcc, 0, v19
	v_lshlrev_b32_e32 v54, 30, v54
	s_mov_b32 s9, 0xc0937be3
	v_cndmask_b32_e32 v19, v56, v72, vcc
	v_cndmask_b32_e32 v56, v57, v73, vcc
	v_and_b32_e32 v54, 0x80000000, v54
	v_add_f64 v[14:15], -v[14:15], s[8:9]
	v_xor_b32_e32 v54, v56, v54
	v_mul_f64 v[56:57], v[14:15], s[48:49]
	v_rndne_f64_e32 v[56:57], v[56:57]
	v_fma_f64 v[58:59], s[50:51], v[56:57], v[14:15]
	v_fmac_f64_e32 v[58:59], s[52:53], v[56:57]
	v_pk_mov_b32 v[70:71], v[36:37], v[36:37] op_sel:[0,1]
	v_fmac_f64_e32 v[70:71], s[54:55], v[58:59]
	v_pk_mov_b32 v[72:73], v[38:39], v[38:39] op_sel:[0,1]
	;; [unrolled: 2-line block ×9, first 2 shown]
	v_fmac_f64_e32 v[70:71], v[58:59], v[72:73]
	v_cmp_class_f64_e64 vcc, v[16:17], s29
	v_fma_f64 v[70:71], v[58:59], v[70:71], 1.0
	s_mov_b32 s8, 0
	v_cndmask_b32_e32 v16, 0, v19, vcc
	v_fma_f64 v[58:59], v[58:59], v[70:71], 1.0
	v_cvt_i32_f64_e32 v19, v[56:57]
	s_mov_b32 s9, 0x40900000
	s_mov_b32 s10, 0
	v_ldexp_f64 v[56:57], v[58:59], v19
	v_cmp_nlt_f64_e64 s[8:9], s[8:9], v[14:15]
	s_mov_b32 s11, 0xc090cc00
	v_cndmask_b32_e64 v19, v66, v57, s[8:9]
	v_cmp_ngt_f64_e64 s[10:11], s[10:11], v[14:15]
	v_cndmask_b32_e64 v19, 0, v19, s[10:11]
	v_and_b32_e32 v15, 0xfffff, v19
	v_lshrrev_b32_e32 v19, 20, v19
	v_cndmask_b32_e32 v17, v67, v54, vcc
	v_add_u32_e32 v54, 0xffffff09, v19
	v_lshrrev_b16_e32 v19, 15, v54
	v_add_u16_e32 v19, v54, v19
	s_and_b64 s[8:9], s[10:11], s[8:9]
	v_ashrrev_i16_e32 v19, 1, v19
	v_cndmask_b32_e64 v14, 0, v56, s[8:9]
	v_or_b32_e32 v15, 0x7fe00000, v15
	v_bfe_i32 v56, v19, 0, 16
	v_mul_f64 v[16:17], v[14:15], v[16:17]
	v_lshl_add_u32 v19, v56, 20, v65
	v_sub_u32_e32 v54, v54, v56
	v_mul_f64 v[16:17], v[16:17], v[18:19]
	v_lshl_add_u32 v59, v54, 20, v65
	v_mov_b32_e32 v58, v18
	v_mul_f64 v[56:57], v[16:17], v[58:59]
	v_mul_f64 v[16:17], v[60:61], v[60:61]
	v_mul_f64 v[70:71], v[16:17], 0.5
	v_fmac_f64_e32 v[78:79], s[66:67], v[16:17]
	v_add_f64 v[72:73], -v[70:71], 1.0
	v_fma_f64 v[78:79], v[16:17], v[78:79], s[68:69]
	v_add_f64 v[74:75], -v[72:73], 1.0
	v_fma_f64 v[78:79], v[16:17], v[78:79], s[70:71]
	v_add_f64 v[70:71], v[74:75], -v[70:71]
	v_fma_f64 v[78:79], v[16:17], v[78:79], s[72:73]
	v_mul_f64 v[74:75], v[16:17], v[16:17]
	v_fma_f64 v[78:79], v[16:17], v[78:79], s[58:59]
	v_fma_f64 v[70:71], v[60:61], -v[62:63], v[70:71]
	v_fmac_f64_e32 v[70:71], v[74:75], v[78:79]
	v_fmac_f64_e32 v[76:77], s[76:77], v[16:17]
	v_add_f64 v[70:71], v[72:73], v[70:71]
	v_fma_f64 v[72:73], v[16:17], v[76:77], s[78:79]
	v_fma_f64 v[72:73], v[16:17], v[72:73], s[80:81]
	v_fma_f64 v[72:73], v[16:17], v[72:73], s[56:57]
	v_mul_f64 v[74:75], v[60:61], -v[16:17]
	v_mul_f64 v[76:77], v[62:63], 0.5
	v_fmac_f64_e32 v[76:77], v[74:75], v[72:73]
	v_fma_f64 v[16:17], v[16:17], v[76:77], -v[62:63]
	v_and_b32_e32 v54, 1, v68
	v_fmac_f64_e32 v[16:17], s[82:83], v[74:75]
	v_cmp_eq_u32_e64 s[8:9], 0, v54
	v_lshlrev_b32_e32 v54, 30, v68
	v_add_f64 v[16:17], v[60:61], -v[16:17]
	v_xor_b32_e32 v54, v54, v55
	v_cndmask_b32_e64 v17, v71, v17, s[8:9]
	v_and_b32_e32 v54, 0x80000000, v54
	v_cndmask_b32_e64 v16, v70, v16, s[8:9]
	v_xor_b32_e32 v17, v17, v54
	v_cndmask_b32_e32 v16, 0, v16, vcc
	v_cndmask_b32_e32 v17, v67, v17, vcc
	v_mul_f64 v[14:15], v[14:15], v[16:17]
	v_mul_f64 v[14:15], v[14:15], v[18:19]
	;; [unrolled: 1-line block ×3, first 2 shown]
.LBB248_300:                            ;   in Loop: Header=BB248_217 Depth=1
	s_or_b64 exec, exec, s[86:87]
                                        ; implicit-def: $vgpr58_vgpr59
                                        ; implicit-def: $vgpr16_vgpr17
                                        ; implicit-def: $vgpr19
.LBB248_301:                            ;   in Loop: Header=BB248_217 Depth=1
	s_andn2_saveexec_b64 s[10:11], s[84:85]
	s_cbranch_execz .LBB248_307
; %bb.302:                              ;   in Loop: Header=BB248_217 Depth=1
	s_mov_b32 s8, 0x7ff00000
	v_cmp_ne_u32_e32 vcc, 0, v58
	v_cmp_ne_u32_e64 s[8:9], s8, v19
	s_or_b64 s[8:9], vcc, s[8:9]
                                        ; implicit-def: $vgpr54_vgpr55
	s_and_saveexec_b64 s[84:85], s[8:9]
	s_xor_b64 s[8:9], exec, s[84:85]
; %bb.303:                              ;   in Loop: Header=BB248_217 Depth=1
	v_add_f64 v[54:55], v[16:17], -v[16:17]
                                        ; implicit-def: $vgpr58_vgpr59
                                        ; implicit-def: $vgpr16_vgpr17
; %bb.304:                              ;   in Loop: Header=BB248_217 Depth=1
	s_or_saveexec_b64 s[8:9], s[8:9]
	v_pk_mov_b32 v[56:57], v[54:55], v[54:55] op_sel:[0,1]
	s_xor_b64 exec, exec, s[8:9]
; %bb.305:                              ;   in Loop: Header=BB248_217 Depth=1
	v_add_f64 v[16:17], v[16:17], -v[16:17]
	v_cmp_lt_i64_e32 vcc, -1, v[58:59]
	v_cndmask_b32_e32 v57, 0, v59, vcc
	v_cndmask_b32_e32 v56, 0, v14, vcc
	;; [unrolled: 1-line block ×4, first 2 shown]
; %bb.306:                              ;   in Loop: Header=BB248_217 Depth=1
	s_or_b64 exec, exec, s[8:9]
.LBB248_307:                            ;   in Loop: Header=BB248_217 Depth=1
	s_or_b64 exec, exec, s[10:11]
                                        ; implicit-def: $vgpr16_vgpr17
.LBB248_308:                            ;   in Loop: Header=BB248_217 Depth=1
	s_andn2_saveexec_b64 s[10:11], s[94:95]
	s_cbranch_execz .LBB248_318
; %bb.309:                              ;   in Loop: Header=BB248_217 Depth=1
	s_mov_b32 s8, 0
	s_mov_b32 s9, 0x41d00000
	v_cmp_nlt_f64_e64 s[84:85], |v[16:17]|, s[8:9]
                                        ; implicit-def: $vgpr54
                                        ; implicit-def: $vgpr14_vgpr15
                                        ; implicit-def: $vgpr56_vgpr57
	s_and_saveexec_b64 s[8:9], s[84:85]
	s_xor_b64 s[86:87], exec, s[8:9]
	s_cbranch_execz .LBB248_311
; %bb.310:                              ;   in Loop: Header=BB248_217 Depth=1
	s_movk_i32 s8, 0xff80
	v_ldexp_f64 v[58:59], |v[16:17]|, s8
	s_mov_b32 s8, 0
	s_mov_b32 s9, 0x7b000000
	v_and_b32_e32 v19, 0x7fffffff, v17
	v_cmp_ge_f64_e64 vcc, |v[16:17]|, s[8:9]
	v_trig_preop_f64 v[14:15], |v[16:17]|, 0
	v_cndmask_b32_e32 v59, v19, v59, vcc
	v_cndmask_b32_e32 v58, v16, v58, vcc
	v_trig_preop_f64 v[56:57], |v[16:17]|, 1
	v_mul_f64 v[62:63], v[14:15], v[58:59]
	v_mul_f64 v[60:61], v[56:57], v[58:59]
	v_fma_f64 v[14:15], v[14:15], v[58:59], -v[62:63]
	v_add_f64 v[68:69], v[60:61], v[14:15]
	v_add_f64 v[70:71], v[62:63], v[68:69]
	s_mov_b32 s8, 0
	v_ldexp_f64 v[72:73], v[70:71], -2
	s_mov_b32 s9, 0x7ff00000
	v_fract_f64_e32 v[74:75], v[72:73]
	v_cmp_neq_f64_e64 vcc, |v[72:73]|, s[8:9]
	v_cndmask_b32_e32 v73, 0, v75, vcc
	v_cndmask_b32_e32 v72, 0, v74, vcc
	v_add_f64 v[74:75], v[68:69], -v[60:61]
	v_add_f64 v[14:15], v[14:15], -v[74:75]
	;; [unrolled: 1-line block ×4, first 2 shown]
	v_fma_f64 v[56:57], v[56:57], v[58:59], -v[60:61]
	v_trig_preop_f64 v[60:61], |v[16:17]|, 2
	v_add_f64 v[14:15], v[14:15], v[74:75]
	v_mul_f64 v[74:75], v[60:61], v[58:59]
	v_add_f64 v[76:77], v[74:75], v[56:57]
	v_add_f64 v[78:79], v[76:77], v[14:15]
	v_add_f64 v[62:63], v[70:71], -v[62:63]
	v_add_f64 v[70:71], v[78:79], -v[76:77]
	;; [unrolled: 1-line block ×5, first 2 shown]
	v_add_f64 v[14:15], v[14:15], v[70:71]
	v_add_f64 v[70:71], v[76:77], -v[74:75]
	v_add_f64 v[56:57], v[56:57], -v[70:71]
	;; [unrolled: 1-line block ×4, first 2 shown]
	v_add_f64 v[56:57], v[56:57], v[70:71]
	v_add_f64 v[62:63], v[68:69], -v[62:63]
	v_add_f64 v[14:15], v[56:57], v[14:15]
	v_fma_f64 v[56:57], v[60:61], v[58:59], -v[74:75]
	v_add_f64 v[68:69], v[62:63], v[78:79]
	v_add_f64 v[14:15], v[56:57], v[14:15]
	v_ldexp_f64 v[56:57], v[72:73], 2
	v_add_f64 v[58:59], v[68:69], v[56:57]
	v_cmp_gt_f64_e32 vcc, 0, v[58:59]
	v_cndmask_b32_e32 v19, 0, v64, vcc
	v_add_f64 v[56:57], v[56:57], v[18:19]
	v_add_f64 v[58:59], v[68:69], v[56:57]
	v_cvt_i32_f64_e32 v19, v[58:59]
	v_cvt_f64_i32_e32 v[58:59], v19
	v_add_f64 v[56:57], v[56:57], -v[58:59]
	v_add_f64 v[62:63], v[68:69], -v[62:63]
	v_add_f64 v[58:59], v[68:69], v[56:57]
	v_add_f64 v[62:63], v[78:79], -v[62:63]
	v_add_f64 v[56:57], v[58:59], -v[56:57]
	v_cmp_le_f64_e32 vcc, 0.5, v[58:59]
	v_add_f64 v[14:15], v[62:63], v[14:15]
	v_add_f64 v[56:57], v[68:69], -v[56:57]
	v_addc_co_u32_e64 v54, s[8:9], 0, v19, vcc
	v_cndmask_b32_e32 v19, 0, v65, vcc
	v_add_f64 v[14:15], v[14:15], v[56:57]
	v_add_f64 v[56:57], v[58:59], -v[18:19]
	v_add_f64 v[58:59], v[56:57], v[14:15]
	v_add_f64 v[56:57], v[58:59], -v[56:57]
	s_mov_b32 s30, s34
	v_add_f64 v[14:15], v[14:15], -v[56:57]
	v_mul_f64 v[56:57], v[58:59], s[30:31]
	v_fma_f64 v[60:61], v[58:59], s[30:31], -v[56:57]
	s_mov_b32 s39, s37
	v_fmac_f64_e32 v[60:61], s[38:39], v[58:59]
	v_fmac_f64_e32 v[60:61], s[30:31], v[14:15]
	v_add_f64 v[14:15], v[56:57], v[60:61]
	v_add_f64 v[56:57], v[14:15], -v[56:57]
	v_add_f64 v[56:57], v[60:61], -v[56:57]
	s_andn2_saveexec_b64 s[8:9], s[86:87]
	s_cbranch_execz .LBB248_313
	s_branch .LBB248_312
.LBB248_311:                            ;   in Loop: Header=BB248_217 Depth=1
	s_andn2_saveexec_b64 s[8:9], s[86:87]
	s_cbranch_execz .LBB248_313
.LBB248_312:                            ;   in Loop: Header=BB248_217 Depth=1
	v_mul_f64 v[14:15], |v[16:17]|, s[40:41]
	v_rndne_f64_e32 v[58:59], v[14:15]
	v_fma_f64 v[14:15], v[58:59], s[34:35], |v[16:17]|
	v_mul_f64 v[60:61], v[58:59], s[42:43]
	v_add_f64 v[68:69], v[14:15], v[60:61]
	v_fma_f64 v[56:57], s[42:43], v[58:59], v[14:15]
	s_mov_b32 s36, s42
	v_add_f64 v[14:15], v[14:15], -v[68:69]
	v_fma_f64 v[62:63], s[36:37], v[58:59], v[60:61]
	v_add_f64 v[14:15], v[14:15], v[60:61]
	v_add_f64 v[60:61], v[68:69], -v[56:57]
	v_add_f64 v[14:15], v[60:61], v[14:15]
	v_add_f64 v[60:61], v[14:15], -v[62:63]
	v_fmac_f64_e32 v[60:61], s[44:45], v[58:59]
	v_add_f64 v[14:15], v[56:57], v[60:61]
	v_add_f64 v[56:57], v[14:15], -v[56:57]
	v_add_f64 v[56:57], v[60:61], -v[56:57]
	v_cvt_i32_f64_e32 v54, v[58:59]
.LBB248_313:                            ;   in Loop: Header=BB248_217 Depth=1
	s_or_b64 exec, exec, s[8:9]
                                        ; implicit-def: $vgpr62
                                        ; implicit-def: $vgpr58_vgpr59
                                        ; implicit-def: $vgpr60_vgpr61
	s_and_saveexec_b64 s[8:9], s[84:85]
	s_xor_b64 s[84:85], exec, s[8:9]
	s_cbranch_execz .LBB248_315
; %bb.314:                              ;   in Loop: Header=BB248_217 Depth=1
	s_movk_i32 s8, 0xff80
	v_ldexp_f64 v[62:63], |v[16:17]|, s8
	s_mov_b32 s8, 0
	s_mov_b32 s9, 0x7b000000
	v_and_b32_e32 v19, 0x7fffffff, v17
	v_cmp_ge_f64_e64 vcc, |v[16:17]|, s[8:9]
	v_trig_preop_f64 v[58:59], |v[16:17]|, 0
	v_cndmask_b32_e32 v63, v19, v63, vcc
	v_cndmask_b32_e32 v62, v16, v62, vcc
	v_trig_preop_f64 v[60:61], |v[16:17]|, 1
	v_mul_f64 v[70:71], v[58:59], v[62:63]
	v_mul_f64 v[68:69], v[60:61], v[62:63]
	v_fma_f64 v[58:59], v[58:59], v[62:63], -v[70:71]
	v_add_f64 v[72:73], v[68:69], v[58:59]
	v_add_f64 v[74:75], v[70:71], v[72:73]
	s_mov_b32 s8, 0
	v_ldexp_f64 v[76:77], v[74:75], -2
	s_mov_b32 s9, 0x7ff00000
	v_fract_f64_e32 v[78:79], v[76:77]
	v_cmp_neq_f64_e64 vcc, |v[76:77]|, s[8:9]
	v_cndmask_b32_e32 v77, 0, v79, vcc
	v_cndmask_b32_e32 v76, 0, v78, vcc
	v_add_f64 v[78:79], v[72:73], -v[68:69]
	v_add_f64 v[58:59], v[58:59], -v[78:79]
	;; [unrolled: 1-line block ×4, first 2 shown]
	v_fma_f64 v[60:61], v[60:61], v[62:63], -v[68:69]
	v_trig_preop_f64 v[68:69], |v[16:17]|, 2
	v_add_f64 v[58:59], v[58:59], v[78:79]
	v_mul_f64 v[78:79], v[68:69], v[62:63]
	v_add_f64 v[80:81], v[78:79], v[60:61]
	v_add_f64 v[82:83], v[80:81], v[58:59]
	v_add_f64 v[70:71], v[74:75], -v[70:71]
	v_add_f64 v[74:75], v[82:83], -v[80:81]
	;; [unrolled: 1-line block ×5, first 2 shown]
	v_add_f64 v[58:59], v[58:59], v[74:75]
	v_add_f64 v[74:75], v[80:81], -v[78:79]
	v_add_f64 v[60:61], v[60:61], -v[74:75]
	;; [unrolled: 1-line block ×4, first 2 shown]
	v_add_f64 v[60:61], v[60:61], v[74:75]
	v_add_f64 v[70:71], v[72:73], -v[70:71]
	v_add_f64 v[58:59], v[60:61], v[58:59]
	v_fma_f64 v[60:61], v[68:69], v[62:63], -v[78:79]
	v_add_f64 v[72:73], v[70:71], v[82:83]
	v_add_f64 v[58:59], v[60:61], v[58:59]
	v_ldexp_f64 v[60:61], v[76:77], 2
	v_add_f64 v[62:63], v[72:73], v[60:61]
	v_cmp_gt_f64_e32 vcc, 0, v[62:63]
	v_cndmask_b32_e32 v19, 0, v64, vcc
	v_add_f64 v[60:61], v[60:61], v[18:19]
	v_add_f64 v[62:63], v[72:73], v[60:61]
	v_cvt_i32_f64_e32 v19, v[62:63]
	v_cvt_f64_i32_e32 v[62:63], v19
	v_add_f64 v[60:61], v[60:61], -v[62:63]
	v_add_f64 v[70:71], v[72:73], -v[70:71]
	v_add_f64 v[68:69], v[72:73], v[60:61]
	v_add_f64 v[70:71], v[82:83], -v[70:71]
	v_add_f64 v[60:61], v[68:69], -v[60:61]
	v_cmp_le_f64_e32 vcc, 0.5, v[68:69]
	v_add_f64 v[58:59], v[70:71], v[58:59]
	v_add_f64 v[60:61], v[72:73], -v[60:61]
	v_addc_co_u32_e64 v62, s[8:9], 0, v19, vcc
	v_cndmask_b32_e32 v19, 0, v65, vcc
	v_add_f64 v[58:59], v[58:59], v[60:61]
	v_add_f64 v[60:61], v[68:69], -v[18:19]
	v_add_f64 v[68:69], v[60:61], v[58:59]
	v_add_f64 v[60:61], v[68:69], -v[60:61]
	s_mov_b32 s30, s34
	v_add_f64 v[58:59], v[58:59], -v[60:61]
	v_mul_f64 v[60:61], v[68:69], s[30:31]
	v_fma_f64 v[70:71], v[68:69], s[30:31], -v[60:61]
	s_mov_b32 s39, s37
	v_fmac_f64_e32 v[70:71], s[38:39], v[68:69]
	v_fmac_f64_e32 v[70:71], s[30:31], v[58:59]
	v_add_f64 v[58:59], v[60:61], v[70:71]
	v_add_f64 v[60:61], v[58:59], -v[60:61]
	v_add_f64 v[60:61], v[70:71], -v[60:61]
	s_andn2_saveexec_b64 s[8:9], s[84:85]
	s_cbranch_execnz .LBB248_316
	s_branch .LBB248_317
.LBB248_315:                            ;   in Loop: Header=BB248_217 Depth=1
	s_andn2_saveexec_b64 s[8:9], s[84:85]
	s_cbranch_execz .LBB248_317
.LBB248_316:                            ;   in Loop: Header=BB248_217 Depth=1
	v_mul_f64 v[58:59], |v[16:17]|, s[40:41]
	v_rndne_f64_e32 v[62:63], v[58:59]
	v_fma_f64 v[58:59], v[62:63], s[34:35], |v[16:17]|
	v_mul_f64 v[68:69], v[62:63], s[42:43]
	v_add_f64 v[72:73], v[58:59], v[68:69]
	v_fma_f64 v[60:61], s[42:43], v[62:63], v[58:59]
	s_mov_b32 s36, s42
	v_add_f64 v[58:59], v[58:59], -v[72:73]
	v_fma_f64 v[70:71], s[36:37], v[62:63], v[68:69]
	v_add_f64 v[58:59], v[58:59], v[68:69]
	v_add_f64 v[68:69], v[72:73], -v[60:61]
	v_add_f64 v[58:59], v[68:69], v[58:59]
	v_add_f64 v[68:69], v[58:59], -v[70:71]
	v_fmac_f64_e32 v[68:69], s[44:45], v[62:63]
	v_add_f64 v[58:59], v[60:61], v[68:69]
	v_add_f64 v[60:61], v[58:59], -v[60:61]
	v_add_f64 v[60:61], v[68:69], -v[60:61]
	v_cvt_i32_f64_e32 v62, v[62:63]
.LBB248_317:                            ;   in Loop: Header=BB248_217 Depth=1
	s_or_b64 exec, exec, s[8:9]
	v_mul_f64 v[68:69], v[14:15], v[14:15]
	v_pk_mov_b32 v[76:77], s[64:65], s[64:65] op_sel:[0,1]
	v_mul_f64 v[70:71], v[68:69], 0.5
	v_fma_f64 v[78:79], s[66:67], v[68:69], v[76:77]
	v_add_f64 v[72:73], -v[70:71], 1.0
	v_fma_f64 v[78:79], v[68:69], v[78:79], s[68:69]
	v_add_f64 v[74:75], -v[72:73], 1.0
	v_fma_f64 v[78:79], v[68:69], v[78:79], s[70:71]
	v_add_f64 v[70:71], v[74:75], -v[70:71]
	v_fma_f64 v[78:79], v[68:69], v[78:79], s[72:73]
	v_mul_f64 v[74:75], v[68:69], v[68:69]
	v_fma_f64 v[78:79], v[68:69], v[78:79], s[58:59]
	v_fma_f64 v[70:71], v[14:15], -v[56:57], v[70:71]
	v_fmac_f64_e32 v[70:71], v[74:75], v[78:79]
	v_add_f64 v[70:71], v[72:73], v[70:71]
	v_pk_mov_b32 v[72:73], s[74:75], s[74:75] op_sel:[0,1]
	v_fma_f64 v[74:75], s[76:77], v[68:69], v[72:73]
	v_fma_f64 v[74:75], v[68:69], v[74:75], s[78:79]
	;; [unrolled: 1-line block ×4, first 2 shown]
	v_mul_f64 v[78:79], v[14:15], -v[68:69]
	v_mul_f64 v[80:81], v[56:57], 0.5
	v_fmac_f64_e32 v[80:81], v[78:79], v[74:75]
	v_fma_f64 v[56:57], v[68:69], v[80:81], -v[56:57]
	s_mov_b32 s82, s58
	v_fmac_f64_e32 v[56:57], s[82:83], v[78:79]
	v_add_f64 v[14:15], v[14:15], -v[56:57]
	v_and_b32_e32 v19, 1, v54
	v_xor_b32_e32 v15, 0x80000000, v15
	v_cmp_eq_u32_e32 vcc, 0, v19
	v_lshlrev_b32_e32 v19, 30, v54
	v_cndmask_b32_e32 v15, v15, v71, vcc
	v_and_b32_e32 v19, 0x80000000, v19
	v_cndmask_b32_e32 v14, v14, v70, vcc
	v_xor_b32_e32 v15, v15, v19
	v_cmp_class_f64_e64 vcc, v[16:17], s29
	v_cndmask_b32_e32 v56, 0, v14, vcc
	v_cndmask_b32_e32 v57, v67, v15, vcc
	v_mul_f64 v[14:15], v[58:59], v[58:59]
	v_mul_f64 v[16:17], v[14:15], 0.5
	v_fmac_f64_e32 v[76:77], s[66:67], v[14:15]
	v_add_f64 v[68:69], -v[16:17], 1.0
	v_fma_f64 v[74:75], v[14:15], v[76:77], s[68:69]
	v_add_f64 v[70:71], -v[68:69], 1.0
	v_fma_f64 v[74:75], v[14:15], v[74:75], s[70:71]
	v_add_f64 v[16:17], v[70:71], -v[16:17]
	v_fma_f64 v[74:75], v[14:15], v[74:75], s[72:73]
	v_mul_f64 v[70:71], v[14:15], v[14:15]
	v_fma_f64 v[74:75], v[14:15], v[74:75], s[58:59]
	v_fma_f64 v[16:17], v[58:59], -v[60:61], v[16:17]
	v_fmac_f64_e32 v[16:17], v[70:71], v[74:75]
	v_fmac_f64_e32 v[72:73], s[76:77], v[14:15]
	v_add_f64 v[16:17], v[68:69], v[16:17]
	v_fma_f64 v[68:69], v[14:15], v[72:73], s[78:79]
	v_fma_f64 v[68:69], v[14:15], v[68:69], s[80:81]
	;; [unrolled: 1-line block ×3, first 2 shown]
	v_mul_f64 v[70:71], v[58:59], -v[14:15]
	v_mul_f64 v[72:73], v[60:61], 0.5
	v_fmac_f64_e32 v[72:73], v[70:71], v[68:69]
	v_fma_f64 v[14:15], v[14:15], v[72:73], -v[60:61]
	v_fmac_f64_e32 v[14:15], s[82:83], v[70:71]
	v_and_b32_e32 v19, 1, v62
	v_add_f64 v[14:15], v[58:59], -v[14:15]
	v_cmp_eq_u32_e64 s[8:9], 0, v19
	v_cndmask_b32_e64 v14, v16, v14, s[8:9]
	v_lshlrev_b32_e32 v16, 30, v62
	v_xor_b32_e32 v16, v16, v55
	v_cndmask_b32_e64 v15, v17, v15, s[8:9]
	v_and_b32_e32 v16, 0x80000000, v16
	v_xor_b32_e32 v15, v15, v16
	v_cndmask_b32_e32 v54, 0, v14, vcc
	v_cndmask_b32_e32 v55, v67, v15, vcc
.LBB248_318:                            ;   in Loop: Header=BB248_217 Depth=1
	s_or_b64 exec, exec, s[10:11]
                                        ; implicit-def: $vgpr14_vgpr15
.LBB248_319:                            ;   in Loop: Header=BB248_217 Depth=1
	s_andn2_saveexec_b64 s[10:11], s[92:93]
	s_cbranch_execz .LBB248_321
; %bb.320:                              ;   in Loop: Header=BB248_217 Depth=1
	s_mov_b32 s46, s48
	v_mul_f64 v[16:17], v[14:15], s[46:47]
	v_rndne_f64_e32 v[16:17], v[16:17]
	v_fma_f64 v[56:57], v[16:17], s[50:51], -v[14:15]
	v_fmac_f64_e32 v[56:57], s[52:53], v[16:17]
	v_pk_mov_b32 v[58:59], v[36:37], v[36:37] op_sel:[0,1]
	v_fmac_f64_e32 v[58:59], s[54:55], v[56:57]
	v_pk_mov_b32 v[60:61], v[38:39], v[38:39] op_sel:[0,1]
	;; [unrolled: 2-line block ×9, first 2 shown]
	v_fmac_f64_e32 v[58:59], v[56:57], v[60:61]
	v_fma_f64 v[58:59], v[56:57], v[58:59], 1.0
	v_fma_f64 v[56:57], v[56:57], v[58:59], 1.0
	v_cvt_i32_f64_e32 v16, v[16:17]
	v_ldexp_f64 v[16:17], v[56:57], v16
	v_cmp_ngt_f64_e32 vcc, s[60:61], v[14:15]
	v_cmp_nlt_f64_e64 s[8:9], s[62:63], v[14:15]
	v_cndmask_b32_e32 v17, v66, v17, vcc
	s_and_b64 vcc, s[8:9], vcc
	v_cndmask_b32_e64 v57, 0, v17, s[8:9]
	v_cndmask_b32_e32 v56, 0, v16, vcc
.LBB248_321:                            ;   in Loop: Header=BB248_217 Depth=1
	s_or_b64 exec, exec, s[10:11]
	v_add_f64 v[56:57], s[12:13], v[56:57]
	v_add_f64 v[54:55], s[14:15], v[54:55]
	v_xor_b32_e32 v14, 0x80000000, v57
	v_cmp_gt_f64_e32 vcc, 0, v[56:57]
	v_cndmask_b32_e32 v61, v57, v14, vcc
	v_cndmask_b32_e32 v60, v56, v56, vcc
	v_xor_b32_e32 v14, 0x80000000, v55
	v_cmp_gt_f64_e32 vcc, 0, v[54:55]
	v_cndmask_b32_e32 v59, v55, v14, vcc
	v_cndmask_b32_e32 v58, v54, v54, vcc
	v_cmp_ge_f64_e32 vcc, v[60:61], v[58:59]
                                        ; implicit-def: $vgpr16_vgpr17
	s_and_saveexec_b64 s[8:9], vcc
	s_xor_b64 s[10:11], exec, s[8:9]
	s_cbranch_execz .LBB248_327
; %bb.322:                              ;   in Loop: Header=BB248_217 Depth=1
	v_cmp_neq_f64_e32 vcc, 0, v[56:57]
	v_cmp_neq_f64_e64 s[8:9], 0, v[54:55]
	s_or_b64 s[8:9], vcc, s[8:9]
                                        ; implicit-def: $vgpr16_vgpr17
	s_and_saveexec_b64 s[84:85], s[8:9]
	s_xor_b64 s[8:9], exec, s[84:85]
	s_cbranch_execz .LBB248_324
; %bb.323:                              ;   in Loop: Header=BB248_217 Depth=1
	v_div_scale_f64 v[14:15], s[84:85], v[56:57], v[56:57], v[54:55]
	v_rcp_f64_e32 v[16:17], v[14:15]
	v_div_scale_f64 v[58:59], vcc, v[54:55], v[56:57], v[54:55]
	v_fma_f64 v[60:61], -v[14:15], v[16:17], 1.0
	v_fmac_f64_e32 v[16:17], v[16:17], v[60:61]
	v_fma_f64 v[60:61], -v[14:15], v[16:17], 1.0
	v_fmac_f64_e32 v[16:17], v[16:17], v[60:61]
	v_mul_f64 v[60:61], v[58:59], v[16:17]
	v_fma_f64 v[14:15], -v[14:15], v[60:61], v[58:59]
	v_div_fmas_f64 v[14:15], v[14:15], v[16:17], v[60:61]
	v_div_fixup_f64 v[16:17], v[14:15], v[56:57], v[54:55]
	v_fmac_f64_e32 v[56:57], v[54:55], v[16:17]
	v_div_scale_f64 v[14:15], s[84:85], v[56:57], v[56:57], 1.0
	v_rcp_f64_e32 v[54:55], v[14:15]
	v_fma_f64 v[58:59], -v[14:15], v[54:55], 1.0
	v_fmac_f64_e32 v[54:55], v[54:55], v[58:59]
	v_fma_f64 v[58:59], -v[14:15], v[54:55], 1.0
	v_fmac_f64_e32 v[54:55], v[54:55], v[58:59]
	v_div_scale_f64 v[58:59], vcc, 1.0, v[56:57], 1.0
	v_mul_f64 v[60:61], v[58:59], v[54:55]
	v_fma_f64 v[14:15], -v[14:15], v[60:61], v[58:59]
                                        ; implicit-def: $vgpr58_vgpr59
	s_nop 1
	v_div_fmas_f64 v[14:15], v[14:15], v[54:55], v[60:61]
	v_div_fixup_f64 v[54:55], v[14:15], v[56:57], 1.0
	v_pk_mov_b32 v[14:15], s[12:13], s[12:13] op_sel:[0,1]
	v_pk_mov_b32 v[56:57], s[14:15], s[14:15] op_sel:[0,1]
	v_fma_f64 v[14:15], s[14:15], v[16:17], v[14:15]
	v_fma_f64 v[16:17], -s[12:13], v[16:17], v[56:57]
	v_mul_f64 v[14:15], v[14:15], v[54:55]
	v_mul_f64 v[16:17], v[16:17], v[54:55]
                                        ; implicit-def: $vgpr60_vgpr61
.LBB248_324:                            ;   in Loop: Header=BB248_217 Depth=1
	s_andn2_saveexec_b64 s[8:9], s[8:9]
	s_cbranch_execz .LBB248_326
; %bb.325:                              ;   in Loop: Header=BB248_217 Depth=1
	v_div_scale_f64 v[14:15], s[84:85], v[60:61], v[60:61], s[12:13]
	v_rcp_f64_e32 v[16:17], v[14:15]
	v_div_scale_f64 v[54:55], vcc, s[12:13], v[60:61], s[12:13]
	v_fma_f64 v[56:57], -v[14:15], v[16:17], 1.0
	v_fmac_f64_e32 v[16:17], v[16:17], v[56:57]
	v_fma_f64 v[56:57], -v[14:15], v[16:17], 1.0
	v_fmac_f64_e32 v[16:17], v[16:17], v[56:57]
	v_mul_f64 v[56:57], v[54:55], v[16:17]
	v_fma_f64 v[14:15], -v[14:15], v[56:57], v[54:55]
	v_div_scale_f64 v[54:55], s[84:85], v[58:59], v[58:59], s[14:15]
	v_rcp_f64_e32 v[62:63], v[54:55]
	v_div_fmas_f64 v[14:15], v[14:15], v[16:17], v[56:57]
	v_div_fixup_f64 v[14:15], v[14:15], v[60:61], s[12:13]
	v_fma_f64 v[16:17], -v[54:55], v[62:63], 1.0
	v_fmac_f64_e32 v[62:63], v[62:63], v[16:17]
	v_fma_f64 v[16:17], -v[54:55], v[62:63], 1.0
	v_fmac_f64_e32 v[62:63], v[62:63], v[16:17]
	v_div_scale_f64 v[16:17], vcc, s[14:15], v[58:59], s[14:15]
	v_mul_f64 v[56:57], v[16:17], v[62:63]
	v_fma_f64 v[16:17], -v[54:55], v[56:57], v[16:17]
	s_nop 1
	v_div_fmas_f64 v[16:17], v[16:17], v[62:63], v[56:57]
	v_div_fixup_f64 v[16:17], v[16:17], v[58:59], s[14:15]
.LBB248_326:                            ;   in Loop: Header=BB248_217 Depth=1
	s_or_b64 exec, exec, s[8:9]
                                        ; implicit-def: $vgpr54_vgpr55
                                        ; implicit-def: $vgpr56_vgpr57
.LBB248_327:                            ;   in Loop: Header=BB248_217 Depth=1
	s_andn2_saveexec_b64 s[8:9], s[10:11]
	s_cbranch_execz .LBB248_329
; %bb.328:                              ;   in Loop: Header=BB248_217 Depth=1
	v_div_scale_f64 v[14:15], s[10:11], v[54:55], v[54:55], v[56:57]
	v_rcp_f64_e32 v[16:17], v[14:15]
	v_div_scale_f64 v[58:59], vcc, v[56:57], v[54:55], v[56:57]
	v_fma_f64 v[60:61], -v[14:15], v[16:17], 1.0
	v_fmac_f64_e32 v[16:17], v[16:17], v[60:61]
	v_fma_f64 v[60:61], -v[14:15], v[16:17], 1.0
	v_fmac_f64_e32 v[16:17], v[16:17], v[60:61]
	v_mul_f64 v[60:61], v[58:59], v[16:17]
	v_fma_f64 v[14:15], -v[14:15], v[60:61], v[58:59]
	v_div_fmas_f64 v[14:15], v[14:15], v[16:17], v[60:61]
	v_div_fixup_f64 v[16:17], v[14:15], v[54:55], v[56:57]
	v_fmac_f64_e32 v[54:55], v[56:57], v[16:17]
	v_div_scale_f64 v[14:15], s[10:11], v[54:55], v[54:55], 1.0
	v_rcp_f64_e32 v[56:57], v[14:15]
	v_fma_f64 v[58:59], -v[14:15], v[56:57], 1.0
	v_fmac_f64_e32 v[56:57], v[56:57], v[58:59]
	v_fma_f64 v[58:59], -v[14:15], v[56:57], 1.0
	v_fmac_f64_e32 v[56:57], v[56:57], v[58:59]
	v_div_scale_f64 v[58:59], vcc, 1.0, v[54:55], 1.0
	v_mul_f64 v[60:61], v[58:59], v[56:57]
	v_fma_f64 v[14:15], -v[14:15], v[60:61], v[58:59]
	s_nop 1
	v_div_fmas_f64 v[14:15], v[14:15], v[56:57], v[60:61]
	v_div_fixup_f64 v[54:55], v[14:15], v[54:55], 1.0
	v_pk_mov_b32 v[14:15], s[14:15], s[14:15] op_sel:[0,1]
	v_pk_mov_b32 v[56:57], s[12:13], s[12:13] op_sel:[0,1]
	v_fma_f64 v[14:15], s[12:13], v[16:17], v[14:15]
	v_fma_f64 v[16:17], s[14:15], v[16:17], -v[56:57]
	v_mul_f64 v[14:15], v[14:15], v[54:55]
	v_mul_f64 v[16:17], v[16:17], v[54:55]
.LBB248_329:                            ;   in Loop: Header=BB248_217 Depth=1
	s_or_b64 exec, exec, s[8:9]
	v_xor_b32_e32 v55, 0x80000000, v13
	v_mov_b32_e32 v54, v12
	v_and_b32_e32 v60, 0x7fffffff, v55
	v_or_b32_e32 v19, v60, v54
	v_cmp_ne_u32_e32 vcc, 0, v19
                                        ; implicit-def: $vgpr56_vgpr57
	s_and_saveexec_b64 s[8:9], vcc
	s_xor_b64 s[92:93], exec, s[8:9]
	s_cbranch_execz .LBB248_371
; %bb.330:                              ;   in Loop: Header=BB248_217 Depth=1
	v_xor_b32_e32 v59, 0x80000000, v11
	v_mov_b32_e32 v58, v10
	v_and_b32_e32 v19, 0x7fffffff, v59
	v_or_b32_e32 v54, v19, v58
	v_cmp_ne_u32_e32 vcc, 0, v54
                                        ; implicit-def: $vgpr56_vgpr57
	s_and_saveexec_b64 s[8:9], vcc
	s_xor_b64 s[94:95], exec, s[8:9]
	s_cbranch_execz .LBB248_360
; %bb.331:                              ;   in Loop: Header=BB248_217 Depth=1
	s_mov_b32 s8, 0x7ff00000
	v_cmp_gt_u32_e32 vcc, s8, v60
                                        ; implicit-def: $vgpr56_vgpr57
	s_and_saveexec_b64 s[8:9], vcc
	s_xor_b64 s[84:85], exec, s[8:9]
	s_cbranch_execz .LBB248_353
; %bb.332:                              ;   in Loop: Header=BB248_217 Depth=1
	v_add_u32_e32 v19, 0xbf79d1be, v59
	s_mov_b32 s8, 0x108aa2
	v_cmp_lt_u32_e32 vcc, s8, v19
                                        ; implicit-def: $vgpr56_vgpr57
	s_and_saveexec_b64 s[8:9], vcc
	s_xor_b64 s[10:11], exec, s[8:9]
	s_cbranch_execz .LBB248_342
; %bb.333:                              ;   in Loop: Header=BB248_217 Depth=1
	s_mov_b32 s8, 0
	s_mov_b32 s9, 0x41d00000
	v_cmp_nlt_f64_e64 s[86:87], |v[12:13]|, s[8:9]
                                        ; implicit-def: $vgpr54
                                        ; implicit-def: $vgpr56_vgpr57
                                        ; implicit-def: $vgpr58_vgpr59
	s_and_saveexec_b64 s[8:9], s[86:87]
	s_xor_b64 s[88:89], exec, s[8:9]
	s_cbranch_execz .LBB248_335
; %bb.334:                              ;   in Loop: Header=BB248_217 Depth=1
	s_movk_i32 s8, 0xff80
	v_ldexp_f64 v[60:61], |v[12:13]|, s8
	s_mov_b32 s8, 0
	s_mov_b32 s9, 0x7b000000
	v_and_b32_e32 v19, 0x7fffffff, v13
	v_cmp_ge_f64_e64 vcc, |v[12:13]|, s[8:9]
	v_trig_preop_f64 v[56:57], |v[12:13]|, 0
	v_cndmask_b32_e32 v61, v19, v61, vcc
	v_cndmask_b32_e32 v60, v12, v60, vcc
	v_trig_preop_f64 v[58:59], |v[12:13]|, 1
	v_mul_f64 v[68:69], v[56:57], v[60:61]
	v_mul_f64 v[62:63], v[58:59], v[60:61]
	v_fma_f64 v[56:57], v[56:57], v[60:61], -v[68:69]
	v_add_f64 v[70:71], v[62:63], v[56:57]
	v_add_f64 v[72:73], v[68:69], v[70:71]
	s_mov_b32 s8, 0
	v_ldexp_f64 v[74:75], v[72:73], -2
	s_mov_b32 s9, 0x7ff00000
	v_fract_f64_e32 v[76:77], v[74:75]
	v_cmp_neq_f64_e64 vcc, |v[74:75]|, s[8:9]
	v_cndmask_b32_e32 v75, 0, v77, vcc
	v_cndmask_b32_e32 v74, 0, v76, vcc
	v_add_f64 v[76:77], v[70:71], -v[62:63]
	v_add_f64 v[56:57], v[56:57], -v[76:77]
	;; [unrolled: 1-line block ×4, first 2 shown]
	v_fma_f64 v[58:59], v[58:59], v[60:61], -v[62:63]
	v_trig_preop_f64 v[62:63], |v[12:13]|, 2
	v_add_f64 v[56:57], v[56:57], v[76:77]
	v_mul_f64 v[76:77], v[62:63], v[60:61]
	v_add_f64 v[78:79], v[76:77], v[58:59]
	v_add_f64 v[80:81], v[78:79], v[56:57]
	v_add_f64 v[68:69], v[72:73], -v[68:69]
	v_add_f64 v[72:73], v[80:81], -v[78:79]
	;; [unrolled: 1-line block ×5, first 2 shown]
	v_add_f64 v[56:57], v[56:57], v[72:73]
	v_add_f64 v[72:73], v[78:79], -v[76:77]
	v_add_f64 v[58:59], v[58:59], -v[72:73]
	;; [unrolled: 1-line block ×4, first 2 shown]
	v_add_f64 v[58:59], v[58:59], v[72:73]
	v_add_f64 v[68:69], v[70:71], -v[68:69]
	v_add_f64 v[56:57], v[58:59], v[56:57]
	v_fma_f64 v[58:59], v[62:63], v[60:61], -v[76:77]
	v_add_f64 v[70:71], v[68:69], v[80:81]
	v_add_f64 v[56:57], v[58:59], v[56:57]
	v_ldexp_f64 v[58:59], v[74:75], 2
	v_add_f64 v[60:61], v[70:71], v[58:59]
	v_cmp_gt_f64_e32 vcc, 0, v[60:61]
	v_cndmask_b32_e32 v19, 0, v64, vcc
	v_add_f64 v[58:59], v[58:59], v[18:19]
	v_add_f64 v[60:61], v[70:71], v[58:59]
	v_cvt_i32_f64_e32 v19, v[60:61]
	v_cvt_f64_i32_e32 v[60:61], v19
	v_add_f64 v[58:59], v[58:59], -v[60:61]
	v_add_f64 v[68:69], v[70:71], -v[68:69]
	v_add_f64 v[60:61], v[70:71], v[58:59]
	v_add_f64 v[68:69], v[80:81], -v[68:69]
	v_add_f64 v[58:59], v[60:61], -v[58:59]
	v_cmp_le_f64_e32 vcc, 0.5, v[60:61]
	v_add_f64 v[56:57], v[68:69], v[56:57]
	v_add_f64 v[58:59], v[70:71], -v[58:59]
	v_addc_co_u32_e64 v54, s[8:9], 0, v19, vcc
	v_cndmask_b32_e32 v19, 0, v65, vcc
	v_add_f64 v[56:57], v[56:57], v[58:59]
	v_add_f64 v[58:59], v[60:61], -v[18:19]
	v_add_f64 v[60:61], v[58:59], v[56:57]
	v_add_f64 v[58:59], v[60:61], -v[58:59]
	s_mov_b32 s30, s34
	v_add_f64 v[56:57], v[56:57], -v[58:59]
	v_mul_f64 v[58:59], v[60:61], s[30:31]
	v_fma_f64 v[62:63], v[60:61], s[30:31], -v[58:59]
	s_mov_b32 s39, s37
	v_fmac_f64_e32 v[62:63], s[38:39], v[60:61]
	v_fmac_f64_e32 v[62:63], s[30:31], v[56:57]
	v_add_f64 v[56:57], v[58:59], v[62:63]
	v_add_f64 v[58:59], v[56:57], -v[58:59]
	v_add_f64 v[58:59], v[62:63], -v[58:59]
	s_andn2_saveexec_b64 s[8:9], s[88:89]
	s_cbranch_execz .LBB248_337
	s_branch .LBB248_336
.LBB248_335:                            ;   in Loop: Header=BB248_217 Depth=1
	s_andn2_saveexec_b64 s[8:9], s[88:89]
	s_cbranch_execz .LBB248_337
.LBB248_336:                            ;   in Loop: Header=BB248_217 Depth=1
	v_mul_f64 v[56:57], |v[12:13]|, s[40:41]
	v_rndne_f64_e32 v[60:61], v[56:57]
	v_fma_f64 v[56:57], v[60:61], s[34:35], |v[12:13]|
	v_mul_f64 v[62:63], v[60:61], s[42:43]
	v_add_f64 v[70:71], v[56:57], v[62:63]
	v_fma_f64 v[58:59], s[42:43], v[60:61], v[56:57]
	s_mov_b32 s36, s42
	v_add_f64 v[56:57], v[56:57], -v[70:71]
	v_fma_f64 v[68:69], s[36:37], v[60:61], v[62:63]
	v_add_f64 v[56:57], v[56:57], v[62:63]
	v_add_f64 v[62:63], v[70:71], -v[58:59]
	v_add_f64 v[56:57], v[62:63], v[56:57]
	v_add_f64 v[62:63], v[56:57], -v[68:69]
	v_fmac_f64_e32 v[62:63], s[44:45], v[60:61]
	v_add_f64 v[56:57], v[58:59], v[62:63]
	v_add_f64 v[58:59], v[56:57], -v[58:59]
	v_add_f64 v[58:59], v[62:63], -v[58:59]
	v_cvt_i32_f64_e32 v54, v[60:61]
.LBB248_337:                            ;   in Loop: Header=BB248_217 Depth=1
	s_or_b64 exec, exec, s[8:9]
                                        ; implicit-def: $vgpr68
                                        ; implicit-def: $vgpr60_vgpr61
                                        ; implicit-def: $vgpr62_vgpr63
	s_and_saveexec_b64 s[8:9], s[86:87]
	s_xor_b64 s[86:87], exec, s[8:9]
	s_cbranch_execz .LBB248_339
; %bb.338:                              ;   in Loop: Header=BB248_217 Depth=1
	s_movk_i32 s8, 0xff80
	v_ldexp_f64 v[68:69], |v[12:13]|, s8
	s_mov_b32 s8, 0
	s_mov_b32 s9, 0x7b000000
	v_and_b32_e32 v19, 0x7fffffff, v13
	v_cmp_ge_f64_e64 vcc, |v[12:13]|, s[8:9]
	v_trig_preop_f64 v[60:61], |v[12:13]|, 0
	v_cndmask_b32_e32 v69, v19, v69, vcc
	v_cndmask_b32_e32 v68, v12, v68, vcc
	v_trig_preop_f64 v[62:63], |v[12:13]|, 1
	v_mul_f64 v[72:73], v[60:61], v[68:69]
	v_mul_f64 v[70:71], v[62:63], v[68:69]
	v_fma_f64 v[60:61], v[60:61], v[68:69], -v[72:73]
	v_add_f64 v[74:75], v[70:71], v[60:61]
	v_add_f64 v[76:77], v[72:73], v[74:75]
	s_mov_b32 s8, 0
	v_ldexp_f64 v[78:79], v[76:77], -2
	s_mov_b32 s9, 0x7ff00000
	v_fract_f64_e32 v[80:81], v[78:79]
	v_cmp_neq_f64_e64 vcc, |v[78:79]|, s[8:9]
	v_cndmask_b32_e32 v79, 0, v81, vcc
	v_cndmask_b32_e32 v78, 0, v80, vcc
	v_add_f64 v[80:81], v[74:75], -v[70:71]
	v_add_f64 v[60:61], v[60:61], -v[80:81]
	;; [unrolled: 1-line block ×4, first 2 shown]
	v_fma_f64 v[62:63], v[62:63], v[68:69], -v[70:71]
	v_trig_preop_f64 v[70:71], |v[12:13]|, 2
	v_add_f64 v[60:61], v[60:61], v[80:81]
	v_mul_f64 v[80:81], v[70:71], v[68:69]
	v_add_f64 v[82:83], v[80:81], v[62:63]
	v_add_f64 v[84:85], v[82:83], v[60:61]
	v_add_f64 v[72:73], v[76:77], -v[72:73]
	v_add_f64 v[76:77], v[84:85], -v[82:83]
	;; [unrolled: 1-line block ×5, first 2 shown]
	v_add_f64 v[60:61], v[60:61], v[76:77]
	v_add_f64 v[76:77], v[82:83], -v[80:81]
	v_add_f64 v[62:63], v[62:63], -v[76:77]
	;; [unrolled: 1-line block ×4, first 2 shown]
	v_add_f64 v[62:63], v[62:63], v[76:77]
	v_add_f64 v[72:73], v[74:75], -v[72:73]
	v_add_f64 v[60:61], v[62:63], v[60:61]
	v_fma_f64 v[62:63], v[70:71], v[68:69], -v[80:81]
	v_add_f64 v[74:75], v[72:73], v[84:85]
	v_add_f64 v[60:61], v[62:63], v[60:61]
	v_ldexp_f64 v[62:63], v[78:79], 2
	v_add_f64 v[68:69], v[74:75], v[62:63]
	v_cmp_gt_f64_e32 vcc, 0, v[68:69]
	v_cndmask_b32_e32 v19, 0, v64, vcc
	v_add_f64 v[62:63], v[62:63], v[18:19]
	v_add_f64 v[68:69], v[74:75], v[62:63]
	v_cvt_i32_f64_e32 v19, v[68:69]
	v_cvt_f64_i32_e32 v[68:69], v19
	v_add_f64 v[62:63], v[62:63], -v[68:69]
	v_add_f64 v[72:73], v[74:75], -v[72:73]
	v_add_f64 v[70:71], v[74:75], v[62:63]
	v_add_f64 v[72:73], v[84:85], -v[72:73]
	v_add_f64 v[62:63], v[70:71], -v[62:63]
	v_cmp_le_f64_e32 vcc, 0.5, v[70:71]
	v_add_f64 v[60:61], v[72:73], v[60:61]
	v_add_f64 v[62:63], v[74:75], -v[62:63]
	v_addc_co_u32_e64 v68, s[8:9], 0, v19, vcc
	v_cndmask_b32_e32 v19, 0, v65, vcc
	v_add_f64 v[60:61], v[60:61], v[62:63]
	v_add_f64 v[62:63], v[70:71], -v[18:19]
	v_add_f64 v[70:71], v[62:63], v[60:61]
	v_add_f64 v[62:63], v[70:71], -v[62:63]
	s_mov_b32 s30, s34
	v_add_f64 v[60:61], v[60:61], -v[62:63]
	v_mul_f64 v[62:63], v[70:71], s[30:31]
	v_fma_f64 v[72:73], v[70:71], s[30:31], -v[62:63]
	s_mov_b32 s39, s37
	v_fmac_f64_e32 v[72:73], s[38:39], v[70:71]
	v_fmac_f64_e32 v[72:73], s[30:31], v[60:61]
	v_add_f64 v[60:61], v[62:63], v[72:73]
	v_add_f64 v[62:63], v[60:61], -v[62:63]
	v_add_f64 v[62:63], v[72:73], -v[62:63]
	s_andn2_saveexec_b64 s[8:9], s[86:87]
	s_cbranch_execnz .LBB248_340
	s_branch .LBB248_341
.LBB248_339:                            ;   in Loop: Header=BB248_217 Depth=1
	s_andn2_saveexec_b64 s[8:9], s[86:87]
	s_cbranch_execz .LBB248_341
.LBB248_340:                            ;   in Loop: Header=BB248_217 Depth=1
	v_mul_f64 v[60:61], |v[12:13]|, s[40:41]
	v_rndne_f64_e32 v[68:69], v[60:61]
	v_fma_f64 v[60:61], v[68:69], s[34:35], |v[12:13]|
	v_mul_f64 v[70:71], v[68:69], s[42:43]
	v_add_f64 v[74:75], v[60:61], v[70:71]
	v_fma_f64 v[62:63], s[42:43], v[68:69], v[60:61]
	s_mov_b32 s36, s42
	v_add_f64 v[60:61], v[60:61], -v[74:75]
	v_fma_f64 v[72:73], s[36:37], v[68:69], v[70:71]
	v_add_f64 v[60:61], v[60:61], v[70:71]
	v_add_f64 v[70:71], v[74:75], -v[62:63]
	v_add_f64 v[60:61], v[70:71], v[60:61]
	v_add_f64 v[70:71], v[60:61], -v[72:73]
	v_fmac_f64_e32 v[70:71], s[44:45], v[68:69]
	v_add_f64 v[60:61], v[62:63], v[70:71]
	v_add_f64 v[62:63], v[60:61], -v[62:63]
	v_add_f64 v[62:63], v[70:71], -v[62:63]
	v_cvt_i32_f64_e32 v68, v[68:69]
.LBB248_341:                            ;   in Loop: Header=BB248_217 Depth=1
	s_or_b64 exec, exec, s[8:9]
	s_mov_b32 s46, s48
	v_mul_f64 v[70:71], v[10:11], s[46:47]
	v_rndne_f64_e32 v[70:71], v[70:71]
	v_fma_f64 v[72:73], v[70:71], s[50:51], -v[10:11]
	v_fmac_f64_e32 v[72:73], s[52:53], v[70:71]
	v_pk_mov_b32 v[74:75], v[36:37], v[36:37] op_sel:[0,1]
	v_fmac_f64_e32 v[74:75], s[54:55], v[72:73]
	v_pk_mov_b32 v[76:77], v[38:39], v[38:39] op_sel:[0,1]
	;; [unrolled: 2-line block ×9, first 2 shown]
	v_fmac_f64_e32 v[74:75], v[72:73], v[76:77]
	v_fma_f64 v[74:75], v[72:73], v[74:75], 1.0
	v_fma_f64 v[72:73], v[72:73], v[74:75], 1.0
	v_cvt_i32_f64_e32 v19, v[70:71]
	v_ldexp_f64 v[70:71], v[72:73], v19
	v_cmp_ngt_f64_e32 vcc, s[60:61], v[10:11]
	v_cmp_nlt_f64_e64 s[8:9], s[62:63], v[10:11]
	v_cndmask_b32_e32 v19, v66, v71, vcc
	s_and_b64 vcc, s[8:9], vcc
	v_cndmask_b32_e32 v10, 0, v70, vcc
	v_mul_f64 v[70:71], v[56:57], v[56:57]
	v_pk_mov_b32 v[78:79], s[64:65], s[64:65] op_sel:[0,1]
	v_mul_f64 v[72:73], v[70:71], 0.5
	v_fma_f64 v[80:81], s[66:67], v[70:71], v[78:79]
	v_add_f64 v[74:75], -v[72:73], 1.0
	v_fma_f64 v[80:81], v[70:71], v[80:81], s[68:69]
	v_add_f64 v[76:77], -v[74:75], 1.0
	v_fma_f64 v[80:81], v[70:71], v[80:81], s[70:71]
	v_add_f64 v[72:73], v[76:77], -v[72:73]
	v_fma_f64 v[80:81], v[70:71], v[80:81], s[72:73]
	v_mul_f64 v[76:77], v[70:71], v[70:71]
	v_fma_f64 v[80:81], v[70:71], v[80:81], s[58:59]
	v_fma_f64 v[72:73], v[56:57], -v[58:59], v[72:73]
	v_fmac_f64_e32 v[72:73], v[76:77], v[80:81]
	v_add_f64 v[72:73], v[74:75], v[72:73]
	v_pk_mov_b32 v[74:75], s[74:75], s[74:75] op_sel:[0,1]
	v_fma_f64 v[76:77], s[76:77], v[70:71], v[74:75]
	v_fma_f64 v[76:77], v[70:71], v[76:77], s[78:79]
	;; [unrolled: 1-line block ×4, first 2 shown]
	v_mul_f64 v[80:81], v[56:57], -v[70:71]
	v_mul_f64 v[82:83], v[58:59], 0.5
	v_fmac_f64_e32 v[82:83], v[80:81], v[76:77]
	v_fma_f64 v[58:59], v[70:71], v[82:83], -v[58:59]
	s_mov_b32 s82, s58
	v_fmac_f64_e32 v[58:59], s[82:83], v[80:81]
	v_add_f64 v[56:57], v[56:57], -v[58:59]
	v_cndmask_b32_e64 v11, 0, v19, s[8:9]
	v_xor_b32_e32 v19, 0x80000000, v57
	v_and_b32_e32 v57, 1, v54
	v_cmp_eq_u32_e32 vcc, 0, v57
	v_lshlrev_b32_e32 v54, 30, v54
	v_cndmask_b32_e32 v19, v19, v73, vcc
	v_and_b32_e32 v54, 0x80000000, v54
	v_cndmask_b32_e32 v56, v56, v72, vcc
	v_xor_b32_e32 v19, v19, v54
	v_cmp_class_f64_e64 vcc, v[12:13], s29
	v_cndmask_b32_e32 v12, 0, v56, vcc
	v_cndmask_b32_e32 v13, v67, v19, vcc
	v_mul_f64 v[56:57], v[10:11], v[12:13]
	v_mul_f64 v[12:13], v[60:61], v[60:61]
	v_mul_f64 v[58:59], v[12:13], 0.5
	v_fmac_f64_e32 v[78:79], s[66:67], v[12:13]
	v_add_f64 v[70:71], -v[58:59], 1.0
	v_fma_f64 v[76:77], v[12:13], v[78:79], s[68:69]
	v_add_f64 v[72:73], -v[70:71], 1.0
	v_fma_f64 v[76:77], v[12:13], v[76:77], s[70:71]
	v_add_f64 v[58:59], v[72:73], -v[58:59]
	v_fma_f64 v[76:77], v[12:13], v[76:77], s[72:73]
	v_mul_f64 v[72:73], v[12:13], v[12:13]
	v_fma_f64 v[76:77], v[12:13], v[76:77], s[58:59]
	v_fma_f64 v[58:59], v[60:61], -v[62:63], v[58:59]
	v_fmac_f64_e32 v[58:59], v[72:73], v[76:77]
	v_fmac_f64_e32 v[74:75], s[76:77], v[12:13]
	v_add_f64 v[58:59], v[70:71], v[58:59]
	v_fma_f64 v[70:71], v[12:13], v[74:75], s[78:79]
	v_fma_f64 v[70:71], v[12:13], v[70:71], s[80:81]
	;; [unrolled: 1-line block ×3, first 2 shown]
	v_mul_f64 v[72:73], v[60:61], -v[12:13]
	v_mul_f64 v[74:75], v[62:63], 0.5
	v_fmac_f64_e32 v[74:75], v[72:73], v[70:71]
	v_fma_f64 v[12:13], v[12:13], v[74:75], -v[62:63]
	v_and_b32_e32 v19, 1, v68
	v_fmac_f64_e32 v[12:13], s[82:83], v[72:73]
	v_cmp_eq_u32_e64 s[8:9], 0, v19
	v_lshlrev_b32_e32 v19, 30, v68
	v_add_f64 v[12:13], v[60:61], -v[12:13]
	v_xor_b32_e32 v19, v19, v55
	v_cndmask_b32_e64 v13, v59, v13, s[8:9]
	v_and_b32_e32 v19, 0x80000000, v19
	v_cndmask_b32_e64 v12, v58, v12, s[8:9]
	v_xor_b32_e32 v13, v13, v19
	v_cndmask_b32_e32 v12, 0, v12, vcc
	v_cndmask_b32_e32 v13, v67, v13, vcc
	v_mul_f64 v[54:55], v[10:11], v[12:13]
                                        ; implicit-def: $vgpr12_vgpr13
.LBB248_342:                            ;   in Loop: Header=BB248_217 Depth=1
	s_andn2_saveexec_b64 s[86:87], s[10:11]
	s_cbranch_execz .LBB248_352
; %bb.343:                              ;   in Loop: Header=BB248_217 Depth=1
	s_mov_b32 s8, 0
	s_mov_b32 s9, 0x41d00000
	v_cmp_nlt_f64_e64 s[10:11], |v[12:13]|, s[8:9]
                                        ; implicit-def: $vgpr54
                                        ; implicit-def: $vgpr56_vgpr57
                                        ; implicit-def: $vgpr58_vgpr59
	s_and_saveexec_b64 s[8:9], s[10:11]
	s_xor_b64 s[88:89], exec, s[8:9]
	s_cbranch_execz .LBB248_345
; %bb.344:                              ;   in Loop: Header=BB248_217 Depth=1
	s_movk_i32 s8, 0xff80
	v_ldexp_f64 v[60:61], |v[12:13]|, s8
	s_mov_b32 s8, 0
	s_mov_b32 s9, 0x7b000000
	v_and_b32_e32 v19, 0x7fffffff, v13
	v_cmp_ge_f64_e64 vcc, |v[12:13]|, s[8:9]
	v_trig_preop_f64 v[56:57], |v[12:13]|, 0
	v_cndmask_b32_e32 v61, v19, v61, vcc
	v_cndmask_b32_e32 v60, v12, v60, vcc
	v_trig_preop_f64 v[58:59], |v[12:13]|, 1
	v_mul_f64 v[68:69], v[56:57], v[60:61]
	v_mul_f64 v[62:63], v[58:59], v[60:61]
	v_fma_f64 v[56:57], v[56:57], v[60:61], -v[68:69]
	v_add_f64 v[70:71], v[62:63], v[56:57]
	v_add_f64 v[72:73], v[68:69], v[70:71]
	s_mov_b32 s8, 0
	v_ldexp_f64 v[74:75], v[72:73], -2
	s_mov_b32 s9, 0x7ff00000
	v_fract_f64_e32 v[76:77], v[74:75]
	v_cmp_neq_f64_e64 vcc, |v[74:75]|, s[8:9]
	v_cndmask_b32_e32 v75, 0, v77, vcc
	v_cndmask_b32_e32 v74, 0, v76, vcc
	v_add_f64 v[76:77], v[70:71], -v[62:63]
	v_add_f64 v[56:57], v[56:57], -v[76:77]
	;; [unrolled: 1-line block ×4, first 2 shown]
	v_fma_f64 v[58:59], v[58:59], v[60:61], -v[62:63]
	v_trig_preop_f64 v[62:63], |v[12:13]|, 2
	v_add_f64 v[56:57], v[56:57], v[76:77]
	v_mul_f64 v[76:77], v[62:63], v[60:61]
	v_add_f64 v[78:79], v[76:77], v[58:59]
	v_add_f64 v[80:81], v[78:79], v[56:57]
	v_add_f64 v[68:69], v[72:73], -v[68:69]
	v_add_f64 v[72:73], v[80:81], -v[78:79]
	;; [unrolled: 1-line block ×5, first 2 shown]
	v_add_f64 v[56:57], v[56:57], v[72:73]
	v_add_f64 v[72:73], v[78:79], -v[76:77]
	v_add_f64 v[58:59], v[58:59], -v[72:73]
	;; [unrolled: 1-line block ×4, first 2 shown]
	v_add_f64 v[58:59], v[58:59], v[72:73]
	v_add_f64 v[68:69], v[70:71], -v[68:69]
	v_add_f64 v[56:57], v[58:59], v[56:57]
	v_fma_f64 v[58:59], v[62:63], v[60:61], -v[76:77]
	v_add_f64 v[70:71], v[68:69], v[80:81]
	v_add_f64 v[56:57], v[58:59], v[56:57]
	v_ldexp_f64 v[58:59], v[74:75], 2
	v_add_f64 v[60:61], v[70:71], v[58:59]
	v_cmp_gt_f64_e32 vcc, 0, v[60:61]
	v_cndmask_b32_e32 v19, 0, v64, vcc
	v_add_f64 v[58:59], v[58:59], v[18:19]
	v_add_f64 v[60:61], v[70:71], v[58:59]
	v_cvt_i32_f64_e32 v19, v[60:61]
	v_cvt_f64_i32_e32 v[60:61], v19
	v_add_f64 v[58:59], v[58:59], -v[60:61]
	v_add_f64 v[68:69], v[70:71], -v[68:69]
	v_add_f64 v[60:61], v[70:71], v[58:59]
	v_add_f64 v[68:69], v[80:81], -v[68:69]
	v_add_f64 v[58:59], v[60:61], -v[58:59]
	v_cmp_le_f64_e32 vcc, 0.5, v[60:61]
	v_add_f64 v[56:57], v[68:69], v[56:57]
	v_add_f64 v[58:59], v[70:71], -v[58:59]
	v_addc_co_u32_e64 v54, s[8:9], 0, v19, vcc
	v_cndmask_b32_e32 v19, 0, v65, vcc
	v_add_f64 v[56:57], v[56:57], v[58:59]
	v_add_f64 v[58:59], v[60:61], -v[18:19]
	v_add_f64 v[60:61], v[58:59], v[56:57]
	v_add_f64 v[58:59], v[60:61], -v[58:59]
	s_mov_b32 s30, s34
	v_add_f64 v[56:57], v[56:57], -v[58:59]
	v_mul_f64 v[58:59], v[60:61], s[30:31]
	v_fma_f64 v[62:63], v[60:61], s[30:31], -v[58:59]
	s_mov_b32 s39, s37
	v_fmac_f64_e32 v[62:63], s[38:39], v[60:61]
	v_fmac_f64_e32 v[62:63], s[30:31], v[56:57]
	v_add_f64 v[56:57], v[58:59], v[62:63]
	v_add_f64 v[58:59], v[56:57], -v[58:59]
	v_add_f64 v[58:59], v[62:63], -v[58:59]
	s_andn2_saveexec_b64 s[8:9], s[88:89]
	s_cbranch_execz .LBB248_347
	s_branch .LBB248_346
.LBB248_345:                            ;   in Loop: Header=BB248_217 Depth=1
	s_andn2_saveexec_b64 s[8:9], s[88:89]
	s_cbranch_execz .LBB248_347
.LBB248_346:                            ;   in Loop: Header=BB248_217 Depth=1
	v_mul_f64 v[56:57], |v[12:13]|, s[40:41]
	v_rndne_f64_e32 v[60:61], v[56:57]
	v_fma_f64 v[56:57], v[60:61], s[34:35], |v[12:13]|
	v_mul_f64 v[62:63], v[60:61], s[42:43]
	v_add_f64 v[70:71], v[56:57], v[62:63]
	v_fma_f64 v[58:59], s[42:43], v[60:61], v[56:57]
	s_mov_b32 s36, s42
	v_add_f64 v[56:57], v[56:57], -v[70:71]
	v_fma_f64 v[68:69], s[36:37], v[60:61], v[62:63]
	v_add_f64 v[56:57], v[56:57], v[62:63]
	v_add_f64 v[62:63], v[70:71], -v[58:59]
	v_add_f64 v[56:57], v[62:63], v[56:57]
	v_add_f64 v[62:63], v[56:57], -v[68:69]
	v_fmac_f64_e32 v[62:63], s[44:45], v[60:61]
	v_add_f64 v[56:57], v[58:59], v[62:63]
	v_add_f64 v[58:59], v[56:57], -v[58:59]
	v_add_f64 v[58:59], v[62:63], -v[58:59]
	v_cvt_i32_f64_e32 v54, v[60:61]
.LBB248_347:                            ;   in Loop: Header=BB248_217 Depth=1
	s_or_b64 exec, exec, s[8:9]
                                        ; implicit-def: $vgpr68
                                        ; implicit-def: $vgpr60_vgpr61
                                        ; implicit-def: $vgpr62_vgpr63
	s_and_saveexec_b64 s[8:9], s[10:11]
	s_xor_b64 s[10:11], exec, s[8:9]
	s_cbranch_execz .LBB248_349
; %bb.348:                              ;   in Loop: Header=BB248_217 Depth=1
	s_movk_i32 s8, 0xff80
	v_ldexp_f64 v[68:69], |v[12:13]|, s8
	s_mov_b32 s8, 0
	s_mov_b32 s9, 0x7b000000
	v_and_b32_e32 v19, 0x7fffffff, v13
	v_cmp_ge_f64_e64 vcc, |v[12:13]|, s[8:9]
	v_trig_preop_f64 v[60:61], |v[12:13]|, 0
	v_cndmask_b32_e32 v69, v19, v69, vcc
	v_cndmask_b32_e32 v68, v12, v68, vcc
	v_trig_preop_f64 v[62:63], |v[12:13]|, 1
	v_mul_f64 v[72:73], v[60:61], v[68:69]
	v_mul_f64 v[70:71], v[62:63], v[68:69]
	v_fma_f64 v[60:61], v[60:61], v[68:69], -v[72:73]
	v_add_f64 v[74:75], v[70:71], v[60:61]
	v_add_f64 v[76:77], v[72:73], v[74:75]
	s_mov_b32 s8, 0
	v_ldexp_f64 v[78:79], v[76:77], -2
	s_mov_b32 s9, 0x7ff00000
	v_fract_f64_e32 v[80:81], v[78:79]
	v_cmp_neq_f64_e64 vcc, |v[78:79]|, s[8:9]
	v_cndmask_b32_e32 v79, 0, v81, vcc
	v_cndmask_b32_e32 v78, 0, v80, vcc
	v_add_f64 v[80:81], v[74:75], -v[70:71]
	v_add_f64 v[60:61], v[60:61], -v[80:81]
	;; [unrolled: 1-line block ×4, first 2 shown]
	v_fma_f64 v[62:63], v[62:63], v[68:69], -v[70:71]
	v_trig_preop_f64 v[70:71], |v[12:13]|, 2
	v_add_f64 v[60:61], v[60:61], v[80:81]
	v_mul_f64 v[80:81], v[70:71], v[68:69]
	v_add_f64 v[82:83], v[80:81], v[62:63]
	v_add_f64 v[84:85], v[82:83], v[60:61]
	v_add_f64 v[72:73], v[76:77], -v[72:73]
	v_add_f64 v[76:77], v[84:85], -v[82:83]
	v_add_f64 v[60:61], v[60:61], -v[76:77]
	v_add_f64 v[76:77], v[84:85], -v[76:77]
	v_add_f64 v[76:77], v[82:83], -v[76:77]
	v_add_f64 v[60:61], v[60:61], v[76:77]
	v_add_f64 v[76:77], v[82:83], -v[80:81]
	v_add_f64 v[62:63], v[62:63], -v[76:77]
	;; [unrolled: 1-line block ×4, first 2 shown]
	v_add_f64 v[62:63], v[62:63], v[76:77]
	v_add_f64 v[72:73], v[74:75], -v[72:73]
	v_add_f64 v[60:61], v[62:63], v[60:61]
	v_fma_f64 v[62:63], v[70:71], v[68:69], -v[80:81]
	v_add_f64 v[74:75], v[72:73], v[84:85]
	v_add_f64 v[60:61], v[62:63], v[60:61]
	v_ldexp_f64 v[62:63], v[78:79], 2
	v_add_f64 v[68:69], v[74:75], v[62:63]
	v_cmp_gt_f64_e32 vcc, 0, v[68:69]
	v_cndmask_b32_e32 v19, 0, v64, vcc
	v_add_f64 v[62:63], v[62:63], v[18:19]
	v_add_f64 v[68:69], v[74:75], v[62:63]
	v_cvt_i32_f64_e32 v19, v[68:69]
	v_cvt_f64_i32_e32 v[68:69], v19
	v_add_f64 v[62:63], v[62:63], -v[68:69]
	v_add_f64 v[72:73], v[74:75], -v[72:73]
	v_add_f64 v[70:71], v[74:75], v[62:63]
	v_add_f64 v[72:73], v[84:85], -v[72:73]
	v_add_f64 v[62:63], v[70:71], -v[62:63]
	v_cmp_le_f64_e32 vcc, 0.5, v[70:71]
	v_add_f64 v[60:61], v[72:73], v[60:61]
	v_add_f64 v[62:63], v[74:75], -v[62:63]
	v_addc_co_u32_e64 v68, s[8:9], 0, v19, vcc
	v_cndmask_b32_e32 v19, 0, v65, vcc
	v_add_f64 v[60:61], v[60:61], v[62:63]
	v_add_f64 v[62:63], v[70:71], -v[18:19]
	v_add_f64 v[70:71], v[62:63], v[60:61]
	v_add_f64 v[62:63], v[70:71], -v[62:63]
	s_mov_b32 s30, s34
	v_add_f64 v[60:61], v[60:61], -v[62:63]
	v_mul_f64 v[62:63], v[70:71], s[30:31]
	v_fma_f64 v[72:73], v[70:71], s[30:31], -v[62:63]
	s_mov_b32 s39, s37
	v_fmac_f64_e32 v[72:73], s[38:39], v[70:71]
	v_fmac_f64_e32 v[72:73], s[30:31], v[60:61]
	v_add_f64 v[60:61], v[62:63], v[72:73]
	v_add_f64 v[62:63], v[60:61], -v[62:63]
	v_add_f64 v[62:63], v[72:73], -v[62:63]
	s_andn2_saveexec_b64 s[8:9], s[10:11]
	s_cbranch_execnz .LBB248_350
	s_branch .LBB248_351
.LBB248_349:                            ;   in Loop: Header=BB248_217 Depth=1
	s_andn2_saveexec_b64 s[8:9], s[10:11]
	s_cbranch_execz .LBB248_351
.LBB248_350:                            ;   in Loop: Header=BB248_217 Depth=1
	v_mul_f64 v[60:61], |v[12:13]|, s[40:41]
	v_rndne_f64_e32 v[68:69], v[60:61]
	v_fma_f64 v[60:61], v[68:69], s[34:35], |v[12:13]|
	v_mul_f64 v[70:71], v[68:69], s[42:43]
	v_add_f64 v[74:75], v[60:61], v[70:71]
	v_fma_f64 v[62:63], s[42:43], v[68:69], v[60:61]
	s_mov_b32 s36, s42
	v_add_f64 v[60:61], v[60:61], -v[74:75]
	v_fma_f64 v[72:73], s[36:37], v[68:69], v[70:71]
	v_add_f64 v[60:61], v[60:61], v[70:71]
	v_add_f64 v[70:71], v[74:75], -v[62:63]
	v_add_f64 v[60:61], v[70:71], v[60:61]
	v_add_f64 v[70:71], v[60:61], -v[72:73]
	v_fmac_f64_e32 v[70:71], s[44:45], v[68:69]
	v_add_f64 v[60:61], v[62:63], v[70:71]
	v_add_f64 v[62:63], v[60:61], -v[62:63]
	v_add_f64 v[62:63], v[70:71], -v[62:63]
	v_cvt_i32_f64_e32 v68, v[68:69]
.LBB248_351:                            ;   in Loop: Header=BB248_217 Depth=1
	s_or_b64 exec, exec, s[8:9]
	v_mul_f64 v[70:71], v[56:57], v[56:57]
	v_pk_mov_b32 v[78:79], s[64:65], s[64:65] op_sel:[0,1]
	v_mul_f64 v[72:73], v[70:71], 0.5
	v_fma_f64 v[80:81], s[66:67], v[70:71], v[78:79]
	v_add_f64 v[74:75], -v[72:73], 1.0
	v_fma_f64 v[80:81], v[70:71], v[80:81], s[68:69]
	v_fma_f64 v[80:81], v[70:71], v[80:81], s[70:71]
	v_add_f64 v[82:83], -v[74:75], 1.0
	v_fma_f64 v[80:81], v[70:71], v[80:81], s[72:73]
	v_add_f64 v[72:73], v[82:83], -v[72:73]
	v_mul_f64 v[76:77], v[70:71], v[70:71]
	v_fma_f64 v[80:81], v[70:71], v[80:81], s[58:59]
	v_fma_f64 v[72:73], v[56:57], -v[58:59], v[72:73]
	v_fmac_f64_e32 v[72:73], v[76:77], v[80:81]
	v_pk_mov_b32 v[76:77], s[74:75], s[74:75] op_sel:[0,1]
	v_fma_f64 v[80:81], s[76:77], v[70:71], v[76:77]
	v_fma_f64 v[80:81], v[70:71], v[80:81], s[78:79]
	;; [unrolled: 1-line block ×3, first 2 shown]
	v_add_f64 v[72:73], v[74:75], v[72:73]
	v_mul_f64 v[74:75], v[56:57], -v[70:71]
	v_fma_f64 v[80:81], v[70:71], v[80:81], s[56:57]
	v_mul_f64 v[82:83], v[58:59], 0.5
	v_fmac_f64_e32 v[82:83], v[74:75], v[80:81]
	v_fma_f64 v[58:59], v[70:71], v[82:83], -v[58:59]
	s_mov_b32 s82, s58
	v_fmac_f64_e32 v[58:59], s[82:83], v[74:75]
	v_and_b32_e32 v19, 1, v54
	v_add_f64 v[56:57], v[56:57], -v[58:59]
	s_mov_b32 s8, 0x19ba0da4
	v_xor_b32_e32 v57, 0x80000000, v57
	v_cmp_eq_u32_e32 vcc, 0, v19
	v_lshlrev_b32_e32 v54, 30, v54
	s_mov_b32 s9, 0xc0937be3
	v_cndmask_b32_e32 v19, v56, v72, vcc
	v_cndmask_b32_e32 v56, v57, v73, vcc
	v_and_b32_e32 v54, 0x80000000, v54
	v_add_f64 v[10:11], -v[10:11], s[8:9]
	v_xor_b32_e32 v54, v56, v54
	v_mul_f64 v[56:57], v[10:11], s[48:49]
	v_rndne_f64_e32 v[56:57], v[56:57]
	v_fma_f64 v[58:59], s[50:51], v[56:57], v[10:11]
	v_fmac_f64_e32 v[58:59], s[52:53], v[56:57]
	v_pk_mov_b32 v[70:71], v[36:37], v[36:37] op_sel:[0,1]
	v_fmac_f64_e32 v[70:71], s[54:55], v[58:59]
	v_pk_mov_b32 v[72:73], v[38:39], v[38:39] op_sel:[0,1]
	v_fmac_f64_e32 v[72:73], v[58:59], v[70:71]
	v_pk_mov_b32 v[70:71], v[40:41], v[40:41] op_sel:[0,1]
	v_fmac_f64_e32 v[70:71], v[58:59], v[72:73]
	v_pk_mov_b32 v[72:73], v[42:43], v[42:43] op_sel:[0,1]
	v_fmac_f64_e32 v[72:73], v[58:59], v[70:71]
	v_pk_mov_b32 v[70:71], v[44:45], v[44:45] op_sel:[0,1]
	v_fmac_f64_e32 v[70:71], v[58:59], v[72:73]
	v_pk_mov_b32 v[72:73], v[46:47], v[46:47] op_sel:[0,1]
	v_fmac_f64_e32 v[72:73], v[58:59], v[70:71]
	v_pk_mov_b32 v[70:71], v[48:49], v[48:49] op_sel:[0,1]
	v_fmac_f64_e32 v[70:71], v[58:59], v[72:73]
	v_pk_mov_b32 v[72:73], v[50:51], v[50:51] op_sel:[0,1]
	v_fmac_f64_e32 v[72:73], v[58:59], v[70:71]
	v_pk_mov_b32 v[70:71], v[52:53], v[52:53] op_sel:[0,1]
	v_fmac_f64_e32 v[70:71], v[58:59], v[72:73]
	v_cmp_class_f64_e64 vcc, v[12:13], s29
	v_fma_f64 v[70:71], v[58:59], v[70:71], 1.0
	s_mov_b32 s8, 0
	v_cndmask_b32_e32 v12, 0, v19, vcc
	v_fma_f64 v[58:59], v[58:59], v[70:71], 1.0
	v_cvt_i32_f64_e32 v19, v[56:57]
	s_mov_b32 s9, 0x40900000
	s_mov_b32 s10, 0
	v_ldexp_f64 v[56:57], v[58:59], v19
	v_cmp_nlt_f64_e64 s[8:9], s[8:9], v[10:11]
	s_mov_b32 s11, 0xc090cc00
	v_cndmask_b32_e64 v19, v66, v57, s[8:9]
	v_cmp_ngt_f64_e64 s[10:11], s[10:11], v[10:11]
	v_cndmask_b32_e64 v19, 0, v19, s[10:11]
	v_and_b32_e32 v11, 0xfffff, v19
	v_lshrrev_b32_e32 v19, 20, v19
	v_cndmask_b32_e32 v13, v67, v54, vcc
	v_add_u32_e32 v54, 0xffffff09, v19
	v_lshrrev_b16_e32 v19, 15, v54
	v_add_u16_e32 v19, v54, v19
	s_and_b64 s[8:9], s[10:11], s[8:9]
	v_ashrrev_i16_e32 v19, 1, v19
	v_cndmask_b32_e64 v10, 0, v56, s[8:9]
	v_or_b32_e32 v11, 0x7fe00000, v11
	v_bfe_i32 v56, v19, 0, 16
	v_mul_f64 v[12:13], v[10:11], v[12:13]
	v_lshl_add_u32 v19, v56, 20, v65
	v_sub_u32_e32 v54, v54, v56
	v_mul_f64 v[12:13], v[12:13], v[18:19]
	v_lshl_add_u32 v59, v54, 20, v65
	v_mov_b32_e32 v58, v18
	v_mul_f64 v[56:57], v[12:13], v[58:59]
	v_mul_f64 v[12:13], v[60:61], v[60:61]
	v_mul_f64 v[70:71], v[12:13], 0.5
	v_fmac_f64_e32 v[78:79], s[66:67], v[12:13]
	v_add_f64 v[72:73], -v[70:71], 1.0
	v_fma_f64 v[78:79], v[12:13], v[78:79], s[68:69]
	v_add_f64 v[74:75], -v[72:73], 1.0
	v_fma_f64 v[78:79], v[12:13], v[78:79], s[70:71]
	v_add_f64 v[70:71], v[74:75], -v[70:71]
	v_fma_f64 v[78:79], v[12:13], v[78:79], s[72:73]
	v_mul_f64 v[74:75], v[12:13], v[12:13]
	v_fma_f64 v[78:79], v[12:13], v[78:79], s[58:59]
	v_fma_f64 v[70:71], v[60:61], -v[62:63], v[70:71]
	v_fmac_f64_e32 v[70:71], v[74:75], v[78:79]
	v_fmac_f64_e32 v[76:77], s[76:77], v[12:13]
	v_add_f64 v[70:71], v[72:73], v[70:71]
	v_fma_f64 v[72:73], v[12:13], v[76:77], s[78:79]
	v_fma_f64 v[72:73], v[12:13], v[72:73], s[80:81]
	;; [unrolled: 1-line block ×3, first 2 shown]
	v_mul_f64 v[74:75], v[60:61], -v[12:13]
	v_mul_f64 v[76:77], v[62:63], 0.5
	v_fmac_f64_e32 v[76:77], v[74:75], v[72:73]
	v_fma_f64 v[12:13], v[12:13], v[76:77], -v[62:63]
	v_and_b32_e32 v54, 1, v68
	v_fmac_f64_e32 v[12:13], s[82:83], v[74:75]
	v_cmp_eq_u32_e64 s[8:9], 0, v54
	v_lshlrev_b32_e32 v54, 30, v68
	v_add_f64 v[12:13], v[60:61], -v[12:13]
	v_xor_b32_e32 v54, v54, v55
	v_cndmask_b32_e64 v13, v71, v13, s[8:9]
	v_and_b32_e32 v54, 0x80000000, v54
	v_cndmask_b32_e64 v12, v70, v12, s[8:9]
	v_xor_b32_e32 v13, v13, v54
	v_cndmask_b32_e32 v12, 0, v12, vcc
	v_cndmask_b32_e32 v13, v67, v13, vcc
	v_mul_f64 v[10:11], v[10:11], v[12:13]
	v_mul_f64 v[10:11], v[10:11], v[18:19]
	;; [unrolled: 1-line block ×3, first 2 shown]
.LBB248_352:                            ;   in Loop: Header=BB248_217 Depth=1
	s_or_b64 exec, exec, s[86:87]
                                        ; implicit-def: $vgpr58_vgpr59
                                        ; implicit-def: $vgpr12_vgpr13
                                        ; implicit-def: $vgpr19
.LBB248_353:                            ;   in Loop: Header=BB248_217 Depth=1
	s_andn2_saveexec_b64 s[10:11], s[84:85]
	s_cbranch_execz .LBB248_359
; %bb.354:                              ;   in Loop: Header=BB248_217 Depth=1
	s_mov_b32 s8, 0x7ff00000
	v_cmp_ne_u32_e32 vcc, 0, v58
	v_cmp_ne_u32_e64 s[8:9], s8, v19
	s_or_b64 s[8:9], vcc, s[8:9]
                                        ; implicit-def: $vgpr54_vgpr55
	s_and_saveexec_b64 s[84:85], s[8:9]
	s_xor_b64 s[8:9], exec, s[84:85]
; %bb.355:                              ;   in Loop: Header=BB248_217 Depth=1
	v_add_f64 v[54:55], v[12:13], -v[12:13]
                                        ; implicit-def: $vgpr58_vgpr59
                                        ; implicit-def: $vgpr12_vgpr13
; %bb.356:                              ;   in Loop: Header=BB248_217 Depth=1
	s_or_saveexec_b64 s[8:9], s[8:9]
	v_pk_mov_b32 v[56:57], v[54:55], v[54:55] op_sel:[0,1]
	s_xor_b64 exec, exec, s[8:9]
; %bb.357:                              ;   in Loop: Header=BB248_217 Depth=1
	v_add_f64 v[12:13], v[12:13], -v[12:13]
	v_cmp_lt_i64_e32 vcc, -1, v[58:59]
	v_cndmask_b32_e32 v57, 0, v59, vcc
	v_cndmask_b32_e32 v56, 0, v10, vcc
	;; [unrolled: 1-line block ×4, first 2 shown]
; %bb.358:                              ;   in Loop: Header=BB248_217 Depth=1
	s_or_b64 exec, exec, s[8:9]
.LBB248_359:                            ;   in Loop: Header=BB248_217 Depth=1
	s_or_b64 exec, exec, s[10:11]
                                        ; implicit-def: $vgpr12_vgpr13
.LBB248_360:                            ;   in Loop: Header=BB248_217 Depth=1
	s_andn2_saveexec_b64 s[10:11], s[94:95]
	s_cbranch_execz .LBB248_370
; %bb.361:                              ;   in Loop: Header=BB248_217 Depth=1
	s_mov_b32 s8, 0
	s_mov_b32 s9, 0x41d00000
	v_cmp_nlt_f64_e64 s[84:85], |v[12:13]|, s[8:9]
                                        ; implicit-def: $vgpr54
                                        ; implicit-def: $vgpr10_vgpr11
                                        ; implicit-def: $vgpr56_vgpr57
	s_and_saveexec_b64 s[8:9], s[84:85]
	s_xor_b64 s[86:87], exec, s[8:9]
	s_cbranch_execz .LBB248_363
; %bb.362:                              ;   in Loop: Header=BB248_217 Depth=1
	s_movk_i32 s8, 0xff80
	v_ldexp_f64 v[58:59], |v[12:13]|, s8
	s_mov_b32 s8, 0
	s_mov_b32 s9, 0x7b000000
	v_and_b32_e32 v19, 0x7fffffff, v13
	v_cmp_ge_f64_e64 vcc, |v[12:13]|, s[8:9]
	v_trig_preop_f64 v[10:11], |v[12:13]|, 0
	v_cndmask_b32_e32 v59, v19, v59, vcc
	v_cndmask_b32_e32 v58, v12, v58, vcc
	v_trig_preop_f64 v[56:57], |v[12:13]|, 1
	v_mul_f64 v[62:63], v[10:11], v[58:59]
	v_mul_f64 v[60:61], v[56:57], v[58:59]
	v_fma_f64 v[10:11], v[10:11], v[58:59], -v[62:63]
	v_add_f64 v[68:69], v[60:61], v[10:11]
	v_add_f64 v[70:71], v[62:63], v[68:69]
	s_mov_b32 s8, 0
	v_ldexp_f64 v[72:73], v[70:71], -2
	s_mov_b32 s9, 0x7ff00000
	v_fract_f64_e32 v[74:75], v[72:73]
	v_cmp_neq_f64_e64 vcc, |v[72:73]|, s[8:9]
	v_cndmask_b32_e32 v73, 0, v75, vcc
	v_cndmask_b32_e32 v72, 0, v74, vcc
	v_add_f64 v[74:75], v[68:69], -v[60:61]
	v_add_f64 v[10:11], v[10:11], -v[74:75]
	;; [unrolled: 1-line block ×4, first 2 shown]
	v_fma_f64 v[56:57], v[56:57], v[58:59], -v[60:61]
	v_trig_preop_f64 v[60:61], |v[12:13]|, 2
	v_add_f64 v[10:11], v[10:11], v[74:75]
	v_mul_f64 v[74:75], v[60:61], v[58:59]
	v_add_f64 v[76:77], v[74:75], v[56:57]
	v_add_f64 v[78:79], v[76:77], v[10:11]
	v_add_f64 v[62:63], v[70:71], -v[62:63]
	v_add_f64 v[70:71], v[78:79], -v[76:77]
	;; [unrolled: 1-line block ×5, first 2 shown]
	v_add_f64 v[10:11], v[10:11], v[70:71]
	v_add_f64 v[70:71], v[76:77], -v[74:75]
	v_add_f64 v[56:57], v[56:57], -v[70:71]
	v_add_f64 v[70:71], v[76:77], -v[70:71]
	v_add_f64 v[70:71], v[74:75], -v[70:71]
	v_add_f64 v[56:57], v[56:57], v[70:71]
	v_add_f64 v[62:63], v[68:69], -v[62:63]
	v_add_f64 v[10:11], v[56:57], v[10:11]
	v_fma_f64 v[56:57], v[60:61], v[58:59], -v[74:75]
	v_add_f64 v[68:69], v[62:63], v[78:79]
	v_add_f64 v[10:11], v[56:57], v[10:11]
	v_ldexp_f64 v[56:57], v[72:73], 2
	v_add_f64 v[58:59], v[68:69], v[56:57]
	v_cmp_gt_f64_e32 vcc, 0, v[58:59]
	v_cndmask_b32_e32 v19, 0, v64, vcc
	v_add_f64 v[56:57], v[56:57], v[18:19]
	v_add_f64 v[58:59], v[68:69], v[56:57]
	v_cvt_i32_f64_e32 v19, v[58:59]
	v_cvt_f64_i32_e32 v[58:59], v19
	v_add_f64 v[56:57], v[56:57], -v[58:59]
	v_add_f64 v[62:63], v[68:69], -v[62:63]
	v_add_f64 v[58:59], v[68:69], v[56:57]
	v_add_f64 v[62:63], v[78:79], -v[62:63]
	v_add_f64 v[56:57], v[58:59], -v[56:57]
	v_cmp_le_f64_e32 vcc, 0.5, v[58:59]
	v_add_f64 v[10:11], v[62:63], v[10:11]
	v_add_f64 v[56:57], v[68:69], -v[56:57]
	v_addc_co_u32_e64 v54, s[8:9], 0, v19, vcc
	v_cndmask_b32_e32 v19, 0, v65, vcc
	v_add_f64 v[10:11], v[10:11], v[56:57]
	v_add_f64 v[56:57], v[58:59], -v[18:19]
	v_add_f64 v[58:59], v[56:57], v[10:11]
	v_add_f64 v[56:57], v[58:59], -v[56:57]
	s_mov_b32 s30, s34
	v_add_f64 v[10:11], v[10:11], -v[56:57]
	v_mul_f64 v[56:57], v[58:59], s[30:31]
	v_fma_f64 v[60:61], v[58:59], s[30:31], -v[56:57]
	s_mov_b32 s39, s37
	v_fmac_f64_e32 v[60:61], s[38:39], v[58:59]
	v_fmac_f64_e32 v[60:61], s[30:31], v[10:11]
	v_add_f64 v[10:11], v[56:57], v[60:61]
	v_add_f64 v[56:57], v[10:11], -v[56:57]
	v_add_f64 v[56:57], v[60:61], -v[56:57]
	s_andn2_saveexec_b64 s[8:9], s[86:87]
	s_cbranch_execz .LBB248_365
	s_branch .LBB248_364
.LBB248_363:                            ;   in Loop: Header=BB248_217 Depth=1
	s_andn2_saveexec_b64 s[8:9], s[86:87]
	s_cbranch_execz .LBB248_365
.LBB248_364:                            ;   in Loop: Header=BB248_217 Depth=1
	v_mul_f64 v[10:11], |v[12:13]|, s[40:41]
	v_rndne_f64_e32 v[58:59], v[10:11]
	v_fma_f64 v[10:11], v[58:59], s[34:35], |v[12:13]|
	v_mul_f64 v[60:61], v[58:59], s[42:43]
	v_add_f64 v[68:69], v[10:11], v[60:61]
	v_fma_f64 v[56:57], s[42:43], v[58:59], v[10:11]
	s_mov_b32 s36, s42
	v_add_f64 v[10:11], v[10:11], -v[68:69]
	v_fma_f64 v[62:63], s[36:37], v[58:59], v[60:61]
	v_add_f64 v[10:11], v[10:11], v[60:61]
	v_add_f64 v[60:61], v[68:69], -v[56:57]
	v_add_f64 v[10:11], v[60:61], v[10:11]
	v_add_f64 v[60:61], v[10:11], -v[62:63]
	v_fmac_f64_e32 v[60:61], s[44:45], v[58:59]
	v_add_f64 v[10:11], v[56:57], v[60:61]
	v_add_f64 v[56:57], v[10:11], -v[56:57]
	v_add_f64 v[56:57], v[60:61], -v[56:57]
	v_cvt_i32_f64_e32 v54, v[58:59]
.LBB248_365:                            ;   in Loop: Header=BB248_217 Depth=1
	s_or_b64 exec, exec, s[8:9]
                                        ; implicit-def: $vgpr62
                                        ; implicit-def: $vgpr58_vgpr59
                                        ; implicit-def: $vgpr60_vgpr61
	s_and_saveexec_b64 s[8:9], s[84:85]
	s_xor_b64 s[84:85], exec, s[8:9]
	s_cbranch_execz .LBB248_367
; %bb.366:                              ;   in Loop: Header=BB248_217 Depth=1
	s_movk_i32 s8, 0xff80
	v_ldexp_f64 v[62:63], |v[12:13]|, s8
	s_mov_b32 s8, 0
	s_mov_b32 s9, 0x7b000000
	v_and_b32_e32 v19, 0x7fffffff, v13
	v_cmp_ge_f64_e64 vcc, |v[12:13]|, s[8:9]
	v_trig_preop_f64 v[58:59], |v[12:13]|, 0
	v_cndmask_b32_e32 v63, v19, v63, vcc
	v_cndmask_b32_e32 v62, v12, v62, vcc
	v_trig_preop_f64 v[60:61], |v[12:13]|, 1
	v_mul_f64 v[70:71], v[58:59], v[62:63]
	v_mul_f64 v[68:69], v[60:61], v[62:63]
	v_fma_f64 v[58:59], v[58:59], v[62:63], -v[70:71]
	v_add_f64 v[72:73], v[68:69], v[58:59]
	v_add_f64 v[74:75], v[70:71], v[72:73]
	s_mov_b32 s8, 0
	v_ldexp_f64 v[76:77], v[74:75], -2
	s_mov_b32 s9, 0x7ff00000
	v_fract_f64_e32 v[78:79], v[76:77]
	v_cmp_neq_f64_e64 vcc, |v[76:77]|, s[8:9]
	v_cndmask_b32_e32 v77, 0, v79, vcc
	v_cndmask_b32_e32 v76, 0, v78, vcc
	v_add_f64 v[78:79], v[72:73], -v[68:69]
	v_add_f64 v[58:59], v[58:59], -v[78:79]
	;; [unrolled: 1-line block ×4, first 2 shown]
	v_fma_f64 v[60:61], v[60:61], v[62:63], -v[68:69]
	v_trig_preop_f64 v[68:69], |v[12:13]|, 2
	v_add_f64 v[58:59], v[58:59], v[78:79]
	v_mul_f64 v[78:79], v[68:69], v[62:63]
	v_add_f64 v[80:81], v[78:79], v[60:61]
	v_add_f64 v[82:83], v[80:81], v[58:59]
	v_add_f64 v[70:71], v[74:75], -v[70:71]
	v_add_f64 v[74:75], v[82:83], -v[80:81]
	;; [unrolled: 1-line block ×5, first 2 shown]
	v_add_f64 v[58:59], v[58:59], v[74:75]
	v_add_f64 v[74:75], v[80:81], -v[78:79]
	v_add_f64 v[60:61], v[60:61], -v[74:75]
	;; [unrolled: 1-line block ×4, first 2 shown]
	v_add_f64 v[60:61], v[60:61], v[74:75]
	v_add_f64 v[70:71], v[72:73], -v[70:71]
	v_add_f64 v[58:59], v[60:61], v[58:59]
	v_fma_f64 v[60:61], v[68:69], v[62:63], -v[78:79]
	v_add_f64 v[72:73], v[70:71], v[82:83]
	v_add_f64 v[58:59], v[60:61], v[58:59]
	v_ldexp_f64 v[60:61], v[76:77], 2
	v_add_f64 v[62:63], v[72:73], v[60:61]
	v_cmp_gt_f64_e32 vcc, 0, v[62:63]
	v_cndmask_b32_e32 v19, 0, v64, vcc
	v_add_f64 v[60:61], v[60:61], v[18:19]
	v_add_f64 v[62:63], v[72:73], v[60:61]
	v_cvt_i32_f64_e32 v19, v[62:63]
	v_cvt_f64_i32_e32 v[62:63], v19
	v_add_f64 v[60:61], v[60:61], -v[62:63]
	v_add_f64 v[70:71], v[72:73], -v[70:71]
	v_add_f64 v[68:69], v[72:73], v[60:61]
	v_add_f64 v[70:71], v[82:83], -v[70:71]
	v_add_f64 v[60:61], v[68:69], -v[60:61]
	v_cmp_le_f64_e32 vcc, 0.5, v[68:69]
	v_add_f64 v[58:59], v[70:71], v[58:59]
	v_add_f64 v[60:61], v[72:73], -v[60:61]
	v_addc_co_u32_e64 v62, s[8:9], 0, v19, vcc
	v_cndmask_b32_e32 v19, 0, v65, vcc
	v_add_f64 v[58:59], v[58:59], v[60:61]
	v_add_f64 v[60:61], v[68:69], -v[18:19]
	v_add_f64 v[68:69], v[60:61], v[58:59]
	v_add_f64 v[60:61], v[68:69], -v[60:61]
	s_mov_b32 s30, s34
	v_add_f64 v[58:59], v[58:59], -v[60:61]
	v_mul_f64 v[60:61], v[68:69], s[30:31]
	v_fma_f64 v[70:71], v[68:69], s[30:31], -v[60:61]
	s_mov_b32 s39, s37
	v_fmac_f64_e32 v[70:71], s[38:39], v[68:69]
	v_fmac_f64_e32 v[70:71], s[30:31], v[58:59]
	v_add_f64 v[58:59], v[60:61], v[70:71]
	v_add_f64 v[60:61], v[58:59], -v[60:61]
	v_add_f64 v[60:61], v[70:71], -v[60:61]
	s_andn2_saveexec_b64 s[8:9], s[84:85]
	s_cbranch_execnz .LBB248_368
	s_branch .LBB248_369
.LBB248_367:                            ;   in Loop: Header=BB248_217 Depth=1
	s_andn2_saveexec_b64 s[8:9], s[84:85]
	s_cbranch_execz .LBB248_369
.LBB248_368:                            ;   in Loop: Header=BB248_217 Depth=1
	v_mul_f64 v[58:59], |v[12:13]|, s[40:41]
	v_rndne_f64_e32 v[62:63], v[58:59]
	v_fma_f64 v[58:59], v[62:63], s[34:35], |v[12:13]|
	v_mul_f64 v[68:69], v[62:63], s[42:43]
	v_add_f64 v[72:73], v[58:59], v[68:69]
	v_fma_f64 v[60:61], s[42:43], v[62:63], v[58:59]
	s_mov_b32 s36, s42
	v_add_f64 v[58:59], v[58:59], -v[72:73]
	v_fma_f64 v[70:71], s[36:37], v[62:63], v[68:69]
	v_add_f64 v[58:59], v[58:59], v[68:69]
	v_add_f64 v[68:69], v[72:73], -v[60:61]
	v_add_f64 v[58:59], v[68:69], v[58:59]
	v_add_f64 v[68:69], v[58:59], -v[70:71]
	v_fmac_f64_e32 v[68:69], s[44:45], v[62:63]
	v_add_f64 v[58:59], v[60:61], v[68:69]
	v_add_f64 v[60:61], v[58:59], -v[60:61]
	v_add_f64 v[60:61], v[68:69], -v[60:61]
	v_cvt_i32_f64_e32 v62, v[62:63]
.LBB248_369:                            ;   in Loop: Header=BB248_217 Depth=1
	s_or_b64 exec, exec, s[8:9]
	v_mul_f64 v[68:69], v[10:11], v[10:11]
	v_pk_mov_b32 v[76:77], s[64:65], s[64:65] op_sel:[0,1]
	v_mul_f64 v[70:71], v[68:69], 0.5
	v_fma_f64 v[78:79], s[66:67], v[68:69], v[76:77]
	v_add_f64 v[72:73], -v[70:71], 1.0
	v_fma_f64 v[78:79], v[68:69], v[78:79], s[68:69]
	v_add_f64 v[74:75], -v[72:73], 1.0
	v_fma_f64 v[78:79], v[68:69], v[78:79], s[70:71]
	v_add_f64 v[70:71], v[74:75], -v[70:71]
	v_fma_f64 v[78:79], v[68:69], v[78:79], s[72:73]
	v_mul_f64 v[74:75], v[68:69], v[68:69]
	v_fma_f64 v[78:79], v[68:69], v[78:79], s[58:59]
	v_fma_f64 v[70:71], v[10:11], -v[56:57], v[70:71]
	v_fmac_f64_e32 v[70:71], v[74:75], v[78:79]
	v_add_f64 v[70:71], v[72:73], v[70:71]
	v_pk_mov_b32 v[72:73], s[74:75], s[74:75] op_sel:[0,1]
	v_fma_f64 v[74:75], s[76:77], v[68:69], v[72:73]
	v_fma_f64 v[74:75], v[68:69], v[74:75], s[78:79]
	;; [unrolled: 1-line block ×4, first 2 shown]
	v_mul_f64 v[78:79], v[10:11], -v[68:69]
	v_mul_f64 v[80:81], v[56:57], 0.5
	v_fmac_f64_e32 v[80:81], v[78:79], v[74:75]
	v_fma_f64 v[56:57], v[68:69], v[80:81], -v[56:57]
	s_mov_b32 s82, s58
	v_fmac_f64_e32 v[56:57], s[82:83], v[78:79]
	v_add_f64 v[10:11], v[10:11], -v[56:57]
	v_and_b32_e32 v19, 1, v54
	v_xor_b32_e32 v11, 0x80000000, v11
	v_cmp_eq_u32_e32 vcc, 0, v19
	v_lshlrev_b32_e32 v19, 30, v54
	v_cndmask_b32_e32 v11, v11, v71, vcc
	v_and_b32_e32 v19, 0x80000000, v19
	v_cndmask_b32_e32 v10, v10, v70, vcc
	v_xor_b32_e32 v11, v11, v19
	v_cmp_class_f64_e64 vcc, v[12:13], s29
	v_cndmask_b32_e32 v56, 0, v10, vcc
	v_cndmask_b32_e32 v57, v67, v11, vcc
	v_mul_f64 v[10:11], v[58:59], v[58:59]
	v_mul_f64 v[12:13], v[10:11], 0.5
	v_fmac_f64_e32 v[76:77], s[66:67], v[10:11]
	v_add_f64 v[68:69], -v[12:13], 1.0
	v_fma_f64 v[74:75], v[10:11], v[76:77], s[68:69]
	v_add_f64 v[70:71], -v[68:69], 1.0
	v_fma_f64 v[74:75], v[10:11], v[74:75], s[70:71]
	v_add_f64 v[12:13], v[70:71], -v[12:13]
	v_fma_f64 v[74:75], v[10:11], v[74:75], s[72:73]
	v_mul_f64 v[70:71], v[10:11], v[10:11]
	v_fma_f64 v[74:75], v[10:11], v[74:75], s[58:59]
	v_fma_f64 v[12:13], v[58:59], -v[60:61], v[12:13]
	v_fmac_f64_e32 v[12:13], v[70:71], v[74:75]
	v_fmac_f64_e32 v[72:73], s[76:77], v[10:11]
	v_add_f64 v[12:13], v[68:69], v[12:13]
	v_fma_f64 v[68:69], v[10:11], v[72:73], s[78:79]
	v_fma_f64 v[68:69], v[10:11], v[68:69], s[80:81]
	;; [unrolled: 1-line block ×3, first 2 shown]
	v_mul_f64 v[70:71], v[58:59], -v[10:11]
	v_mul_f64 v[72:73], v[60:61], 0.5
	v_fmac_f64_e32 v[72:73], v[70:71], v[68:69]
	v_fma_f64 v[10:11], v[10:11], v[72:73], -v[60:61]
	v_fmac_f64_e32 v[10:11], s[82:83], v[70:71]
	v_and_b32_e32 v19, 1, v62
	v_add_f64 v[10:11], v[58:59], -v[10:11]
	v_cmp_eq_u32_e64 s[8:9], 0, v19
	v_cndmask_b32_e64 v10, v12, v10, s[8:9]
	v_lshlrev_b32_e32 v12, 30, v62
	v_xor_b32_e32 v12, v12, v55
	v_cndmask_b32_e64 v11, v13, v11, s[8:9]
	v_and_b32_e32 v12, 0x80000000, v12
	v_xor_b32_e32 v11, v11, v12
	v_cndmask_b32_e32 v54, 0, v10, vcc
	v_cndmask_b32_e32 v55, v67, v11, vcc
.LBB248_370:                            ;   in Loop: Header=BB248_217 Depth=1
	s_or_b64 exec, exec, s[10:11]
                                        ; implicit-def: $vgpr10_vgpr11
.LBB248_371:                            ;   in Loop: Header=BB248_217 Depth=1
	s_andn2_saveexec_b64 s[10:11], s[92:93]
	s_cbranch_execz .LBB248_373
; %bb.372:                              ;   in Loop: Header=BB248_217 Depth=1
	s_mov_b32 s46, s48
	v_mul_f64 v[12:13], v[10:11], s[46:47]
	v_rndne_f64_e32 v[12:13], v[12:13]
	v_fma_f64 v[56:57], v[12:13], s[50:51], -v[10:11]
	v_fmac_f64_e32 v[56:57], s[52:53], v[12:13]
	v_pk_mov_b32 v[58:59], v[36:37], v[36:37] op_sel:[0,1]
	v_fmac_f64_e32 v[58:59], s[54:55], v[56:57]
	v_pk_mov_b32 v[60:61], v[38:39], v[38:39] op_sel:[0,1]
	;; [unrolled: 2-line block ×9, first 2 shown]
	v_fmac_f64_e32 v[58:59], v[56:57], v[60:61]
	v_fma_f64 v[58:59], v[56:57], v[58:59], 1.0
	v_fma_f64 v[56:57], v[56:57], v[58:59], 1.0
	v_cvt_i32_f64_e32 v12, v[12:13]
	v_ldexp_f64 v[12:13], v[56:57], v12
	v_cmp_ngt_f64_e32 vcc, s[60:61], v[10:11]
	v_cmp_nlt_f64_e64 s[8:9], s[62:63], v[10:11]
	v_cndmask_b32_e32 v13, v66, v13, vcc
	s_and_b64 vcc, s[8:9], vcc
	v_cndmask_b32_e64 v57, 0, v13, s[8:9]
	v_cndmask_b32_e32 v56, 0, v12, vcc
.LBB248_373:                            ;   in Loop: Header=BB248_217 Depth=1
	s_or_b64 exec, exec, s[10:11]
	v_add_f64 v[56:57], s[12:13], v[56:57]
	v_add_f64 v[54:55], s[14:15], v[54:55]
	v_xor_b32_e32 v10, 0x80000000, v57
	v_cmp_gt_f64_e32 vcc, 0, v[56:57]
	v_cndmask_b32_e32 v61, v57, v10, vcc
	v_cndmask_b32_e32 v60, v56, v56, vcc
	v_xor_b32_e32 v10, 0x80000000, v55
	v_cmp_gt_f64_e32 vcc, 0, v[54:55]
	v_cndmask_b32_e32 v59, v55, v10, vcc
	v_cndmask_b32_e32 v58, v54, v54, vcc
	v_cmp_ge_f64_e32 vcc, v[60:61], v[58:59]
                                        ; implicit-def: $vgpr12_vgpr13
	s_and_saveexec_b64 s[8:9], vcc
	s_xor_b64 s[10:11], exec, s[8:9]
	s_cbranch_execz .LBB248_379
; %bb.374:                              ;   in Loop: Header=BB248_217 Depth=1
	v_cmp_neq_f64_e32 vcc, 0, v[56:57]
	v_cmp_neq_f64_e64 s[8:9], 0, v[54:55]
	s_or_b64 s[8:9], vcc, s[8:9]
                                        ; implicit-def: $vgpr12_vgpr13
	s_and_saveexec_b64 s[84:85], s[8:9]
	s_xor_b64 s[8:9], exec, s[84:85]
	s_cbranch_execz .LBB248_376
; %bb.375:                              ;   in Loop: Header=BB248_217 Depth=1
	v_div_scale_f64 v[10:11], s[84:85], v[56:57], v[56:57], v[54:55]
	v_rcp_f64_e32 v[12:13], v[10:11]
	v_div_scale_f64 v[58:59], vcc, v[54:55], v[56:57], v[54:55]
	v_fma_f64 v[60:61], -v[10:11], v[12:13], 1.0
	v_fmac_f64_e32 v[12:13], v[12:13], v[60:61]
	v_fma_f64 v[60:61], -v[10:11], v[12:13], 1.0
	v_fmac_f64_e32 v[12:13], v[12:13], v[60:61]
	v_mul_f64 v[60:61], v[58:59], v[12:13]
	v_fma_f64 v[10:11], -v[10:11], v[60:61], v[58:59]
	v_div_fmas_f64 v[10:11], v[10:11], v[12:13], v[60:61]
	v_div_fixup_f64 v[12:13], v[10:11], v[56:57], v[54:55]
	v_fmac_f64_e32 v[56:57], v[54:55], v[12:13]
	v_div_scale_f64 v[10:11], s[84:85], v[56:57], v[56:57], 1.0
	v_rcp_f64_e32 v[54:55], v[10:11]
	v_fma_f64 v[58:59], -v[10:11], v[54:55], 1.0
	v_fmac_f64_e32 v[54:55], v[54:55], v[58:59]
	v_fma_f64 v[58:59], -v[10:11], v[54:55], 1.0
	v_fmac_f64_e32 v[54:55], v[54:55], v[58:59]
	v_div_scale_f64 v[58:59], vcc, 1.0, v[56:57], 1.0
	v_mul_f64 v[60:61], v[58:59], v[54:55]
	v_fma_f64 v[10:11], -v[10:11], v[60:61], v[58:59]
                                        ; implicit-def: $vgpr58_vgpr59
	s_nop 1
	v_div_fmas_f64 v[10:11], v[10:11], v[54:55], v[60:61]
	v_div_fixup_f64 v[54:55], v[10:11], v[56:57], 1.0
	v_pk_mov_b32 v[10:11], s[12:13], s[12:13] op_sel:[0,1]
	v_pk_mov_b32 v[56:57], s[14:15], s[14:15] op_sel:[0,1]
	v_fma_f64 v[10:11], s[14:15], v[12:13], v[10:11]
	v_fma_f64 v[12:13], -s[12:13], v[12:13], v[56:57]
	v_mul_f64 v[10:11], v[10:11], v[54:55]
	v_mul_f64 v[12:13], v[12:13], v[54:55]
                                        ; implicit-def: $vgpr60_vgpr61
.LBB248_376:                            ;   in Loop: Header=BB248_217 Depth=1
	s_andn2_saveexec_b64 s[8:9], s[8:9]
	s_cbranch_execz .LBB248_378
; %bb.377:                              ;   in Loop: Header=BB248_217 Depth=1
	v_div_scale_f64 v[10:11], s[84:85], v[60:61], v[60:61], s[12:13]
	v_rcp_f64_e32 v[12:13], v[10:11]
	v_div_scale_f64 v[54:55], vcc, s[12:13], v[60:61], s[12:13]
	v_fma_f64 v[56:57], -v[10:11], v[12:13], 1.0
	v_fmac_f64_e32 v[12:13], v[12:13], v[56:57]
	v_fma_f64 v[56:57], -v[10:11], v[12:13], 1.0
	v_fmac_f64_e32 v[12:13], v[12:13], v[56:57]
	v_mul_f64 v[56:57], v[54:55], v[12:13]
	v_fma_f64 v[10:11], -v[10:11], v[56:57], v[54:55]
	v_div_scale_f64 v[54:55], s[84:85], v[58:59], v[58:59], s[14:15]
	v_rcp_f64_e32 v[62:63], v[54:55]
	v_div_fmas_f64 v[10:11], v[10:11], v[12:13], v[56:57]
	v_div_fixup_f64 v[10:11], v[10:11], v[60:61], s[12:13]
	v_fma_f64 v[12:13], -v[54:55], v[62:63], 1.0
	v_fmac_f64_e32 v[62:63], v[62:63], v[12:13]
	v_fma_f64 v[12:13], -v[54:55], v[62:63], 1.0
	v_fmac_f64_e32 v[62:63], v[62:63], v[12:13]
	v_div_scale_f64 v[12:13], vcc, s[14:15], v[58:59], s[14:15]
	v_mul_f64 v[56:57], v[12:13], v[62:63]
	v_fma_f64 v[12:13], -v[54:55], v[56:57], v[12:13]
	s_nop 1
	v_div_fmas_f64 v[12:13], v[12:13], v[62:63], v[56:57]
	v_div_fixup_f64 v[12:13], v[12:13], v[58:59], s[14:15]
.LBB248_378:                            ;   in Loop: Header=BB248_217 Depth=1
	s_or_b64 exec, exec, s[8:9]
                                        ; implicit-def: $vgpr54_vgpr55
                                        ; implicit-def: $vgpr56_vgpr57
.LBB248_379:                            ;   in Loop: Header=BB248_217 Depth=1
	s_andn2_saveexec_b64 s[8:9], s[10:11]
	s_cbranch_execz .LBB248_381
; %bb.380:                              ;   in Loop: Header=BB248_217 Depth=1
	v_div_scale_f64 v[10:11], s[10:11], v[54:55], v[54:55], v[56:57]
	v_rcp_f64_e32 v[12:13], v[10:11]
	v_div_scale_f64 v[58:59], vcc, v[56:57], v[54:55], v[56:57]
	v_fma_f64 v[60:61], -v[10:11], v[12:13], 1.0
	v_fmac_f64_e32 v[12:13], v[12:13], v[60:61]
	v_fma_f64 v[60:61], -v[10:11], v[12:13], 1.0
	v_fmac_f64_e32 v[12:13], v[12:13], v[60:61]
	v_mul_f64 v[60:61], v[58:59], v[12:13]
	v_fma_f64 v[10:11], -v[10:11], v[60:61], v[58:59]
	v_div_fmas_f64 v[10:11], v[10:11], v[12:13], v[60:61]
	v_div_fixup_f64 v[12:13], v[10:11], v[54:55], v[56:57]
	v_fmac_f64_e32 v[54:55], v[56:57], v[12:13]
	v_div_scale_f64 v[10:11], s[10:11], v[54:55], v[54:55], 1.0
	v_rcp_f64_e32 v[56:57], v[10:11]
	v_fma_f64 v[58:59], -v[10:11], v[56:57], 1.0
	v_fmac_f64_e32 v[56:57], v[56:57], v[58:59]
	v_fma_f64 v[58:59], -v[10:11], v[56:57], 1.0
	v_fmac_f64_e32 v[56:57], v[56:57], v[58:59]
	v_div_scale_f64 v[58:59], vcc, 1.0, v[54:55], 1.0
	v_mul_f64 v[60:61], v[58:59], v[56:57]
	v_fma_f64 v[10:11], -v[10:11], v[60:61], v[58:59]
	s_nop 1
	v_div_fmas_f64 v[10:11], v[10:11], v[56:57], v[60:61]
	v_div_fixup_f64 v[54:55], v[10:11], v[54:55], 1.0
	v_pk_mov_b32 v[10:11], s[14:15], s[14:15] op_sel:[0,1]
	v_pk_mov_b32 v[56:57], s[12:13], s[12:13] op_sel:[0,1]
	v_fma_f64 v[10:11], s[12:13], v[12:13], v[10:11]
	v_fma_f64 v[12:13], s[14:15], v[12:13], -v[56:57]
	v_mul_f64 v[10:11], v[10:11], v[54:55]
	v_mul_f64 v[12:13], v[12:13], v[54:55]
.LBB248_381:                            ;   in Loop: Header=BB248_217 Depth=1
	s_or_b64 exec, exec, s[8:9]
	v_xor_b32_e32 v55, 0x80000000, v5
	v_mov_b32_e32 v54, v4
	v_and_b32_e32 v60, 0x7fffffff, v55
	v_or_b32_e32 v19, v60, v54
	v_cmp_ne_u32_e32 vcc, 0, v19
                                        ; implicit-def: $vgpr56_vgpr57
	s_and_saveexec_b64 s[8:9], vcc
	s_xor_b64 s[92:93], exec, s[8:9]
	s_cbranch_execz .LBB248_423
; %bb.382:                              ;   in Loop: Header=BB248_217 Depth=1
	v_xor_b32_e32 v59, 0x80000000, v3
	v_mov_b32_e32 v58, v2
	v_and_b32_e32 v19, 0x7fffffff, v59
	v_or_b32_e32 v54, v19, v58
	v_cmp_ne_u32_e32 vcc, 0, v54
                                        ; implicit-def: $vgpr56_vgpr57
	s_and_saveexec_b64 s[8:9], vcc
	s_xor_b64 s[94:95], exec, s[8:9]
	s_cbranch_execz .LBB248_412
; %bb.383:                              ;   in Loop: Header=BB248_217 Depth=1
	s_mov_b32 s8, 0x7ff00000
	v_cmp_gt_u32_e32 vcc, s8, v60
                                        ; implicit-def: $vgpr56_vgpr57
	s_and_saveexec_b64 s[8:9], vcc
	s_xor_b64 s[84:85], exec, s[8:9]
	s_cbranch_execz .LBB248_405
; %bb.384:                              ;   in Loop: Header=BB248_217 Depth=1
	v_add_u32_e32 v19, 0xbf79d1be, v59
	s_mov_b32 s8, 0x108aa2
	v_cmp_lt_u32_e32 vcc, s8, v19
                                        ; implicit-def: $vgpr56_vgpr57
	s_and_saveexec_b64 s[8:9], vcc
	s_xor_b64 s[10:11], exec, s[8:9]
	s_cbranch_execz .LBB248_394
; %bb.385:                              ;   in Loop: Header=BB248_217 Depth=1
	s_mov_b32 s8, 0
	s_mov_b32 s9, 0x41d00000
	v_cmp_nlt_f64_e64 s[86:87], |v[4:5]|, s[8:9]
                                        ; implicit-def: $vgpr54
                                        ; implicit-def: $vgpr56_vgpr57
                                        ; implicit-def: $vgpr58_vgpr59
	s_and_saveexec_b64 s[8:9], s[86:87]
	s_xor_b64 s[88:89], exec, s[8:9]
	s_cbranch_execz .LBB248_387
; %bb.386:                              ;   in Loop: Header=BB248_217 Depth=1
	s_movk_i32 s8, 0xff80
	v_ldexp_f64 v[60:61], |v[4:5]|, s8
	s_mov_b32 s8, 0
	s_mov_b32 s9, 0x7b000000
	v_and_b32_e32 v19, 0x7fffffff, v5
	v_cmp_ge_f64_e64 vcc, |v[4:5]|, s[8:9]
	v_trig_preop_f64 v[56:57], |v[4:5]|, 0
	v_cndmask_b32_e32 v61, v19, v61, vcc
	v_cndmask_b32_e32 v60, v4, v60, vcc
	v_trig_preop_f64 v[58:59], |v[4:5]|, 1
	v_mul_f64 v[68:69], v[56:57], v[60:61]
	v_mul_f64 v[62:63], v[58:59], v[60:61]
	v_fma_f64 v[56:57], v[56:57], v[60:61], -v[68:69]
	v_add_f64 v[70:71], v[62:63], v[56:57]
	v_add_f64 v[72:73], v[68:69], v[70:71]
	s_mov_b32 s8, 0
	v_ldexp_f64 v[74:75], v[72:73], -2
	s_mov_b32 s9, 0x7ff00000
	v_fract_f64_e32 v[76:77], v[74:75]
	v_cmp_neq_f64_e64 vcc, |v[74:75]|, s[8:9]
	v_cndmask_b32_e32 v75, 0, v77, vcc
	v_cndmask_b32_e32 v74, 0, v76, vcc
	v_add_f64 v[76:77], v[70:71], -v[62:63]
	v_add_f64 v[56:57], v[56:57], -v[76:77]
	;; [unrolled: 1-line block ×4, first 2 shown]
	v_fma_f64 v[58:59], v[58:59], v[60:61], -v[62:63]
	v_trig_preop_f64 v[62:63], |v[4:5]|, 2
	v_add_f64 v[56:57], v[56:57], v[76:77]
	v_mul_f64 v[76:77], v[62:63], v[60:61]
	v_add_f64 v[78:79], v[76:77], v[58:59]
	v_add_f64 v[80:81], v[78:79], v[56:57]
	v_add_f64 v[68:69], v[72:73], -v[68:69]
	v_add_f64 v[72:73], v[80:81], -v[78:79]
	;; [unrolled: 1-line block ×5, first 2 shown]
	v_add_f64 v[56:57], v[56:57], v[72:73]
	v_add_f64 v[72:73], v[78:79], -v[76:77]
	v_add_f64 v[58:59], v[58:59], -v[72:73]
	;; [unrolled: 1-line block ×4, first 2 shown]
	v_add_f64 v[58:59], v[58:59], v[72:73]
	v_add_f64 v[68:69], v[70:71], -v[68:69]
	v_add_f64 v[56:57], v[58:59], v[56:57]
	v_fma_f64 v[58:59], v[62:63], v[60:61], -v[76:77]
	v_add_f64 v[70:71], v[68:69], v[80:81]
	v_add_f64 v[56:57], v[58:59], v[56:57]
	v_ldexp_f64 v[58:59], v[74:75], 2
	v_add_f64 v[60:61], v[70:71], v[58:59]
	v_cmp_gt_f64_e32 vcc, 0, v[60:61]
	v_cndmask_b32_e32 v19, 0, v64, vcc
	v_add_f64 v[58:59], v[58:59], v[18:19]
	v_add_f64 v[60:61], v[70:71], v[58:59]
	v_cvt_i32_f64_e32 v19, v[60:61]
	v_cvt_f64_i32_e32 v[60:61], v19
	v_add_f64 v[58:59], v[58:59], -v[60:61]
	v_add_f64 v[68:69], v[70:71], -v[68:69]
	v_add_f64 v[60:61], v[70:71], v[58:59]
	v_add_f64 v[68:69], v[80:81], -v[68:69]
	v_add_f64 v[58:59], v[60:61], -v[58:59]
	v_cmp_le_f64_e32 vcc, 0.5, v[60:61]
	v_add_f64 v[56:57], v[68:69], v[56:57]
	v_add_f64 v[58:59], v[70:71], -v[58:59]
	v_addc_co_u32_e64 v54, s[8:9], 0, v19, vcc
	v_cndmask_b32_e32 v19, 0, v65, vcc
	v_add_f64 v[56:57], v[56:57], v[58:59]
	v_add_f64 v[58:59], v[60:61], -v[18:19]
	v_add_f64 v[60:61], v[58:59], v[56:57]
	v_add_f64 v[58:59], v[60:61], -v[58:59]
	s_mov_b32 s30, s34
	v_add_f64 v[56:57], v[56:57], -v[58:59]
	v_mul_f64 v[58:59], v[60:61], s[30:31]
	v_fma_f64 v[62:63], v[60:61], s[30:31], -v[58:59]
	s_mov_b32 s39, s37
	v_fmac_f64_e32 v[62:63], s[38:39], v[60:61]
	v_fmac_f64_e32 v[62:63], s[30:31], v[56:57]
	v_add_f64 v[56:57], v[58:59], v[62:63]
	v_add_f64 v[58:59], v[56:57], -v[58:59]
	v_add_f64 v[58:59], v[62:63], -v[58:59]
	s_andn2_saveexec_b64 s[8:9], s[88:89]
	s_cbranch_execz .LBB248_389
	s_branch .LBB248_388
.LBB248_387:                            ;   in Loop: Header=BB248_217 Depth=1
	s_andn2_saveexec_b64 s[8:9], s[88:89]
	s_cbranch_execz .LBB248_389
.LBB248_388:                            ;   in Loop: Header=BB248_217 Depth=1
	v_mul_f64 v[56:57], |v[4:5]|, s[40:41]
	v_rndne_f64_e32 v[60:61], v[56:57]
	v_fma_f64 v[56:57], v[60:61], s[34:35], |v[4:5]|
	v_mul_f64 v[62:63], v[60:61], s[42:43]
	v_add_f64 v[70:71], v[56:57], v[62:63]
	v_fma_f64 v[58:59], s[42:43], v[60:61], v[56:57]
	s_mov_b32 s36, s42
	v_add_f64 v[56:57], v[56:57], -v[70:71]
	v_fma_f64 v[68:69], s[36:37], v[60:61], v[62:63]
	v_add_f64 v[56:57], v[56:57], v[62:63]
	v_add_f64 v[62:63], v[70:71], -v[58:59]
	v_add_f64 v[56:57], v[62:63], v[56:57]
	v_add_f64 v[62:63], v[56:57], -v[68:69]
	v_fmac_f64_e32 v[62:63], s[44:45], v[60:61]
	v_add_f64 v[56:57], v[58:59], v[62:63]
	v_add_f64 v[58:59], v[56:57], -v[58:59]
	v_add_f64 v[58:59], v[62:63], -v[58:59]
	v_cvt_i32_f64_e32 v54, v[60:61]
.LBB248_389:                            ;   in Loop: Header=BB248_217 Depth=1
	s_or_b64 exec, exec, s[8:9]
                                        ; implicit-def: $vgpr68
                                        ; implicit-def: $vgpr60_vgpr61
                                        ; implicit-def: $vgpr62_vgpr63
	s_and_saveexec_b64 s[8:9], s[86:87]
	s_xor_b64 s[86:87], exec, s[8:9]
	s_cbranch_execz .LBB248_391
; %bb.390:                              ;   in Loop: Header=BB248_217 Depth=1
	s_movk_i32 s8, 0xff80
	v_ldexp_f64 v[68:69], |v[4:5]|, s8
	s_mov_b32 s8, 0
	s_mov_b32 s9, 0x7b000000
	v_and_b32_e32 v19, 0x7fffffff, v5
	v_cmp_ge_f64_e64 vcc, |v[4:5]|, s[8:9]
	v_trig_preop_f64 v[60:61], |v[4:5]|, 0
	v_cndmask_b32_e32 v69, v19, v69, vcc
	v_cndmask_b32_e32 v68, v4, v68, vcc
	v_trig_preop_f64 v[62:63], |v[4:5]|, 1
	v_mul_f64 v[72:73], v[60:61], v[68:69]
	v_mul_f64 v[70:71], v[62:63], v[68:69]
	v_fma_f64 v[60:61], v[60:61], v[68:69], -v[72:73]
	v_add_f64 v[74:75], v[70:71], v[60:61]
	v_add_f64 v[76:77], v[72:73], v[74:75]
	s_mov_b32 s8, 0
	v_ldexp_f64 v[78:79], v[76:77], -2
	s_mov_b32 s9, 0x7ff00000
	v_fract_f64_e32 v[80:81], v[78:79]
	v_cmp_neq_f64_e64 vcc, |v[78:79]|, s[8:9]
	v_cndmask_b32_e32 v79, 0, v81, vcc
	v_cndmask_b32_e32 v78, 0, v80, vcc
	v_add_f64 v[80:81], v[74:75], -v[70:71]
	v_add_f64 v[60:61], v[60:61], -v[80:81]
	;; [unrolled: 1-line block ×4, first 2 shown]
	v_fma_f64 v[62:63], v[62:63], v[68:69], -v[70:71]
	v_trig_preop_f64 v[70:71], |v[4:5]|, 2
	v_add_f64 v[60:61], v[60:61], v[80:81]
	v_mul_f64 v[80:81], v[70:71], v[68:69]
	v_add_f64 v[82:83], v[80:81], v[62:63]
	v_add_f64 v[84:85], v[82:83], v[60:61]
	v_add_f64 v[72:73], v[76:77], -v[72:73]
	v_add_f64 v[76:77], v[84:85], -v[82:83]
	;; [unrolled: 1-line block ×5, first 2 shown]
	v_add_f64 v[60:61], v[60:61], v[76:77]
	v_add_f64 v[76:77], v[82:83], -v[80:81]
	v_add_f64 v[62:63], v[62:63], -v[76:77]
	;; [unrolled: 1-line block ×4, first 2 shown]
	v_add_f64 v[62:63], v[62:63], v[76:77]
	v_add_f64 v[72:73], v[74:75], -v[72:73]
	v_add_f64 v[60:61], v[62:63], v[60:61]
	v_fma_f64 v[62:63], v[70:71], v[68:69], -v[80:81]
	v_add_f64 v[74:75], v[72:73], v[84:85]
	v_add_f64 v[60:61], v[62:63], v[60:61]
	v_ldexp_f64 v[62:63], v[78:79], 2
	v_add_f64 v[68:69], v[74:75], v[62:63]
	v_cmp_gt_f64_e32 vcc, 0, v[68:69]
	v_cndmask_b32_e32 v19, 0, v64, vcc
	v_add_f64 v[62:63], v[62:63], v[18:19]
	v_add_f64 v[68:69], v[74:75], v[62:63]
	v_cvt_i32_f64_e32 v19, v[68:69]
	v_cvt_f64_i32_e32 v[68:69], v19
	v_add_f64 v[62:63], v[62:63], -v[68:69]
	v_add_f64 v[72:73], v[74:75], -v[72:73]
	v_add_f64 v[70:71], v[74:75], v[62:63]
	v_add_f64 v[72:73], v[84:85], -v[72:73]
	v_add_f64 v[62:63], v[70:71], -v[62:63]
	v_cmp_le_f64_e32 vcc, 0.5, v[70:71]
	v_add_f64 v[60:61], v[72:73], v[60:61]
	v_add_f64 v[62:63], v[74:75], -v[62:63]
	v_addc_co_u32_e64 v68, s[8:9], 0, v19, vcc
	v_cndmask_b32_e32 v19, 0, v65, vcc
	v_add_f64 v[60:61], v[60:61], v[62:63]
	v_add_f64 v[62:63], v[70:71], -v[18:19]
	v_add_f64 v[70:71], v[62:63], v[60:61]
	v_add_f64 v[62:63], v[70:71], -v[62:63]
	s_mov_b32 s30, s34
	v_add_f64 v[60:61], v[60:61], -v[62:63]
	v_mul_f64 v[62:63], v[70:71], s[30:31]
	v_fma_f64 v[72:73], v[70:71], s[30:31], -v[62:63]
	s_mov_b32 s39, s37
	v_fmac_f64_e32 v[72:73], s[38:39], v[70:71]
	v_fmac_f64_e32 v[72:73], s[30:31], v[60:61]
	v_add_f64 v[60:61], v[62:63], v[72:73]
	v_add_f64 v[62:63], v[60:61], -v[62:63]
	v_add_f64 v[62:63], v[72:73], -v[62:63]
	s_andn2_saveexec_b64 s[8:9], s[86:87]
	s_cbranch_execnz .LBB248_392
	s_branch .LBB248_393
.LBB248_391:                            ;   in Loop: Header=BB248_217 Depth=1
	s_andn2_saveexec_b64 s[8:9], s[86:87]
	s_cbranch_execz .LBB248_393
.LBB248_392:                            ;   in Loop: Header=BB248_217 Depth=1
	v_mul_f64 v[60:61], |v[4:5]|, s[40:41]
	v_rndne_f64_e32 v[68:69], v[60:61]
	v_fma_f64 v[60:61], v[68:69], s[34:35], |v[4:5]|
	v_mul_f64 v[70:71], v[68:69], s[42:43]
	v_add_f64 v[74:75], v[60:61], v[70:71]
	v_fma_f64 v[62:63], s[42:43], v[68:69], v[60:61]
	s_mov_b32 s36, s42
	v_add_f64 v[60:61], v[60:61], -v[74:75]
	v_fma_f64 v[72:73], s[36:37], v[68:69], v[70:71]
	v_add_f64 v[60:61], v[60:61], v[70:71]
	v_add_f64 v[70:71], v[74:75], -v[62:63]
	v_add_f64 v[60:61], v[70:71], v[60:61]
	v_add_f64 v[70:71], v[60:61], -v[72:73]
	v_fmac_f64_e32 v[70:71], s[44:45], v[68:69]
	v_add_f64 v[60:61], v[62:63], v[70:71]
	v_add_f64 v[62:63], v[60:61], -v[62:63]
	v_add_f64 v[62:63], v[70:71], -v[62:63]
	v_cvt_i32_f64_e32 v68, v[68:69]
.LBB248_393:                            ;   in Loop: Header=BB248_217 Depth=1
	s_or_b64 exec, exec, s[8:9]
	s_mov_b32 s46, s48
	v_mul_f64 v[70:71], v[2:3], s[46:47]
	v_rndne_f64_e32 v[70:71], v[70:71]
	v_fma_f64 v[72:73], v[70:71], s[50:51], -v[2:3]
	v_fmac_f64_e32 v[72:73], s[52:53], v[70:71]
	v_pk_mov_b32 v[74:75], v[36:37], v[36:37] op_sel:[0,1]
	v_fmac_f64_e32 v[74:75], s[54:55], v[72:73]
	v_pk_mov_b32 v[76:77], v[38:39], v[38:39] op_sel:[0,1]
	;; [unrolled: 2-line block ×9, first 2 shown]
	v_fmac_f64_e32 v[74:75], v[72:73], v[76:77]
	v_fma_f64 v[74:75], v[72:73], v[74:75], 1.0
	v_fma_f64 v[72:73], v[72:73], v[74:75], 1.0
	v_cvt_i32_f64_e32 v19, v[70:71]
	v_ldexp_f64 v[70:71], v[72:73], v19
	v_cmp_ngt_f64_e32 vcc, s[60:61], v[2:3]
	v_cmp_nlt_f64_e64 s[8:9], s[62:63], v[2:3]
	v_cndmask_b32_e32 v19, v66, v71, vcc
	s_and_b64 vcc, s[8:9], vcc
	v_cndmask_b32_e32 v2, 0, v70, vcc
	v_mul_f64 v[70:71], v[56:57], v[56:57]
	v_pk_mov_b32 v[78:79], s[64:65], s[64:65] op_sel:[0,1]
	v_mul_f64 v[72:73], v[70:71], 0.5
	v_fma_f64 v[80:81], s[66:67], v[70:71], v[78:79]
	v_add_f64 v[74:75], -v[72:73], 1.0
	v_fma_f64 v[80:81], v[70:71], v[80:81], s[68:69]
	v_add_f64 v[76:77], -v[74:75], 1.0
	v_fma_f64 v[80:81], v[70:71], v[80:81], s[70:71]
	v_add_f64 v[72:73], v[76:77], -v[72:73]
	v_fma_f64 v[80:81], v[70:71], v[80:81], s[72:73]
	v_mul_f64 v[76:77], v[70:71], v[70:71]
	v_fma_f64 v[80:81], v[70:71], v[80:81], s[58:59]
	v_fma_f64 v[72:73], v[56:57], -v[58:59], v[72:73]
	v_fmac_f64_e32 v[72:73], v[76:77], v[80:81]
	v_add_f64 v[72:73], v[74:75], v[72:73]
	v_pk_mov_b32 v[74:75], s[74:75], s[74:75] op_sel:[0,1]
	v_fma_f64 v[76:77], s[76:77], v[70:71], v[74:75]
	v_fma_f64 v[76:77], v[70:71], v[76:77], s[78:79]
	;; [unrolled: 1-line block ×4, first 2 shown]
	v_mul_f64 v[80:81], v[56:57], -v[70:71]
	v_mul_f64 v[82:83], v[58:59], 0.5
	v_fmac_f64_e32 v[82:83], v[80:81], v[76:77]
	v_fma_f64 v[58:59], v[70:71], v[82:83], -v[58:59]
	s_mov_b32 s82, s58
	v_fmac_f64_e32 v[58:59], s[82:83], v[80:81]
	v_add_f64 v[56:57], v[56:57], -v[58:59]
	v_cndmask_b32_e64 v3, 0, v19, s[8:9]
	v_xor_b32_e32 v19, 0x80000000, v57
	v_and_b32_e32 v57, 1, v54
	v_cmp_eq_u32_e32 vcc, 0, v57
	v_lshlrev_b32_e32 v54, 30, v54
	v_cndmask_b32_e32 v19, v19, v73, vcc
	v_and_b32_e32 v54, 0x80000000, v54
	v_cndmask_b32_e32 v56, v56, v72, vcc
	v_xor_b32_e32 v19, v19, v54
	v_cmp_class_f64_e64 vcc, v[4:5], s29
	v_cndmask_b32_e32 v4, 0, v56, vcc
	v_cndmask_b32_e32 v5, v67, v19, vcc
	v_mul_f64 v[56:57], v[2:3], v[4:5]
	v_mul_f64 v[4:5], v[60:61], v[60:61]
	v_mul_f64 v[58:59], v[4:5], 0.5
	v_fmac_f64_e32 v[78:79], s[66:67], v[4:5]
	v_add_f64 v[70:71], -v[58:59], 1.0
	v_fma_f64 v[76:77], v[4:5], v[78:79], s[68:69]
	v_add_f64 v[72:73], -v[70:71], 1.0
	v_fma_f64 v[76:77], v[4:5], v[76:77], s[70:71]
	v_add_f64 v[58:59], v[72:73], -v[58:59]
	v_fma_f64 v[76:77], v[4:5], v[76:77], s[72:73]
	v_mul_f64 v[72:73], v[4:5], v[4:5]
	v_fma_f64 v[76:77], v[4:5], v[76:77], s[58:59]
	v_fma_f64 v[58:59], v[60:61], -v[62:63], v[58:59]
	v_fmac_f64_e32 v[58:59], v[72:73], v[76:77]
	v_fmac_f64_e32 v[74:75], s[76:77], v[4:5]
	v_add_f64 v[58:59], v[70:71], v[58:59]
	v_fma_f64 v[70:71], v[4:5], v[74:75], s[78:79]
	v_fma_f64 v[70:71], v[4:5], v[70:71], s[80:81]
	;; [unrolled: 1-line block ×3, first 2 shown]
	v_mul_f64 v[72:73], v[60:61], -v[4:5]
	v_mul_f64 v[74:75], v[62:63], 0.5
	v_fmac_f64_e32 v[74:75], v[72:73], v[70:71]
	v_fma_f64 v[4:5], v[4:5], v[74:75], -v[62:63]
	v_and_b32_e32 v19, 1, v68
	v_fmac_f64_e32 v[4:5], s[82:83], v[72:73]
	v_cmp_eq_u32_e64 s[8:9], 0, v19
	v_lshlrev_b32_e32 v19, 30, v68
	v_add_f64 v[4:5], v[60:61], -v[4:5]
	v_xor_b32_e32 v19, v19, v55
	v_cndmask_b32_e64 v5, v59, v5, s[8:9]
	v_and_b32_e32 v19, 0x80000000, v19
	v_cndmask_b32_e64 v4, v58, v4, s[8:9]
	v_xor_b32_e32 v5, v5, v19
	v_cndmask_b32_e32 v4, 0, v4, vcc
	v_cndmask_b32_e32 v5, v67, v5, vcc
	v_mul_f64 v[54:55], v[2:3], v[4:5]
                                        ; implicit-def: $vgpr4_vgpr5
.LBB248_394:                            ;   in Loop: Header=BB248_217 Depth=1
	s_andn2_saveexec_b64 s[86:87], s[10:11]
	s_cbranch_execz .LBB248_404
; %bb.395:                              ;   in Loop: Header=BB248_217 Depth=1
	s_mov_b32 s8, 0
	s_mov_b32 s9, 0x41d00000
	v_cmp_nlt_f64_e64 s[10:11], |v[4:5]|, s[8:9]
                                        ; implicit-def: $vgpr54
                                        ; implicit-def: $vgpr56_vgpr57
                                        ; implicit-def: $vgpr58_vgpr59
	s_and_saveexec_b64 s[8:9], s[10:11]
	s_xor_b64 s[88:89], exec, s[8:9]
	s_cbranch_execz .LBB248_397
; %bb.396:                              ;   in Loop: Header=BB248_217 Depth=1
	s_movk_i32 s8, 0xff80
	v_ldexp_f64 v[60:61], |v[4:5]|, s8
	s_mov_b32 s8, 0
	s_mov_b32 s9, 0x7b000000
	v_and_b32_e32 v19, 0x7fffffff, v5
	v_cmp_ge_f64_e64 vcc, |v[4:5]|, s[8:9]
	v_trig_preop_f64 v[56:57], |v[4:5]|, 0
	v_cndmask_b32_e32 v61, v19, v61, vcc
	v_cndmask_b32_e32 v60, v4, v60, vcc
	v_trig_preop_f64 v[58:59], |v[4:5]|, 1
	v_mul_f64 v[68:69], v[56:57], v[60:61]
	v_mul_f64 v[62:63], v[58:59], v[60:61]
	v_fma_f64 v[56:57], v[56:57], v[60:61], -v[68:69]
	v_add_f64 v[70:71], v[62:63], v[56:57]
	v_add_f64 v[72:73], v[68:69], v[70:71]
	s_mov_b32 s8, 0
	v_ldexp_f64 v[74:75], v[72:73], -2
	s_mov_b32 s9, 0x7ff00000
	v_fract_f64_e32 v[76:77], v[74:75]
	v_cmp_neq_f64_e64 vcc, |v[74:75]|, s[8:9]
	v_cndmask_b32_e32 v75, 0, v77, vcc
	v_cndmask_b32_e32 v74, 0, v76, vcc
	v_add_f64 v[76:77], v[70:71], -v[62:63]
	v_add_f64 v[56:57], v[56:57], -v[76:77]
	;; [unrolled: 1-line block ×4, first 2 shown]
	v_fma_f64 v[58:59], v[58:59], v[60:61], -v[62:63]
	v_trig_preop_f64 v[62:63], |v[4:5]|, 2
	v_add_f64 v[56:57], v[56:57], v[76:77]
	v_mul_f64 v[76:77], v[62:63], v[60:61]
	v_add_f64 v[78:79], v[76:77], v[58:59]
	v_add_f64 v[80:81], v[78:79], v[56:57]
	v_add_f64 v[68:69], v[72:73], -v[68:69]
	v_add_f64 v[72:73], v[80:81], -v[78:79]
	;; [unrolled: 1-line block ×5, first 2 shown]
	v_add_f64 v[56:57], v[56:57], v[72:73]
	v_add_f64 v[72:73], v[78:79], -v[76:77]
	v_add_f64 v[58:59], v[58:59], -v[72:73]
	;; [unrolled: 1-line block ×4, first 2 shown]
	v_add_f64 v[58:59], v[58:59], v[72:73]
	v_add_f64 v[68:69], v[70:71], -v[68:69]
	v_add_f64 v[56:57], v[58:59], v[56:57]
	v_fma_f64 v[58:59], v[62:63], v[60:61], -v[76:77]
	v_add_f64 v[70:71], v[68:69], v[80:81]
	v_add_f64 v[56:57], v[58:59], v[56:57]
	v_ldexp_f64 v[58:59], v[74:75], 2
	v_add_f64 v[60:61], v[70:71], v[58:59]
	v_cmp_gt_f64_e32 vcc, 0, v[60:61]
	v_cndmask_b32_e32 v19, 0, v64, vcc
	v_add_f64 v[58:59], v[58:59], v[18:19]
	v_add_f64 v[60:61], v[70:71], v[58:59]
	v_cvt_i32_f64_e32 v19, v[60:61]
	v_cvt_f64_i32_e32 v[60:61], v19
	v_add_f64 v[58:59], v[58:59], -v[60:61]
	v_add_f64 v[68:69], v[70:71], -v[68:69]
	v_add_f64 v[60:61], v[70:71], v[58:59]
	v_add_f64 v[68:69], v[80:81], -v[68:69]
	v_add_f64 v[58:59], v[60:61], -v[58:59]
	v_cmp_le_f64_e32 vcc, 0.5, v[60:61]
	v_add_f64 v[56:57], v[68:69], v[56:57]
	v_add_f64 v[58:59], v[70:71], -v[58:59]
	v_addc_co_u32_e64 v54, s[8:9], 0, v19, vcc
	v_cndmask_b32_e32 v19, 0, v65, vcc
	v_add_f64 v[56:57], v[56:57], v[58:59]
	v_add_f64 v[58:59], v[60:61], -v[18:19]
	v_add_f64 v[60:61], v[58:59], v[56:57]
	v_add_f64 v[58:59], v[60:61], -v[58:59]
	s_mov_b32 s30, s34
	v_add_f64 v[56:57], v[56:57], -v[58:59]
	v_mul_f64 v[58:59], v[60:61], s[30:31]
	v_fma_f64 v[62:63], v[60:61], s[30:31], -v[58:59]
	s_mov_b32 s39, s37
	v_fmac_f64_e32 v[62:63], s[38:39], v[60:61]
	v_fmac_f64_e32 v[62:63], s[30:31], v[56:57]
	v_add_f64 v[56:57], v[58:59], v[62:63]
	v_add_f64 v[58:59], v[56:57], -v[58:59]
	v_add_f64 v[58:59], v[62:63], -v[58:59]
	s_andn2_saveexec_b64 s[8:9], s[88:89]
	s_cbranch_execz .LBB248_399
	s_branch .LBB248_398
.LBB248_397:                            ;   in Loop: Header=BB248_217 Depth=1
	s_andn2_saveexec_b64 s[8:9], s[88:89]
	s_cbranch_execz .LBB248_399
.LBB248_398:                            ;   in Loop: Header=BB248_217 Depth=1
	v_mul_f64 v[56:57], |v[4:5]|, s[40:41]
	v_rndne_f64_e32 v[60:61], v[56:57]
	v_fma_f64 v[56:57], v[60:61], s[34:35], |v[4:5]|
	v_mul_f64 v[62:63], v[60:61], s[42:43]
	v_add_f64 v[70:71], v[56:57], v[62:63]
	v_fma_f64 v[58:59], s[42:43], v[60:61], v[56:57]
	s_mov_b32 s36, s42
	v_add_f64 v[56:57], v[56:57], -v[70:71]
	v_fma_f64 v[68:69], s[36:37], v[60:61], v[62:63]
	v_add_f64 v[56:57], v[56:57], v[62:63]
	v_add_f64 v[62:63], v[70:71], -v[58:59]
	v_add_f64 v[56:57], v[62:63], v[56:57]
	v_add_f64 v[62:63], v[56:57], -v[68:69]
	v_fmac_f64_e32 v[62:63], s[44:45], v[60:61]
	v_add_f64 v[56:57], v[58:59], v[62:63]
	v_add_f64 v[58:59], v[56:57], -v[58:59]
	v_add_f64 v[58:59], v[62:63], -v[58:59]
	v_cvt_i32_f64_e32 v54, v[60:61]
.LBB248_399:                            ;   in Loop: Header=BB248_217 Depth=1
	s_or_b64 exec, exec, s[8:9]
                                        ; implicit-def: $vgpr68
                                        ; implicit-def: $vgpr60_vgpr61
                                        ; implicit-def: $vgpr62_vgpr63
	s_and_saveexec_b64 s[8:9], s[10:11]
	s_xor_b64 s[10:11], exec, s[8:9]
	s_cbranch_execz .LBB248_401
; %bb.400:                              ;   in Loop: Header=BB248_217 Depth=1
	s_movk_i32 s8, 0xff80
	v_ldexp_f64 v[68:69], |v[4:5]|, s8
	s_mov_b32 s8, 0
	s_mov_b32 s9, 0x7b000000
	v_and_b32_e32 v19, 0x7fffffff, v5
	v_cmp_ge_f64_e64 vcc, |v[4:5]|, s[8:9]
	v_trig_preop_f64 v[60:61], |v[4:5]|, 0
	v_cndmask_b32_e32 v69, v19, v69, vcc
	v_cndmask_b32_e32 v68, v4, v68, vcc
	v_trig_preop_f64 v[62:63], |v[4:5]|, 1
	v_mul_f64 v[72:73], v[60:61], v[68:69]
	v_mul_f64 v[70:71], v[62:63], v[68:69]
	v_fma_f64 v[60:61], v[60:61], v[68:69], -v[72:73]
	v_add_f64 v[74:75], v[70:71], v[60:61]
	v_add_f64 v[76:77], v[72:73], v[74:75]
	s_mov_b32 s8, 0
	v_ldexp_f64 v[78:79], v[76:77], -2
	s_mov_b32 s9, 0x7ff00000
	v_fract_f64_e32 v[80:81], v[78:79]
	v_cmp_neq_f64_e64 vcc, |v[78:79]|, s[8:9]
	v_cndmask_b32_e32 v79, 0, v81, vcc
	v_cndmask_b32_e32 v78, 0, v80, vcc
	v_add_f64 v[80:81], v[74:75], -v[70:71]
	v_add_f64 v[60:61], v[60:61], -v[80:81]
	;; [unrolled: 1-line block ×4, first 2 shown]
	v_fma_f64 v[62:63], v[62:63], v[68:69], -v[70:71]
	v_trig_preop_f64 v[70:71], |v[4:5]|, 2
	v_add_f64 v[60:61], v[60:61], v[80:81]
	v_mul_f64 v[80:81], v[70:71], v[68:69]
	v_add_f64 v[82:83], v[80:81], v[62:63]
	v_add_f64 v[84:85], v[82:83], v[60:61]
	v_add_f64 v[72:73], v[76:77], -v[72:73]
	v_add_f64 v[76:77], v[84:85], -v[82:83]
	;; [unrolled: 1-line block ×5, first 2 shown]
	v_add_f64 v[60:61], v[60:61], v[76:77]
	v_add_f64 v[76:77], v[82:83], -v[80:81]
	v_add_f64 v[62:63], v[62:63], -v[76:77]
	;; [unrolled: 1-line block ×4, first 2 shown]
	v_add_f64 v[62:63], v[62:63], v[76:77]
	v_add_f64 v[72:73], v[74:75], -v[72:73]
	v_add_f64 v[60:61], v[62:63], v[60:61]
	v_fma_f64 v[62:63], v[70:71], v[68:69], -v[80:81]
	v_add_f64 v[74:75], v[72:73], v[84:85]
	v_add_f64 v[60:61], v[62:63], v[60:61]
	v_ldexp_f64 v[62:63], v[78:79], 2
	v_add_f64 v[68:69], v[74:75], v[62:63]
	v_cmp_gt_f64_e32 vcc, 0, v[68:69]
	v_cndmask_b32_e32 v19, 0, v64, vcc
	v_add_f64 v[62:63], v[62:63], v[18:19]
	v_add_f64 v[68:69], v[74:75], v[62:63]
	v_cvt_i32_f64_e32 v19, v[68:69]
	v_cvt_f64_i32_e32 v[68:69], v19
	v_add_f64 v[62:63], v[62:63], -v[68:69]
	v_add_f64 v[72:73], v[74:75], -v[72:73]
	v_add_f64 v[70:71], v[74:75], v[62:63]
	v_add_f64 v[72:73], v[84:85], -v[72:73]
	v_add_f64 v[62:63], v[70:71], -v[62:63]
	v_cmp_le_f64_e32 vcc, 0.5, v[70:71]
	v_add_f64 v[60:61], v[72:73], v[60:61]
	v_add_f64 v[62:63], v[74:75], -v[62:63]
	v_addc_co_u32_e64 v68, s[8:9], 0, v19, vcc
	v_cndmask_b32_e32 v19, 0, v65, vcc
	v_add_f64 v[60:61], v[60:61], v[62:63]
	v_add_f64 v[62:63], v[70:71], -v[18:19]
	v_add_f64 v[70:71], v[62:63], v[60:61]
	v_add_f64 v[62:63], v[70:71], -v[62:63]
	s_mov_b32 s30, s34
	v_add_f64 v[60:61], v[60:61], -v[62:63]
	v_mul_f64 v[62:63], v[70:71], s[30:31]
	v_fma_f64 v[72:73], v[70:71], s[30:31], -v[62:63]
	s_mov_b32 s39, s37
	v_fmac_f64_e32 v[72:73], s[38:39], v[70:71]
	v_fmac_f64_e32 v[72:73], s[30:31], v[60:61]
	v_add_f64 v[60:61], v[62:63], v[72:73]
	v_add_f64 v[62:63], v[60:61], -v[62:63]
	v_add_f64 v[62:63], v[72:73], -v[62:63]
	s_andn2_saveexec_b64 s[8:9], s[10:11]
	s_cbranch_execnz .LBB248_402
	s_branch .LBB248_403
.LBB248_401:                            ;   in Loop: Header=BB248_217 Depth=1
	s_andn2_saveexec_b64 s[8:9], s[10:11]
	s_cbranch_execz .LBB248_403
.LBB248_402:                            ;   in Loop: Header=BB248_217 Depth=1
	v_mul_f64 v[60:61], |v[4:5]|, s[40:41]
	v_rndne_f64_e32 v[68:69], v[60:61]
	v_fma_f64 v[60:61], v[68:69], s[34:35], |v[4:5]|
	v_mul_f64 v[70:71], v[68:69], s[42:43]
	v_add_f64 v[74:75], v[60:61], v[70:71]
	v_fma_f64 v[62:63], s[42:43], v[68:69], v[60:61]
	s_mov_b32 s36, s42
	v_add_f64 v[60:61], v[60:61], -v[74:75]
	v_fma_f64 v[72:73], s[36:37], v[68:69], v[70:71]
	v_add_f64 v[60:61], v[60:61], v[70:71]
	v_add_f64 v[70:71], v[74:75], -v[62:63]
	v_add_f64 v[60:61], v[70:71], v[60:61]
	v_add_f64 v[70:71], v[60:61], -v[72:73]
	v_fmac_f64_e32 v[70:71], s[44:45], v[68:69]
	v_add_f64 v[60:61], v[62:63], v[70:71]
	v_add_f64 v[62:63], v[60:61], -v[62:63]
	v_add_f64 v[62:63], v[70:71], -v[62:63]
	v_cvt_i32_f64_e32 v68, v[68:69]
.LBB248_403:                            ;   in Loop: Header=BB248_217 Depth=1
	s_or_b64 exec, exec, s[8:9]
	v_mul_f64 v[70:71], v[56:57], v[56:57]
	v_pk_mov_b32 v[78:79], s[64:65], s[64:65] op_sel:[0,1]
	v_mul_f64 v[72:73], v[70:71], 0.5
	v_fma_f64 v[80:81], s[66:67], v[70:71], v[78:79]
	v_add_f64 v[74:75], -v[72:73], 1.0
	v_fma_f64 v[80:81], v[70:71], v[80:81], s[68:69]
	v_fma_f64 v[80:81], v[70:71], v[80:81], s[70:71]
	v_add_f64 v[82:83], -v[74:75], 1.0
	v_fma_f64 v[80:81], v[70:71], v[80:81], s[72:73]
	v_add_f64 v[72:73], v[82:83], -v[72:73]
	v_mul_f64 v[76:77], v[70:71], v[70:71]
	v_fma_f64 v[80:81], v[70:71], v[80:81], s[58:59]
	v_fma_f64 v[72:73], v[56:57], -v[58:59], v[72:73]
	v_fmac_f64_e32 v[72:73], v[76:77], v[80:81]
	v_pk_mov_b32 v[76:77], s[74:75], s[74:75] op_sel:[0,1]
	v_fma_f64 v[80:81], s[76:77], v[70:71], v[76:77]
	v_fma_f64 v[80:81], v[70:71], v[80:81], s[78:79]
	;; [unrolled: 1-line block ×3, first 2 shown]
	v_add_f64 v[72:73], v[74:75], v[72:73]
	v_mul_f64 v[74:75], v[56:57], -v[70:71]
	v_fma_f64 v[80:81], v[70:71], v[80:81], s[56:57]
	v_mul_f64 v[82:83], v[58:59], 0.5
	v_fmac_f64_e32 v[82:83], v[74:75], v[80:81]
	v_fma_f64 v[58:59], v[70:71], v[82:83], -v[58:59]
	s_mov_b32 s82, s58
	v_fmac_f64_e32 v[58:59], s[82:83], v[74:75]
	v_and_b32_e32 v19, 1, v54
	v_add_f64 v[56:57], v[56:57], -v[58:59]
	s_mov_b32 s8, 0x19ba0da4
	v_xor_b32_e32 v57, 0x80000000, v57
	v_cmp_eq_u32_e32 vcc, 0, v19
	v_lshlrev_b32_e32 v54, 30, v54
	s_mov_b32 s9, 0xc0937be3
	v_cndmask_b32_e32 v19, v56, v72, vcc
	v_cndmask_b32_e32 v56, v57, v73, vcc
	v_and_b32_e32 v54, 0x80000000, v54
	v_add_f64 v[2:3], -v[2:3], s[8:9]
	v_xor_b32_e32 v54, v56, v54
	v_mul_f64 v[56:57], v[2:3], s[48:49]
	v_rndne_f64_e32 v[56:57], v[56:57]
	v_fma_f64 v[58:59], s[50:51], v[56:57], v[2:3]
	v_fmac_f64_e32 v[58:59], s[52:53], v[56:57]
	v_pk_mov_b32 v[70:71], v[36:37], v[36:37] op_sel:[0,1]
	v_fmac_f64_e32 v[70:71], s[54:55], v[58:59]
	v_pk_mov_b32 v[72:73], v[38:39], v[38:39] op_sel:[0,1]
	;; [unrolled: 2-line block ×9, first 2 shown]
	v_fmac_f64_e32 v[70:71], v[58:59], v[72:73]
	v_cmp_class_f64_e64 vcc, v[4:5], s29
	v_fma_f64 v[70:71], v[58:59], v[70:71], 1.0
	s_mov_b32 s8, 0
	v_cndmask_b32_e32 v4, 0, v19, vcc
	v_fma_f64 v[58:59], v[58:59], v[70:71], 1.0
	v_cvt_i32_f64_e32 v19, v[56:57]
	s_mov_b32 s9, 0x40900000
	s_mov_b32 s10, 0
	v_ldexp_f64 v[56:57], v[58:59], v19
	v_cmp_nlt_f64_e64 s[8:9], s[8:9], v[2:3]
	s_mov_b32 s11, 0xc090cc00
	v_cndmask_b32_e64 v19, v66, v57, s[8:9]
	v_cmp_ngt_f64_e64 s[10:11], s[10:11], v[2:3]
	v_cndmask_b32_e64 v19, 0, v19, s[10:11]
	v_and_b32_e32 v3, 0xfffff, v19
	v_lshrrev_b32_e32 v19, 20, v19
	v_cndmask_b32_e32 v5, v67, v54, vcc
	v_add_u32_e32 v54, 0xffffff09, v19
	v_lshrrev_b16_e32 v19, 15, v54
	v_add_u16_e32 v19, v54, v19
	s_and_b64 s[8:9], s[10:11], s[8:9]
	v_ashrrev_i16_e32 v19, 1, v19
	v_cndmask_b32_e64 v2, 0, v56, s[8:9]
	v_or_b32_e32 v3, 0x7fe00000, v3
	v_bfe_i32 v56, v19, 0, 16
	v_mul_f64 v[4:5], v[2:3], v[4:5]
	v_lshl_add_u32 v19, v56, 20, v65
	v_sub_u32_e32 v54, v54, v56
	v_mul_f64 v[4:5], v[4:5], v[18:19]
	v_lshl_add_u32 v59, v54, 20, v65
	v_mov_b32_e32 v58, v18
	v_mul_f64 v[56:57], v[4:5], v[58:59]
	v_mul_f64 v[4:5], v[60:61], v[60:61]
	v_mul_f64 v[70:71], v[4:5], 0.5
	v_fmac_f64_e32 v[78:79], s[66:67], v[4:5]
	v_add_f64 v[72:73], -v[70:71], 1.0
	v_fma_f64 v[78:79], v[4:5], v[78:79], s[68:69]
	v_add_f64 v[74:75], -v[72:73], 1.0
	v_fma_f64 v[78:79], v[4:5], v[78:79], s[70:71]
	v_add_f64 v[70:71], v[74:75], -v[70:71]
	v_fma_f64 v[78:79], v[4:5], v[78:79], s[72:73]
	v_mul_f64 v[74:75], v[4:5], v[4:5]
	v_fma_f64 v[78:79], v[4:5], v[78:79], s[58:59]
	v_fma_f64 v[70:71], v[60:61], -v[62:63], v[70:71]
	v_fmac_f64_e32 v[70:71], v[74:75], v[78:79]
	v_fmac_f64_e32 v[76:77], s[76:77], v[4:5]
	v_add_f64 v[70:71], v[72:73], v[70:71]
	v_fma_f64 v[72:73], v[4:5], v[76:77], s[78:79]
	v_fma_f64 v[72:73], v[4:5], v[72:73], s[80:81]
	;; [unrolled: 1-line block ×3, first 2 shown]
	v_mul_f64 v[74:75], v[60:61], -v[4:5]
	v_mul_f64 v[76:77], v[62:63], 0.5
	v_fmac_f64_e32 v[76:77], v[74:75], v[72:73]
	v_fma_f64 v[4:5], v[4:5], v[76:77], -v[62:63]
	v_and_b32_e32 v54, 1, v68
	v_fmac_f64_e32 v[4:5], s[82:83], v[74:75]
	v_cmp_eq_u32_e64 s[8:9], 0, v54
	v_lshlrev_b32_e32 v54, 30, v68
	v_add_f64 v[4:5], v[60:61], -v[4:5]
	v_xor_b32_e32 v54, v54, v55
	v_cndmask_b32_e64 v5, v71, v5, s[8:9]
	v_and_b32_e32 v54, 0x80000000, v54
	v_cndmask_b32_e64 v4, v70, v4, s[8:9]
	v_xor_b32_e32 v5, v5, v54
	v_cndmask_b32_e32 v4, 0, v4, vcc
	v_cndmask_b32_e32 v5, v67, v5, vcc
	v_mul_f64 v[2:3], v[2:3], v[4:5]
	v_mul_f64 v[2:3], v[2:3], v[18:19]
	;; [unrolled: 1-line block ×3, first 2 shown]
.LBB248_404:                            ;   in Loop: Header=BB248_217 Depth=1
	s_or_b64 exec, exec, s[86:87]
                                        ; implicit-def: $vgpr58_vgpr59
                                        ; implicit-def: $vgpr4_vgpr5
                                        ; implicit-def: $vgpr19
.LBB248_405:                            ;   in Loop: Header=BB248_217 Depth=1
	s_andn2_saveexec_b64 s[10:11], s[84:85]
	s_cbranch_execz .LBB248_411
; %bb.406:                              ;   in Loop: Header=BB248_217 Depth=1
	s_mov_b32 s8, 0x7ff00000
	v_cmp_ne_u32_e32 vcc, 0, v58
	v_cmp_ne_u32_e64 s[8:9], s8, v19
	s_or_b64 s[8:9], vcc, s[8:9]
                                        ; implicit-def: $vgpr54_vgpr55
	s_and_saveexec_b64 s[84:85], s[8:9]
	s_xor_b64 s[8:9], exec, s[84:85]
; %bb.407:                              ;   in Loop: Header=BB248_217 Depth=1
	v_add_f64 v[54:55], v[4:5], -v[4:5]
                                        ; implicit-def: $vgpr58_vgpr59
                                        ; implicit-def: $vgpr4_vgpr5
; %bb.408:                              ;   in Loop: Header=BB248_217 Depth=1
	s_or_saveexec_b64 s[8:9], s[8:9]
	v_pk_mov_b32 v[56:57], v[54:55], v[54:55] op_sel:[0,1]
	s_xor_b64 exec, exec, s[8:9]
; %bb.409:                              ;   in Loop: Header=BB248_217 Depth=1
	v_add_f64 v[4:5], v[4:5], -v[4:5]
	v_cmp_lt_i64_e32 vcc, -1, v[58:59]
	v_cndmask_b32_e32 v57, 0, v59, vcc
	v_cndmask_b32_e32 v56, 0, v2, vcc
	v_cndmask_b32_e32 v55, 0, v5, vcc
	v_cndmask_b32_e32 v54, 0, v4, vcc
; %bb.410:                              ;   in Loop: Header=BB248_217 Depth=1
	s_or_b64 exec, exec, s[8:9]
.LBB248_411:                            ;   in Loop: Header=BB248_217 Depth=1
	s_or_b64 exec, exec, s[10:11]
                                        ; implicit-def: $vgpr4_vgpr5
.LBB248_412:                            ;   in Loop: Header=BB248_217 Depth=1
	s_andn2_saveexec_b64 s[10:11], s[94:95]
	s_cbranch_execz .LBB248_422
; %bb.413:                              ;   in Loop: Header=BB248_217 Depth=1
	s_mov_b32 s8, 0
	s_mov_b32 s9, 0x41d00000
	v_cmp_nlt_f64_e64 s[84:85], |v[4:5]|, s[8:9]
                                        ; implicit-def: $vgpr54
                                        ; implicit-def: $vgpr2_vgpr3
                                        ; implicit-def: $vgpr56_vgpr57
	s_and_saveexec_b64 s[8:9], s[84:85]
	s_xor_b64 s[86:87], exec, s[8:9]
	s_cbranch_execz .LBB248_415
; %bb.414:                              ;   in Loop: Header=BB248_217 Depth=1
	s_movk_i32 s8, 0xff80
	v_ldexp_f64 v[58:59], |v[4:5]|, s8
	s_mov_b32 s8, 0
	s_mov_b32 s9, 0x7b000000
	v_and_b32_e32 v19, 0x7fffffff, v5
	v_cmp_ge_f64_e64 vcc, |v[4:5]|, s[8:9]
	v_trig_preop_f64 v[2:3], |v[4:5]|, 0
	v_cndmask_b32_e32 v59, v19, v59, vcc
	v_cndmask_b32_e32 v58, v4, v58, vcc
	v_trig_preop_f64 v[56:57], |v[4:5]|, 1
	v_mul_f64 v[62:63], v[2:3], v[58:59]
	v_mul_f64 v[60:61], v[56:57], v[58:59]
	v_fma_f64 v[2:3], v[2:3], v[58:59], -v[62:63]
	v_add_f64 v[68:69], v[60:61], v[2:3]
	v_add_f64 v[70:71], v[62:63], v[68:69]
	s_mov_b32 s8, 0
	v_ldexp_f64 v[72:73], v[70:71], -2
	s_mov_b32 s9, 0x7ff00000
	v_fract_f64_e32 v[74:75], v[72:73]
	v_cmp_neq_f64_e64 vcc, |v[72:73]|, s[8:9]
	v_cndmask_b32_e32 v73, 0, v75, vcc
	v_cndmask_b32_e32 v72, 0, v74, vcc
	v_add_f64 v[74:75], v[68:69], -v[60:61]
	v_add_f64 v[2:3], v[2:3], -v[74:75]
	;; [unrolled: 1-line block ×4, first 2 shown]
	v_fma_f64 v[56:57], v[56:57], v[58:59], -v[60:61]
	v_trig_preop_f64 v[60:61], |v[4:5]|, 2
	v_add_f64 v[2:3], v[2:3], v[74:75]
	v_mul_f64 v[74:75], v[60:61], v[58:59]
	v_add_f64 v[76:77], v[74:75], v[56:57]
	v_add_f64 v[78:79], v[76:77], v[2:3]
	v_add_f64 v[62:63], v[70:71], -v[62:63]
	v_add_f64 v[70:71], v[78:79], -v[76:77]
	;; [unrolled: 1-line block ×5, first 2 shown]
	v_add_f64 v[2:3], v[2:3], v[70:71]
	v_add_f64 v[70:71], v[76:77], -v[74:75]
	v_add_f64 v[56:57], v[56:57], -v[70:71]
	;; [unrolled: 1-line block ×4, first 2 shown]
	v_add_f64 v[56:57], v[56:57], v[70:71]
	v_add_f64 v[62:63], v[68:69], -v[62:63]
	v_add_f64 v[2:3], v[56:57], v[2:3]
	v_fma_f64 v[56:57], v[60:61], v[58:59], -v[74:75]
	v_add_f64 v[68:69], v[62:63], v[78:79]
	v_add_f64 v[2:3], v[56:57], v[2:3]
	v_ldexp_f64 v[56:57], v[72:73], 2
	v_add_f64 v[58:59], v[68:69], v[56:57]
	v_cmp_gt_f64_e32 vcc, 0, v[58:59]
	v_cndmask_b32_e32 v19, 0, v64, vcc
	v_add_f64 v[56:57], v[56:57], v[18:19]
	v_add_f64 v[58:59], v[68:69], v[56:57]
	v_cvt_i32_f64_e32 v19, v[58:59]
	v_cvt_f64_i32_e32 v[58:59], v19
	v_add_f64 v[56:57], v[56:57], -v[58:59]
	v_add_f64 v[62:63], v[68:69], -v[62:63]
	v_add_f64 v[58:59], v[68:69], v[56:57]
	v_add_f64 v[62:63], v[78:79], -v[62:63]
	v_add_f64 v[56:57], v[58:59], -v[56:57]
	v_cmp_le_f64_e32 vcc, 0.5, v[58:59]
	v_add_f64 v[2:3], v[62:63], v[2:3]
	v_add_f64 v[56:57], v[68:69], -v[56:57]
	v_addc_co_u32_e64 v54, s[8:9], 0, v19, vcc
	v_cndmask_b32_e32 v19, 0, v65, vcc
	v_add_f64 v[2:3], v[2:3], v[56:57]
	v_add_f64 v[56:57], v[58:59], -v[18:19]
	v_add_f64 v[58:59], v[56:57], v[2:3]
	v_add_f64 v[56:57], v[58:59], -v[56:57]
	s_mov_b32 s30, s34
	v_add_f64 v[2:3], v[2:3], -v[56:57]
	v_mul_f64 v[56:57], v[58:59], s[30:31]
	v_fma_f64 v[60:61], v[58:59], s[30:31], -v[56:57]
	s_mov_b32 s39, s37
	v_fmac_f64_e32 v[60:61], s[38:39], v[58:59]
	v_fmac_f64_e32 v[60:61], s[30:31], v[2:3]
	v_add_f64 v[2:3], v[56:57], v[60:61]
	v_add_f64 v[56:57], v[2:3], -v[56:57]
	v_add_f64 v[56:57], v[60:61], -v[56:57]
	s_andn2_saveexec_b64 s[8:9], s[86:87]
	s_cbranch_execz .LBB248_417
	s_branch .LBB248_416
.LBB248_415:                            ;   in Loop: Header=BB248_217 Depth=1
	s_andn2_saveexec_b64 s[8:9], s[86:87]
	s_cbranch_execz .LBB248_417
.LBB248_416:                            ;   in Loop: Header=BB248_217 Depth=1
	v_mul_f64 v[2:3], |v[4:5]|, s[40:41]
	v_rndne_f64_e32 v[58:59], v[2:3]
	v_fma_f64 v[2:3], v[58:59], s[34:35], |v[4:5]|
	v_mul_f64 v[60:61], v[58:59], s[42:43]
	v_add_f64 v[68:69], v[2:3], v[60:61]
	v_fma_f64 v[56:57], s[42:43], v[58:59], v[2:3]
	s_mov_b32 s36, s42
	v_add_f64 v[2:3], v[2:3], -v[68:69]
	v_fma_f64 v[62:63], s[36:37], v[58:59], v[60:61]
	v_add_f64 v[2:3], v[2:3], v[60:61]
	v_add_f64 v[60:61], v[68:69], -v[56:57]
	v_add_f64 v[2:3], v[60:61], v[2:3]
	v_add_f64 v[60:61], v[2:3], -v[62:63]
	v_fmac_f64_e32 v[60:61], s[44:45], v[58:59]
	v_add_f64 v[2:3], v[56:57], v[60:61]
	v_add_f64 v[56:57], v[2:3], -v[56:57]
	v_add_f64 v[56:57], v[60:61], -v[56:57]
	v_cvt_i32_f64_e32 v54, v[58:59]
.LBB248_417:                            ;   in Loop: Header=BB248_217 Depth=1
	s_or_b64 exec, exec, s[8:9]
                                        ; implicit-def: $vgpr62
                                        ; implicit-def: $vgpr58_vgpr59
                                        ; implicit-def: $vgpr60_vgpr61
	s_and_saveexec_b64 s[8:9], s[84:85]
	s_xor_b64 s[84:85], exec, s[8:9]
	s_cbranch_execz .LBB248_419
; %bb.418:                              ;   in Loop: Header=BB248_217 Depth=1
	s_movk_i32 s8, 0xff80
	v_ldexp_f64 v[62:63], |v[4:5]|, s8
	s_mov_b32 s8, 0
	s_mov_b32 s9, 0x7b000000
	v_and_b32_e32 v19, 0x7fffffff, v5
	v_cmp_ge_f64_e64 vcc, |v[4:5]|, s[8:9]
	v_trig_preop_f64 v[58:59], |v[4:5]|, 0
	v_cndmask_b32_e32 v63, v19, v63, vcc
	v_cndmask_b32_e32 v62, v4, v62, vcc
	v_trig_preop_f64 v[60:61], |v[4:5]|, 1
	v_mul_f64 v[70:71], v[58:59], v[62:63]
	v_mul_f64 v[68:69], v[60:61], v[62:63]
	v_fma_f64 v[58:59], v[58:59], v[62:63], -v[70:71]
	v_add_f64 v[72:73], v[68:69], v[58:59]
	v_add_f64 v[74:75], v[70:71], v[72:73]
	s_mov_b32 s8, 0
	v_ldexp_f64 v[76:77], v[74:75], -2
	s_mov_b32 s9, 0x7ff00000
	v_fract_f64_e32 v[78:79], v[76:77]
	v_cmp_neq_f64_e64 vcc, |v[76:77]|, s[8:9]
	v_cndmask_b32_e32 v77, 0, v79, vcc
	v_cndmask_b32_e32 v76, 0, v78, vcc
	v_add_f64 v[78:79], v[72:73], -v[68:69]
	v_add_f64 v[58:59], v[58:59], -v[78:79]
	;; [unrolled: 1-line block ×4, first 2 shown]
	v_fma_f64 v[60:61], v[60:61], v[62:63], -v[68:69]
	v_trig_preop_f64 v[68:69], |v[4:5]|, 2
	v_add_f64 v[58:59], v[58:59], v[78:79]
	v_mul_f64 v[78:79], v[68:69], v[62:63]
	v_add_f64 v[80:81], v[78:79], v[60:61]
	v_add_f64 v[82:83], v[80:81], v[58:59]
	v_add_f64 v[70:71], v[74:75], -v[70:71]
	v_add_f64 v[74:75], v[82:83], -v[80:81]
	;; [unrolled: 1-line block ×5, first 2 shown]
	v_add_f64 v[58:59], v[58:59], v[74:75]
	v_add_f64 v[74:75], v[80:81], -v[78:79]
	v_add_f64 v[60:61], v[60:61], -v[74:75]
	;; [unrolled: 1-line block ×4, first 2 shown]
	v_add_f64 v[60:61], v[60:61], v[74:75]
	v_add_f64 v[70:71], v[72:73], -v[70:71]
	v_add_f64 v[58:59], v[60:61], v[58:59]
	v_fma_f64 v[60:61], v[68:69], v[62:63], -v[78:79]
	v_add_f64 v[72:73], v[70:71], v[82:83]
	v_add_f64 v[58:59], v[60:61], v[58:59]
	v_ldexp_f64 v[60:61], v[76:77], 2
	v_add_f64 v[62:63], v[72:73], v[60:61]
	v_cmp_gt_f64_e32 vcc, 0, v[62:63]
	v_cndmask_b32_e32 v19, 0, v64, vcc
	v_add_f64 v[60:61], v[60:61], v[18:19]
	v_add_f64 v[62:63], v[72:73], v[60:61]
	v_cvt_i32_f64_e32 v19, v[62:63]
	v_cvt_f64_i32_e32 v[62:63], v19
	v_add_f64 v[60:61], v[60:61], -v[62:63]
	v_add_f64 v[70:71], v[72:73], -v[70:71]
	v_add_f64 v[68:69], v[72:73], v[60:61]
	v_add_f64 v[70:71], v[82:83], -v[70:71]
	v_add_f64 v[60:61], v[68:69], -v[60:61]
	v_cmp_le_f64_e32 vcc, 0.5, v[68:69]
	v_add_f64 v[58:59], v[70:71], v[58:59]
	v_add_f64 v[60:61], v[72:73], -v[60:61]
	v_addc_co_u32_e64 v62, s[8:9], 0, v19, vcc
	v_cndmask_b32_e32 v19, 0, v65, vcc
	v_add_f64 v[58:59], v[58:59], v[60:61]
	v_add_f64 v[60:61], v[68:69], -v[18:19]
	v_add_f64 v[68:69], v[60:61], v[58:59]
	v_add_f64 v[60:61], v[68:69], -v[60:61]
	s_mov_b32 s30, s34
	v_add_f64 v[58:59], v[58:59], -v[60:61]
	v_mul_f64 v[60:61], v[68:69], s[30:31]
	v_fma_f64 v[70:71], v[68:69], s[30:31], -v[60:61]
	s_mov_b32 s39, s37
	v_fmac_f64_e32 v[70:71], s[38:39], v[68:69]
	v_fmac_f64_e32 v[70:71], s[30:31], v[58:59]
	v_add_f64 v[58:59], v[60:61], v[70:71]
	v_add_f64 v[60:61], v[58:59], -v[60:61]
	v_add_f64 v[60:61], v[70:71], -v[60:61]
	s_andn2_saveexec_b64 s[8:9], s[84:85]
	s_cbranch_execnz .LBB248_420
	s_branch .LBB248_421
.LBB248_419:                            ;   in Loop: Header=BB248_217 Depth=1
	s_andn2_saveexec_b64 s[8:9], s[84:85]
	s_cbranch_execz .LBB248_421
.LBB248_420:                            ;   in Loop: Header=BB248_217 Depth=1
	v_mul_f64 v[58:59], |v[4:5]|, s[40:41]
	v_rndne_f64_e32 v[62:63], v[58:59]
	v_fma_f64 v[58:59], v[62:63], s[34:35], |v[4:5]|
	v_mul_f64 v[68:69], v[62:63], s[42:43]
	v_add_f64 v[72:73], v[58:59], v[68:69]
	v_fma_f64 v[60:61], s[42:43], v[62:63], v[58:59]
	s_mov_b32 s36, s42
	v_add_f64 v[58:59], v[58:59], -v[72:73]
	v_fma_f64 v[70:71], s[36:37], v[62:63], v[68:69]
	v_add_f64 v[58:59], v[58:59], v[68:69]
	v_add_f64 v[68:69], v[72:73], -v[60:61]
	v_add_f64 v[58:59], v[68:69], v[58:59]
	v_add_f64 v[68:69], v[58:59], -v[70:71]
	v_fmac_f64_e32 v[68:69], s[44:45], v[62:63]
	v_add_f64 v[58:59], v[60:61], v[68:69]
	v_add_f64 v[60:61], v[58:59], -v[60:61]
	v_add_f64 v[60:61], v[68:69], -v[60:61]
	v_cvt_i32_f64_e32 v62, v[62:63]
.LBB248_421:                            ;   in Loop: Header=BB248_217 Depth=1
	s_or_b64 exec, exec, s[8:9]
	v_mul_f64 v[68:69], v[2:3], v[2:3]
	v_pk_mov_b32 v[76:77], s[64:65], s[64:65] op_sel:[0,1]
	v_mul_f64 v[70:71], v[68:69], 0.5
	v_fma_f64 v[78:79], s[66:67], v[68:69], v[76:77]
	v_add_f64 v[72:73], -v[70:71], 1.0
	v_fma_f64 v[78:79], v[68:69], v[78:79], s[68:69]
	v_add_f64 v[74:75], -v[72:73], 1.0
	v_fma_f64 v[78:79], v[68:69], v[78:79], s[70:71]
	v_add_f64 v[70:71], v[74:75], -v[70:71]
	v_fma_f64 v[78:79], v[68:69], v[78:79], s[72:73]
	v_mul_f64 v[74:75], v[68:69], v[68:69]
	v_fma_f64 v[78:79], v[68:69], v[78:79], s[58:59]
	v_fma_f64 v[70:71], v[2:3], -v[56:57], v[70:71]
	v_fmac_f64_e32 v[70:71], v[74:75], v[78:79]
	v_add_f64 v[70:71], v[72:73], v[70:71]
	v_pk_mov_b32 v[72:73], s[74:75], s[74:75] op_sel:[0,1]
	v_fma_f64 v[74:75], s[76:77], v[68:69], v[72:73]
	v_fma_f64 v[74:75], v[68:69], v[74:75], s[78:79]
	;; [unrolled: 1-line block ×4, first 2 shown]
	v_mul_f64 v[78:79], v[2:3], -v[68:69]
	v_mul_f64 v[80:81], v[56:57], 0.5
	v_fmac_f64_e32 v[80:81], v[78:79], v[74:75]
	v_fma_f64 v[56:57], v[68:69], v[80:81], -v[56:57]
	s_mov_b32 s82, s58
	v_fmac_f64_e32 v[56:57], s[82:83], v[78:79]
	v_add_f64 v[2:3], v[2:3], -v[56:57]
	v_and_b32_e32 v19, 1, v54
	v_xor_b32_e32 v3, 0x80000000, v3
	v_cmp_eq_u32_e32 vcc, 0, v19
	v_lshlrev_b32_e32 v19, 30, v54
	v_cndmask_b32_e32 v3, v3, v71, vcc
	v_and_b32_e32 v19, 0x80000000, v19
	v_cndmask_b32_e32 v2, v2, v70, vcc
	v_xor_b32_e32 v3, v3, v19
	v_cmp_class_f64_e64 vcc, v[4:5], s29
	v_cndmask_b32_e32 v56, 0, v2, vcc
	v_cndmask_b32_e32 v57, v67, v3, vcc
	v_mul_f64 v[2:3], v[58:59], v[58:59]
	v_mul_f64 v[4:5], v[2:3], 0.5
	v_fmac_f64_e32 v[76:77], s[66:67], v[2:3]
	v_add_f64 v[68:69], -v[4:5], 1.0
	v_fma_f64 v[74:75], v[2:3], v[76:77], s[68:69]
	v_add_f64 v[70:71], -v[68:69], 1.0
	v_fma_f64 v[74:75], v[2:3], v[74:75], s[70:71]
	v_add_f64 v[4:5], v[70:71], -v[4:5]
	v_fma_f64 v[74:75], v[2:3], v[74:75], s[72:73]
	v_mul_f64 v[70:71], v[2:3], v[2:3]
	v_fma_f64 v[74:75], v[2:3], v[74:75], s[58:59]
	v_fma_f64 v[4:5], v[58:59], -v[60:61], v[4:5]
	v_fmac_f64_e32 v[4:5], v[70:71], v[74:75]
	v_fmac_f64_e32 v[72:73], s[76:77], v[2:3]
	v_add_f64 v[4:5], v[68:69], v[4:5]
	v_fma_f64 v[68:69], v[2:3], v[72:73], s[78:79]
	v_fma_f64 v[68:69], v[2:3], v[68:69], s[80:81]
	v_fma_f64 v[68:69], v[2:3], v[68:69], s[56:57]
	v_mul_f64 v[70:71], v[58:59], -v[2:3]
	v_mul_f64 v[72:73], v[60:61], 0.5
	v_fmac_f64_e32 v[72:73], v[70:71], v[68:69]
	v_fma_f64 v[2:3], v[2:3], v[72:73], -v[60:61]
	v_fmac_f64_e32 v[2:3], s[82:83], v[70:71]
	v_and_b32_e32 v19, 1, v62
	v_add_f64 v[2:3], v[58:59], -v[2:3]
	v_cmp_eq_u32_e64 s[8:9], 0, v19
	v_cndmask_b32_e64 v2, v4, v2, s[8:9]
	v_lshlrev_b32_e32 v4, 30, v62
	v_xor_b32_e32 v4, v4, v55
	v_cndmask_b32_e64 v3, v5, v3, s[8:9]
	v_and_b32_e32 v4, 0x80000000, v4
	v_xor_b32_e32 v3, v3, v4
	v_cndmask_b32_e32 v54, 0, v2, vcc
	v_cndmask_b32_e32 v55, v67, v3, vcc
.LBB248_422:                            ;   in Loop: Header=BB248_217 Depth=1
	s_or_b64 exec, exec, s[10:11]
                                        ; implicit-def: $vgpr2_vgpr3
.LBB248_423:                            ;   in Loop: Header=BB248_217 Depth=1
	s_andn2_saveexec_b64 s[10:11], s[92:93]
	s_cbranch_execz .LBB248_425
; %bb.424:                              ;   in Loop: Header=BB248_217 Depth=1
	s_mov_b32 s46, s48
	v_mul_f64 v[4:5], v[2:3], s[46:47]
	v_rndne_f64_e32 v[4:5], v[4:5]
	v_fma_f64 v[56:57], v[4:5], s[50:51], -v[2:3]
	v_fmac_f64_e32 v[56:57], s[52:53], v[4:5]
	v_pk_mov_b32 v[58:59], v[36:37], v[36:37] op_sel:[0,1]
	v_fmac_f64_e32 v[58:59], s[54:55], v[56:57]
	v_pk_mov_b32 v[60:61], v[38:39], v[38:39] op_sel:[0,1]
	;; [unrolled: 2-line block ×9, first 2 shown]
	v_fmac_f64_e32 v[58:59], v[56:57], v[60:61]
	v_fma_f64 v[58:59], v[56:57], v[58:59], 1.0
	v_fma_f64 v[56:57], v[56:57], v[58:59], 1.0
	v_cvt_i32_f64_e32 v4, v[4:5]
	v_ldexp_f64 v[4:5], v[56:57], v4
	v_cmp_ngt_f64_e32 vcc, s[60:61], v[2:3]
	v_cmp_nlt_f64_e64 s[8:9], s[62:63], v[2:3]
	v_cndmask_b32_e32 v5, v66, v5, vcc
	s_and_b64 vcc, s[8:9], vcc
	v_cndmask_b32_e64 v57, 0, v5, s[8:9]
	v_cndmask_b32_e32 v56, 0, v4, vcc
.LBB248_425:                            ;   in Loop: Header=BB248_217 Depth=1
	s_or_b64 exec, exec, s[10:11]
	v_add_f64 v[56:57], s[12:13], v[56:57]
	v_add_f64 v[54:55], s[14:15], v[54:55]
	v_xor_b32_e32 v2, 0x80000000, v57
	v_cmp_gt_f64_e32 vcc, 0, v[56:57]
	v_cndmask_b32_e32 v61, v57, v2, vcc
	v_cndmask_b32_e32 v60, v56, v56, vcc
	v_xor_b32_e32 v2, 0x80000000, v55
	v_cmp_gt_f64_e32 vcc, 0, v[54:55]
	v_cndmask_b32_e32 v59, v55, v2, vcc
	v_cndmask_b32_e32 v58, v54, v54, vcc
	v_cmp_ge_f64_e32 vcc, v[60:61], v[58:59]
                                        ; implicit-def: $vgpr4_vgpr5
	s_and_saveexec_b64 s[8:9], vcc
	s_xor_b64 s[10:11], exec, s[8:9]
	s_cbranch_execz .LBB248_435
; %bb.426:                              ;   in Loop: Header=BB248_217 Depth=1
	v_cmp_neq_f64_e32 vcc, 0, v[56:57]
	v_cmp_neq_f64_e64 s[8:9], 0, v[54:55]
	s_or_b64 s[8:9], vcc, s[8:9]
                                        ; implicit-def: $vgpr4_vgpr5
	s_and_saveexec_b64 s[84:85], s[8:9]
	s_xor_b64 s[8:9], exec, s[84:85]
	s_cbranch_execz .LBB248_428
; %bb.427:                              ;   in Loop: Header=BB248_217 Depth=1
	v_div_scale_f64 v[2:3], s[84:85], v[56:57], v[56:57], v[54:55]
	v_rcp_f64_e32 v[4:5], v[2:3]
	v_div_scale_f64 v[58:59], vcc, v[54:55], v[56:57], v[54:55]
	v_fma_f64 v[60:61], -v[2:3], v[4:5], 1.0
	v_fmac_f64_e32 v[4:5], v[4:5], v[60:61]
	v_fma_f64 v[60:61], -v[2:3], v[4:5], 1.0
	v_fmac_f64_e32 v[4:5], v[4:5], v[60:61]
	v_mul_f64 v[60:61], v[58:59], v[4:5]
	v_fma_f64 v[2:3], -v[2:3], v[60:61], v[58:59]
	v_div_fmas_f64 v[2:3], v[2:3], v[4:5], v[60:61]
	v_div_fixup_f64 v[4:5], v[2:3], v[56:57], v[54:55]
	v_fmac_f64_e32 v[56:57], v[54:55], v[4:5]
	v_div_scale_f64 v[2:3], s[84:85], v[56:57], v[56:57], 1.0
	v_rcp_f64_e32 v[54:55], v[2:3]
	v_fma_f64 v[58:59], -v[2:3], v[54:55], 1.0
	v_fmac_f64_e32 v[54:55], v[54:55], v[58:59]
	v_fma_f64 v[58:59], -v[2:3], v[54:55], 1.0
	v_fmac_f64_e32 v[54:55], v[54:55], v[58:59]
	v_div_scale_f64 v[58:59], vcc, 1.0, v[56:57], 1.0
	v_mul_f64 v[60:61], v[58:59], v[54:55]
	v_fma_f64 v[2:3], -v[2:3], v[60:61], v[58:59]
                                        ; implicit-def: $vgpr58_vgpr59
	s_nop 1
	v_div_fmas_f64 v[2:3], v[2:3], v[54:55], v[60:61]
	v_div_fixup_f64 v[54:55], v[2:3], v[56:57], 1.0
	v_pk_mov_b32 v[2:3], s[12:13], s[12:13] op_sel:[0,1]
	v_pk_mov_b32 v[56:57], s[14:15], s[14:15] op_sel:[0,1]
	v_fma_f64 v[2:3], s[14:15], v[4:5], v[2:3]
	v_fma_f64 v[4:5], -s[12:13], v[4:5], v[56:57]
	v_mul_f64 v[2:3], v[2:3], v[54:55]
	v_mul_f64 v[4:5], v[4:5], v[54:55]
                                        ; implicit-def: $vgpr60_vgpr61
.LBB248_428:                            ;   in Loop: Header=BB248_217 Depth=1
	s_andn2_saveexec_b64 s[8:9], s[8:9]
	s_cbranch_execz .LBB248_430
; %bb.429:                              ;   in Loop: Header=BB248_217 Depth=1
	v_div_scale_f64 v[2:3], s[84:85], v[60:61], v[60:61], s[12:13]
	v_rcp_f64_e32 v[4:5], v[2:3]
	v_div_scale_f64 v[54:55], vcc, s[12:13], v[60:61], s[12:13]
	v_fma_f64 v[56:57], -v[2:3], v[4:5], 1.0
	v_fmac_f64_e32 v[4:5], v[4:5], v[56:57]
	v_fma_f64 v[56:57], -v[2:3], v[4:5], 1.0
	v_fmac_f64_e32 v[4:5], v[4:5], v[56:57]
	v_mul_f64 v[56:57], v[54:55], v[4:5]
	v_fma_f64 v[2:3], -v[2:3], v[56:57], v[54:55]
	v_div_scale_f64 v[54:55], s[84:85], v[58:59], v[58:59], s[14:15]
	v_rcp_f64_e32 v[62:63], v[54:55]
	v_div_fmas_f64 v[2:3], v[2:3], v[4:5], v[56:57]
	v_div_fixup_f64 v[2:3], v[2:3], v[60:61], s[12:13]
	v_fma_f64 v[4:5], -v[54:55], v[62:63], 1.0
	v_fmac_f64_e32 v[62:63], v[62:63], v[4:5]
	v_fma_f64 v[4:5], -v[54:55], v[62:63], 1.0
	v_fmac_f64_e32 v[62:63], v[62:63], v[4:5]
	v_div_scale_f64 v[4:5], vcc, s[14:15], v[58:59], s[14:15]
	v_mul_f64 v[56:57], v[4:5], v[62:63]
	v_fma_f64 v[4:5], -v[54:55], v[56:57], v[4:5]
	s_nop 1
	v_div_fmas_f64 v[4:5], v[4:5], v[62:63], v[56:57]
	v_div_fixup_f64 v[4:5], v[4:5], v[58:59], s[14:15]
.LBB248_430:                            ;   in Loop: Header=BB248_217 Depth=1
	s_or_b64 exec, exec, s[8:9]
                                        ; implicit-def: $vgpr54_vgpr55
                                        ; implicit-def: $vgpr56_vgpr57
	s_andn2_saveexec_b64 s[8:9], s[10:11]
	s_cbranch_execnz .LBB248_436
.LBB248_431:                            ;   in Loop: Header=BB248_217 Depth=1
	s_or_b64 exec, exec, s[8:9]
	s_and_saveexec_b64 s[8:9], s[0:1]
	s_xor_b64 s[0:1], exec, s[8:9]
	s_cbranch_execz .LBB248_437
.LBB248_432:                            ;   in Loop: Header=BB248_217 Depth=1
	v_mov_b32_e32 v19, s17
	v_add_co_u32_e32 v54, vcc, s16, v22
	v_addc_co_u32_e32 v55, vcc, v23, v19, vcc
	global_store_dwordx4 v[54:55], v[6:9], off offset:-8
	s_or_b64 exec, exec, s[0:1]
	s_and_saveexec_b64 s[0:1], s[2:3]
	s_cbranch_execnz .LBB248_438
.LBB248_433:                            ;   in Loop: Header=BB248_217 Depth=1
	s_or_b64 exec, exec, s[0:1]
	s_and_saveexec_b64 s[0:1], s[4:5]
	s_cbranch_execz .LBB248_439
.LBB248_434:                            ;   in Loop: Header=BB248_217 Depth=1
	v_mov_b32_e32 v7, s17
	v_add_co_u32_e32 v6, vcc, s16, v34
	v_addc_co_u32_e32 v7, vcc, v35, v7, vcc
	global_store_dwordx4 v[6:7], v[10:13], off offset:-8
	s_or_b64 exec, exec, s[0:1]
	s_and_saveexec_b64 s[0:1], s[6:7]
	s_cbranch_execz .LBB248_216
	s_branch .LBB248_440
.LBB248_435:                            ;   in Loop: Header=BB248_217 Depth=1
	s_andn2_saveexec_b64 s[8:9], s[10:11]
	s_cbranch_execz .LBB248_431
.LBB248_436:                            ;   in Loop: Header=BB248_217 Depth=1
	v_div_scale_f64 v[2:3], s[10:11], v[54:55], v[54:55], v[56:57]
	v_rcp_f64_e32 v[4:5], v[2:3]
	v_div_scale_f64 v[58:59], vcc, v[56:57], v[54:55], v[56:57]
	v_fma_f64 v[60:61], -v[2:3], v[4:5], 1.0
	v_fmac_f64_e32 v[4:5], v[4:5], v[60:61]
	v_fma_f64 v[60:61], -v[2:3], v[4:5], 1.0
	v_fmac_f64_e32 v[4:5], v[4:5], v[60:61]
	v_mul_f64 v[60:61], v[58:59], v[4:5]
	v_fma_f64 v[2:3], -v[2:3], v[60:61], v[58:59]
	v_div_fmas_f64 v[2:3], v[2:3], v[4:5], v[60:61]
	v_div_fixup_f64 v[4:5], v[2:3], v[54:55], v[56:57]
	v_fmac_f64_e32 v[54:55], v[56:57], v[4:5]
	v_div_scale_f64 v[2:3], s[10:11], v[54:55], v[54:55], 1.0
	v_rcp_f64_e32 v[56:57], v[2:3]
	v_fma_f64 v[58:59], -v[2:3], v[56:57], 1.0
	v_fmac_f64_e32 v[56:57], v[56:57], v[58:59]
	v_fma_f64 v[58:59], -v[2:3], v[56:57], 1.0
	v_fmac_f64_e32 v[56:57], v[56:57], v[58:59]
	v_div_scale_f64 v[58:59], vcc, 1.0, v[54:55], 1.0
	v_mul_f64 v[60:61], v[58:59], v[56:57]
	v_fma_f64 v[2:3], -v[2:3], v[60:61], v[58:59]
	s_nop 1
	v_div_fmas_f64 v[2:3], v[2:3], v[56:57], v[60:61]
	v_div_fixup_f64 v[54:55], v[2:3], v[54:55], 1.0
	v_pk_mov_b32 v[2:3], s[14:15], s[14:15] op_sel:[0,1]
	v_pk_mov_b32 v[56:57], s[12:13], s[12:13] op_sel:[0,1]
	v_fma_f64 v[2:3], s[12:13], v[4:5], v[2:3]
	v_fma_f64 v[4:5], s[14:15], v[4:5], -v[56:57]
	v_mul_f64 v[2:3], v[2:3], v[54:55]
	v_mul_f64 v[4:5], v[4:5], v[54:55]
	s_or_b64 exec, exec, s[8:9]
	s_and_saveexec_b64 s[8:9], s[0:1]
	s_xor_b64 s[0:1], exec, s[8:9]
	s_cbranch_execnz .LBB248_432
.LBB248_437:                            ;   in Loop: Header=BB248_217 Depth=1
	s_or_b64 exec, exec, s[0:1]
	s_and_saveexec_b64 s[0:1], s[2:3]
	s_cbranch_execz .LBB248_433
.LBB248_438:                            ;   in Loop: Header=BB248_217 Depth=1
	v_mov_b32_e32 v7, s17
	v_add_co_u32_e32 v6, vcc, s16, v24
	v_addc_co_u32_e32 v7, vcc, v25, v7, vcc
	global_store_dwordx4 v[6:7], v[14:17], off
	s_or_b64 exec, exec, s[0:1]
	s_and_saveexec_b64 s[0:1], s[4:5]
	s_cbranch_execnz .LBB248_434
.LBB248_439:                            ;   in Loop: Header=BB248_217 Depth=1
	s_or_b64 exec, exec, s[0:1]
	s_and_saveexec_b64 s[0:1], s[6:7]
	s_cbranch_execz .LBB248_216
.LBB248_440:                            ;   in Loop: Header=BB248_217 Depth=1
	v_mov_b32_e32 v7, s17
	v_add_co_u32_e32 v6, vcc, s16, v30
	v_addc_co_u32_e32 v7, vcc, v31, v7, vcc
	global_store_dwordx4 v[6:7], v[2:5], off offset:-8
	s_branch .LBB248_216
.LBB248_441:
	s_endpgm
	.section	.rodata,"a",@progbits
	.p2align	6, 0x0
	.amdhsa_kernel _ZN2at6native12_GLOBAL__N_125multi_tensor_apply_kernelINS1_18TensorListMetadataILi2EEENS1_14UnaryOpFunctorIN3c107complexIdEELi2ELi1ELi1EEEJNS0_7SigmoidIS8_EEEEEvT_T0_DpT1_
		.amdhsa_group_segment_fixed_size 0
		.amdhsa_private_segment_fixed_size 0
		.amdhsa_kernarg_size 3424
		.amdhsa_user_sgpr_count 6
		.amdhsa_user_sgpr_private_segment_buffer 1
		.amdhsa_user_sgpr_dispatch_ptr 0
		.amdhsa_user_sgpr_queue_ptr 0
		.amdhsa_user_sgpr_kernarg_segment_ptr 1
		.amdhsa_user_sgpr_dispatch_id 0
		.amdhsa_user_sgpr_flat_scratch_init 0
		.amdhsa_user_sgpr_kernarg_preload_length 0
		.amdhsa_user_sgpr_kernarg_preload_offset 0
		.amdhsa_user_sgpr_private_segment_size 0
		.amdhsa_uses_dynamic_stack 0
		.amdhsa_system_sgpr_private_segment_wavefront_offset 0
		.amdhsa_system_sgpr_workgroup_id_x 1
		.amdhsa_system_sgpr_workgroup_id_y 0
		.amdhsa_system_sgpr_workgroup_id_z 0
		.amdhsa_system_sgpr_workgroup_info 0
		.amdhsa_system_vgpr_workitem_id 0
		.amdhsa_next_free_vgpr 87
		.amdhsa_next_free_sgpr 96
		.amdhsa_accum_offset 88
		.amdhsa_reserve_vcc 1
		.amdhsa_reserve_flat_scratch 0
		.amdhsa_float_round_mode_32 0
		.amdhsa_float_round_mode_16_64 0
		.amdhsa_float_denorm_mode_32 3
		.amdhsa_float_denorm_mode_16_64 3
		.amdhsa_dx10_clamp 1
		.amdhsa_ieee_mode 1
		.amdhsa_fp16_overflow 0
		.amdhsa_tg_split 0
		.amdhsa_exception_fp_ieee_invalid_op 0
		.amdhsa_exception_fp_denorm_src 0
		.amdhsa_exception_fp_ieee_div_zero 0
		.amdhsa_exception_fp_ieee_overflow 0
		.amdhsa_exception_fp_ieee_underflow 0
		.amdhsa_exception_fp_ieee_inexact 0
		.amdhsa_exception_int_div_zero 0
	.end_amdhsa_kernel
	.section	.text._ZN2at6native12_GLOBAL__N_125multi_tensor_apply_kernelINS1_18TensorListMetadataILi2EEENS1_14UnaryOpFunctorIN3c107complexIdEELi2ELi1ELi1EEEJNS0_7SigmoidIS8_EEEEEvT_T0_DpT1_,"axG",@progbits,_ZN2at6native12_GLOBAL__N_125multi_tensor_apply_kernelINS1_18TensorListMetadataILi2EEENS1_14UnaryOpFunctorIN3c107complexIdEELi2ELi1ELi1EEEJNS0_7SigmoidIS8_EEEEEvT_T0_DpT1_,comdat
.Lfunc_end248:
	.size	_ZN2at6native12_GLOBAL__N_125multi_tensor_apply_kernelINS1_18TensorListMetadataILi2EEENS1_14UnaryOpFunctorIN3c107complexIdEELi2ELi1ELi1EEEJNS0_7SigmoidIS8_EEEEEvT_T0_DpT1_, .Lfunc_end248-_ZN2at6native12_GLOBAL__N_125multi_tensor_apply_kernelINS1_18TensorListMetadataILi2EEENS1_14UnaryOpFunctorIN3c107complexIdEELi2ELi1ELi1EEEJNS0_7SigmoidIS8_EEEEEvT_T0_DpT1_
                                        ; -- End function
	.section	.AMDGPU.csdata,"",@progbits
; Kernel info:
; codeLenInByte = 62672
; NumSgprs: 100
; NumVgprs: 87
; NumAgprs: 0
; TotalNumVgprs: 87
; ScratchSize: 0
; MemoryBound: 1
; FloatMode: 240
; IeeeMode: 1
; LDSByteSize: 0 bytes/workgroup (compile time only)
; SGPRBlocks: 12
; VGPRBlocks: 10
; NumSGPRsForWavesPerEU: 100
; NumVGPRsForWavesPerEU: 87
; AccumOffset: 88
; Occupancy: 5
; WaveLimiterHint : 0
; COMPUTE_PGM_RSRC2:SCRATCH_EN: 0
; COMPUTE_PGM_RSRC2:USER_SGPR: 6
; COMPUTE_PGM_RSRC2:TRAP_HANDLER: 0
; COMPUTE_PGM_RSRC2:TGID_X_EN: 1
; COMPUTE_PGM_RSRC2:TGID_Y_EN: 0
; COMPUTE_PGM_RSRC2:TGID_Z_EN: 0
; COMPUTE_PGM_RSRC2:TIDIG_COMP_CNT: 0
; COMPUTE_PGM_RSRC3_GFX90A:ACCUM_OFFSET: 21
; COMPUTE_PGM_RSRC3_GFX90A:TG_SPLIT: 0
	.section	.text._ZN2at6native12_GLOBAL__N_125multi_tensor_apply_kernelINS1_18TensorListMetadataILi2EEENS1_14UnaryOpFunctorIN3c107complexIfEELi2ELi1ELi1EEEJNS0_7SigmoidIS8_EEEEEvT_T0_DpT1_,"axG",@progbits,_ZN2at6native12_GLOBAL__N_125multi_tensor_apply_kernelINS1_18TensorListMetadataILi2EEENS1_14UnaryOpFunctorIN3c107complexIfEELi2ELi1ELi1EEEJNS0_7SigmoidIS8_EEEEEvT_T0_DpT1_,comdat
	.globl	_ZN2at6native12_GLOBAL__N_125multi_tensor_apply_kernelINS1_18TensorListMetadataILi2EEENS1_14UnaryOpFunctorIN3c107complexIfEELi2ELi1ELi1EEEJNS0_7SigmoidIS8_EEEEEvT_T0_DpT1_ ; -- Begin function _ZN2at6native12_GLOBAL__N_125multi_tensor_apply_kernelINS1_18TensorListMetadataILi2EEENS1_14UnaryOpFunctorIN3c107complexIfEELi2ELi1ELi1EEEJNS0_7SigmoidIS8_EEEEEvT_T0_DpT1_
	.p2align	8
	.type	_ZN2at6native12_GLOBAL__N_125multi_tensor_apply_kernelINS1_18TensorListMetadataILi2EEENS1_14UnaryOpFunctorIN3c107complexIfEELi2ELi1ELi1EEEJNS0_7SigmoidIS8_EEEEEvT_T0_DpT1_,@function
_ZN2at6native12_GLOBAL__N_125multi_tensor_apply_kernelINS1_18TensorListMetadataILi2EEENS1_14UnaryOpFunctorIN3c107complexIfEELi2ELi1ELi1EEEJNS0_7SigmoidIS8_EEEEEvT_T0_DpT1_: ; @_ZN2at6native12_GLOBAL__N_125multi_tensor_apply_kernelINS1_18TensorListMetadataILi2EEENS1_14UnaryOpFunctorIN3c107complexIfEELi2ELi1ELi1EEEJNS0_7SigmoidIS8_EEEEEvT_T0_DpT1_
; %bb.0:
	v_mov_b32_e32 v1, s6
	global_load_ubyte v1, v1, s[4:5] offset:1536
	s_add_u32 s0, s4, s6
	s_mul_hi_u32 s3, s6, 3
	s_mul_i32 s6, s6, 3
	s_addc_u32 s7, s5, 0
	s_add_u32 s2, s0, s6
	s_addc_u32 s3, s7, s3
	s_load_dword s2, s[2:3], 0x740
	s_mov_b32 s13, 0
	s_mov_b32 s1, s13
	;; [unrolled: 1-line block ×3, first 2 shown]
	s_waitcnt lgkmcnt(0)
	s_ashr_i32 s3, s2, 31
	s_lshl_b64 s[16:17], s[2:3], 19
	s_waitcnt vmcnt(0)
	v_readfirstlane_b32 s0, v1
	s_lshl_b32 s0, s0, 3
	s_load_dwordx2 s[10:11], s[4:5], s0 offset:0x0
	s_load_dwordx2 s[14:15], s[4:5], 0xc50
	s_load_dwordx2 s[6:7], s[4:5], s0 offset:0x400
	s_load_dwordx2 s[8:9], s[4:5], s0 offset:0x200
	s_waitcnt lgkmcnt(0)
	s_add_u32 s33, s10, s16
	s_addc_u32 s42, s11, s17
	s_add_u32 s43, s8, s16
	s_addc_u32 s44, s9, s17
	s_and_b32 s0, s33, 31
	s_and_b32 s18, s6, 3
	;; [unrolled: 1-line block ×3, first 2 shown]
	s_or_b64 s[0:1], s[0:1], s[18:19]
	s_lshl_b64 s[2:3], s[2:3], 16
	s_or_b64 s[0:1], s[12:13], s[0:1]
	s_sub_u32 s18, s6, s2
	s_subb_u32 s19, s7, s3
	s_cmp_eq_u64 s[0:1], 0
	s_mov_b64 s[0:1], -1
	s_cbranch_scc0 .LBB249_213
; %bb.1:
	v_mov_b32_e32 v15, 0
	v_lshlrev_b32_e32 v14, 2, v0
	v_cmp_gt_i64_e32 vcc, s[18:19], v[14:15]
	s_and_saveexec_b64 s[20:21], vcc
	s_cbranch_execz .LBB249_212
; %bb.2:
	s_load_dword s0, s[4:5], 0xc64
	s_mov_b32 s22, s15
	s_mov_b32 s23, s14
	v_lshlrev_b32_e32 v16, 5, v0
	s_mov_b64 s[24:25], 0
	s_waitcnt lgkmcnt(0)
	s_and_b32 s0, s0, 0xffff
	v_add_lshl_u32 v14, v0, s0, 2
	s_lshl_b32 s12, s0, 2
	s_lshl_b32 s45, s0, 5
	s_brev_b32 s46, 1
	s_mov_b32 s47, 0x7f800000
	s_mov_b32 s48, 0x8e8e5c
	s_brev_b32 s49, 18
	s_mov_b32 s50, 0xfe5163ab
	s_mov_b32 s51, 0x3c439041
	;; [unrolled: 1-line block ×13, first 2 shown]
	v_mov_b32_e32 v1, 0xbe2aaa9d
	v_mov_b32_e32 v17, 0x3d2aabf7
	;; [unrolled: 1-line block ×3, first 2 shown]
	s_movk_i32 s63, 0x1f8
	s_mov_b32 s64, 0x3fb8aa3b
	s_mov_b32 s65, 0xc2ce8ed0
	;; [unrolled: 1-line block ×3, first 2 shown]
	s_mov_b64 s[26:27], 0xffff
	v_not_b32_e32 v21, 63
	v_not_b32_e32 v22, 31
	v_mov_b32_e32 v23, 0x7f800000
	v_mov_b32_e32 v24, 0x7fc00000
	v_pk_mov_b32 v[18:19], v[14:15], v[14:15] op_sel:[0,1]
	s_branch .LBB249_4
.LBB249_3:                              ;   in Loop: Header=BB249_4 Depth=1
	s_or_b64 exec, exec, s[0:1]
	v_mov_b32_e32 v3, s44
	v_add_co_u32_e32 v2, vcc, s43, v16
	v_addc_co_u32_e32 v3, vcc, 0, v3, vcc
	v_cmp_le_i64_e32 vcc, s[18:19], v[18:19]
	v_cmp_lt_u64_e64 s[0:1], s[26:27], v[18:19]
	s_or_b64 s[0:1], vcc, s[0:1]
	s_add_u32 s33, s33, s45
	s_addc_u32 s42, s42, 0
	s_add_u32 s43, s43, s45
	s_addc_u32 s44, s44, 0
	global_store_dwordx4 v[2:3], v[6:9], off
	global_store_dwordx4 v[2:3], v[10:13], off offset:16
	v_mov_b32_e32 v2, s13
	s_and_b64 s[0:1], exec, s[0:1]
	v_add_co_u32_e32 v18, vcc, s12, v18
	s_or_b64 s[24:25], s[0:1], s[24:25]
	v_addc_co_u32_e32 v19, vcc, v19, v2, vcc
	s_andn2_b64 exec, exec, s[24:25]
	s_cbranch_execz .LBB249_212
.LBB249_4:                              ; =>This Inner Loop Header: Depth=1
	v_mov_b32_e32 v3, s42
	v_add_co_u32_e32 v2, vcc, s33, v16
	v_addc_co_u32_e32 v3, vcc, 0, v3, vcc
	global_load_dwordx4 v[8:11], v[2:3], off
	s_nop 0
	global_load_dwordx4 v[2:5], v[2:3], off offset:16
	s_waitcnt vmcnt(1)
	v_and_b32_e32 v12, 0x7fffffff, v9
	v_xor_b32_e32 v7, 0x80000000, v9
	v_cmp_ne_u32_e32 vcc, 0, v12
	s_and_saveexec_b64 s[0:1], vcc
	s_xor_b64 s[28:29], exec, s[0:1]
	s_cbranch_execz .LBB249_46
; %bb.5:                                ;   in Loop: Header=BB249_4 Depth=1
	v_and_b32_e32 v14, 0x7fffffff, v8
	v_cmp_ne_u32_e32 vcc, 0, v14
	s_and_saveexec_b64 s[0:1], vcc
	s_xor_b64 s[30:31], exec, s[0:1]
	s_cbranch_execz .LBB249_35
; %bb.6:                                ;   in Loop: Header=BB249_4 Depth=1
	v_xor_b32_e32 v13, 0x80000000, v8
	v_cmp_gt_u32_e32 vcc, s47, v12
	s_and_saveexec_b64 s[0:1], vcc
	s_xor_b64 s[34:35], exec, s[0:1]
	s_cbranch_execz .LBB249_28
; %bb.7:                                ;   in Loop: Header=BB249_4 Depth=1
	v_add_u32_e32 v6, 0xbd4e8de8, v13
	v_cmp_lt_u32_e32 vcc, s48, v6
	s_and_saveexec_b64 s[0:1], vcc
	s_xor_b64 s[36:37], exec, s[0:1]
	s_cbranch_execz .LBB249_17
; %bb.8:                                ;   in Loop: Header=BB249_4 Depth=1
	v_cmp_nlt_f32_e64 s[38:39], |v9|, s49
                                        ; implicit-def: $vgpr6
                                        ; implicit-def: $vgpr13
	s_and_saveexec_b64 s[0:1], s[38:39]
	s_xor_b64 s[40:41], exec, s[0:1]
	s_cbranch_execz .LBB249_10
; %bb.9:                                ;   in Loop: Header=BB249_4 Depth=1
	v_lshrrev_b32_e32 v6, 23, v12
	v_add_u32_e32 v6, 0xffffff88, v6
	v_cmp_lt_u32_e32 vcc, 63, v6
	v_cndmask_b32_e32 v13, 0, v21, vcc
	v_add_u32_e32 v6, v13, v6
	v_cmp_lt_u32_e64 s[0:1], 31, v6
	v_cndmask_b32_e64 v13, 0, v22, s[0:1]
	v_add_u32_e32 v6, v13, v6
	v_cmp_lt_u32_e64 s[2:3], 31, v6
	v_cndmask_b32_e64 v13, 0, v22, s[2:3]
	v_add_u32_e32 v6, v13, v6
	v_and_b32_e32 v13, 0x7fffff, v12
	v_or_b32_e32 v13, 0x800000, v13
	v_mad_u64_u32 v[26:27], s[6:7], v13, s50, 0
	v_mov_b32_e32 v14, v27
	v_mad_u64_u32 v[28:29], s[6:7], v13, s51, v[14:15]
	v_mov_b32_e32 v14, v29
	v_mad_u64_u32 v[30:31], s[6:7], v13, s52, v[14:15]
	v_mov_b32_e32 v14, v31
	v_mad_u64_u32 v[32:33], s[6:7], v13, s53, v[14:15]
	v_mov_b32_e32 v14, v33
	v_mad_u64_u32 v[34:35], s[6:7], v13, s54, v[14:15]
	v_mov_b32_e32 v14, v35
	v_mad_u64_u32 v[36:37], s[6:7], v13, s55, v[14:15]
	v_mov_b32_e32 v14, v37
	v_mad_u64_u32 v[38:39], s[6:7], v13, s56, v[14:15]
	v_cndmask_b32_e32 v25, v36, v32, vcc
	v_cndmask_b32_e32 v13, v38, v34, vcc
	;; [unrolled: 1-line block ×3, first 2 shown]
	v_cndmask_b32_e64 v14, v13, v25, s[0:1]
	v_cndmask_b32_e64 v13, v27, v13, s[0:1]
	v_cndmask_b32_e32 v27, v34, v30, vcc
	v_cndmask_b32_e64 v25, v25, v27, s[0:1]
	v_cndmask_b32_e64 v13, v13, v14, s[2:3]
	;; [unrolled: 1-line block ×3, first 2 shown]
	v_sub_u32_e32 v29, 32, v6
	v_alignbit_b32 v31, v13, v14, v29
	v_cmp_eq_u32_e64 s[6:7], 0, v6
	v_cndmask_b32_e64 v6, v31, v13, s[6:7]
	v_cndmask_b32_e32 v13, v32, v28, vcc
	v_cndmask_b32_e64 v27, v27, v13, s[0:1]
	v_cndmask_b32_e64 v25, v25, v27, s[2:3]
	v_alignbit_b32 v28, v14, v25, v29
	v_cndmask_b32_e32 v26, v30, v26, vcc
	v_cndmask_b32_e64 v14, v28, v14, s[6:7]
	v_bfe_u32 v32, v6, 29, 1
	v_cndmask_b32_e64 v13, v13, v26, s[0:1]
	v_alignbit_b32 v28, v6, v14, 30
	v_sub_u32_e32 v33, 0, v32
	v_cndmask_b32_e64 v13, v27, v13, s[2:3]
	v_xor_b32_e32 v34, v28, v33
	v_alignbit_b32 v26, v25, v13, v29
	v_cndmask_b32_e64 v25, v26, v25, s[6:7]
	v_ffbh_u32_e32 v26, v34
	v_add_u32_e32 v26, 1, v26
	v_cmp_ne_u32_e32 vcc, v28, v33
	v_alignbit_b32 v14, v14, v25, 30
	v_cndmask_b32_e32 v26, 33, v26, vcc
	v_alignbit_b32 v13, v25, v13, 30
	v_xor_b32_e32 v14, v14, v33
	v_sub_u32_e32 v27, 32, v26
	v_xor_b32_e32 v13, v13, v33
	v_alignbit_b32 v28, v34, v14, v27
	v_alignbit_b32 v13, v14, v13, v27
	;; [unrolled: 1-line block ×3, first 2 shown]
	v_ffbh_u32_e32 v25, v14
	v_min_u32_e32 v25, 32, v25
	v_lshrrev_b32_e32 v31, 29, v6
	v_sub_u32_e32 v27, 31, v25
	v_alignbit_b32 v13, v14, v13, v27
	v_lshlrev_b32_e32 v14, 31, v31
	v_or_b32_e32 v27, 0x33800000, v14
	v_add_lshl_u32 v25, v25, v26, 23
	v_lshrrev_b32_e32 v13, 9, v13
	v_sub_u32_e32 v25, v27, v25
	v_or_b32_e32 v13, v25, v13
	v_alignbit_b32 v25, v26, v28, 9
	v_or_b32_e32 v14, v25, v14
	v_xor_b32_e32 v14, 1.0, v14
	v_mul_f32_e32 v25, 0x3fc90fda, v14
	v_fma_f32 v26, v14, s57, -v25
	v_fmac_f32_e32 v26, 0x33a22168, v14
	v_fmac_f32_e32 v26, 0x3fc90fda, v13
	v_lshrrev_b32_e32 v6, 30, v6
	v_add_f32_e32 v13, v25, v26
	v_add_u32_e32 v6, v32, v6
	s_andn2_saveexec_b64 s[0:1], s[40:41]
	s_branch .LBB249_11
.LBB249_10:                             ;   in Loop: Header=BB249_4 Depth=1
	s_andn2_saveexec_b64 s[0:1], s[40:41]
.LBB249_11:                             ;   in Loop: Header=BB249_4 Depth=1
	v_mul_f32_e64 v6, |v9|, s58
	v_rndne_f32_e32 v14, v6
	v_cvt_i32_f32_e32 v6, v14
	v_fma_f32 v13, v14, s59, |v9|
	v_fmac_f32_e32 v13, 0xb3a22168, v14
	v_fmac_f32_e32 v13, 0xa7c234c4, v14
; %bb.12:                               ;   in Loop: Header=BB249_4 Depth=1
	s_or_b64 exec, exec, s[0:1]
                                        ; implicit-def: $vgpr14
                                        ; implicit-def: $vgpr25
	s_and_saveexec_b64 s[0:1], s[38:39]
	s_xor_b64 s[38:39], exec, s[0:1]
	s_cbranch_execz .LBB249_14
; %bb.13:                               ;   in Loop: Header=BB249_4 Depth=1
	v_lshrrev_b32_e32 v14, 23, v12
	v_add_u32_e32 v14, 0xffffff88, v14
	v_cmp_lt_u32_e32 vcc, 63, v14
	v_cndmask_b32_e32 v25, 0, v21, vcc
	v_add_u32_e32 v14, v25, v14
	v_cmp_lt_u32_e64 s[0:1], 31, v14
	v_cndmask_b32_e64 v25, 0, v22, s[0:1]
	v_add_u32_e32 v14, v25, v14
	v_cmp_lt_u32_e64 s[2:3], 31, v14
	v_cndmask_b32_e64 v25, 0, v22, s[2:3]
	v_add_u32_e32 v25, v25, v14
	v_and_b32_e32 v14, 0x7fffff, v12
	v_or_b32_e32 v38, 0x800000, v14
	v_mad_u64_u32 v[26:27], s[6:7], v38, s50, 0
	v_mov_b32_e32 v14, v27
	v_mad_u64_u32 v[28:29], s[6:7], v38, s51, v[14:15]
	v_mov_b32_e32 v14, v29
	;; [unrolled: 2-line block ×6, first 2 shown]
	v_mad_u64_u32 v[38:39], s[6:7], v38, s56, v[14:15]
	v_cndmask_b32_e32 v27, v36, v32, vcc
	v_cndmask_b32_e32 v14, v38, v34, vcc
	;; [unrolled: 1-line block ×3, first 2 shown]
	v_cndmask_b32_e64 v29, v14, v27, s[0:1]
	v_cndmask_b32_e64 v14, v31, v14, s[0:1]
	v_cndmask_b32_e32 v31, v34, v30, vcc
	v_cndmask_b32_e64 v27, v27, v31, s[0:1]
	v_sub_u32_e32 v33, 32, v25
	v_cmp_eq_u32_e64 s[6:7], 0, v25
	v_cndmask_b32_e32 v25, v32, v28, vcc
	v_cndmask_b32_e64 v14, v14, v29, s[2:3]
	v_cndmask_b32_e64 v29, v29, v27, s[2:3]
	;; [unrolled: 1-line block ×3, first 2 shown]
	v_alignbit_b32 v34, v14, v29, v33
	v_cndmask_b32_e64 v27, v27, v28, s[2:3]
	v_cndmask_b32_e64 v14, v34, v14, s[6:7]
	v_alignbit_b32 v31, v29, v27, v33
	v_cndmask_b32_e64 v29, v31, v29, s[6:7]
	v_bfe_u32 v34, v14, 29, 1
	v_cndmask_b32_e32 v26, v30, v26, vcc
	v_alignbit_b32 v31, v14, v29, 30
	v_sub_u32_e32 v35, 0, v34
	v_cndmask_b32_e64 v25, v25, v26, s[0:1]
	v_xor_b32_e32 v36, v31, v35
	v_cndmask_b32_e64 v25, v28, v25, s[2:3]
	v_alignbit_b32 v26, v27, v25, v33
	v_ffbh_u32_e32 v28, v36
	v_cndmask_b32_e64 v26, v26, v27, s[6:7]
	v_add_u32_e32 v28, 1, v28
	v_cmp_ne_u32_e32 vcc, v31, v35
	v_alignbit_b32 v27, v29, v26, 30
	v_cndmask_b32_e32 v28, 33, v28, vcc
	v_alignbit_b32 v25, v26, v25, 30
	v_xor_b32_e32 v27, v27, v35
	v_sub_u32_e32 v29, 32, v28
	v_xor_b32_e32 v25, v25, v35
	v_alignbit_b32 v30, v36, v27, v29
	v_alignbit_b32 v25, v27, v25, v29
	v_alignbit_b32 v26, v30, v25, 9
	v_ffbh_u32_e32 v27, v26
	v_min_u32_e32 v27, 32, v27
	v_lshrrev_b32_e32 v32, 29, v14
	v_sub_u32_e32 v29, 31, v27
	v_alignbit_b32 v25, v26, v25, v29
	v_lshlrev_b32_e32 v26, 31, v32
	v_or_b32_e32 v29, 0x33800000, v26
	v_add_lshl_u32 v27, v27, v28, 23
	v_lshrrev_b32_e32 v25, 9, v25
	v_sub_u32_e32 v27, v29, v27
	v_or_b32_e32 v25, v27, v25
	v_alignbit_b32 v27, v28, v30, 9
	v_or_b32_e32 v26, v27, v26
	v_xor_b32_e32 v26, 1.0, v26
	v_mul_f32_e32 v27, 0x3fc90fda, v26
	v_fma_f32 v28, v26, s57, -v27
	v_fmac_f32_e32 v28, 0x33a22168, v26
	v_fmac_f32_e32 v28, 0x3fc90fda, v25
	v_lshrrev_b32_e32 v14, 30, v14
	v_add_f32_e32 v25, v27, v28
	v_add_u32_e32 v14, v34, v14
	s_andn2_saveexec_b64 s[0:1], s[38:39]
	s_cbranch_execnz .LBB249_15
	s_branch .LBB249_16
.LBB249_14:                             ;   in Loop: Header=BB249_4 Depth=1
	s_andn2_saveexec_b64 s[0:1], s[38:39]
.LBB249_15:                             ;   in Loop: Header=BB249_4 Depth=1
	v_mul_f32_e64 v14, |v9|, s58
	v_rndne_f32_e32 v26, v14
	v_cvt_i32_f32_e32 v14, v26
	v_fma_f32 v25, v26, s59, |v9|
	v_fmac_f32_e32 v25, 0xb3a22168, v26
	v_fmac_f32_e32 v25, 0xa7c234c4, v26
.LBB249_16:                             ;   in Loop: Header=BB249_4 Depth=1
	s_or_b64 exec, exec, s[0:1]
	v_mul_f32_e32 v26, 0xbfb8aa3b, v8
	v_rndne_f32_e32 v27, v26
	v_sub_f32_e32 v28, v26, v27
	v_fma_f32 v26, v8, s60, -v26
	v_fmac_f32_e32 v26, 0xb2a5705f, v8
	v_add_f32_e32 v26, v28, v26
	v_cvt_i32_f32_e32 v27, v27
	v_exp_f32_e32 v26, v26
	v_mov_b32_e32 v28, 0x3c0881c4
	v_cmp_nlt_f32_e32 vcc, s61, v8
	v_ldexp_f32 v26, v26, v27
	v_mul_f32_e32 v27, v13, v13
	v_fmac_f32_e32 v28, 0xb94c1982, v27
	v_fma_f32 v28, v27, v28, v1
	v_mul_f32_e32 v28, v27, v28
	v_fmac_f32_e32 v13, v13, v28
	v_mov_b32_e32 v28, 0xbab64f3b
	v_fmac_f32_e32 v28, 0x37d75334, v27
	v_fma_f32 v28, v27, v28, v17
	v_fma_f32 v28, v27, v28, v20
	v_cndmask_b32_e32 v26, 0, v26, vcc
	v_cmp_ngt_f32_e32 vcc, s62, v8
	v_fma_f32 v27, v27, v28, 1.0
	v_and_b32_e32 v28, 1, v6
	v_cndmask_b32_e32 v26, v23, v26, vcc
	v_cmp_eq_u32_e32 vcc, 0, v28
	v_lshlrev_b32_e32 v6, 30, v6
	v_cndmask_b32_e64 v13, -v13, v27, vcc
	v_and_b32_e32 v6, 0x80000000, v6
	v_xor_b32_e32 v6, v6, v13
	v_mul_f32_e32 v13, v25, v25
	v_mov_b32_e32 v27, 0x3c0881c4
	v_fmac_f32_e32 v27, 0xb94c1982, v13
	v_fma_f32 v27, v13, v27, v1
	v_mul_f32_e32 v27, v13, v27
	v_fmac_f32_e32 v25, v25, v27
	v_mov_b32_e32 v27, 0xbab64f3b
	v_fmac_f32_e32 v27, 0x37d75334, v13
	v_fma_f32 v27, v13, v27, v17
	v_fma_f32 v27, v13, v27, v20
	v_fma_f32 v13, v13, v27, 1.0
	v_and_b32_e32 v27, 1, v14
	v_cmp_eq_u32_e64 s[0:1], 0, v27
	v_lshlrev_b32_e32 v14, 30, v14
	v_cndmask_b32_e64 v13, v13, v25, s[0:1]
	v_and_or_b32 v12, v14, s46, v12
	v_xor_b32_e32 v12, v12, v13
	v_cmp_class_f32_e64 vcc, v9, s63
	v_xor_b32_e32 v7, v12, v7
	v_cndmask_b32_e32 v6, v24, v6, vcc
	v_cndmask_b32_e32 v7, v24, v7, vcc
	v_mul_f32_e32 v6, v26, v6
	v_mul_f32_e32 v7, v26, v7
                                        ; implicit-def: $vgpr12
.LBB249_17:                             ;   in Loop: Header=BB249_4 Depth=1
	s_andn2_saveexec_b64 s[36:37], s[36:37]
	s_cbranch_execz .LBB249_20
; %bb.18:                               ;   in Loop: Header=BB249_4 Depth=1
	v_cmp_nlt_f32_e64 s[38:39], |v9|, s49
                                        ; implicit-def: $vgpr13
                                        ; implicit-def: $vgpr6
	s_and_saveexec_b64 s[0:1], s[38:39]
	s_xor_b64 s[40:41], exec, s[0:1]
	s_cbranch_execz .LBB249_21
; %bb.19:                               ;   in Loop: Header=BB249_4 Depth=1
	v_lshrrev_b32_e32 v6, 23, v12
	v_add_u32_e32 v6, 0xffffff88, v6
	v_cmp_lt_u32_e32 vcc, 63, v6
	v_cndmask_b32_e32 v13, 0, v21, vcc
	v_add_u32_e32 v6, v13, v6
	v_cmp_lt_u32_e64 s[0:1], 31, v6
	v_cndmask_b32_e64 v13, 0, v22, s[0:1]
	v_add_u32_e32 v6, v13, v6
	v_cmp_lt_u32_e64 s[2:3], 31, v6
	v_cndmask_b32_e64 v13, 0, v22, s[2:3]
	v_add_u32_e32 v6, v13, v6
	v_and_b32_e32 v13, 0x7fffff, v12
	v_or_b32_e32 v13, 0x800000, v13
	v_mad_u64_u32 v[26:27], s[6:7], v13, s50, 0
	v_mov_b32_e32 v14, v27
	v_mad_u64_u32 v[28:29], s[6:7], v13, s51, v[14:15]
	v_mov_b32_e32 v14, v29
	;; [unrolled: 2-line block ×6, first 2 shown]
	v_mad_u64_u32 v[38:39], s[6:7], v13, s56, v[14:15]
	v_cndmask_b32_e32 v25, v36, v32, vcc
	v_cndmask_b32_e32 v13, v38, v34, vcc
	;; [unrolled: 1-line block ×3, first 2 shown]
	v_cndmask_b32_e64 v14, v13, v25, s[0:1]
	v_cndmask_b32_e64 v13, v27, v13, s[0:1]
	v_cndmask_b32_e32 v27, v34, v30, vcc
	v_cndmask_b32_e64 v25, v25, v27, s[0:1]
	v_sub_u32_e32 v29, 32, v6
	v_cmp_eq_u32_e64 s[6:7], 0, v6
	v_cndmask_b32_e32 v6, v32, v28, vcc
	v_cndmask_b32_e64 v13, v13, v14, s[2:3]
	v_cndmask_b32_e64 v14, v14, v25, s[2:3]
	;; [unrolled: 1-line block ×3, first 2 shown]
	v_alignbit_b32 v31, v13, v14, v29
	v_cndmask_b32_e64 v25, v25, v27, s[2:3]
	v_cndmask_b32_e64 v13, v31, v13, s[6:7]
	v_alignbit_b32 v28, v14, v25, v29
	v_cndmask_b32_e32 v26, v30, v26, vcc
	v_cndmask_b32_e64 v14, v28, v14, s[6:7]
	v_bfe_u32 v32, v13, 29, 1
	v_cndmask_b32_e64 v6, v6, v26, s[0:1]
	v_alignbit_b32 v28, v13, v14, 30
	v_sub_u32_e32 v33, 0, v32
	v_cndmask_b32_e64 v6, v27, v6, s[2:3]
	v_xor_b32_e32 v34, v28, v33
	v_alignbit_b32 v26, v25, v6, v29
	v_cndmask_b32_e64 v25, v26, v25, s[6:7]
	v_ffbh_u32_e32 v26, v34
	v_add_u32_e32 v26, 1, v26
	v_cmp_ne_u32_e32 vcc, v28, v33
	v_alignbit_b32 v14, v14, v25, 30
	v_cndmask_b32_e32 v26, 33, v26, vcc
	v_alignbit_b32 v6, v25, v6, 30
	v_xor_b32_e32 v14, v14, v33
	v_sub_u32_e32 v27, 32, v26
	v_xor_b32_e32 v6, v6, v33
	v_alignbit_b32 v28, v34, v14, v27
	v_alignbit_b32 v6, v14, v6, v27
	;; [unrolled: 1-line block ×3, first 2 shown]
	v_ffbh_u32_e32 v25, v14
	v_min_u32_e32 v25, 32, v25
	v_lshrrev_b32_e32 v31, 29, v13
	v_sub_u32_e32 v27, 31, v25
	v_alignbit_b32 v6, v14, v6, v27
	v_lshlrev_b32_e32 v14, 31, v31
	v_or_b32_e32 v27, 0x33800000, v14
	v_add_lshl_u32 v25, v25, v26, 23
	v_lshrrev_b32_e32 v6, 9, v6
	v_sub_u32_e32 v25, v27, v25
	v_or_b32_e32 v6, v25, v6
	v_alignbit_b32 v25, v26, v28, 9
	v_or_b32_e32 v14, v25, v14
	v_xor_b32_e32 v14, 1.0, v14
	v_mul_f32_e32 v25, 0x3fc90fda, v14
	v_fma_f32 v26, v14, s57, -v25
	v_fmac_f32_e32 v26, 0x33a22168, v14
	v_fmac_f32_e32 v26, 0x3fc90fda, v6
	v_lshrrev_b32_e32 v13, 30, v13
	v_add_f32_e32 v6, v25, v26
	v_add_u32_e32 v13, v32, v13
	s_andn2_saveexec_b64 s[0:1], s[40:41]
	s_branch .LBB249_22
.LBB249_20:                             ;   in Loop: Header=BB249_4 Depth=1
	s_or_b64 exec, exec, s[36:37]
                                        ; implicit-def: $vgpr13
                                        ; implicit-def: $vgpr14
	s_andn2_saveexec_b64 s[0:1], s[34:35]
	s_cbranch_execnz .LBB249_29
	s_branch .LBB249_34
.LBB249_21:                             ;   in Loop: Header=BB249_4 Depth=1
	s_andn2_saveexec_b64 s[0:1], s[40:41]
.LBB249_22:                             ;   in Loop: Header=BB249_4 Depth=1
	v_mul_f32_e64 v6, |v9|, s58
	v_rndne_f32_e32 v14, v6
	v_cvt_i32_f32_e32 v13, v14
	v_fma_f32 v6, v14, s59, |v9|
	v_fmac_f32_e32 v6, 0xb3a22168, v14
	v_fmac_f32_e32 v6, 0xa7c234c4, v14
; %bb.23:                               ;   in Loop: Header=BB249_4 Depth=1
	s_or_b64 exec, exec, s[0:1]
                                        ; implicit-def: $vgpr14
                                        ; implicit-def: $vgpr25
	s_and_saveexec_b64 s[0:1], s[38:39]
	s_xor_b64 s[38:39], exec, s[0:1]
	s_cbranch_execz .LBB249_25
; %bb.24:                               ;   in Loop: Header=BB249_4 Depth=1
	v_lshrrev_b32_e32 v14, 23, v12
	v_add_u32_e32 v14, 0xffffff88, v14
	v_cmp_lt_u32_e32 vcc, 63, v14
	v_cndmask_b32_e32 v25, 0, v21, vcc
	v_add_u32_e32 v14, v25, v14
	v_cmp_lt_u32_e64 s[0:1], 31, v14
	v_cndmask_b32_e64 v25, 0, v22, s[0:1]
	v_add_u32_e32 v14, v25, v14
	v_cmp_lt_u32_e64 s[2:3], 31, v14
	v_cndmask_b32_e64 v25, 0, v22, s[2:3]
	v_add_u32_e32 v25, v25, v14
	v_and_b32_e32 v14, 0x7fffff, v12
	v_or_b32_e32 v38, 0x800000, v14
	v_mad_u64_u32 v[26:27], s[6:7], v38, s50, 0
	v_mov_b32_e32 v14, v27
	v_mad_u64_u32 v[28:29], s[6:7], v38, s51, v[14:15]
	v_mov_b32_e32 v14, v29
	;; [unrolled: 2-line block ×6, first 2 shown]
	v_mad_u64_u32 v[38:39], s[6:7], v38, s56, v[14:15]
	v_cndmask_b32_e32 v27, v36, v32, vcc
	v_cndmask_b32_e32 v14, v38, v34, vcc
	;; [unrolled: 1-line block ×3, first 2 shown]
	v_cndmask_b32_e64 v29, v14, v27, s[0:1]
	v_cndmask_b32_e64 v14, v31, v14, s[0:1]
	v_cndmask_b32_e32 v31, v34, v30, vcc
	v_cndmask_b32_e64 v27, v27, v31, s[0:1]
	v_sub_u32_e32 v33, 32, v25
	v_cmp_eq_u32_e64 s[6:7], 0, v25
	v_cndmask_b32_e32 v25, v32, v28, vcc
	v_cndmask_b32_e64 v14, v14, v29, s[2:3]
	v_cndmask_b32_e64 v29, v29, v27, s[2:3]
	v_cndmask_b32_e64 v28, v31, v25, s[0:1]
	v_alignbit_b32 v34, v14, v29, v33
	v_cndmask_b32_e64 v27, v27, v28, s[2:3]
	v_cndmask_b32_e64 v14, v34, v14, s[6:7]
	v_alignbit_b32 v31, v29, v27, v33
	v_cndmask_b32_e64 v29, v31, v29, s[6:7]
	v_bfe_u32 v34, v14, 29, 1
	v_cndmask_b32_e32 v26, v30, v26, vcc
	v_alignbit_b32 v31, v14, v29, 30
	v_sub_u32_e32 v35, 0, v34
	v_cndmask_b32_e64 v25, v25, v26, s[0:1]
	v_xor_b32_e32 v36, v31, v35
	v_cndmask_b32_e64 v25, v28, v25, s[2:3]
	v_alignbit_b32 v26, v27, v25, v33
	v_ffbh_u32_e32 v28, v36
	v_cndmask_b32_e64 v26, v26, v27, s[6:7]
	v_add_u32_e32 v28, 1, v28
	v_cmp_ne_u32_e32 vcc, v31, v35
	v_alignbit_b32 v27, v29, v26, 30
	v_cndmask_b32_e32 v28, 33, v28, vcc
	v_alignbit_b32 v25, v26, v25, 30
	v_xor_b32_e32 v27, v27, v35
	v_sub_u32_e32 v29, 32, v28
	v_xor_b32_e32 v25, v25, v35
	v_alignbit_b32 v30, v36, v27, v29
	v_alignbit_b32 v25, v27, v25, v29
	;; [unrolled: 1-line block ×3, first 2 shown]
	v_ffbh_u32_e32 v27, v26
	v_min_u32_e32 v27, 32, v27
	v_lshrrev_b32_e32 v32, 29, v14
	v_sub_u32_e32 v29, 31, v27
	v_alignbit_b32 v25, v26, v25, v29
	v_lshlrev_b32_e32 v26, 31, v32
	v_or_b32_e32 v29, 0x33800000, v26
	v_add_lshl_u32 v27, v27, v28, 23
	v_lshrrev_b32_e32 v25, 9, v25
	v_sub_u32_e32 v27, v29, v27
	v_or_b32_e32 v25, v27, v25
	v_alignbit_b32 v27, v28, v30, 9
	v_or_b32_e32 v26, v27, v26
	v_xor_b32_e32 v26, 1.0, v26
	v_mul_f32_e32 v27, 0x3fc90fda, v26
	v_fma_f32 v28, v26, s57, -v27
	v_fmac_f32_e32 v28, 0x33a22168, v26
	v_fmac_f32_e32 v28, 0x3fc90fda, v25
	v_lshrrev_b32_e32 v14, 30, v14
	v_add_f32_e32 v25, v27, v28
	v_add_u32_e32 v14, v34, v14
	s_andn2_saveexec_b64 s[0:1], s[38:39]
	s_cbranch_execnz .LBB249_26
	s_branch .LBB249_27
.LBB249_25:                             ;   in Loop: Header=BB249_4 Depth=1
	s_andn2_saveexec_b64 s[0:1], s[38:39]
.LBB249_26:                             ;   in Loop: Header=BB249_4 Depth=1
	v_mul_f32_e64 v14, |v9|, s58
	v_rndne_f32_e32 v26, v14
	v_cvt_i32_f32_e32 v14, v26
	v_fma_f32 v25, v26, s59, |v9|
	v_fmac_f32_e32 v25, 0xb3a22168, v26
	v_fmac_f32_e32 v25, 0xa7c234c4, v26
.LBB249_27:                             ;   in Loop: Header=BB249_4 Depth=1
	s_or_b64 exec, exec, s[0:1]
	v_mul_f32_e32 v27, v6, v6
	v_mov_b32_e32 v28, 0xbab64f3b
	v_fmac_f32_e32 v28, 0x37d75334, v27
	v_mov_b32_e32 v29, 0x3c0881c4
	v_fma_f32 v28, v27, v28, v17
	v_fmac_f32_e32 v29, 0xb94c1982, v27
	v_fma_f32 v28, v27, v28, v20
	v_fma_f32 v29, v27, v29, v1
	v_fma_f32 v28, v27, v28, 1.0
	v_mul_f32_e32 v27, v27, v29
	v_fmac_f32_e32 v6, v6, v27
	v_sub_f32_e32 v27, 0xc322e3bc, v8
	v_mul_f32_e32 v29, 0x3fb8aa3b, v27
	v_fma_f32 v30, v27, s64, -v29
	v_rndne_f32_e32 v31, v29
	v_fmac_f32_e32 v30, 0x32a5705f, v27
	v_sub_f32_e32 v29, v29, v31
	v_add_f32_e32 v29, v29, v30
	v_exp_f32_e32 v29, v29
	v_cvt_i32_f32_e32 v30, v31
	v_lshlrev_b32_e32 v26, 30, v13
	v_and_b32_e32 v13, 1, v13
	v_cmp_eq_u32_e32 vcc, 0, v13
	v_and_b32_e32 v26, 0x80000000, v26
	v_cndmask_b32_e64 v6, -v6, v28, vcc
	v_xor_b32_e32 v13, v26, v6
	v_ldexp_f32 v6, v29, v30
	v_cmp_ngt_f32_e32 vcc, s65, v27
	v_cndmask_b32_e32 v6, 0, v6, vcc
	v_cmp_nlt_f32_e32 vcc, s66, v27
	v_cndmask_b32_e32 v26, v23, v6, vcc
	v_and_b32_e32 v6, 0x7fffff, v26
	v_lshrrev_b32_e32 v26, 23, v26
	v_subrev_u32_e32 v27, 19, v26
	v_lshrrev_b16_e32 v26, 15, v27
	v_add_u16_e32 v26, v27, v26
	v_ashrrev_i16_e32 v26, 1, v26
	v_bfe_i32 v28, v26, 0, 16
	v_sub_u32_e32 v27, v27, v28
	v_lshl_add_u32 v26, v28, 23, 1.0
	v_lshl_add_u32 v28, v27, 23, 1.0
	v_mul_f32_e32 v27, v25, v25
	v_mov_b32_e32 v29, 0x3c0881c4
	v_fmac_f32_e32 v29, 0xb94c1982, v27
	v_fma_f32 v29, v27, v29, v1
	v_mul_f32_e32 v29, v27, v29
	v_fmac_f32_e32 v25, v25, v29
	v_mov_b32_e32 v29, 0xbab64f3b
	v_fmac_f32_e32 v29, 0x37d75334, v27
	v_fma_f32 v29, v27, v29, v17
	v_fma_f32 v29, v27, v29, v20
	v_fma_f32 v27, v27, v29, 1.0
	v_and_b32_e32 v29, 1, v14
	v_cmp_eq_u32_e32 vcc, 0, v29
	v_lshlrev_b32_e32 v14, 30, v14
	v_cndmask_b32_e32 v25, v27, v25, vcc
	v_and_or_b32 v12, v14, s46, v12
	v_xor_b32_e32 v12, v12, v25
	v_xor_b32_e32 v7, v12, v7
	v_cmp_class_f32_e64 vcc, v9, s63
	v_or_b32_e32 v6, 0x7f000000, v6
	v_cndmask_b32_e32 v12, v24, v13, vcc
	v_cndmask_b32_e32 v13, v24, v7, vcc
	v_pk_mul_f32 v[6:7], v[12:13], v[6:7] op_sel_hi:[1,0]
	v_pk_mul_f32 v[6:7], v[6:7], v[26:27] op_sel_hi:[1,0]
	;; [unrolled: 1-line block ×3, first 2 shown]
	s_or_b64 exec, exec, s[36:37]
                                        ; implicit-def: $vgpr13
                                        ; implicit-def: $vgpr14
.LBB249_28:                             ;   in Loop: Header=BB249_4 Depth=1
	s_andn2_saveexec_b64 s[0:1], s[34:35]
	s_cbranch_execz .LBB249_34
.LBB249_29:                             ;   in Loop: Header=BB249_4 Depth=1
	v_cmp_ne_u32_e32 vcc, s47, v14
	v_sub_f32_e32 v7, v9, v9
	s_and_saveexec_b64 s[2:3], vcc
	s_xor_b64 s[2:3], exec, s[2:3]
; %bb.30:                               ;   in Loop: Header=BB249_4 Depth=1
                                        ; implicit-def: $vgpr13
; %bb.31:                               ;   in Loop: Header=BB249_4 Depth=1
	s_or_saveexec_b64 s[2:3], s[2:3]
	v_mov_b32_e32 v6, v7
	s_xor_b64 exec, exec, s[2:3]
; %bb.32:                               ;   in Loop: Header=BB249_4 Depth=1
	v_cmp_lt_i32_e32 vcc, -1, v13
	v_cndmask_b32_e64 v6, 0, -v8, vcc
	v_cndmask_b32_e32 v7, 0, v7, vcc
; %bb.33:                               ;   in Loop: Header=BB249_4 Depth=1
	s_or_b64 exec, exec, s[2:3]
.LBB249_34:                             ;   in Loop: Header=BB249_4 Depth=1
	s_or_b64 exec, exec, s[0:1]
                                        ; implicit-def: $vgpr12
.LBB249_35:                             ;   in Loop: Header=BB249_4 Depth=1
	s_andn2_saveexec_b64 s[30:31], s[30:31]
	s_cbranch_execz .LBB249_45
; %bb.36:                               ;   in Loop: Header=BB249_4 Depth=1
	v_lshrrev_b32_e32 v6, 23, v12
	v_and_b32_e32 v13, 0x7fffff, v12
	v_cmp_nlt_f32_e64 s[34:35], |v9|, s49
	v_add_u32_e32 v26, 0xffffff88, v6
	v_or_b32_e32 v25, 0x800000, v13
                                        ; implicit-def: $vgpr6
                                        ; implicit-def: $vgpr13
	s_and_saveexec_b64 s[0:1], s[34:35]
	s_xor_b64 s[36:37], exec, s[0:1]
	s_cbranch_execz .LBB249_38
; %bb.37:                               ;   in Loop: Header=BB249_4 Depth=1
	v_mad_u64_u32 v[28:29], s[6:7], v25, s50, 0
	v_mov_b32_e32 v14, v29
	v_mad_u64_u32 v[30:31], s[6:7], v25, s51, v[14:15]
	v_mov_b32_e32 v14, v31
	v_mad_u64_u32 v[32:33], s[6:7], v25, s52, v[14:15]
	v_cmp_lt_u32_e32 vcc, 63, v26
	v_mov_b32_e32 v14, v33
	v_cndmask_b32_e32 v6, 0, v21, vcc
	v_mad_u64_u32 v[34:35], s[6:7], v25, s53, v[14:15]
	v_add_u32_e32 v6, v6, v26
	v_mov_b32_e32 v14, v35
	v_cmp_lt_u32_e64 s[0:1], 31, v6
	v_mad_u64_u32 v[36:37], s[6:7], v25, s54, v[14:15]
	v_cndmask_b32_e64 v13, 0, v22, s[0:1]
	v_mov_b32_e32 v14, v37
	v_add_u32_e32 v6, v13, v6
	v_mad_u64_u32 v[38:39], s[6:7], v25, s55, v[14:15]
	v_cmp_lt_u32_e64 s[2:3], 31, v6
	v_mov_b32_e32 v14, v39
	v_cndmask_b32_e64 v13, 0, v22, s[2:3]
	v_mad_u64_u32 v[40:41], s[6:7], v25, s56, v[14:15]
	v_add_u32_e32 v6, v13, v6
	v_cndmask_b32_e32 v13, v38, v34, vcc
	v_cndmask_b32_e32 v14, v40, v36, vcc
	v_cndmask_b32_e32 v29, v41, v38, vcc
	v_cndmask_b32_e64 v27, v14, v13, s[0:1]
	v_cndmask_b32_e64 v14, v29, v14, s[0:1]
	v_cndmask_b32_e32 v29, v36, v32, vcc
	v_cndmask_b32_e64 v13, v13, v29, s[0:1]
	v_cndmask_b32_e64 v14, v14, v27, s[2:3]
	;; [unrolled: 1-line block ×3, first 2 shown]
	v_sub_u32_e32 v31, 32, v6
	v_alignbit_b32 v33, v14, v27, v31
	v_cmp_eq_u32_e64 s[6:7], 0, v6
	v_cndmask_b32_e64 v6, v33, v14, s[6:7]
	v_cndmask_b32_e32 v14, v34, v30, vcc
	v_cndmask_b32_e64 v29, v29, v14, s[0:1]
	v_cndmask_b32_e64 v13, v13, v29, s[2:3]
	v_alignbit_b32 v30, v27, v13, v31
	v_cndmask_b32_e32 v28, v32, v28, vcc
	v_cndmask_b32_e64 v27, v30, v27, s[6:7]
	v_bfe_u32 v34, v6, 29, 1
	v_cndmask_b32_e64 v14, v14, v28, s[0:1]
	v_alignbit_b32 v30, v6, v27, 30
	v_sub_u32_e32 v35, 0, v34
	v_cndmask_b32_e64 v14, v29, v14, s[2:3]
	v_xor_b32_e32 v36, v30, v35
	v_alignbit_b32 v28, v13, v14, v31
	v_cndmask_b32_e64 v13, v28, v13, s[6:7]
	v_ffbh_u32_e32 v28, v36
	v_add_u32_e32 v28, 1, v28
	v_cmp_ne_u32_e32 vcc, v30, v35
	v_alignbit_b32 v27, v27, v13, 30
	v_cndmask_b32_e32 v28, 33, v28, vcc
	v_alignbit_b32 v13, v13, v14, 30
	v_xor_b32_e32 v27, v27, v35
	v_sub_u32_e32 v29, 32, v28
	v_xor_b32_e32 v13, v13, v35
	v_alignbit_b32 v30, v36, v27, v29
	v_alignbit_b32 v13, v27, v13, v29
	;; [unrolled: 1-line block ×3, first 2 shown]
	v_ffbh_u32_e32 v27, v14
	v_min_u32_e32 v27, 32, v27
	v_lshrrev_b32_e32 v33, 29, v6
	v_sub_u32_e32 v29, 31, v27
	v_alignbit_b32 v13, v14, v13, v29
	v_lshlrev_b32_e32 v14, 31, v33
	v_or_b32_e32 v29, 0x33800000, v14
	v_add_lshl_u32 v27, v27, v28, 23
	v_lshrrev_b32_e32 v13, 9, v13
	v_sub_u32_e32 v27, v29, v27
	v_or_b32_e32 v13, v27, v13
	v_alignbit_b32 v27, v28, v30, 9
	v_or_b32_e32 v14, v27, v14
	v_xor_b32_e32 v14, 1.0, v14
	v_mul_f32_e32 v27, 0x3fc90fda, v14
	v_fma_f32 v28, v14, s57, -v27
	v_fmac_f32_e32 v28, 0x33a22168, v14
	v_fmac_f32_e32 v28, 0x3fc90fda, v13
	v_lshrrev_b32_e32 v6, 30, v6
	v_add_f32_e32 v13, v27, v28
	v_add_u32_e32 v6, v34, v6
.LBB249_38:                             ;   in Loop: Header=BB249_4 Depth=1
	s_or_saveexec_b64 s[0:1], s[36:37]
	v_mul_f32_e64 v14, |v9|, s58
	v_rndne_f32_e32 v28, v14
	s_xor_b64 exec, exec, s[0:1]
; %bb.39:                               ;   in Loop: Header=BB249_4 Depth=1
	v_cvt_i32_f32_e32 v6, v28
	v_fma_f32 v13, v28, s59, |v9|
	v_fmac_f32_e32 v13, 0xb3a22168, v28
	v_fmac_f32_e32 v13, 0xa7c234c4, v28
; %bb.40:                               ;   in Loop: Header=BB249_4 Depth=1
	s_or_b64 exec, exec, s[0:1]
                                        ; implicit-def: $vgpr14
                                        ; implicit-def: $vgpr27
	s_and_saveexec_b64 s[0:1], s[34:35]
	s_xor_b64 s[34:35], exec, s[0:1]
	s_cbranch_execz .LBB249_42
; %bb.41:                               ;   in Loop: Header=BB249_4 Depth=1
	v_cmp_lt_u32_e32 vcc, 63, v26
	v_cndmask_b32_e32 v14, 0, v21, vcc
	v_add_u32_e32 v14, v14, v26
	v_cmp_lt_u32_e64 s[0:1], 31, v14
	v_cndmask_b32_e64 v26, 0, v22, s[0:1]
	v_add_u32_e32 v14, v26, v14
	v_cmp_lt_u32_e64 s[2:3], 31, v14
	v_cndmask_b32_e64 v26, 0, v22, s[2:3]
	v_add_u32_e32 v40, v26, v14
	v_mad_u64_u32 v[26:27], s[6:7], v25, s50, 0
	v_mov_b32_e32 v14, v27
	v_mad_u64_u32 v[28:29], s[6:7], v25, s51, v[14:15]
	v_mov_b32_e32 v14, v29
	v_mad_u64_u32 v[30:31], s[6:7], v25, s52, v[14:15]
	v_mov_b32_e32 v14, v31
	v_mad_u64_u32 v[32:33], s[6:7], v25, s53, v[14:15]
	v_mov_b32_e32 v14, v33
	v_mad_u64_u32 v[34:35], s[6:7], v25, s54, v[14:15]
	v_mov_b32_e32 v14, v35
	v_mad_u64_u32 v[36:37], s[6:7], v25, s55, v[14:15]
	v_mov_b32_e32 v14, v37
	v_mad_u64_u32 v[38:39], s[6:7], v25, s56, v[14:15]
	v_cndmask_b32_e32 v27, v36, v32, vcc
	v_cndmask_b32_e32 v14, v38, v34, vcc
	;; [unrolled: 1-line block ×3, first 2 shown]
	v_cndmask_b32_e64 v25, v14, v27, s[0:1]
	v_cndmask_b32_e64 v14, v29, v14, s[0:1]
	v_cndmask_b32_e32 v29, v34, v30, vcc
	v_cndmask_b32_e64 v27, v27, v29, s[0:1]
	v_cndmask_b32_e32 v28, v32, v28, vcc
	v_cndmask_b32_e64 v14, v14, v25, s[2:3]
	v_cndmask_b32_e64 v25, v25, v27, s[2:3]
	v_sub_u32_e32 v31, 32, v40
	v_cndmask_b32_e64 v29, v29, v28, s[0:1]
	v_alignbit_b32 v33, v14, v25, v31
	v_cmp_eq_u32_e64 s[6:7], 0, v40
	v_cndmask_b32_e64 v27, v27, v29, s[2:3]
	v_cndmask_b32_e64 v14, v33, v14, s[6:7]
	v_alignbit_b32 v32, v25, v27, v31
	v_cndmask_b32_e32 v26, v30, v26, vcc
	v_cndmask_b32_e64 v25, v32, v25, s[6:7]
	v_bfe_u32 v34, v14, 29, 1
	v_cndmask_b32_e64 v26, v28, v26, s[0:1]
	v_alignbit_b32 v32, v14, v25, 30
	v_sub_u32_e32 v35, 0, v34
	v_cndmask_b32_e64 v26, v29, v26, s[2:3]
	v_xor_b32_e32 v36, v32, v35
	v_alignbit_b32 v28, v27, v26, v31
	v_cndmask_b32_e64 v27, v28, v27, s[6:7]
	v_ffbh_u32_e32 v28, v36
	v_add_u32_e32 v28, 1, v28
	v_cmp_ne_u32_e32 vcc, v32, v35
	v_alignbit_b32 v25, v25, v27, 30
	v_cndmask_b32_e32 v28, 33, v28, vcc
	v_alignbit_b32 v26, v27, v26, 30
	v_xor_b32_e32 v25, v25, v35
	v_sub_u32_e32 v29, 32, v28
	v_xor_b32_e32 v26, v26, v35
	v_alignbit_b32 v30, v36, v25, v29
	v_alignbit_b32 v25, v25, v26, v29
	;; [unrolled: 1-line block ×3, first 2 shown]
	v_ffbh_u32_e32 v27, v26
	v_min_u32_e32 v27, 32, v27
	v_lshrrev_b32_e32 v33, 29, v14
	v_sub_u32_e32 v29, 31, v27
	v_alignbit_b32 v25, v26, v25, v29
	v_lshlrev_b32_e32 v26, 31, v33
	v_or_b32_e32 v29, 0x33800000, v26
	v_add_lshl_u32 v27, v27, v28, 23
	v_lshrrev_b32_e32 v25, 9, v25
	v_sub_u32_e32 v27, v29, v27
	v_or_b32_e32 v25, v27, v25
	v_alignbit_b32 v27, v28, v30, 9
	v_or_b32_e32 v26, v27, v26
	v_xor_b32_e32 v26, 1.0, v26
	v_mul_f32_e32 v27, 0x3fc90fda, v26
	v_fma_f32 v28, v26, s57, -v27
	v_fmac_f32_e32 v28, 0x33a22168, v26
	v_fmac_f32_e32 v28, 0x3fc90fda, v25
	v_lshrrev_b32_e32 v14, 30, v14
	v_add_f32_e32 v27, v27, v28
	v_add_u32_e32 v14, v34, v14
                                        ; implicit-def: $vgpr28
	s_andn2_saveexec_b64 s[0:1], s[34:35]
	s_cbranch_execnz .LBB249_43
	s_branch .LBB249_44
.LBB249_42:                             ;   in Loop: Header=BB249_4 Depth=1
	s_andn2_saveexec_b64 s[0:1], s[34:35]
.LBB249_43:                             ;   in Loop: Header=BB249_4 Depth=1
	v_cvt_i32_f32_e32 v14, v28
	v_fma_f32 v27, v28, s59, |v9|
	v_fmac_f32_e32 v27, 0xb3a22168, v28
	v_fmac_f32_e32 v27, 0xa7c234c4, v28
.LBB249_44:                             ;   in Loop: Header=BB249_4 Depth=1
	s_or_b64 exec, exec, s[0:1]
	v_mul_f32_e32 v25, v13, v13
	v_mov_b32_e32 v26, 0x3c0881c4
	v_fmac_f32_e32 v26, 0xb94c1982, v25
	v_fma_f32 v26, v25, v26, v1
	v_mul_f32_e32 v26, v25, v26
	v_fmac_f32_e32 v13, v13, v26
	v_mov_b32_e32 v26, 0xbab64f3b
	v_fmac_f32_e32 v26, 0x37d75334, v25
	v_fma_f32 v26, v25, v26, v17
	v_fma_f32 v26, v25, v26, v20
	v_fma_f32 v25, v25, v26, 1.0
	v_and_b32_e32 v26, 1, v6
	v_cmp_eq_u32_e32 vcc, 0, v26
	v_lshlrev_b32_e32 v6, 30, v6
	v_cndmask_b32_e64 v13, -v13, v25, vcc
	v_and_b32_e32 v6, 0x80000000, v6
	v_xor_b32_e32 v6, v6, v13
	v_cmp_class_f32_e64 vcc, v9, s63
	v_mul_f32_e32 v9, v27, v27
	v_mov_b32_e32 v13, 0x3c0881c4
	v_fmac_f32_e32 v13, 0xb94c1982, v9
	v_fma_f32 v13, v9, v13, v1
	v_mul_f32_e32 v13, v9, v13
	v_fmac_f32_e32 v27, v27, v13
	v_mov_b32_e32 v13, 0xbab64f3b
	v_fmac_f32_e32 v13, 0x37d75334, v9
	v_fma_f32 v13, v9, v13, v17
	v_fma_f32 v13, v9, v13, v20
	v_fma_f32 v9, v9, v13, 1.0
	v_and_b32_e32 v13, 1, v14
	v_cmp_eq_u32_e64 s[0:1], 0, v13
	v_lshlrev_b32_e32 v13, 30, v14
	v_cndmask_b32_e64 v9, v9, v27, s[0:1]
	v_and_or_b32 v12, v13, s46, v12
	v_xor_b32_e32 v9, v12, v9
	v_xor_b32_e32 v7, v9, v7
	v_cndmask_b32_e32 v6, v24, v6, vcc
	v_cndmask_b32_e32 v7, v24, v7, vcc
.LBB249_45:                             ;   in Loop: Header=BB249_4 Depth=1
	s_or_b64 exec, exec, s[30:31]
.LBB249_46:                             ;   in Loop: Header=BB249_4 Depth=1
	s_andn2_saveexec_b64 s[0:1], s[28:29]
	s_cbranch_execz .LBB249_48
; %bb.47:                               ;   in Loop: Header=BB249_4 Depth=1
	v_mul_f32_e32 v6, 0xbfb8aa3b, v8
	v_rndne_f32_e32 v9, v6
	v_sub_f32_e32 v12, v6, v9
	v_fma_f32 v6, v8, s60, -v6
	v_fmac_f32_e32 v6, 0xb2a5705f, v8
	v_add_f32_e32 v6, v12, v6
	v_cvt_i32_f32_e32 v9, v9
	v_exp_f32_e32 v6, v6
	v_cmp_nlt_f32_e32 vcc, s61, v8
	v_ldexp_f32 v6, v6, v9
	v_cndmask_b32_e32 v6, 0, v6, vcc
	v_cmp_ngt_f32_e32 vcc, s62, v8
	v_cndmask_b32_e32 v6, v23, v6, vcc
.LBB249_48:                             ;   in Loop: Header=BB249_4 Depth=1
	s_or_b64 exec, exec, s[0:1]
	v_pk_add_f32 v[8:9], v[6:7], s[14:15]
	v_cmp_gt_f32_e32 vcc, 0, v9
	v_cndmask_b32_e64 v13, v9, -v9, vcc
	v_cmp_gt_f32_e32 vcc, 0, v8
	v_cndmask_b32_e64 v12, v8, -v8, vcc
	v_cmp_ge_f32_e32 vcc, v12, v13
                                        ; implicit-def: $vgpr6_vgpr7
	s_and_saveexec_b64 s[0:1], vcc
	s_xor_b64 s[2:3], exec, s[0:1]
	s_cbranch_execz .LBB249_54
; %bb.49:                               ;   in Loop: Header=BB249_4 Depth=1
	v_cmp_neq_f32_e32 vcc, 0, v8
	v_cmp_neq_f32_e64 s[0:1], 0, v9
	s_or_b64 s[0:1], vcc, s[0:1]
                                        ; implicit-def: $vgpr6_vgpr7
	s_and_saveexec_b64 s[6:7], s[0:1]
	s_xor_b64 s[0:1], exec, s[6:7]
	s_cbranch_execz .LBB249_51
; %bb.50:                               ;   in Loop: Header=BB249_4 Depth=1
	v_div_scale_f32 v6, s[6:7], v8, v8, v9
	v_rcp_f32_e32 v7, v6
	v_div_scale_f32 v12, vcc, v9, v8, v9
	v_fma_f32 v13, -v6, v7, 1.0
	v_fmac_f32_e32 v7, v13, v7
	v_mul_f32_e32 v13, v12, v7
	v_fma_f32 v14, -v6, v13, v12
	v_fmac_f32_e32 v13, v14, v7
	v_fma_f32 v6, -v6, v13, v12
	v_div_fmas_f32 v6, v6, v7, v13
	v_div_fixup_f32 v6, v6, v8, v9
	v_fmac_f32_e32 v8, v9, v6
	v_div_scale_f32 v7, s[6:7], v8, v8, 1.0
	v_rcp_f32_e32 v9, v7
	v_fma_f32 v12, -v7, v9, 1.0
	v_fmac_f32_e32 v9, v12, v9
	v_div_scale_f32 v12, vcc, 1.0, v8, 1.0
	v_mul_f32_e32 v13, v12, v9
	v_fma_f32 v14, -v7, v13, v12
	v_fmac_f32_e32 v13, v14, v9
	v_fma_f32 v7, -v7, v13, v12
	v_div_fmas_f32 v7, v7, v9, v13
	v_div_fixup_f32 v8, v7, v8, 1.0
	v_pk_mul_f32 v[6:7], v[6:7], s[14:15] op_sel_hi:[0,1]
	v_pk_add_f32 v[12:13], v[6:7], s[14:15] op_sel:[1,0] op_sel_hi:[0,1]
	v_pk_add_f32 v[6:7], s[14:15], v[6:7] op_sel:[0,1] op_sel_hi:[1,0] neg_lo:[0,1] neg_hi:[0,1]
	v_mov_b32_e32 v13, v7
	v_pk_mul_f32 v[6:7], v[12:13], v[8:9] op_sel_hi:[1,0]
                                        ; implicit-def: $vgpr13
                                        ; implicit-def: $vgpr12
.LBB249_51:                             ;   in Loop: Header=BB249_4 Depth=1
	s_andn2_saveexec_b64 s[0:1], s[0:1]
	s_cbranch_execz .LBB249_53
; %bb.52:                               ;   in Loop: Header=BB249_4 Depth=1
	v_div_scale_f32 v6, s[6:7], v13, v13, s15
	v_rcp_f32_e32 v7, v6
	v_div_scale_f32 v8, vcc, s15, v13, s15
	v_fma_f32 v9, -v6, v7, 1.0
	v_fmac_f32_e32 v7, v9, v7
	v_mul_f32_e32 v9, v8, v7
	v_fma_f32 v14, -v6, v9, v8
	v_fmac_f32_e32 v9, v14, v7
	v_fma_f32 v6, -v6, v9, v8
	v_div_scale_f32 v8, s[6:7], v12, v12, s14
	v_rcp_f32_e32 v14, v8
	v_div_fmas_f32 v6, v6, v7, v9
	v_div_fixup_f32 v7, v6, v13, s15
	v_fma_f32 v6, -v8, v14, 1.0
	v_fmac_f32_e32 v14, v6, v14
	v_div_scale_f32 v6, vcc, s14, v12, s14
	v_mul_f32_e32 v9, v6, v14
	v_fma_f32 v13, -v8, v9, v6
	v_fmac_f32_e32 v9, v13, v14
	v_fma_f32 v6, -v8, v9, v6
	v_div_fmas_f32 v6, v6, v14, v9
	v_div_fixup_f32 v6, v6, v12, s14
.LBB249_53:                             ;   in Loop: Header=BB249_4 Depth=1
	s_or_b64 exec, exec, s[0:1]
                                        ; implicit-def: $vgpr8_vgpr9
.LBB249_54:                             ;   in Loop: Header=BB249_4 Depth=1
	s_andn2_saveexec_b64 s[0:1], s[2:3]
	s_cbranch_execz .LBB249_56
; %bb.55:                               ;   in Loop: Header=BB249_4 Depth=1
	v_div_scale_f32 v6, s[2:3], v9, v9, v8
	v_rcp_f32_e32 v7, v6
	v_div_scale_f32 v12, vcc, v8, v9, v8
	v_fma_f32 v13, -v6, v7, 1.0
	v_fmac_f32_e32 v7, v13, v7
	v_mul_f32_e32 v13, v12, v7
	v_fma_f32 v14, -v6, v13, v12
	v_fmac_f32_e32 v13, v14, v7
	v_fma_f32 v6, -v6, v13, v12
	v_div_fmas_f32 v6, v6, v7, v13
	v_div_fixup_f32 v6, v6, v9, v8
	v_fmac_f32_e32 v9, v8, v6
	v_div_scale_f32 v7, s[2:3], v9, v9, 1.0
	v_rcp_f32_e32 v8, v7
	v_fma_f32 v12, -v7, v8, 1.0
	v_fmac_f32_e32 v8, v12, v8
	v_div_scale_f32 v12, vcc, 1.0, v9, 1.0
	v_mul_f32_e32 v13, v12, v8
	v_fma_f32 v14, -v7, v13, v12
	v_fmac_f32_e32 v13, v14, v8
	v_fma_f32 v7, -v7, v13, v12
	v_div_fmas_f32 v7, v7, v8, v13
	v_pk_mov_b32 v[12:13], s[22:23], s[22:23] op_sel:[0,1]
	v_div_fixup_f32 v8, v7, v9, 1.0
	v_pk_fma_f32 v[26:27], v[6:7], s[14:15], v[12:13]
	v_pk_fma_f32 v[6:7], v[6:7], s[14:15], v[12:13] op_sel_hi:[0,1,1] neg_lo:[0,0,1] neg_hi:[0,0,1]
	v_mov_b32_e32 v27, v7
	v_pk_mul_f32 v[6:7], v[26:27], v[8:9] op_sel_hi:[1,0]
.LBB249_56:                             ;   in Loop: Header=BB249_4 Depth=1
	s_or_b64 exec, exec, s[0:1]
	v_and_b32_e32 v8, 0x7fffffff, v11
	v_xor_b32_e32 v12, 0x80000000, v11
	v_cmp_ne_u32_e32 vcc, 0, v8
                                        ; implicit-def: $vgpr13
	s_and_saveexec_b64 s[0:1], vcc
	s_xor_b64 s[28:29], exec, s[0:1]
	s_cbranch_execz .LBB249_98
; %bb.57:                               ;   in Loop: Header=BB249_4 Depth=1
	v_and_b32_e32 v9, 0x7fffffff, v10
	v_cmp_ne_u32_e32 vcc, 0, v9
                                        ; implicit-def: $vgpr13
	s_and_saveexec_b64 s[0:1], vcc
	s_xor_b64 s[30:31], exec, s[0:1]
	s_cbranch_execz .LBB249_87
; %bb.58:                               ;   in Loop: Header=BB249_4 Depth=1
	v_xor_b32_e32 v14, 0x80000000, v10
	v_cmp_gt_u32_e32 vcc, s47, v8
                                        ; implicit-def: $vgpr13
	s_and_saveexec_b64 s[0:1], vcc
	s_xor_b64 s[34:35], exec, s[0:1]
	s_cbranch_execz .LBB249_80
; %bb.59:                               ;   in Loop: Header=BB249_4 Depth=1
	v_add_u32_e32 v9, 0xbd4e8de8, v14
	v_cmp_lt_u32_e32 vcc, s48, v9
                                        ; implicit-def: $vgpr13
	s_and_saveexec_b64 s[0:1], vcc
	s_xor_b64 s[36:37], exec, s[0:1]
	s_cbranch_execz .LBB249_69
; %bb.60:                               ;   in Loop: Header=BB249_4 Depth=1
	v_cmp_nlt_f32_e64 s[38:39], |v11|, s49
                                        ; implicit-def: $vgpr9
                                        ; implicit-def: $vgpr13
	s_and_saveexec_b64 s[0:1], s[38:39]
	s_xor_b64 s[40:41], exec, s[0:1]
	s_cbranch_execz .LBB249_62
; %bb.61:                               ;   in Loop: Header=BB249_4 Depth=1
	v_lshrrev_b32_e32 v9, 23, v8
	v_add_u32_e32 v9, 0xffffff88, v9
	v_cmp_lt_u32_e32 vcc, 63, v9
	v_cndmask_b32_e32 v13, 0, v21, vcc
	v_add_u32_e32 v9, v13, v9
	v_cmp_lt_u32_e64 s[0:1], 31, v9
	v_cndmask_b32_e64 v13, 0, v22, s[0:1]
	v_add_u32_e32 v9, v13, v9
	v_cmp_lt_u32_e64 s[2:3], 31, v9
	v_cndmask_b32_e64 v13, 0, v22, s[2:3]
	v_add_u32_e32 v9, v13, v9
	v_and_b32_e32 v13, 0x7fffff, v8
	v_or_b32_e32 v13, 0x800000, v13
	v_mad_u64_u32 v[26:27], s[6:7], v13, s50, 0
	v_mov_b32_e32 v14, v27
	v_mad_u64_u32 v[28:29], s[6:7], v13, s51, v[14:15]
	v_mov_b32_e32 v14, v29
	v_mad_u64_u32 v[30:31], s[6:7], v13, s52, v[14:15]
	v_mov_b32_e32 v14, v31
	v_mad_u64_u32 v[32:33], s[6:7], v13, s53, v[14:15]
	v_mov_b32_e32 v14, v33
	v_mad_u64_u32 v[34:35], s[6:7], v13, s54, v[14:15]
	v_mov_b32_e32 v14, v35
	v_mad_u64_u32 v[36:37], s[6:7], v13, s55, v[14:15]
	v_mov_b32_e32 v14, v37
	v_mad_u64_u32 v[38:39], s[6:7], v13, s56, v[14:15]
	v_cndmask_b32_e32 v25, v36, v32, vcc
	v_cndmask_b32_e32 v13, v38, v34, vcc
	;; [unrolled: 1-line block ×3, first 2 shown]
	v_cndmask_b32_e64 v14, v13, v25, s[0:1]
	v_cndmask_b32_e64 v13, v27, v13, s[0:1]
	v_cndmask_b32_e32 v27, v34, v30, vcc
	v_cndmask_b32_e64 v25, v25, v27, s[0:1]
	v_cndmask_b32_e64 v13, v13, v14, s[2:3]
	;; [unrolled: 1-line block ×3, first 2 shown]
	v_sub_u32_e32 v29, 32, v9
	v_alignbit_b32 v31, v13, v14, v29
	v_cmp_eq_u32_e64 s[6:7], 0, v9
	v_cndmask_b32_e64 v9, v31, v13, s[6:7]
	v_cndmask_b32_e32 v13, v32, v28, vcc
	v_cndmask_b32_e64 v27, v27, v13, s[0:1]
	v_cndmask_b32_e64 v25, v25, v27, s[2:3]
	v_alignbit_b32 v28, v14, v25, v29
	v_cndmask_b32_e32 v26, v30, v26, vcc
	v_cndmask_b32_e64 v14, v28, v14, s[6:7]
	v_bfe_u32 v32, v9, 29, 1
	v_cndmask_b32_e64 v13, v13, v26, s[0:1]
	v_alignbit_b32 v28, v9, v14, 30
	v_sub_u32_e32 v33, 0, v32
	v_cndmask_b32_e64 v13, v27, v13, s[2:3]
	v_xor_b32_e32 v34, v28, v33
	v_alignbit_b32 v26, v25, v13, v29
	v_cndmask_b32_e64 v25, v26, v25, s[6:7]
	v_ffbh_u32_e32 v26, v34
	v_add_u32_e32 v26, 1, v26
	v_cmp_ne_u32_e32 vcc, v28, v33
	v_alignbit_b32 v14, v14, v25, 30
	v_cndmask_b32_e32 v26, 33, v26, vcc
	v_alignbit_b32 v13, v25, v13, 30
	v_xor_b32_e32 v14, v14, v33
	v_sub_u32_e32 v27, 32, v26
	v_xor_b32_e32 v13, v13, v33
	v_alignbit_b32 v28, v34, v14, v27
	v_alignbit_b32 v13, v14, v13, v27
	;; [unrolled: 1-line block ×3, first 2 shown]
	v_ffbh_u32_e32 v25, v14
	v_min_u32_e32 v25, 32, v25
	v_lshrrev_b32_e32 v31, 29, v9
	v_sub_u32_e32 v27, 31, v25
	v_alignbit_b32 v13, v14, v13, v27
	v_lshlrev_b32_e32 v14, 31, v31
	v_or_b32_e32 v27, 0x33800000, v14
	v_add_lshl_u32 v25, v25, v26, 23
	v_lshrrev_b32_e32 v13, 9, v13
	v_sub_u32_e32 v25, v27, v25
	v_or_b32_e32 v13, v25, v13
	v_alignbit_b32 v25, v26, v28, 9
	v_or_b32_e32 v14, v25, v14
	v_xor_b32_e32 v14, 1.0, v14
	v_mul_f32_e32 v25, 0x3fc90fda, v14
	v_fma_f32 v26, v14, s57, -v25
	v_fmac_f32_e32 v26, 0x33a22168, v14
	v_fmac_f32_e32 v26, 0x3fc90fda, v13
	v_lshrrev_b32_e32 v9, 30, v9
	v_add_f32_e32 v13, v25, v26
	v_add_u32_e32 v9, v32, v9
	s_andn2_saveexec_b64 s[0:1], s[40:41]
	s_branch .LBB249_63
.LBB249_62:                             ;   in Loop: Header=BB249_4 Depth=1
	s_andn2_saveexec_b64 s[0:1], s[40:41]
.LBB249_63:                             ;   in Loop: Header=BB249_4 Depth=1
	v_mul_f32_e64 v9, |v11|, s58
	v_rndne_f32_e32 v14, v9
	v_cvt_i32_f32_e32 v9, v14
	v_fma_f32 v13, v14, s59, |v11|
	v_fmac_f32_e32 v13, 0xb3a22168, v14
	v_fmac_f32_e32 v13, 0xa7c234c4, v14
; %bb.64:                               ;   in Loop: Header=BB249_4 Depth=1
	s_or_b64 exec, exec, s[0:1]
                                        ; implicit-def: $vgpr14
                                        ; implicit-def: $vgpr25
	s_and_saveexec_b64 s[0:1], s[38:39]
	s_xor_b64 s[38:39], exec, s[0:1]
	s_cbranch_execz .LBB249_66
; %bb.65:                               ;   in Loop: Header=BB249_4 Depth=1
	v_lshrrev_b32_e32 v14, 23, v8
	v_add_u32_e32 v14, 0xffffff88, v14
	v_cmp_lt_u32_e32 vcc, 63, v14
	v_cndmask_b32_e32 v25, 0, v21, vcc
	v_add_u32_e32 v14, v25, v14
	v_cmp_lt_u32_e64 s[0:1], 31, v14
	v_cndmask_b32_e64 v25, 0, v22, s[0:1]
	v_add_u32_e32 v14, v25, v14
	v_cmp_lt_u32_e64 s[2:3], 31, v14
	v_cndmask_b32_e64 v25, 0, v22, s[2:3]
	v_add_u32_e32 v25, v25, v14
	v_and_b32_e32 v14, 0x7fffff, v8
	v_or_b32_e32 v38, 0x800000, v14
	v_mad_u64_u32 v[26:27], s[6:7], v38, s50, 0
	v_mov_b32_e32 v14, v27
	v_mad_u64_u32 v[28:29], s[6:7], v38, s51, v[14:15]
	v_mov_b32_e32 v14, v29
	;; [unrolled: 2-line block ×6, first 2 shown]
	v_mad_u64_u32 v[38:39], s[6:7], v38, s56, v[14:15]
	v_cndmask_b32_e32 v27, v36, v32, vcc
	v_cndmask_b32_e32 v14, v38, v34, vcc
	v_cndmask_b32_e32 v31, v39, v36, vcc
	v_cndmask_b32_e64 v29, v14, v27, s[0:1]
	v_cndmask_b32_e64 v14, v31, v14, s[0:1]
	v_cndmask_b32_e32 v31, v34, v30, vcc
	v_cndmask_b32_e64 v27, v27, v31, s[0:1]
	v_sub_u32_e32 v33, 32, v25
	v_cmp_eq_u32_e64 s[6:7], 0, v25
	v_cndmask_b32_e32 v25, v32, v28, vcc
	v_cndmask_b32_e64 v14, v14, v29, s[2:3]
	v_cndmask_b32_e64 v29, v29, v27, s[2:3]
	;; [unrolled: 1-line block ×3, first 2 shown]
	v_alignbit_b32 v34, v14, v29, v33
	v_cndmask_b32_e64 v27, v27, v28, s[2:3]
	v_cndmask_b32_e64 v14, v34, v14, s[6:7]
	v_alignbit_b32 v31, v29, v27, v33
	v_cndmask_b32_e64 v29, v31, v29, s[6:7]
	v_bfe_u32 v34, v14, 29, 1
	v_cndmask_b32_e32 v26, v30, v26, vcc
	v_alignbit_b32 v31, v14, v29, 30
	v_sub_u32_e32 v35, 0, v34
	v_cndmask_b32_e64 v25, v25, v26, s[0:1]
	v_xor_b32_e32 v36, v31, v35
	v_cndmask_b32_e64 v25, v28, v25, s[2:3]
	v_alignbit_b32 v26, v27, v25, v33
	v_ffbh_u32_e32 v28, v36
	v_cndmask_b32_e64 v26, v26, v27, s[6:7]
	v_add_u32_e32 v28, 1, v28
	v_cmp_ne_u32_e32 vcc, v31, v35
	v_alignbit_b32 v27, v29, v26, 30
	v_cndmask_b32_e32 v28, 33, v28, vcc
	v_alignbit_b32 v25, v26, v25, 30
	v_xor_b32_e32 v27, v27, v35
	v_sub_u32_e32 v29, 32, v28
	v_xor_b32_e32 v25, v25, v35
	v_alignbit_b32 v30, v36, v27, v29
	v_alignbit_b32 v25, v27, v25, v29
	;; [unrolled: 1-line block ×3, first 2 shown]
	v_ffbh_u32_e32 v27, v26
	v_min_u32_e32 v27, 32, v27
	v_lshrrev_b32_e32 v32, 29, v14
	v_sub_u32_e32 v29, 31, v27
	v_alignbit_b32 v25, v26, v25, v29
	v_lshlrev_b32_e32 v26, 31, v32
	v_or_b32_e32 v29, 0x33800000, v26
	v_add_lshl_u32 v27, v27, v28, 23
	v_lshrrev_b32_e32 v25, 9, v25
	v_sub_u32_e32 v27, v29, v27
	v_or_b32_e32 v25, v27, v25
	v_alignbit_b32 v27, v28, v30, 9
	v_or_b32_e32 v26, v27, v26
	v_xor_b32_e32 v26, 1.0, v26
	v_mul_f32_e32 v27, 0x3fc90fda, v26
	v_fma_f32 v28, v26, s57, -v27
	v_fmac_f32_e32 v28, 0x33a22168, v26
	v_fmac_f32_e32 v28, 0x3fc90fda, v25
	v_lshrrev_b32_e32 v14, 30, v14
	v_add_f32_e32 v25, v27, v28
	v_add_u32_e32 v14, v34, v14
	s_andn2_saveexec_b64 s[0:1], s[38:39]
	s_cbranch_execnz .LBB249_67
	s_branch .LBB249_68
.LBB249_66:                             ;   in Loop: Header=BB249_4 Depth=1
	s_andn2_saveexec_b64 s[0:1], s[38:39]
.LBB249_67:                             ;   in Loop: Header=BB249_4 Depth=1
	v_mul_f32_e64 v14, |v11|, s58
	v_rndne_f32_e32 v26, v14
	v_cvt_i32_f32_e32 v14, v26
	v_fma_f32 v25, v26, s59, |v11|
	v_fmac_f32_e32 v25, 0xb3a22168, v26
	v_fmac_f32_e32 v25, 0xa7c234c4, v26
.LBB249_68:                             ;   in Loop: Header=BB249_4 Depth=1
	s_or_b64 exec, exec, s[0:1]
	v_mul_f32_e32 v26, 0xbfb8aa3b, v10
	v_rndne_f32_e32 v27, v26
	v_sub_f32_e32 v28, v26, v27
	v_fma_f32 v26, v10, s60, -v26
	v_fmac_f32_e32 v26, 0xb2a5705f, v10
	v_add_f32_e32 v26, v28, v26
	v_cvt_i32_f32_e32 v27, v27
	v_exp_f32_e32 v26, v26
	v_cmp_nlt_f32_e32 vcc, s61, v10
	v_ldexp_f32 v26, v26, v27
	v_cndmask_b32_e32 v26, 0, v26, vcc
	v_cmp_ngt_f32_e32 vcc, s62, v10
	v_cndmask_b32_e32 v10, v23, v26, vcc
	v_mul_f32_e32 v26, v13, v13
	v_mov_b32_e32 v27, 0x3c0881c4
	v_fmac_f32_e32 v27, 0xb94c1982, v26
	v_fma_f32 v27, v26, v27, v1
	v_mul_f32_e32 v27, v26, v27
	v_fmac_f32_e32 v13, v13, v27
	v_mov_b32_e32 v27, 0xbab64f3b
	v_fmac_f32_e32 v27, 0x37d75334, v26
	v_fma_f32 v27, v26, v27, v17
	v_fma_f32 v27, v26, v27, v20
	v_fma_f32 v26, v26, v27, 1.0
	v_and_b32_e32 v27, 1, v9
	v_cmp_eq_u32_e32 vcc, 0, v27
	v_lshlrev_b32_e32 v9, 30, v9
	v_cndmask_b32_e64 v13, -v13, v26, vcc
	v_and_b32_e32 v9, 0x80000000, v9
	v_xor_b32_e32 v9, v9, v13
	v_cmp_class_f32_e64 vcc, v11, s63
	v_cndmask_b32_e32 v9, v24, v9, vcc
	v_mul_f32_e32 v13, v10, v9
	v_mul_f32_e32 v9, v25, v25
	v_mov_b32_e32 v11, 0x3c0881c4
	v_fmac_f32_e32 v11, 0xb94c1982, v9
	v_fma_f32 v11, v9, v11, v1
	v_mul_f32_e32 v11, v9, v11
	v_fmac_f32_e32 v25, v25, v11
	v_mov_b32_e32 v11, 0xbab64f3b
	v_fmac_f32_e32 v11, 0x37d75334, v9
	v_fma_f32 v11, v9, v11, v17
	v_fma_f32 v11, v9, v11, v20
	v_fma_f32 v9, v9, v11, 1.0
	v_and_b32_e32 v11, 1, v14
	v_cmp_eq_u32_e64 s[0:1], 0, v11
	v_lshlrev_b32_e32 v11, 30, v14
	v_cndmask_b32_e64 v9, v9, v25, s[0:1]
	v_and_or_b32 v8, v11, s46, v8
	v_xor_b32_e32 v8, v8, v9
	v_xor_b32_e32 v8, v8, v12
	v_cndmask_b32_e32 v8, v24, v8, vcc
	v_mul_f32_e32 v12, v10, v8
                                        ; implicit-def: $vgpr8_vgpr9_vgpr10_vgpr11
                                        ; implicit-def: $vgpr8
.LBB249_69:                             ;   in Loop: Header=BB249_4 Depth=1
	s_andn2_saveexec_b64 s[36:37], s[36:37]
	s_cbranch_execz .LBB249_79
; %bb.70:                               ;   in Loop: Header=BB249_4 Depth=1
	v_cmp_nlt_f32_e64 s[38:39], |v11|, s49
                                        ; implicit-def: $vgpr13
                                        ; implicit-def: $vgpr9
	s_and_saveexec_b64 s[0:1], s[38:39]
	s_xor_b64 s[40:41], exec, s[0:1]
	s_cbranch_execz .LBB249_72
; %bb.71:                               ;   in Loop: Header=BB249_4 Depth=1
	v_lshrrev_b32_e32 v9, 23, v8
	v_add_u32_e32 v9, 0xffffff88, v9
	v_cmp_lt_u32_e32 vcc, 63, v9
	v_cndmask_b32_e32 v13, 0, v21, vcc
	v_add_u32_e32 v9, v13, v9
	v_cmp_lt_u32_e64 s[0:1], 31, v9
	v_cndmask_b32_e64 v13, 0, v22, s[0:1]
	v_add_u32_e32 v9, v13, v9
	v_cmp_lt_u32_e64 s[2:3], 31, v9
	v_cndmask_b32_e64 v13, 0, v22, s[2:3]
	v_add_u32_e32 v9, v13, v9
	v_and_b32_e32 v13, 0x7fffff, v8
	v_or_b32_e32 v13, 0x800000, v13
	v_mad_u64_u32 v[26:27], s[6:7], v13, s50, 0
	v_mov_b32_e32 v14, v27
	v_mad_u64_u32 v[28:29], s[6:7], v13, s51, v[14:15]
	v_mov_b32_e32 v14, v29
	;; [unrolled: 2-line block ×6, first 2 shown]
	v_mad_u64_u32 v[38:39], s[6:7], v13, s56, v[14:15]
	v_cndmask_b32_e32 v25, v36, v32, vcc
	v_cndmask_b32_e32 v13, v38, v34, vcc
	;; [unrolled: 1-line block ×3, first 2 shown]
	v_cndmask_b32_e64 v14, v13, v25, s[0:1]
	v_cndmask_b32_e64 v13, v27, v13, s[0:1]
	v_cndmask_b32_e32 v27, v34, v30, vcc
	v_cndmask_b32_e64 v25, v25, v27, s[0:1]
	v_sub_u32_e32 v29, 32, v9
	v_cmp_eq_u32_e64 s[6:7], 0, v9
	v_cndmask_b32_e32 v9, v32, v28, vcc
	v_cndmask_b32_e64 v13, v13, v14, s[2:3]
	v_cndmask_b32_e64 v14, v14, v25, s[2:3]
	;; [unrolled: 1-line block ×3, first 2 shown]
	v_alignbit_b32 v31, v13, v14, v29
	v_cndmask_b32_e64 v25, v25, v27, s[2:3]
	v_cndmask_b32_e64 v13, v31, v13, s[6:7]
	v_alignbit_b32 v28, v14, v25, v29
	v_cndmask_b32_e32 v26, v30, v26, vcc
	v_cndmask_b32_e64 v14, v28, v14, s[6:7]
	v_bfe_u32 v32, v13, 29, 1
	v_cndmask_b32_e64 v9, v9, v26, s[0:1]
	v_alignbit_b32 v28, v13, v14, 30
	v_sub_u32_e32 v33, 0, v32
	v_cndmask_b32_e64 v9, v27, v9, s[2:3]
	v_xor_b32_e32 v34, v28, v33
	v_alignbit_b32 v26, v25, v9, v29
	v_cndmask_b32_e64 v25, v26, v25, s[6:7]
	v_ffbh_u32_e32 v26, v34
	v_add_u32_e32 v26, 1, v26
	v_cmp_ne_u32_e32 vcc, v28, v33
	v_alignbit_b32 v14, v14, v25, 30
	v_cndmask_b32_e32 v26, 33, v26, vcc
	v_alignbit_b32 v9, v25, v9, 30
	v_xor_b32_e32 v14, v14, v33
	v_sub_u32_e32 v27, 32, v26
	v_xor_b32_e32 v9, v9, v33
	v_alignbit_b32 v28, v34, v14, v27
	v_alignbit_b32 v9, v14, v9, v27
	;; [unrolled: 1-line block ×3, first 2 shown]
	v_ffbh_u32_e32 v25, v14
	v_min_u32_e32 v25, 32, v25
	v_lshrrev_b32_e32 v31, 29, v13
	v_sub_u32_e32 v27, 31, v25
	v_alignbit_b32 v9, v14, v9, v27
	v_lshlrev_b32_e32 v14, 31, v31
	v_or_b32_e32 v27, 0x33800000, v14
	v_add_lshl_u32 v25, v25, v26, 23
	v_lshrrev_b32_e32 v9, 9, v9
	v_sub_u32_e32 v25, v27, v25
	v_or_b32_e32 v9, v25, v9
	v_alignbit_b32 v25, v26, v28, 9
	v_or_b32_e32 v14, v25, v14
	v_xor_b32_e32 v14, 1.0, v14
	v_mul_f32_e32 v25, 0x3fc90fda, v14
	v_fma_f32 v26, v14, s57, -v25
	v_fmac_f32_e32 v26, 0x33a22168, v14
	v_fmac_f32_e32 v26, 0x3fc90fda, v9
	v_lshrrev_b32_e32 v13, 30, v13
	v_add_f32_e32 v9, v25, v26
	v_add_u32_e32 v13, v32, v13
	s_andn2_saveexec_b64 s[0:1], s[40:41]
	s_branch .LBB249_73
.LBB249_72:                             ;   in Loop: Header=BB249_4 Depth=1
	s_andn2_saveexec_b64 s[0:1], s[40:41]
.LBB249_73:                             ;   in Loop: Header=BB249_4 Depth=1
	v_mul_f32_e64 v9, |v11|, s58
	v_rndne_f32_e32 v14, v9
	v_cvt_i32_f32_e32 v13, v14
	v_fma_f32 v9, v14, s59, |v11|
	v_fmac_f32_e32 v9, 0xb3a22168, v14
	v_fmac_f32_e32 v9, 0xa7c234c4, v14
; %bb.74:                               ;   in Loop: Header=BB249_4 Depth=1
	s_or_b64 exec, exec, s[0:1]
                                        ; implicit-def: $vgpr14
                                        ; implicit-def: $vgpr25
	s_and_saveexec_b64 s[0:1], s[38:39]
	s_xor_b64 s[38:39], exec, s[0:1]
	s_cbranch_execz .LBB249_76
; %bb.75:                               ;   in Loop: Header=BB249_4 Depth=1
	v_lshrrev_b32_e32 v14, 23, v8
	v_add_u32_e32 v14, 0xffffff88, v14
	v_cmp_lt_u32_e32 vcc, 63, v14
	v_cndmask_b32_e32 v25, 0, v21, vcc
	v_add_u32_e32 v14, v25, v14
	v_cmp_lt_u32_e64 s[0:1], 31, v14
	v_cndmask_b32_e64 v25, 0, v22, s[0:1]
	v_add_u32_e32 v14, v25, v14
	v_cmp_lt_u32_e64 s[2:3], 31, v14
	v_cndmask_b32_e64 v25, 0, v22, s[2:3]
	v_add_u32_e32 v25, v25, v14
	v_and_b32_e32 v14, 0x7fffff, v8
	v_or_b32_e32 v38, 0x800000, v14
	v_mad_u64_u32 v[26:27], s[6:7], v38, s50, 0
	v_mov_b32_e32 v14, v27
	v_mad_u64_u32 v[28:29], s[6:7], v38, s51, v[14:15]
	v_mov_b32_e32 v14, v29
	;; [unrolled: 2-line block ×6, first 2 shown]
	v_mad_u64_u32 v[38:39], s[6:7], v38, s56, v[14:15]
	v_cndmask_b32_e32 v27, v36, v32, vcc
	v_cndmask_b32_e32 v14, v38, v34, vcc
	;; [unrolled: 1-line block ×3, first 2 shown]
	v_cndmask_b32_e64 v29, v14, v27, s[0:1]
	v_cndmask_b32_e64 v14, v31, v14, s[0:1]
	v_cndmask_b32_e32 v31, v34, v30, vcc
	v_cndmask_b32_e64 v27, v27, v31, s[0:1]
	v_sub_u32_e32 v33, 32, v25
	v_cmp_eq_u32_e64 s[6:7], 0, v25
	v_cndmask_b32_e32 v25, v32, v28, vcc
	v_cndmask_b32_e64 v14, v14, v29, s[2:3]
	v_cndmask_b32_e64 v29, v29, v27, s[2:3]
	;; [unrolled: 1-line block ×3, first 2 shown]
	v_alignbit_b32 v34, v14, v29, v33
	v_cndmask_b32_e64 v27, v27, v28, s[2:3]
	v_cndmask_b32_e64 v14, v34, v14, s[6:7]
	v_alignbit_b32 v31, v29, v27, v33
	v_cndmask_b32_e64 v29, v31, v29, s[6:7]
	v_bfe_u32 v34, v14, 29, 1
	v_cndmask_b32_e32 v26, v30, v26, vcc
	v_alignbit_b32 v31, v14, v29, 30
	v_sub_u32_e32 v35, 0, v34
	v_cndmask_b32_e64 v25, v25, v26, s[0:1]
	v_xor_b32_e32 v36, v31, v35
	v_cndmask_b32_e64 v25, v28, v25, s[2:3]
	v_alignbit_b32 v26, v27, v25, v33
	v_ffbh_u32_e32 v28, v36
	v_cndmask_b32_e64 v26, v26, v27, s[6:7]
	v_add_u32_e32 v28, 1, v28
	v_cmp_ne_u32_e32 vcc, v31, v35
	v_alignbit_b32 v27, v29, v26, 30
	v_cndmask_b32_e32 v28, 33, v28, vcc
	v_alignbit_b32 v25, v26, v25, 30
	v_xor_b32_e32 v27, v27, v35
	v_sub_u32_e32 v29, 32, v28
	v_xor_b32_e32 v25, v25, v35
	v_alignbit_b32 v30, v36, v27, v29
	v_alignbit_b32 v25, v27, v25, v29
	;; [unrolled: 1-line block ×3, first 2 shown]
	v_ffbh_u32_e32 v27, v26
	v_min_u32_e32 v27, 32, v27
	v_lshrrev_b32_e32 v32, 29, v14
	v_sub_u32_e32 v29, 31, v27
	v_alignbit_b32 v25, v26, v25, v29
	v_lshlrev_b32_e32 v26, 31, v32
	v_or_b32_e32 v29, 0x33800000, v26
	v_add_lshl_u32 v27, v27, v28, 23
	v_lshrrev_b32_e32 v25, 9, v25
	v_sub_u32_e32 v27, v29, v27
	v_or_b32_e32 v25, v27, v25
	v_alignbit_b32 v27, v28, v30, 9
	v_or_b32_e32 v26, v27, v26
	v_xor_b32_e32 v26, 1.0, v26
	v_mul_f32_e32 v27, 0x3fc90fda, v26
	v_fma_f32 v28, v26, s57, -v27
	v_fmac_f32_e32 v28, 0x33a22168, v26
	v_fmac_f32_e32 v28, 0x3fc90fda, v25
	v_lshrrev_b32_e32 v14, 30, v14
	v_add_f32_e32 v25, v27, v28
	v_add_u32_e32 v14, v34, v14
	s_andn2_saveexec_b64 s[0:1], s[38:39]
	s_cbranch_execnz .LBB249_77
	s_branch .LBB249_78
.LBB249_76:                             ;   in Loop: Header=BB249_4 Depth=1
	s_andn2_saveexec_b64 s[0:1], s[38:39]
.LBB249_77:                             ;   in Loop: Header=BB249_4 Depth=1
	v_mul_f32_e64 v14, |v11|, s58
	v_rndne_f32_e32 v26, v14
	v_cvt_i32_f32_e32 v14, v26
	v_fma_f32 v25, v26, s59, |v11|
	v_fmac_f32_e32 v25, 0xb3a22168, v26
	v_fmac_f32_e32 v25, 0xa7c234c4, v26
.LBB249_78:                             ;   in Loop: Header=BB249_4 Depth=1
	s_or_b64 exec, exec, s[0:1]
	v_mul_f32_e32 v27, v9, v9
	v_mov_b32_e32 v28, 0xbab64f3b
	v_fmac_f32_e32 v28, 0x37d75334, v27
	v_mov_b32_e32 v29, 0x3c0881c4
	v_fma_f32 v28, v27, v28, v17
	v_fmac_f32_e32 v29, 0xb94c1982, v27
	v_fma_f32 v28, v27, v28, v20
	v_fma_f32 v29, v27, v29, v1
	v_lshlrev_b32_e32 v26, 30, v13
	v_and_b32_e32 v13, 1, v13
	v_fma_f32 v28, v27, v28, 1.0
	v_mul_f32_e32 v27, v27, v29
	v_sub_f32_e32 v10, 0xc322e3bc, v10
	v_fmac_f32_e32 v9, v9, v27
	v_cmp_eq_u32_e32 vcc, 0, v13
	v_mul_f32_e32 v13, 0x3fb8aa3b, v10
	v_cndmask_b32_e64 v9, -v9, v28, vcc
	v_fma_f32 v27, v10, s64, -v13
	v_rndne_f32_e32 v28, v13
	v_fmac_f32_e32 v27, 0x32a5705f, v10
	v_sub_f32_e32 v13, v13, v28
	v_add_f32_e32 v13, v13, v27
	v_exp_f32_e32 v13, v13
	v_cvt_i32_f32_e32 v27, v28
	v_cmp_class_f32_e64 vcc, v11, s63
	v_cmp_ngt_f32_e64 s[0:1], s65, v10
	v_and_b32_e32 v26, 0x80000000, v26
	v_ldexp_f32 v11, v13, v27
	v_cndmask_b32_e64 v11, 0, v11, s[0:1]
	v_cmp_nlt_f32_e64 s[0:1], s66, v10
	v_cndmask_b32_e64 v10, v23, v11, s[0:1]
	v_and_b32_e32 v11, 0x7fffff, v10
	v_lshrrev_b32_e32 v10, 23, v10
	v_subrev_u32_e32 v10, 19, v10
	v_lshrrev_b16_e32 v13, 15, v10
	v_add_u16_e32 v13, v10, v13
	v_xor_b32_e32 v9, v26, v9
	v_ashrrev_i16_e32 v13, 1, v13
	v_cndmask_b32_e32 v9, v24, v9, vcc
	v_or_b32_e32 v11, 0x7f000000, v11
	v_bfe_i32 v13, v13, 0, 16
	v_mul_f32_e32 v9, v9, v11
	v_lshl_add_u32 v26, v13, 23, 1.0
	v_sub_u32_e32 v10, v10, v13
	v_mul_f32_e32 v9, v9, v26
	v_lshl_add_u32 v10, v10, 23, 1.0
	v_mul_f32_e32 v13, v9, v10
	v_mul_f32_e32 v9, v25, v25
	v_mov_b32_e32 v27, 0x3c0881c4
	v_fmac_f32_e32 v27, 0xb94c1982, v9
	v_fma_f32 v27, v9, v27, v1
	v_mul_f32_e32 v27, v9, v27
	v_fmac_f32_e32 v25, v25, v27
	v_mov_b32_e32 v27, 0xbab64f3b
	v_fmac_f32_e32 v27, 0x37d75334, v9
	v_fma_f32 v27, v9, v27, v17
	v_fma_f32 v27, v9, v27, v20
	v_fma_f32 v9, v9, v27, 1.0
	v_and_b32_e32 v27, 1, v14
	v_cmp_eq_u32_e64 s[0:1], 0, v27
	v_lshlrev_b32_e32 v14, 30, v14
	v_cndmask_b32_e64 v9, v9, v25, s[0:1]
	v_and_or_b32 v8, v14, s46, v8
	v_xor_b32_e32 v8, v8, v9
	v_xor_b32_e32 v8, v8, v12
	v_cndmask_b32_e32 v8, v24, v8, vcc
	v_mul_f32_e32 v8, v8, v11
	v_mul_f32_e32 v8, v8, v26
	;; [unrolled: 1-line block ×3, first 2 shown]
.LBB249_79:                             ;   in Loop: Header=BB249_4 Depth=1
	s_or_b64 exec, exec, s[36:37]
                                        ; implicit-def: $vgpr8_vgpr9_vgpr10_vgpr11
                                        ; implicit-def: $vgpr14
                                        ; implicit-def: $vgpr9
.LBB249_80:                             ;   in Loop: Header=BB249_4 Depth=1
	s_andn2_saveexec_b64 s[0:1], s[34:35]
	s_cbranch_execz .LBB249_86
; %bb.81:                               ;   in Loop: Header=BB249_4 Depth=1
	v_cmp_ne_u32_e32 vcc, s47, v9
	v_sub_f32_e32 v12, v11, v11
	s_and_saveexec_b64 s[2:3], vcc
	s_xor_b64 s[2:3], exec, s[2:3]
; %bb.82:                               ;   in Loop: Header=BB249_4 Depth=1
                                        ; implicit-def: $vgpr14
                                        ; implicit-def: $vgpr8_vgpr9_vgpr10_vgpr11
; %bb.83:                               ;   in Loop: Header=BB249_4 Depth=1
	s_or_saveexec_b64 s[2:3], s[2:3]
	v_mov_b32_e32 v13, v12
	s_xor_b64 exec, exec, s[2:3]
; %bb.84:                               ;   in Loop: Header=BB249_4 Depth=1
	v_cmp_lt_i32_e32 vcc, -1, v14
	v_cndmask_b32_e64 v13, 0, -v10, vcc
	v_cndmask_b32_e32 v12, 0, v12, vcc
; %bb.85:                               ;   in Loop: Header=BB249_4 Depth=1
	s_or_b64 exec, exec, s[2:3]
.LBB249_86:                             ;   in Loop: Header=BB249_4 Depth=1
	s_or_b64 exec, exec, s[0:1]
                                        ; implicit-def: $vgpr8_vgpr9_vgpr10_vgpr11
                                        ; implicit-def: $vgpr8
.LBB249_87:                             ;   in Loop: Header=BB249_4 Depth=1
	s_andn2_saveexec_b64 s[30:31], s[30:31]
	s_cbranch_execz .LBB249_97
; %bb.88:                               ;   in Loop: Header=BB249_4 Depth=1
	v_lshrrev_b32_e32 v9, 23, v8
	v_and_b32_e32 v10, 0x7fffff, v8
	v_cmp_nlt_f32_e64 s[34:35], |v11|, s49
	v_add_u32_e32 v25, 0xffffff88, v9
	v_or_b32_e32 v13, 0x800000, v10
                                        ; implicit-def: $vgpr9
                                        ; implicit-def: $vgpr10
	s_and_saveexec_b64 s[0:1], s[34:35]
	s_xor_b64 s[36:37], exec, s[0:1]
	s_cbranch_execz .LBB249_90
; %bb.89:                               ;   in Loop: Header=BB249_4 Depth=1
	v_mad_u64_u32 v[26:27], s[6:7], v13, s50, 0
	v_mov_b32_e32 v14, v27
	v_mad_u64_u32 v[28:29], s[6:7], v13, s51, v[14:15]
	v_mov_b32_e32 v14, v29
	v_mad_u64_u32 v[30:31], s[6:7], v13, s52, v[14:15]
	v_cmp_lt_u32_e32 vcc, 63, v25
	v_mov_b32_e32 v14, v31
	v_cndmask_b32_e32 v9, 0, v21, vcc
	v_mad_u64_u32 v[32:33], s[6:7], v13, s53, v[14:15]
	v_add_u32_e32 v9, v9, v25
	v_mov_b32_e32 v14, v33
	v_cmp_lt_u32_e64 s[0:1], 31, v9
	v_mad_u64_u32 v[34:35], s[6:7], v13, s54, v[14:15]
	v_cndmask_b32_e64 v10, 0, v22, s[0:1]
	v_mov_b32_e32 v14, v35
	v_add_u32_e32 v9, v10, v9
	v_mad_u64_u32 v[36:37], s[6:7], v13, s55, v[14:15]
	v_cmp_lt_u32_e64 s[2:3], 31, v9
	v_mov_b32_e32 v14, v37
	v_cndmask_b32_e64 v10, 0, v22, s[2:3]
	v_mad_u64_u32 v[38:39], s[6:7], v13, s56, v[14:15]
	v_add_u32_e32 v9, v10, v9
	v_cndmask_b32_e32 v10, v36, v32, vcc
	v_cndmask_b32_e32 v14, v38, v34, vcc
	;; [unrolled: 1-line block ×3, first 2 shown]
	v_cndmask_b32_e64 v27, v14, v10, s[0:1]
	v_cndmask_b32_e64 v14, v29, v14, s[0:1]
	v_cndmask_b32_e32 v29, v34, v30, vcc
	v_cndmask_b32_e64 v10, v10, v29, s[0:1]
	v_cndmask_b32_e64 v14, v14, v27, s[2:3]
	;; [unrolled: 1-line block ×3, first 2 shown]
	v_sub_u32_e32 v31, 32, v9
	v_alignbit_b32 v33, v14, v27, v31
	v_cmp_eq_u32_e64 s[6:7], 0, v9
	v_cndmask_b32_e64 v9, v33, v14, s[6:7]
	v_cndmask_b32_e32 v14, v32, v28, vcc
	v_cndmask_b32_e64 v28, v29, v14, s[0:1]
	v_cndmask_b32_e64 v10, v10, v28, s[2:3]
	v_cndmask_b32_e32 v26, v30, v26, vcc
	v_alignbit_b32 v29, v27, v10, v31
	v_cndmask_b32_e64 v14, v14, v26, s[0:1]
	v_cndmask_b32_e64 v27, v29, v27, s[6:7]
	v_bfe_u32 v33, v9, 29, 1
	v_cndmask_b32_e64 v14, v28, v14, s[2:3]
	v_alignbit_b32 v29, v9, v27, 30
	v_sub_u32_e32 v34, 0, v33
	v_alignbit_b32 v26, v10, v14, v31
	v_xor_b32_e32 v35, v29, v34
	v_cndmask_b32_e64 v10, v26, v10, s[6:7]
	v_alignbit_b32 v26, v27, v10, 30
	v_ffbh_u32_e32 v27, v35
	v_add_u32_e32 v27, 1, v27
	v_cmp_ne_u32_e32 vcc, v29, v34
	v_cndmask_b32_e32 v27, 33, v27, vcc
	v_alignbit_b32 v10, v10, v14, 30
	v_xor_b32_e32 v26, v26, v34
	v_sub_u32_e32 v28, 32, v27
	v_xor_b32_e32 v10, v10, v34
	v_alignbit_b32 v29, v35, v26, v28
	v_alignbit_b32 v10, v26, v10, v28
	;; [unrolled: 1-line block ×3, first 2 shown]
	v_ffbh_u32_e32 v26, v14
	v_min_u32_e32 v26, 32, v26
	v_lshrrev_b32_e32 v32, 29, v9
	v_sub_u32_e32 v28, 31, v26
	v_alignbit_b32 v10, v14, v10, v28
	v_lshlrev_b32_e32 v14, 31, v32
	v_or_b32_e32 v28, 0x33800000, v14
	v_add_lshl_u32 v26, v26, v27, 23
	v_lshrrev_b32_e32 v10, 9, v10
	v_sub_u32_e32 v26, v28, v26
	v_or_b32_e32 v10, v26, v10
	v_alignbit_b32 v26, v27, v29, 9
	v_or_b32_e32 v14, v26, v14
	v_xor_b32_e32 v14, 1.0, v14
	v_mul_f32_e32 v26, 0x3fc90fda, v14
	v_fma_f32 v27, v14, s57, -v26
	v_fmac_f32_e32 v27, 0x33a22168, v14
	v_fmac_f32_e32 v27, 0x3fc90fda, v10
	v_lshrrev_b32_e32 v9, 30, v9
	v_add_f32_e32 v10, v26, v27
	v_add_u32_e32 v9, v33, v9
.LBB249_90:                             ;   in Loop: Header=BB249_4 Depth=1
	s_or_saveexec_b64 s[0:1], s[36:37]
	v_mul_f32_e64 v14, |v11|, s58
	v_rndne_f32_e32 v27, v14
	s_xor_b64 exec, exec, s[0:1]
; %bb.91:                               ;   in Loop: Header=BB249_4 Depth=1
	v_cvt_i32_f32_e32 v9, v27
	v_fma_f32 v10, v27, s59, |v11|
	v_fmac_f32_e32 v10, 0xb3a22168, v27
	v_fmac_f32_e32 v10, 0xa7c234c4, v27
; %bb.92:                               ;   in Loop: Header=BB249_4 Depth=1
	s_or_b64 exec, exec, s[0:1]
                                        ; implicit-def: $vgpr14
                                        ; implicit-def: $vgpr26
	s_and_saveexec_b64 s[0:1], s[34:35]
	s_xor_b64 s[34:35], exec, s[0:1]
	s_cbranch_execz .LBB249_94
; %bb.93:                               ;   in Loop: Header=BB249_4 Depth=1
	v_cmp_lt_u32_e32 vcc, 63, v25
	v_cndmask_b32_e32 v14, 0, v21, vcc
	v_add_u32_e32 v14, v14, v25
	v_cmp_lt_u32_e64 s[0:1], 31, v14
	v_cndmask_b32_e64 v25, 0, v22, s[0:1]
	v_add_u32_e32 v14, v25, v14
	v_cmp_lt_u32_e64 s[2:3], 31, v14
	v_cndmask_b32_e64 v25, 0, v22, s[2:3]
	v_mad_u64_u32 v[26:27], s[6:7], v13, s50, 0
	v_add_u32_e32 v25, v25, v14
	v_mov_b32_e32 v14, v27
	v_mad_u64_u32 v[28:29], s[6:7], v13, s51, v[14:15]
	v_mov_b32_e32 v14, v29
	v_mad_u64_u32 v[30:31], s[6:7], v13, s52, v[14:15]
	;; [unrolled: 2-line block ×6, first 2 shown]
	v_cndmask_b32_e32 v27, v36, v32, vcc
	v_cndmask_b32_e32 v13, v38, v34, vcc
	;; [unrolled: 1-line block ×3, first 2 shown]
	v_cndmask_b32_e64 v14, v13, v27, s[0:1]
	v_cndmask_b32_e64 v13, v29, v13, s[0:1]
	v_cndmask_b32_e32 v29, v34, v30, vcc
	v_cndmask_b32_e64 v27, v27, v29, s[0:1]
	v_sub_u32_e32 v31, 32, v25
	v_cmp_eq_u32_e64 s[6:7], 0, v25
	v_cndmask_b32_e32 v25, v32, v28, vcc
	v_cndmask_b32_e64 v13, v13, v14, s[2:3]
	v_cndmask_b32_e64 v14, v14, v27, s[2:3]
	;; [unrolled: 1-line block ×3, first 2 shown]
	v_alignbit_b32 v33, v13, v14, v31
	v_cndmask_b32_e64 v27, v27, v28, s[2:3]
	v_cndmask_b32_e64 v13, v33, v13, s[6:7]
	v_alignbit_b32 v29, v14, v27, v31
	v_cndmask_b32_e32 v26, v30, v26, vcc
	v_cndmask_b32_e64 v14, v29, v14, s[6:7]
	v_bfe_u32 v33, v13, 29, 1
	v_cndmask_b32_e64 v25, v25, v26, s[0:1]
	v_alignbit_b32 v29, v13, v14, 30
	v_sub_u32_e32 v34, 0, v33
	v_cndmask_b32_e64 v25, v28, v25, s[2:3]
	v_xor_b32_e32 v35, v29, v34
	v_alignbit_b32 v26, v27, v25, v31
	v_cndmask_b32_e64 v26, v26, v27, s[6:7]
	v_ffbh_u32_e32 v27, v35
	v_add_u32_e32 v27, 1, v27
	v_cmp_ne_u32_e32 vcc, v29, v34
	v_alignbit_b32 v14, v14, v26, 30
	v_cndmask_b32_e32 v27, 33, v27, vcc
	v_alignbit_b32 v25, v26, v25, 30
	v_xor_b32_e32 v14, v14, v34
	v_sub_u32_e32 v28, 32, v27
	v_xor_b32_e32 v25, v25, v34
	v_alignbit_b32 v29, v35, v14, v28
	v_alignbit_b32 v14, v14, v25, v28
	;; [unrolled: 1-line block ×3, first 2 shown]
	v_ffbh_u32_e32 v26, v25
	v_min_u32_e32 v26, 32, v26
	v_lshrrev_b32_e32 v32, 29, v13
	v_sub_u32_e32 v28, 31, v26
	v_alignbit_b32 v14, v25, v14, v28
	v_lshlrev_b32_e32 v25, 31, v32
	v_or_b32_e32 v28, 0x33800000, v25
	v_add_lshl_u32 v26, v26, v27, 23
	v_lshrrev_b32_e32 v14, 9, v14
	v_sub_u32_e32 v26, v28, v26
	v_or_b32_e32 v14, v26, v14
	v_alignbit_b32 v26, v27, v29, 9
	v_or_b32_e32 v25, v26, v25
	v_xor_b32_e32 v25, 1.0, v25
	v_mul_f32_e32 v26, 0x3fc90fda, v25
	v_fma_f32 v27, v25, s57, -v26
	v_fmac_f32_e32 v27, 0x33a22168, v25
	v_fmac_f32_e32 v27, 0x3fc90fda, v14
	v_lshrrev_b32_e32 v13, 30, v13
	v_add_f32_e32 v26, v26, v27
	v_add_u32_e32 v14, v33, v13
                                        ; implicit-def: $vgpr27
	s_andn2_saveexec_b64 s[0:1], s[34:35]
	s_cbranch_execnz .LBB249_95
	s_branch .LBB249_96
.LBB249_94:                             ;   in Loop: Header=BB249_4 Depth=1
	s_andn2_saveexec_b64 s[0:1], s[34:35]
.LBB249_95:                             ;   in Loop: Header=BB249_4 Depth=1
	v_cvt_i32_f32_e32 v14, v27
	v_fma_f32 v26, v27, s59, |v11|
	v_fmac_f32_e32 v26, 0xb3a22168, v27
	v_fmac_f32_e32 v26, 0xa7c234c4, v27
.LBB249_96:                             ;   in Loop: Header=BB249_4 Depth=1
	s_or_b64 exec, exec, s[0:1]
	v_mul_f32_e32 v13, v10, v10
	v_mov_b32_e32 v25, 0x3c0881c4
	v_fmac_f32_e32 v25, 0xb94c1982, v13
	v_fma_f32 v25, v13, v25, v1
	v_mul_f32_e32 v25, v13, v25
	v_fmac_f32_e32 v10, v10, v25
	v_mov_b32_e32 v25, 0xbab64f3b
	v_fmac_f32_e32 v25, 0x37d75334, v13
	v_fma_f32 v25, v13, v25, v17
	v_fma_f32 v25, v13, v25, v20
	v_fma_f32 v13, v13, v25, 1.0
	v_and_b32_e32 v25, 1, v9
	v_cmp_eq_u32_e32 vcc, 0, v25
	v_lshlrev_b32_e32 v9, 30, v9
	v_cndmask_b32_e64 v10, -v10, v13, vcc
	v_and_b32_e32 v9, 0x80000000, v9
	v_xor_b32_e32 v9, v9, v10
	v_cmp_class_f32_e64 vcc, v11, s63
	v_cndmask_b32_e32 v13, v24, v9, vcc
	v_mul_f32_e32 v9, v26, v26
	v_mov_b32_e32 v10, 0x3c0881c4
	v_fmac_f32_e32 v10, 0xb94c1982, v9
	v_fma_f32 v10, v9, v10, v1
	v_mul_f32_e32 v10, v9, v10
	v_fmac_f32_e32 v26, v26, v10
	v_mov_b32_e32 v10, 0xbab64f3b
	v_fmac_f32_e32 v10, 0x37d75334, v9
	v_fma_f32 v10, v9, v10, v17
	v_fma_f32 v10, v9, v10, v20
	v_fma_f32 v9, v9, v10, 1.0
	v_and_b32_e32 v10, 1, v14
	v_cmp_eq_u32_e64 s[0:1], 0, v10
	v_lshlrev_b32_e32 v10, 30, v14
	v_cndmask_b32_e64 v9, v9, v26, s[0:1]
	v_and_or_b32 v8, v10, s46, v8
	v_xor_b32_e32 v8, v8, v9
	v_xor_b32_e32 v8, v8, v12
	v_cndmask_b32_e32 v12, v24, v8, vcc
.LBB249_97:                             ;   in Loop: Header=BB249_4 Depth=1
	s_or_b64 exec, exec, s[30:31]
                                        ; implicit-def: $vgpr8_vgpr9_vgpr10_vgpr11
.LBB249_98:                             ;   in Loop: Header=BB249_4 Depth=1
	s_andn2_saveexec_b64 s[0:1], s[28:29]
	s_cbranch_execz .LBB249_100
; %bb.99:                               ;   in Loop: Header=BB249_4 Depth=1
	v_mul_f32_e32 v8, 0xbfb8aa3b, v10
	v_rndne_f32_e32 v9, v8
	v_sub_f32_e32 v11, v8, v9
	v_fma_f32 v8, v10, s60, -v8
	v_fmac_f32_e32 v8, 0xb2a5705f, v10
	v_add_f32_e32 v8, v11, v8
	v_cvt_i32_f32_e32 v9, v9
	v_exp_f32_e32 v8, v8
	v_cmp_nlt_f32_e32 vcc, s61, v10
	v_ldexp_f32 v8, v8, v9
	v_cndmask_b32_e32 v8, 0, v8, vcc
	v_cmp_ngt_f32_e32 vcc, s62, v10
	v_cndmask_b32_e32 v13, v23, v8, vcc
.LBB249_100:                            ;   in Loop: Header=BB249_4 Depth=1
	s_or_b64 exec, exec, s[0:1]
	v_add_f32_e32 v11, s14, v13
	v_add_f32_e32 v10, s15, v12
	v_cmp_gt_f32_e32 vcc, 0, v11
	v_cndmask_b32_e64 v13, v11, -v11, vcc
	v_cmp_gt_f32_e32 vcc, 0, v10
	v_cndmask_b32_e64 v12, v10, -v10, vcc
	v_cmp_ge_f32_e32 vcc, v13, v12
	s_and_saveexec_b64 s[0:1], vcc
	s_xor_b64 s[2:3], exec, s[0:1]
	s_cbranch_execz .LBB249_106
; %bb.101:                              ;   in Loop: Header=BB249_4 Depth=1
	v_cmp_neq_f32_e32 vcc, 0, v11
	v_cmp_neq_f32_e64 s[0:1], 0, v10
	s_or_b64 s[0:1], vcc, s[0:1]
	s_and_saveexec_b64 s[6:7], s[0:1]
	s_xor_b64 s[0:1], exec, s[6:7]
	s_cbranch_execz .LBB249_103
; %bb.102:                              ;   in Loop: Header=BB249_4 Depth=1
	v_div_scale_f32 v8, s[6:7], v11, v11, v10
	v_rcp_f32_e32 v9, v8
	v_div_scale_f32 v12, vcc, v10, v11, v10
	v_fma_f32 v13, -v8, v9, 1.0
	v_fmac_f32_e32 v9, v13, v9
	v_mul_f32_e32 v13, v12, v9
	v_fma_f32 v14, -v8, v13, v12
	v_fmac_f32_e32 v13, v14, v9
	v_fma_f32 v8, -v8, v13, v12
	v_div_fmas_f32 v8, v8, v9, v13
	v_div_fixup_f32 v9, v8, v11, v10
	v_fmac_f32_e32 v11, v10, v9
	v_div_scale_f32 v8, s[6:7], v11, v11, 1.0
	v_rcp_f32_e32 v10, v8
	v_fma_f32 v12, -v8, v10, 1.0
	v_fmac_f32_e32 v10, v12, v10
	v_div_scale_f32 v12, vcc, 1.0, v11, 1.0
	v_mul_f32_e32 v13, v12, v10
	v_fma_f32 v14, -v8, v13, v12
	v_fmac_f32_e32 v13, v14, v10
	v_fma_f32 v8, -v8, v13, v12
	v_div_fmas_f32 v8, v8, v10, v13
	v_div_fixup_f32 v10, v8, v11, 1.0
	v_mov_b32_e32 v8, s14
	v_mov_b32_e32 v11, s15
	v_fma_f32 v8, s15, v9, v8
	v_fma_f32 v9, -v9, s14, v11
	v_mul_f32_e32 v8, v8, v10
	v_mul_f32_e32 v9, v9, v10
                                        ; implicit-def: $vgpr13
                                        ; implicit-def: $vgpr12
.LBB249_103:                            ;   in Loop: Header=BB249_4 Depth=1
	s_andn2_saveexec_b64 s[0:1], s[0:1]
	s_cbranch_execz .LBB249_105
; %bb.104:                              ;   in Loop: Header=BB249_4 Depth=1
	v_div_scale_f32 v8, s[6:7], v13, v13, s14
	v_rcp_f32_e32 v9, v8
	v_div_scale_f32 v10, vcc, s14, v13, s14
	v_fma_f32 v11, -v8, v9, 1.0
	v_fmac_f32_e32 v9, v11, v9
	v_mul_f32_e32 v11, v10, v9
	v_fma_f32 v14, -v8, v11, v10
	v_fmac_f32_e32 v11, v14, v9
	v_fma_f32 v8, -v8, v11, v10
	v_div_scale_f32 v10, s[6:7], v12, v12, s15
	v_rcp_f32_e32 v14, v10
	v_div_fmas_f32 v8, v8, v9, v11
	v_div_fixup_f32 v8, v8, v13, s14
	v_fma_f32 v9, -v10, v14, 1.0
	v_fmac_f32_e32 v14, v9, v14
	v_div_scale_f32 v9, vcc, s15, v12, s15
	v_mul_f32_e32 v11, v9, v14
	v_fma_f32 v13, -v10, v11, v9
	v_fmac_f32_e32 v11, v13, v14
	v_fma_f32 v9, -v10, v11, v9
	v_div_fmas_f32 v9, v9, v14, v11
	v_div_fixup_f32 v9, v9, v12, s15
.LBB249_105:                            ;   in Loop: Header=BB249_4 Depth=1
	s_or_b64 exec, exec, s[0:1]
                                        ; implicit-def: $vgpr10
                                        ; implicit-def: $vgpr11
.LBB249_106:                            ;   in Loop: Header=BB249_4 Depth=1
	s_andn2_saveexec_b64 s[0:1], s[2:3]
	s_cbranch_execz .LBB249_108
; %bb.107:                              ;   in Loop: Header=BB249_4 Depth=1
	v_div_scale_f32 v8, s[2:3], v10, v10, v11
	v_rcp_f32_e32 v9, v8
	v_div_scale_f32 v12, vcc, v11, v10, v11
	v_fma_f32 v13, -v8, v9, 1.0
	v_fmac_f32_e32 v9, v13, v9
	v_mul_f32_e32 v13, v12, v9
	v_fma_f32 v14, -v8, v13, v12
	v_fmac_f32_e32 v13, v14, v9
	v_fma_f32 v8, -v8, v13, v12
	v_div_fmas_f32 v8, v8, v9, v13
	v_div_fixup_f32 v9, v8, v10, v11
	v_fmac_f32_e32 v10, v11, v9
	v_div_scale_f32 v8, s[2:3], v10, v10, 1.0
	v_rcp_f32_e32 v11, v8
	v_fma_f32 v12, -v8, v11, 1.0
	v_fmac_f32_e32 v11, v12, v11
	v_div_scale_f32 v12, vcc, 1.0, v10, 1.0
	v_mul_f32_e32 v13, v12, v11
	v_fma_f32 v14, -v8, v13, v12
	v_fmac_f32_e32 v13, v14, v11
	v_fma_f32 v8, -v8, v13, v12
	v_div_fmas_f32 v8, v8, v11, v13
	v_div_fixup_f32 v10, v8, v10, 1.0
	v_mov_b32_e32 v8, s15
	v_mov_b32_e32 v11, s14
	v_fma_f32 v8, s14, v9, v8
	v_fma_f32 v9, v9, s15, -v11
	v_mul_f32_e32 v8, v8, v10
	v_mul_f32_e32 v9, v9, v10
.LBB249_108:                            ;   in Loop: Header=BB249_4 Depth=1
	s_or_b64 exec, exec, s[0:1]
	s_waitcnt vmcnt(0)
	v_and_b32_e32 v11, 0x7fffffff, v3
	v_xor_b32_e32 v10, 0x80000000, v3
	v_cmp_ne_u32_e32 vcc, 0, v11
                                        ; implicit-def: $vgpr12
	s_and_saveexec_b64 s[0:1], vcc
	s_xor_b64 s[28:29], exec, s[0:1]
	s_cbranch_execz .LBB249_150
; %bb.109:                              ;   in Loop: Header=BB249_4 Depth=1
	v_and_b32_e32 v14, 0x7fffffff, v2
	v_cmp_ne_u32_e32 vcc, 0, v14
                                        ; implicit-def: $vgpr12
	s_and_saveexec_b64 s[0:1], vcc
	s_xor_b64 s[30:31], exec, s[0:1]
	s_cbranch_execz .LBB249_139
; %bb.110:                              ;   in Loop: Header=BB249_4 Depth=1
	v_xor_b32_e32 v13, 0x80000000, v2
	v_cmp_gt_u32_e32 vcc, s47, v11
                                        ; implicit-def: $vgpr12
	s_and_saveexec_b64 s[0:1], vcc
	s_xor_b64 s[34:35], exec, s[0:1]
	s_cbranch_execz .LBB249_132
; %bb.111:                              ;   in Loop: Header=BB249_4 Depth=1
	v_add_u32_e32 v12, 0xbd4e8de8, v13
	v_cmp_lt_u32_e32 vcc, s48, v12
                                        ; implicit-def: $vgpr12
	s_and_saveexec_b64 s[0:1], vcc
	s_xor_b64 s[36:37], exec, s[0:1]
	s_cbranch_execz .LBB249_121
; %bb.112:                              ;   in Loop: Header=BB249_4 Depth=1
	v_cmp_nlt_f32_e64 s[38:39], |v3|, s49
                                        ; implicit-def: $vgpr12
                                        ; implicit-def: $vgpr13
	s_and_saveexec_b64 s[0:1], s[38:39]
	s_xor_b64 s[40:41], exec, s[0:1]
	s_cbranch_execz .LBB249_114
; %bb.113:                              ;   in Loop: Header=BB249_4 Depth=1
	v_lshrrev_b32_e32 v12, 23, v11
	v_add_u32_e32 v12, 0xffffff88, v12
	v_cmp_lt_u32_e32 vcc, 63, v12
	v_cndmask_b32_e32 v13, 0, v21, vcc
	v_add_u32_e32 v12, v13, v12
	v_cmp_lt_u32_e64 s[0:1], 31, v12
	v_cndmask_b32_e64 v13, 0, v22, s[0:1]
	v_add_u32_e32 v12, v13, v12
	v_cmp_lt_u32_e64 s[2:3], 31, v12
	v_cndmask_b32_e64 v13, 0, v22, s[2:3]
	v_add_u32_e32 v25, v13, v12
	v_and_b32_e32 v12, 0x7fffff, v11
	v_or_b32_e32 v36, 0x800000, v12
	v_mad_u64_u32 v[12:13], s[6:7], v36, s50, 0
	v_mov_b32_e32 v14, v13
	v_mad_u64_u32 v[26:27], s[6:7], v36, s51, v[14:15]
	v_mov_b32_e32 v14, v27
	;; [unrolled: 2-line block ×6, first 2 shown]
	v_mad_u64_u32 v[36:37], s[6:7], v36, s56, v[14:15]
	v_cndmask_b32_e32 v13, v34, v30, vcc
	v_cndmask_b32_e32 v14, v36, v32, vcc
	v_cndmask_b32_e32 v29, v37, v34, vcc
	v_cndmask_b32_e64 v27, v14, v13, s[0:1]
	v_cndmask_b32_e64 v14, v29, v14, s[0:1]
	v_cndmask_b32_e32 v29, v32, v28, vcc
	v_cndmask_b32_e64 v13, v13, v29, s[0:1]
	v_sub_u32_e32 v31, 32, v25
	v_cmp_eq_u32_e64 s[6:7], 0, v25
	v_cndmask_b32_e32 v25, v30, v26, vcc
	v_cndmask_b32_e64 v14, v14, v27, s[2:3]
	v_cndmask_b32_e64 v27, v27, v13, s[2:3]
	;; [unrolled: 1-line block ×3, first 2 shown]
	v_alignbit_b32 v32, v14, v27, v31
	v_cndmask_b32_e64 v13, v13, v26, s[2:3]
	v_cndmask_b32_e64 v14, v32, v14, s[6:7]
	v_alignbit_b32 v29, v27, v13, v31
	v_cndmask_b32_e64 v27, v29, v27, s[6:7]
	v_bfe_u32 v32, v14, 29, 1
	v_cndmask_b32_e32 v12, v28, v12, vcc
	v_alignbit_b32 v29, v14, v27, 30
	v_sub_u32_e32 v33, 0, v32
	v_cndmask_b32_e64 v12, v25, v12, s[0:1]
	v_xor_b32_e32 v34, v29, v33
	v_cndmask_b32_e64 v12, v26, v12, s[2:3]
	v_alignbit_b32 v25, v13, v12, v31
	v_ffbh_u32_e32 v26, v34
	v_cndmask_b32_e64 v13, v25, v13, s[6:7]
	v_add_u32_e32 v26, 1, v26
	v_cmp_ne_u32_e32 vcc, v29, v33
	v_alignbit_b32 v25, v27, v13, 30
	v_cndmask_b32_e32 v26, 33, v26, vcc
	v_alignbit_b32 v12, v13, v12, 30
	v_xor_b32_e32 v25, v25, v33
	v_sub_u32_e32 v27, 32, v26
	v_xor_b32_e32 v12, v12, v33
	v_alignbit_b32 v28, v34, v25, v27
	v_alignbit_b32 v12, v25, v12, v27
	;; [unrolled: 1-line block ×3, first 2 shown]
	v_ffbh_u32_e32 v25, v13
	v_min_u32_e32 v25, 32, v25
	v_lshrrev_b32_e32 v30, 29, v14
	v_sub_u32_e32 v27, 31, v25
	v_alignbit_b32 v12, v13, v12, v27
	v_lshlrev_b32_e32 v13, 31, v30
	v_or_b32_e32 v27, 0x33800000, v13
	v_add_lshl_u32 v25, v25, v26, 23
	v_lshrrev_b32_e32 v12, 9, v12
	v_sub_u32_e32 v25, v27, v25
	v_or_b32_e32 v12, v25, v12
	v_alignbit_b32 v25, v26, v28, 9
	v_or_b32_e32 v13, v25, v13
	v_xor_b32_e32 v13, 1.0, v13
	v_mul_f32_e32 v25, 0x3fc90fda, v13
	v_fma_f32 v26, v13, s57, -v25
	v_fmac_f32_e32 v26, 0x33a22168, v13
	v_fmac_f32_e32 v26, 0x3fc90fda, v12
	v_lshrrev_b32_e32 v12, 30, v14
	v_add_f32_e32 v13, v25, v26
	v_add_u32_e32 v12, v32, v12
	s_andn2_saveexec_b64 s[0:1], s[40:41]
	s_branch .LBB249_115
.LBB249_114:                            ;   in Loop: Header=BB249_4 Depth=1
	s_andn2_saveexec_b64 s[0:1], s[40:41]
.LBB249_115:                            ;   in Loop: Header=BB249_4 Depth=1
	v_mul_f32_e64 v12, |v3|, s58
	v_rndne_f32_e32 v14, v12
	v_cvt_i32_f32_e32 v12, v14
	v_fma_f32 v13, v14, s59, |v3|
	v_fmac_f32_e32 v13, 0xb3a22168, v14
	v_fmac_f32_e32 v13, 0xa7c234c4, v14
; %bb.116:                              ;   in Loop: Header=BB249_4 Depth=1
	s_or_b64 exec, exec, s[0:1]
                                        ; implicit-def: $vgpr14
                                        ; implicit-def: $vgpr25
	s_and_saveexec_b64 s[0:1], s[38:39]
	s_xor_b64 s[38:39], exec, s[0:1]
	s_cbranch_execz .LBB249_118
; %bb.117:                              ;   in Loop: Header=BB249_4 Depth=1
	v_lshrrev_b32_e32 v14, 23, v11
	v_add_u32_e32 v14, 0xffffff88, v14
	v_cmp_lt_u32_e32 vcc, 63, v14
	v_cndmask_b32_e32 v25, 0, v21, vcc
	v_add_u32_e32 v14, v25, v14
	v_cmp_lt_u32_e64 s[0:1], 31, v14
	v_cndmask_b32_e64 v25, 0, v22, s[0:1]
	v_add_u32_e32 v14, v25, v14
	v_cmp_lt_u32_e64 s[2:3], 31, v14
	v_cndmask_b32_e64 v25, 0, v22, s[2:3]
	v_add_u32_e32 v25, v25, v14
	v_and_b32_e32 v14, 0x7fffff, v11
	v_or_b32_e32 v38, 0x800000, v14
	v_mad_u64_u32 v[26:27], s[6:7], v38, s50, 0
	v_mov_b32_e32 v14, v27
	v_mad_u64_u32 v[28:29], s[6:7], v38, s51, v[14:15]
	v_mov_b32_e32 v14, v29
	;; [unrolled: 2-line block ×6, first 2 shown]
	v_mad_u64_u32 v[38:39], s[6:7], v38, s56, v[14:15]
	v_cndmask_b32_e32 v27, v36, v32, vcc
	v_cndmask_b32_e32 v14, v38, v34, vcc
	;; [unrolled: 1-line block ×3, first 2 shown]
	v_cndmask_b32_e64 v29, v14, v27, s[0:1]
	v_cndmask_b32_e64 v14, v31, v14, s[0:1]
	v_cndmask_b32_e32 v31, v34, v30, vcc
	v_cndmask_b32_e64 v27, v27, v31, s[0:1]
	v_sub_u32_e32 v33, 32, v25
	v_cmp_eq_u32_e64 s[6:7], 0, v25
	v_cndmask_b32_e32 v25, v32, v28, vcc
	v_cndmask_b32_e64 v14, v14, v29, s[2:3]
	v_cndmask_b32_e64 v29, v29, v27, s[2:3]
	;; [unrolled: 1-line block ×3, first 2 shown]
	v_alignbit_b32 v34, v14, v29, v33
	v_cndmask_b32_e64 v27, v27, v28, s[2:3]
	v_cndmask_b32_e64 v14, v34, v14, s[6:7]
	v_alignbit_b32 v31, v29, v27, v33
	v_cndmask_b32_e64 v29, v31, v29, s[6:7]
	v_bfe_u32 v34, v14, 29, 1
	v_cndmask_b32_e32 v26, v30, v26, vcc
	v_alignbit_b32 v31, v14, v29, 30
	v_sub_u32_e32 v35, 0, v34
	v_cndmask_b32_e64 v25, v25, v26, s[0:1]
	v_xor_b32_e32 v36, v31, v35
	v_cndmask_b32_e64 v25, v28, v25, s[2:3]
	v_alignbit_b32 v26, v27, v25, v33
	v_ffbh_u32_e32 v28, v36
	v_cndmask_b32_e64 v26, v26, v27, s[6:7]
	v_add_u32_e32 v28, 1, v28
	v_cmp_ne_u32_e32 vcc, v31, v35
	v_alignbit_b32 v27, v29, v26, 30
	v_cndmask_b32_e32 v28, 33, v28, vcc
	v_alignbit_b32 v25, v26, v25, 30
	v_xor_b32_e32 v27, v27, v35
	v_sub_u32_e32 v29, 32, v28
	v_xor_b32_e32 v25, v25, v35
	v_alignbit_b32 v30, v36, v27, v29
	v_alignbit_b32 v25, v27, v25, v29
	;; [unrolled: 1-line block ×3, first 2 shown]
	v_ffbh_u32_e32 v27, v26
	v_min_u32_e32 v27, 32, v27
	v_lshrrev_b32_e32 v32, 29, v14
	v_sub_u32_e32 v29, 31, v27
	v_alignbit_b32 v25, v26, v25, v29
	v_lshlrev_b32_e32 v26, 31, v32
	v_or_b32_e32 v29, 0x33800000, v26
	v_add_lshl_u32 v27, v27, v28, 23
	v_lshrrev_b32_e32 v25, 9, v25
	v_sub_u32_e32 v27, v29, v27
	v_or_b32_e32 v25, v27, v25
	v_alignbit_b32 v27, v28, v30, 9
	v_or_b32_e32 v26, v27, v26
	v_xor_b32_e32 v26, 1.0, v26
	v_mul_f32_e32 v27, 0x3fc90fda, v26
	v_fma_f32 v28, v26, s57, -v27
	v_fmac_f32_e32 v28, 0x33a22168, v26
	v_fmac_f32_e32 v28, 0x3fc90fda, v25
	v_lshrrev_b32_e32 v14, 30, v14
	v_add_f32_e32 v25, v27, v28
	v_add_u32_e32 v14, v34, v14
	s_andn2_saveexec_b64 s[0:1], s[38:39]
	s_cbranch_execnz .LBB249_119
	s_branch .LBB249_120
.LBB249_118:                            ;   in Loop: Header=BB249_4 Depth=1
	s_andn2_saveexec_b64 s[0:1], s[38:39]
.LBB249_119:                            ;   in Loop: Header=BB249_4 Depth=1
	v_mul_f32_e64 v14, |v3|, s58
	v_rndne_f32_e32 v26, v14
	v_cvt_i32_f32_e32 v14, v26
	v_fma_f32 v25, v26, s59, |v3|
	v_fmac_f32_e32 v25, 0xb3a22168, v26
	v_fmac_f32_e32 v25, 0xa7c234c4, v26
.LBB249_120:                            ;   in Loop: Header=BB249_4 Depth=1
	s_or_b64 exec, exec, s[0:1]
	v_mul_f32_e32 v26, 0xbfb8aa3b, v2
	v_rndne_f32_e32 v27, v26
	v_sub_f32_e32 v28, v26, v27
	v_fma_f32 v26, v2, s60, -v26
	v_fmac_f32_e32 v26, 0xb2a5705f, v2
	v_add_f32_e32 v26, v28, v26
	v_cvt_i32_f32_e32 v27, v27
	v_exp_f32_e32 v26, v26
	v_mov_b32_e32 v28, 0x3c0881c4
	v_cmp_nlt_f32_e32 vcc, s61, v2
	v_ldexp_f32 v26, v26, v27
	v_mul_f32_e32 v27, v13, v13
	v_fmac_f32_e32 v28, 0xb94c1982, v27
	v_fma_f32 v28, v27, v28, v1
	v_mul_f32_e32 v28, v27, v28
	v_fmac_f32_e32 v13, v13, v28
	v_mov_b32_e32 v28, 0xbab64f3b
	v_fmac_f32_e32 v28, 0x37d75334, v27
	v_fma_f32 v28, v27, v28, v17
	v_fma_f32 v28, v27, v28, v20
	v_cndmask_b32_e32 v26, 0, v26, vcc
	v_cmp_ngt_f32_e32 vcc, s62, v2
	v_fma_f32 v27, v27, v28, 1.0
	v_and_b32_e32 v28, 1, v12
	v_cndmask_b32_e32 v26, v23, v26, vcc
	v_cmp_eq_u32_e32 vcc, 0, v28
	v_lshlrev_b32_e32 v12, 30, v12
	v_cndmask_b32_e64 v13, -v13, v27, vcc
	v_and_b32_e32 v12, 0x80000000, v12
	v_xor_b32_e32 v12, v12, v13
	v_mul_f32_e32 v13, v25, v25
	v_mov_b32_e32 v27, 0x3c0881c4
	v_fmac_f32_e32 v27, 0xb94c1982, v13
	v_fma_f32 v27, v13, v27, v1
	v_mul_f32_e32 v27, v13, v27
	v_fmac_f32_e32 v25, v25, v27
	v_mov_b32_e32 v27, 0xbab64f3b
	v_fmac_f32_e32 v27, 0x37d75334, v13
	v_fma_f32 v27, v13, v27, v17
	v_fma_f32 v27, v13, v27, v20
	v_fma_f32 v13, v13, v27, 1.0
	v_and_b32_e32 v27, 1, v14
	v_cmp_eq_u32_e64 s[0:1], 0, v27
	v_lshlrev_b32_e32 v14, 30, v14
	v_cndmask_b32_e64 v13, v13, v25, s[0:1]
	v_and_or_b32 v11, v14, s46, v11
	v_xor_b32_e32 v11, v11, v13
	v_cmp_class_f32_e64 vcc, v3, s63
	v_xor_b32_e32 v10, v11, v10
	v_cndmask_b32_e32 v12, v24, v12, vcc
	v_cndmask_b32_e32 v10, v24, v10, vcc
	v_mul_f32_e32 v12, v26, v12
	v_mul_f32_e32 v10, v26, v10
                                        ; implicit-def: $vgpr11
.LBB249_121:                            ;   in Loop: Header=BB249_4 Depth=1
	s_andn2_saveexec_b64 s[36:37], s[36:37]
	s_cbranch_execz .LBB249_131
; %bb.122:                              ;   in Loop: Header=BB249_4 Depth=1
	v_cmp_nlt_f32_e64 s[38:39], |v3|, s49
                                        ; implicit-def: $vgpr13
                                        ; implicit-def: $vgpr12
	s_and_saveexec_b64 s[0:1], s[38:39]
	s_xor_b64 s[40:41], exec, s[0:1]
	s_cbranch_execz .LBB249_124
; %bb.123:                              ;   in Loop: Header=BB249_4 Depth=1
	v_lshrrev_b32_e32 v12, 23, v11
	v_add_u32_e32 v12, 0xffffff88, v12
	v_cmp_lt_u32_e32 vcc, 63, v12
	v_cndmask_b32_e32 v13, 0, v21, vcc
	v_add_u32_e32 v12, v13, v12
	v_cmp_lt_u32_e64 s[0:1], 31, v12
	v_cndmask_b32_e64 v13, 0, v22, s[0:1]
	v_add_u32_e32 v12, v13, v12
	v_cmp_lt_u32_e64 s[2:3], 31, v12
	v_cndmask_b32_e64 v13, 0, v22, s[2:3]
	v_add_u32_e32 v25, v13, v12
	v_and_b32_e32 v12, 0x7fffff, v11
	v_or_b32_e32 v36, 0x800000, v12
	v_mad_u64_u32 v[12:13], s[6:7], v36, s50, 0
	v_mov_b32_e32 v14, v13
	v_mad_u64_u32 v[26:27], s[6:7], v36, s51, v[14:15]
	v_mov_b32_e32 v14, v27
	v_mad_u64_u32 v[28:29], s[6:7], v36, s52, v[14:15]
	v_mov_b32_e32 v14, v29
	v_mad_u64_u32 v[30:31], s[6:7], v36, s53, v[14:15]
	v_mov_b32_e32 v14, v31
	v_mad_u64_u32 v[32:33], s[6:7], v36, s54, v[14:15]
	v_mov_b32_e32 v14, v33
	v_mad_u64_u32 v[34:35], s[6:7], v36, s55, v[14:15]
	v_mov_b32_e32 v14, v35
	v_mad_u64_u32 v[36:37], s[6:7], v36, s56, v[14:15]
	v_cndmask_b32_e32 v13, v34, v30, vcc
	v_cndmask_b32_e32 v14, v36, v32, vcc
	;; [unrolled: 1-line block ×3, first 2 shown]
	v_cndmask_b32_e64 v27, v14, v13, s[0:1]
	v_cndmask_b32_e64 v14, v29, v14, s[0:1]
	v_cndmask_b32_e32 v29, v32, v28, vcc
	v_cndmask_b32_e64 v13, v13, v29, s[0:1]
	v_sub_u32_e32 v31, 32, v25
	v_cmp_eq_u32_e64 s[6:7], 0, v25
	v_cndmask_b32_e32 v25, v30, v26, vcc
	v_cndmask_b32_e64 v14, v14, v27, s[2:3]
	v_cndmask_b32_e64 v27, v27, v13, s[2:3]
	;; [unrolled: 1-line block ×3, first 2 shown]
	v_alignbit_b32 v32, v14, v27, v31
	v_cndmask_b32_e64 v13, v13, v26, s[2:3]
	v_cndmask_b32_e64 v14, v32, v14, s[6:7]
	v_alignbit_b32 v29, v27, v13, v31
	v_cndmask_b32_e64 v27, v29, v27, s[6:7]
	v_bfe_u32 v32, v14, 29, 1
	v_cndmask_b32_e32 v12, v28, v12, vcc
	v_alignbit_b32 v29, v14, v27, 30
	v_sub_u32_e32 v33, 0, v32
	v_cndmask_b32_e64 v12, v25, v12, s[0:1]
	v_xor_b32_e32 v34, v29, v33
	v_cndmask_b32_e64 v12, v26, v12, s[2:3]
	v_alignbit_b32 v25, v13, v12, v31
	v_ffbh_u32_e32 v26, v34
	v_cndmask_b32_e64 v13, v25, v13, s[6:7]
	v_add_u32_e32 v26, 1, v26
	v_cmp_ne_u32_e32 vcc, v29, v33
	v_alignbit_b32 v25, v27, v13, 30
	v_cndmask_b32_e32 v26, 33, v26, vcc
	v_alignbit_b32 v12, v13, v12, 30
	v_xor_b32_e32 v25, v25, v33
	v_sub_u32_e32 v27, 32, v26
	v_xor_b32_e32 v12, v12, v33
	v_alignbit_b32 v28, v34, v25, v27
	v_alignbit_b32 v12, v25, v12, v27
	;; [unrolled: 1-line block ×3, first 2 shown]
	v_ffbh_u32_e32 v25, v13
	v_min_u32_e32 v25, 32, v25
	v_lshrrev_b32_e32 v30, 29, v14
	v_sub_u32_e32 v27, 31, v25
	v_alignbit_b32 v12, v13, v12, v27
	v_lshlrev_b32_e32 v13, 31, v30
	v_or_b32_e32 v27, 0x33800000, v13
	v_add_lshl_u32 v25, v25, v26, 23
	v_lshrrev_b32_e32 v12, 9, v12
	v_sub_u32_e32 v25, v27, v25
	v_or_b32_e32 v12, v25, v12
	v_alignbit_b32 v25, v26, v28, 9
	v_or_b32_e32 v13, v25, v13
	v_xor_b32_e32 v13, 1.0, v13
	v_mul_f32_e32 v25, 0x3fc90fda, v13
	v_fma_f32 v26, v13, s57, -v25
	v_fmac_f32_e32 v26, 0x33a22168, v13
	v_fmac_f32_e32 v26, 0x3fc90fda, v12
	v_lshrrev_b32_e32 v13, 30, v14
	v_add_f32_e32 v12, v25, v26
	v_add_u32_e32 v13, v32, v13
	s_andn2_saveexec_b64 s[0:1], s[40:41]
	s_branch .LBB249_125
.LBB249_124:                            ;   in Loop: Header=BB249_4 Depth=1
	s_andn2_saveexec_b64 s[0:1], s[40:41]
.LBB249_125:                            ;   in Loop: Header=BB249_4 Depth=1
	v_mul_f32_e64 v12, |v3|, s58
	v_rndne_f32_e32 v14, v12
	v_cvt_i32_f32_e32 v13, v14
	v_fma_f32 v12, v14, s59, |v3|
	v_fmac_f32_e32 v12, 0xb3a22168, v14
	v_fmac_f32_e32 v12, 0xa7c234c4, v14
; %bb.126:                              ;   in Loop: Header=BB249_4 Depth=1
	s_or_b64 exec, exec, s[0:1]
                                        ; implicit-def: $vgpr14
                                        ; implicit-def: $vgpr25
	s_and_saveexec_b64 s[0:1], s[38:39]
	s_xor_b64 s[38:39], exec, s[0:1]
	s_cbranch_execz .LBB249_128
; %bb.127:                              ;   in Loop: Header=BB249_4 Depth=1
	v_lshrrev_b32_e32 v14, 23, v11
	v_add_u32_e32 v14, 0xffffff88, v14
	v_cmp_lt_u32_e32 vcc, 63, v14
	v_cndmask_b32_e32 v25, 0, v21, vcc
	v_add_u32_e32 v14, v25, v14
	v_cmp_lt_u32_e64 s[0:1], 31, v14
	v_cndmask_b32_e64 v25, 0, v22, s[0:1]
	v_add_u32_e32 v14, v25, v14
	v_cmp_lt_u32_e64 s[2:3], 31, v14
	v_cndmask_b32_e64 v25, 0, v22, s[2:3]
	v_add_u32_e32 v25, v25, v14
	v_and_b32_e32 v14, 0x7fffff, v11
	v_or_b32_e32 v38, 0x800000, v14
	v_mad_u64_u32 v[26:27], s[6:7], v38, s50, 0
	v_mov_b32_e32 v14, v27
	v_mad_u64_u32 v[28:29], s[6:7], v38, s51, v[14:15]
	v_mov_b32_e32 v14, v29
	;; [unrolled: 2-line block ×6, first 2 shown]
	v_mad_u64_u32 v[38:39], s[6:7], v38, s56, v[14:15]
	v_cndmask_b32_e32 v27, v36, v32, vcc
	v_cndmask_b32_e32 v14, v38, v34, vcc
	;; [unrolled: 1-line block ×3, first 2 shown]
	v_cndmask_b32_e64 v29, v14, v27, s[0:1]
	v_cndmask_b32_e64 v14, v31, v14, s[0:1]
	v_cndmask_b32_e32 v31, v34, v30, vcc
	v_cndmask_b32_e64 v27, v27, v31, s[0:1]
	v_sub_u32_e32 v33, 32, v25
	v_cmp_eq_u32_e64 s[6:7], 0, v25
	v_cndmask_b32_e32 v25, v32, v28, vcc
	v_cndmask_b32_e64 v14, v14, v29, s[2:3]
	v_cndmask_b32_e64 v29, v29, v27, s[2:3]
	;; [unrolled: 1-line block ×3, first 2 shown]
	v_alignbit_b32 v34, v14, v29, v33
	v_cndmask_b32_e64 v27, v27, v28, s[2:3]
	v_cndmask_b32_e64 v14, v34, v14, s[6:7]
	v_alignbit_b32 v31, v29, v27, v33
	v_cndmask_b32_e64 v29, v31, v29, s[6:7]
	v_bfe_u32 v34, v14, 29, 1
	v_cndmask_b32_e32 v26, v30, v26, vcc
	v_alignbit_b32 v31, v14, v29, 30
	v_sub_u32_e32 v35, 0, v34
	v_cndmask_b32_e64 v25, v25, v26, s[0:1]
	v_xor_b32_e32 v36, v31, v35
	v_cndmask_b32_e64 v25, v28, v25, s[2:3]
	v_alignbit_b32 v26, v27, v25, v33
	v_ffbh_u32_e32 v28, v36
	v_cndmask_b32_e64 v26, v26, v27, s[6:7]
	v_add_u32_e32 v28, 1, v28
	v_cmp_ne_u32_e32 vcc, v31, v35
	v_alignbit_b32 v27, v29, v26, 30
	v_cndmask_b32_e32 v28, 33, v28, vcc
	v_alignbit_b32 v25, v26, v25, 30
	v_xor_b32_e32 v27, v27, v35
	v_sub_u32_e32 v29, 32, v28
	v_xor_b32_e32 v25, v25, v35
	v_alignbit_b32 v30, v36, v27, v29
	v_alignbit_b32 v25, v27, v25, v29
	;; [unrolled: 1-line block ×3, first 2 shown]
	v_ffbh_u32_e32 v27, v26
	v_min_u32_e32 v27, 32, v27
	v_lshrrev_b32_e32 v32, 29, v14
	v_sub_u32_e32 v29, 31, v27
	v_alignbit_b32 v25, v26, v25, v29
	v_lshlrev_b32_e32 v26, 31, v32
	v_or_b32_e32 v29, 0x33800000, v26
	v_add_lshl_u32 v27, v27, v28, 23
	v_lshrrev_b32_e32 v25, 9, v25
	v_sub_u32_e32 v27, v29, v27
	v_or_b32_e32 v25, v27, v25
	v_alignbit_b32 v27, v28, v30, 9
	v_or_b32_e32 v26, v27, v26
	v_xor_b32_e32 v26, 1.0, v26
	v_mul_f32_e32 v27, 0x3fc90fda, v26
	v_fma_f32 v28, v26, s57, -v27
	v_fmac_f32_e32 v28, 0x33a22168, v26
	v_fmac_f32_e32 v28, 0x3fc90fda, v25
	v_lshrrev_b32_e32 v14, 30, v14
	v_add_f32_e32 v25, v27, v28
	v_add_u32_e32 v14, v34, v14
	s_andn2_saveexec_b64 s[0:1], s[38:39]
	s_cbranch_execnz .LBB249_129
	s_branch .LBB249_130
.LBB249_128:                            ;   in Loop: Header=BB249_4 Depth=1
	s_andn2_saveexec_b64 s[0:1], s[38:39]
.LBB249_129:                            ;   in Loop: Header=BB249_4 Depth=1
	v_mul_f32_e64 v14, |v3|, s58
	v_rndne_f32_e32 v26, v14
	v_cvt_i32_f32_e32 v14, v26
	v_fma_f32 v25, v26, s59, |v3|
	v_fmac_f32_e32 v25, 0xb3a22168, v26
	v_fmac_f32_e32 v25, 0xa7c234c4, v26
.LBB249_130:                            ;   in Loop: Header=BB249_4 Depth=1
	s_or_b64 exec, exec, s[0:1]
	v_mul_f32_e32 v27, v12, v12
	v_mov_b32_e32 v28, 0xbab64f3b
	v_fmac_f32_e32 v28, 0x37d75334, v27
	v_mov_b32_e32 v29, 0x3c0881c4
	v_fma_f32 v28, v27, v28, v17
	v_fmac_f32_e32 v29, 0xb94c1982, v27
	v_lshlrev_b32_e32 v26, 30, v13
	v_and_b32_e32 v13, 1, v13
	v_fma_f32 v28, v27, v28, v20
	v_fma_f32 v29, v27, v29, v1
	v_fma_f32 v28, v27, v28, 1.0
	v_mul_f32_e32 v27, v27, v29
	v_cmp_eq_u32_e32 vcc, 0, v13
	v_sub_f32_e32 v13, 0xc322e3bc, v2
	v_fmac_f32_e32 v12, v12, v27
	v_mul_f32_e32 v27, 0x3fb8aa3b, v13
	v_cndmask_b32_e64 v12, -v12, v28, vcc
	v_fma_f32 v28, v13, s64, -v27
	v_rndne_f32_e32 v29, v27
	v_fmac_f32_e32 v28, 0x32a5705f, v13
	v_sub_f32_e32 v27, v27, v29
	v_add_f32_e32 v27, v27, v28
	v_exp_f32_e32 v27, v27
	v_cvt_i32_f32_e32 v28, v29
	v_and_b32_e32 v26, 0x80000000, v26
	v_xor_b32_e32 v12, v26, v12
	v_cmp_ngt_f32_e64 s[0:1], s65, v13
	v_ldexp_f32 v26, v27, v28
	v_cndmask_b32_e64 v26, 0, v26, s[0:1]
	v_cmp_nlt_f32_e64 s[0:1], s66, v13
	v_cndmask_b32_e64 v13, v23, v26, s[0:1]
	v_and_b32_e32 v26, 0x7fffff, v13
	v_lshrrev_b32_e32 v13, 23, v13
	v_subrev_u32_e32 v13, 19, v13
	v_lshrrev_b16_e32 v27, 15, v13
	v_add_u16_e32 v27, v13, v27
	v_ashrrev_i16_e32 v27, 1, v27
	v_bfe_i32 v27, v27, 0, 16
	v_lshl_add_u32 v28, v27, 23, 1.0
	v_sub_u32_e32 v13, v13, v27
	v_mul_f32_e32 v27, v25, v25
	v_mov_b32_e32 v29, 0x3c0881c4
	v_fmac_f32_e32 v29, 0xb94c1982, v27
	v_fma_f32 v29, v27, v29, v1
	v_mul_f32_e32 v29, v27, v29
	v_fmac_f32_e32 v25, v25, v29
	v_mov_b32_e32 v29, 0xbab64f3b
	v_fmac_f32_e32 v29, 0x37d75334, v27
	v_fma_f32 v29, v27, v29, v17
	v_fma_f32 v29, v27, v29, v20
	v_fma_f32 v27, v27, v29, 1.0
	v_and_b32_e32 v29, 1, v14
	v_cmp_eq_u32_e64 s[0:1], 0, v29
	v_lshlrev_b32_e32 v14, 30, v14
	v_cndmask_b32_e64 v25, v27, v25, s[0:1]
	v_and_or_b32 v11, v14, s46, v11
	v_xor_b32_e32 v11, v11, v25
	v_cmp_class_f32_e64 vcc, v3, s63
	v_xor_b32_e32 v10, v11, v10
	v_cndmask_b32_e32 v12, v24, v12, vcc
	v_or_b32_e32 v26, 0x7f000000, v26
	v_cndmask_b32_e32 v10, v24, v10, vcc
	v_mul_f32_e32 v12, v12, v26
	v_mul_f32_e32 v10, v10, v26
	;; [unrolled: 1-line block ×3, first 2 shown]
	v_lshl_add_u32 v13, v13, 23, 1.0
	v_mul_f32_e32 v10, v10, v28
	v_mul_f32_e32 v12, v12, v13
	;; [unrolled: 1-line block ×3, first 2 shown]
.LBB249_131:                            ;   in Loop: Header=BB249_4 Depth=1
	s_or_b64 exec, exec, s[36:37]
                                        ; implicit-def: $vgpr13
                                        ; implicit-def: $vgpr14
.LBB249_132:                            ;   in Loop: Header=BB249_4 Depth=1
	s_andn2_saveexec_b64 s[0:1], s[34:35]
	s_cbranch_execz .LBB249_138
; %bb.133:                              ;   in Loop: Header=BB249_4 Depth=1
	v_cmp_ne_u32_e32 vcc, s47, v14
	v_sub_f32_e32 v10, v3, v3
	s_and_saveexec_b64 s[2:3], vcc
	s_xor_b64 s[2:3], exec, s[2:3]
; %bb.134:                              ;   in Loop: Header=BB249_4 Depth=1
                                        ; implicit-def: $vgpr13
; %bb.135:                              ;   in Loop: Header=BB249_4 Depth=1
	s_or_saveexec_b64 s[2:3], s[2:3]
	v_mov_b32_e32 v12, v10
	s_xor_b64 exec, exec, s[2:3]
; %bb.136:                              ;   in Loop: Header=BB249_4 Depth=1
	v_cmp_lt_i32_e32 vcc, -1, v13
	v_cndmask_b32_e64 v12, 0, -v2, vcc
	v_cndmask_b32_e32 v10, 0, v10, vcc
; %bb.137:                              ;   in Loop: Header=BB249_4 Depth=1
	s_or_b64 exec, exec, s[2:3]
.LBB249_138:                            ;   in Loop: Header=BB249_4 Depth=1
	s_or_b64 exec, exec, s[0:1]
                                        ; implicit-def: $vgpr11
.LBB249_139:                            ;   in Loop: Header=BB249_4 Depth=1
	s_andn2_saveexec_b64 s[30:31], s[30:31]
	s_cbranch_execz .LBB249_149
; %bb.140:                              ;   in Loop: Header=BB249_4 Depth=1
	v_lshrrev_b32_e32 v12, 23, v11
	v_and_b32_e32 v13, 0x7fffff, v11
	v_cmp_nlt_f32_e64 s[34:35], |v3|, s49
	v_add_u32_e32 v26, 0xffffff88, v12
	v_or_b32_e32 v25, 0x800000, v13
                                        ; implicit-def: $vgpr12
                                        ; implicit-def: $vgpr13
	s_and_saveexec_b64 s[0:1], s[34:35]
	s_xor_b64 s[36:37], exec, s[0:1]
	s_cbranch_execz .LBB249_142
; %bb.141:                              ;   in Loop: Header=BB249_4 Depth=1
	v_cmp_lt_u32_e32 vcc, 63, v26
	v_cndmask_b32_e32 v12, 0, v21, vcc
	v_add_u32_e32 v12, v12, v26
	v_cmp_lt_u32_e64 s[0:1], 31, v12
	v_cndmask_b32_e64 v13, 0, v22, s[0:1]
	v_add_u32_e32 v12, v13, v12
	v_cmp_lt_u32_e64 s[2:3], 31, v12
	v_cndmask_b32_e64 v13, 0, v22, s[2:3]
	v_add_u32_e32 v27, v13, v12
	v_mad_u64_u32 v[12:13], s[6:7], v25, s50, 0
	v_mov_b32_e32 v14, v13
	v_mad_u64_u32 v[28:29], s[6:7], v25, s51, v[14:15]
	v_mov_b32_e32 v14, v29
	;; [unrolled: 2-line block ×6, first 2 shown]
	v_mad_u64_u32 v[38:39], s[6:7], v25, s56, v[14:15]
	v_cndmask_b32_e32 v13, v36, v32, vcc
	v_cndmask_b32_e32 v14, v38, v34, vcc
	v_cndmask_b32_e32 v31, v39, v36, vcc
	v_cndmask_b32_e64 v29, v14, v13, s[0:1]
	v_cndmask_b32_e64 v14, v31, v14, s[0:1]
	v_cndmask_b32_e32 v31, v34, v30, vcc
	v_cndmask_b32_e64 v13, v13, v31, s[0:1]
	v_sub_u32_e32 v33, 32, v27
	v_cmp_eq_u32_e64 s[6:7], 0, v27
	v_cndmask_b32_e32 v27, v32, v28, vcc
	v_cndmask_b32_e64 v14, v14, v29, s[2:3]
	v_cndmask_b32_e64 v29, v29, v13, s[2:3]
	;; [unrolled: 1-line block ×3, first 2 shown]
	v_alignbit_b32 v34, v14, v29, v33
	v_cndmask_b32_e64 v13, v13, v28, s[2:3]
	v_cndmask_b32_e64 v14, v34, v14, s[6:7]
	v_alignbit_b32 v31, v29, v13, v33
	v_cndmask_b32_e64 v29, v31, v29, s[6:7]
	v_bfe_u32 v34, v14, 29, 1
	v_cndmask_b32_e32 v12, v30, v12, vcc
	v_alignbit_b32 v31, v14, v29, 30
	v_sub_u32_e32 v35, 0, v34
	v_cndmask_b32_e64 v12, v27, v12, s[0:1]
	v_xor_b32_e32 v36, v31, v35
	v_cndmask_b32_e64 v12, v28, v12, s[2:3]
	v_alignbit_b32 v27, v13, v12, v33
	v_ffbh_u32_e32 v28, v36
	v_cndmask_b32_e64 v13, v27, v13, s[6:7]
	v_add_u32_e32 v28, 1, v28
	v_cmp_ne_u32_e32 vcc, v31, v35
	v_alignbit_b32 v27, v29, v13, 30
	v_cndmask_b32_e32 v28, 33, v28, vcc
	v_alignbit_b32 v12, v13, v12, 30
	v_xor_b32_e32 v27, v27, v35
	v_sub_u32_e32 v29, 32, v28
	v_xor_b32_e32 v12, v12, v35
	v_alignbit_b32 v30, v36, v27, v29
	v_alignbit_b32 v12, v27, v12, v29
	;; [unrolled: 1-line block ×3, first 2 shown]
	v_ffbh_u32_e32 v27, v13
	v_min_u32_e32 v27, 32, v27
	v_lshrrev_b32_e32 v32, 29, v14
	v_sub_u32_e32 v29, 31, v27
	v_alignbit_b32 v12, v13, v12, v29
	v_lshlrev_b32_e32 v13, 31, v32
	v_or_b32_e32 v29, 0x33800000, v13
	v_add_lshl_u32 v27, v27, v28, 23
	v_lshrrev_b32_e32 v12, 9, v12
	v_sub_u32_e32 v27, v29, v27
	v_or_b32_e32 v12, v27, v12
	v_alignbit_b32 v27, v28, v30, 9
	v_or_b32_e32 v13, v27, v13
	v_xor_b32_e32 v13, 1.0, v13
	v_mul_f32_e32 v27, 0x3fc90fda, v13
	v_fma_f32 v28, v13, s57, -v27
	v_fmac_f32_e32 v28, 0x33a22168, v13
	v_fmac_f32_e32 v28, 0x3fc90fda, v12
	v_lshrrev_b32_e32 v12, 30, v14
	v_add_f32_e32 v13, v27, v28
	v_add_u32_e32 v12, v34, v12
.LBB249_142:                            ;   in Loop: Header=BB249_4 Depth=1
	s_or_saveexec_b64 s[0:1], s[36:37]
	v_mul_f32_e64 v14, |v3|, s58
	v_rndne_f32_e32 v28, v14
	s_xor_b64 exec, exec, s[0:1]
; %bb.143:                              ;   in Loop: Header=BB249_4 Depth=1
	v_cvt_i32_f32_e32 v12, v28
	v_fma_f32 v13, v28, s59, |v3|
	v_fmac_f32_e32 v13, 0xb3a22168, v28
	v_fmac_f32_e32 v13, 0xa7c234c4, v28
; %bb.144:                              ;   in Loop: Header=BB249_4 Depth=1
	s_or_b64 exec, exec, s[0:1]
                                        ; implicit-def: $vgpr14
                                        ; implicit-def: $vgpr27
	s_and_saveexec_b64 s[0:1], s[34:35]
	s_xor_b64 s[34:35], exec, s[0:1]
	s_cbranch_execz .LBB249_146
; %bb.145:                              ;   in Loop: Header=BB249_4 Depth=1
	v_cmp_lt_u32_e32 vcc, 63, v26
	v_cndmask_b32_e32 v14, 0, v21, vcc
	v_add_u32_e32 v14, v14, v26
	v_cmp_lt_u32_e64 s[0:1], 31, v14
	v_cndmask_b32_e64 v26, 0, v22, s[0:1]
	v_add_u32_e32 v14, v26, v14
	v_cmp_lt_u32_e64 s[2:3], 31, v14
	v_cndmask_b32_e64 v26, 0, v22, s[2:3]
	v_add_u32_e32 v40, v26, v14
	v_mad_u64_u32 v[26:27], s[6:7], v25, s50, 0
	v_mov_b32_e32 v14, v27
	v_mad_u64_u32 v[28:29], s[6:7], v25, s51, v[14:15]
	v_mov_b32_e32 v14, v29
	;; [unrolled: 2-line block ×6, first 2 shown]
	v_mad_u64_u32 v[38:39], s[6:7], v25, s56, v[14:15]
	v_cndmask_b32_e32 v27, v36, v32, vcc
	v_cndmask_b32_e32 v14, v38, v34, vcc
	;; [unrolled: 1-line block ×3, first 2 shown]
	v_cndmask_b32_e64 v25, v14, v27, s[0:1]
	v_cndmask_b32_e64 v14, v29, v14, s[0:1]
	v_cndmask_b32_e32 v29, v34, v30, vcc
	v_cndmask_b32_e64 v27, v27, v29, s[0:1]
	v_cndmask_b32_e32 v28, v32, v28, vcc
	v_cndmask_b32_e64 v14, v14, v25, s[2:3]
	v_cndmask_b32_e64 v25, v25, v27, s[2:3]
	v_sub_u32_e32 v31, 32, v40
	v_cndmask_b32_e64 v29, v29, v28, s[0:1]
	v_alignbit_b32 v33, v14, v25, v31
	v_cmp_eq_u32_e64 s[6:7], 0, v40
	v_cndmask_b32_e64 v27, v27, v29, s[2:3]
	v_cndmask_b32_e64 v14, v33, v14, s[6:7]
	v_alignbit_b32 v32, v25, v27, v31
	v_cndmask_b32_e32 v26, v30, v26, vcc
	v_cndmask_b32_e64 v25, v32, v25, s[6:7]
	v_bfe_u32 v34, v14, 29, 1
	v_cndmask_b32_e64 v26, v28, v26, s[0:1]
	v_alignbit_b32 v32, v14, v25, 30
	v_sub_u32_e32 v35, 0, v34
	v_cndmask_b32_e64 v26, v29, v26, s[2:3]
	v_xor_b32_e32 v36, v32, v35
	v_alignbit_b32 v28, v27, v26, v31
	v_cndmask_b32_e64 v27, v28, v27, s[6:7]
	v_ffbh_u32_e32 v28, v36
	v_add_u32_e32 v28, 1, v28
	v_cmp_ne_u32_e32 vcc, v32, v35
	v_alignbit_b32 v25, v25, v27, 30
	v_cndmask_b32_e32 v28, 33, v28, vcc
	v_alignbit_b32 v26, v27, v26, 30
	v_xor_b32_e32 v25, v25, v35
	v_sub_u32_e32 v29, 32, v28
	v_xor_b32_e32 v26, v26, v35
	v_alignbit_b32 v30, v36, v25, v29
	v_alignbit_b32 v25, v25, v26, v29
	v_alignbit_b32 v26, v30, v25, 9
	v_ffbh_u32_e32 v27, v26
	v_min_u32_e32 v27, 32, v27
	v_lshrrev_b32_e32 v33, 29, v14
	v_sub_u32_e32 v29, 31, v27
	v_alignbit_b32 v25, v26, v25, v29
	v_lshlrev_b32_e32 v26, 31, v33
	v_or_b32_e32 v29, 0x33800000, v26
	v_add_lshl_u32 v27, v27, v28, 23
	v_lshrrev_b32_e32 v25, 9, v25
	v_sub_u32_e32 v27, v29, v27
	v_or_b32_e32 v25, v27, v25
	v_alignbit_b32 v27, v28, v30, 9
	v_or_b32_e32 v26, v27, v26
	v_xor_b32_e32 v26, 1.0, v26
	v_mul_f32_e32 v27, 0x3fc90fda, v26
	v_fma_f32 v28, v26, s57, -v27
	v_fmac_f32_e32 v28, 0x33a22168, v26
	v_fmac_f32_e32 v28, 0x3fc90fda, v25
	v_lshrrev_b32_e32 v14, 30, v14
	v_add_f32_e32 v27, v27, v28
	v_add_u32_e32 v14, v34, v14
                                        ; implicit-def: $vgpr28
	s_andn2_saveexec_b64 s[0:1], s[34:35]
	s_cbranch_execnz .LBB249_147
	s_branch .LBB249_148
.LBB249_146:                            ;   in Loop: Header=BB249_4 Depth=1
	s_andn2_saveexec_b64 s[0:1], s[34:35]
.LBB249_147:                            ;   in Loop: Header=BB249_4 Depth=1
	v_cvt_i32_f32_e32 v14, v28
	v_fma_f32 v27, v28, s59, |v3|
	v_fmac_f32_e32 v27, 0xb3a22168, v28
	v_fmac_f32_e32 v27, 0xa7c234c4, v28
.LBB249_148:                            ;   in Loop: Header=BB249_4 Depth=1
	s_or_b64 exec, exec, s[0:1]
	v_mul_f32_e32 v25, v13, v13
	v_mov_b32_e32 v26, 0x3c0881c4
	v_fmac_f32_e32 v26, 0xb94c1982, v25
	v_fma_f32 v26, v25, v26, v1
	v_mul_f32_e32 v26, v25, v26
	v_fmac_f32_e32 v13, v13, v26
	v_mov_b32_e32 v26, 0xbab64f3b
	v_fmac_f32_e32 v26, 0x37d75334, v25
	v_fma_f32 v26, v25, v26, v17
	v_fma_f32 v26, v25, v26, v20
	v_fma_f32 v25, v25, v26, 1.0
	v_and_b32_e32 v26, 1, v12
	v_cmp_eq_u32_e32 vcc, 0, v26
	v_lshlrev_b32_e32 v12, 30, v12
	v_cndmask_b32_e64 v13, -v13, v25, vcc
	v_and_b32_e32 v12, 0x80000000, v12
	v_xor_b32_e32 v12, v12, v13
	v_cmp_class_f32_e64 vcc, v3, s63
	v_mul_f32_e32 v3, v27, v27
	v_mov_b32_e32 v13, 0x3c0881c4
	v_fmac_f32_e32 v13, 0xb94c1982, v3
	v_fma_f32 v13, v3, v13, v1
	v_mul_f32_e32 v13, v3, v13
	v_fmac_f32_e32 v27, v27, v13
	v_mov_b32_e32 v13, 0xbab64f3b
	v_fmac_f32_e32 v13, 0x37d75334, v3
	v_fma_f32 v13, v3, v13, v17
	v_fma_f32 v13, v3, v13, v20
	v_fma_f32 v3, v3, v13, 1.0
	v_and_b32_e32 v13, 1, v14
	v_cmp_eq_u32_e64 s[0:1], 0, v13
	v_lshlrev_b32_e32 v13, 30, v14
	v_cndmask_b32_e64 v3, v3, v27, s[0:1]
	v_and_or_b32 v11, v13, s46, v11
	v_xor_b32_e32 v3, v11, v3
	v_xor_b32_e32 v3, v3, v10
	v_cndmask_b32_e32 v12, v24, v12, vcc
	v_cndmask_b32_e32 v10, v24, v3, vcc
.LBB249_149:                            ;   in Loop: Header=BB249_4 Depth=1
	s_or_b64 exec, exec, s[30:31]
.LBB249_150:                            ;   in Loop: Header=BB249_4 Depth=1
	s_andn2_saveexec_b64 s[0:1], s[28:29]
	s_cbranch_execz .LBB249_152
; %bb.151:                              ;   in Loop: Header=BB249_4 Depth=1
	v_mul_f32_e32 v3, 0xbfb8aa3b, v2
	v_rndne_f32_e32 v11, v3
	v_sub_f32_e32 v12, v3, v11
	v_fma_f32 v3, v2, s60, -v3
	v_fmac_f32_e32 v3, 0xb2a5705f, v2
	v_add_f32_e32 v3, v12, v3
	v_cvt_i32_f32_e32 v11, v11
	v_exp_f32_e32 v3, v3
	v_cmp_nlt_f32_e32 vcc, s61, v2
	v_ldexp_f32 v3, v3, v11
	v_cndmask_b32_e32 v3, 0, v3, vcc
	v_cmp_ngt_f32_e32 vcc, s62, v2
	v_cndmask_b32_e32 v12, v23, v3, vcc
.LBB249_152:                            ;   in Loop: Header=BB249_4 Depth=1
	s_or_b64 exec, exec, s[0:1]
	v_add_f32_e32 v3, s14, v12
	v_add_f32_e32 v2, s15, v10
	v_cmp_gt_f32_e32 vcc, 0, v3
	v_cndmask_b32_e64 v13, v3, -v3, vcc
	v_cmp_gt_f32_e32 vcc, 0, v2
	v_cndmask_b32_e64 v12, v2, -v2, vcc
	v_cmp_ge_f32_e32 vcc, v13, v12
                                        ; implicit-def: $vgpr11
	s_and_saveexec_b64 s[0:1], vcc
	s_xor_b64 s[2:3], exec, s[0:1]
	s_cbranch_execz .LBB249_158
; %bb.153:                              ;   in Loop: Header=BB249_4 Depth=1
	v_cmp_neq_f32_e32 vcc, 0, v3
	v_cmp_neq_f32_e64 s[0:1], 0, v2
	s_or_b64 s[0:1], vcc, s[0:1]
                                        ; implicit-def: $vgpr11
	s_and_saveexec_b64 s[6:7], s[0:1]
	s_xor_b64 s[0:1], exec, s[6:7]
	s_cbranch_execz .LBB249_155
; %bb.154:                              ;   in Loop: Header=BB249_4 Depth=1
	v_div_scale_f32 v10, s[6:7], v3, v3, v2
	v_rcp_f32_e32 v11, v10
	v_div_scale_f32 v12, vcc, v2, v3, v2
	v_fma_f32 v13, -v10, v11, 1.0
	v_fmac_f32_e32 v11, v13, v11
	v_mul_f32_e32 v13, v12, v11
	v_fma_f32 v14, -v10, v13, v12
	v_fmac_f32_e32 v13, v14, v11
	v_fma_f32 v10, -v10, v13, v12
	v_div_fmas_f32 v10, v10, v11, v13
	v_div_fixup_f32 v11, v10, v3, v2
	v_fmac_f32_e32 v3, v2, v11
	v_div_scale_f32 v2, s[6:7], v3, v3, 1.0
	v_rcp_f32_e32 v10, v2
	v_fma_f32 v12, -v2, v10, 1.0
	v_fmac_f32_e32 v10, v12, v10
	v_div_scale_f32 v12, vcc, 1.0, v3, 1.0
	v_mul_f32_e32 v13, v12, v10
	v_fma_f32 v14, -v2, v13, v12
	v_fmac_f32_e32 v13, v14, v10
	v_fma_f32 v2, -v2, v13, v12
	v_div_fmas_f32 v2, v2, v10, v13
	v_div_fixup_f32 v2, v2, v3, 1.0
	v_mov_b32_e32 v3, s14
	v_fma_f32 v3, s15, v11, v3
	v_mul_f32_e32 v10, v3, v2
	v_mov_b32_e32 v3, s15
	v_fma_f32 v3, -v11, s14, v3
	v_mul_f32_e32 v11, v3, v2
                                        ; implicit-def: $vgpr13
                                        ; implicit-def: $vgpr12
.LBB249_155:                            ;   in Loop: Header=BB249_4 Depth=1
	s_andn2_saveexec_b64 s[0:1], s[0:1]
	s_cbranch_execz .LBB249_157
; %bb.156:                              ;   in Loop: Header=BB249_4 Depth=1
	v_div_scale_f32 v2, s[6:7], v13, v13, s14
	v_rcp_f32_e32 v3, v2
	v_div_scale_f32 v10, vcc, s14, v13, s14
	v_fma_f32 v11, -v2, v3, 1.0
	v_fmac_f32_e32 v3, v11, v3
	v_mul_f32_e32 v11, v10, v3
	v_fma_f32 v14, -v2, v11, v10
	v_fmac_f32_e32 v11, v14, v3
	v_div_scale_f32 v14, s[6:7], v12, v12, s15
	v_rcp_f32_e32 v25, v14
	v_fma_f32 v2, -v2, v11, v10
	v_div_fmas_f32 v2, v2, v3, v11
	v_div_fixup_f32 v10, v2, v13, s14
	v_fma_f32 v2, -v14, v25, 1.0
	v_fmac_f32_e32 v25, v2, v25
	v_div_scale_f32 v2, vcc, s15, v12, s15
	v_mul_f32_e32 v3, v2, v25
	v_fma_f32 v11, -v14, v3, v2
	v_fmac_f32_e32 v3, v11, v25
	v_fma_f32 v2, -v14, v3, v2
	v_div_fmas_f32 v2, v2, v25, v3
	v_div_fixup_f32 v11, v2, v12, s15
.LBB249_157:                            ;   in Loop: Header=BB249_4 Depth=1
	s_or_b64 exec, exec, s[0:1]
                                        ; implicit-def: $vgpr2
                                        ; implicit-def: $vgpr3
.LBB249_158:                            ;   in Loop: Header=BB249_4 Depth=1
	s_andn2_saveexec_b64 s[0:1], s[2:3]
	s_cbranch_execz .LBB249_160
; %bb.159:                              ;   in Loop: Header=BB249_4 Depth=1
	v_div_scale_f32 v10, s[2:3], v2, v2, v3
	v_rcp_f32_e32 v11, v10
	v_div_scale_f32 v12, vcc, v3, v2, v3
	v_fma_f32 v13, -v10, v11, 1.0
	v_fmac_f32_e32 v11, v13, v11
	v_mul_f32_e32 v13, v12, v11
	v_fma_f32 v14, -v10, v13, v12
	v_fmac_f32_e32 v13, v14, v11
	v_fma_f32 v10, -v10, v13, v12
	v_div_fmas_f32 v10, v10, v11, v13
	v_div_fixup_f32 v11, v10, v2, v3
	v_fmac_f32_e32 v2, v3, v11
	v_div_scale_f32 v3, s[2:3], v2, v2, 1.0
	v_rcp_f32_e32 v10, v3
	v_fma_f32 v12, -v3, v10, 1.0
	v_fmac_f32_e32 v10, v12, v10
	v_div_scale_f32 v12, vcc, 1.0, v2, 1.0
	v_mul_f32_e32 v13, v12, v10
	v_fma_f32 v14, -v3, v13, v12
	v_fmac_f32_e32 v13, v14, v10
	v_fma_f32 v3, -v3, v13, v12
	v_div_fmas_f32 v3, v3, v10, v13
	v_div_fixup_f32 v2, v3, v2, 1.0
	v_mov_b32_e32 v3, s15
	v_fma_f32 v3, s14, v11, v3
	v_mul_f32_e32 v10, v3, v2
	v_mov_b32_e32 v3, s14
	v_fma_f32 v3, v11, s15, -v3
	v_mul_f32_e32 v11, v3, v2
.LBB249_160:                            ;   in Loop: Header=BB249_4 Depth=1
	s_or_b64 exec, exec, s[0:1]
	v_and_b32_e32 v2, 0x7fffffff, v5
	v_xor_b32_e32 v12, 0x80000000, v5
	v_cmp_ne_u32_e32 vcc, 0, v2
                                        ; implicit-def: $vgpr13
	s_and_saveexec_b64 s[0:1], vcc
	s_xor_b64 s[28:29], exec, s[0:1]
	s_cbranch_execz .LBB249_202
; %bb.161:                              ;   in Loop: Header=BB249_4 Depth=1
	v_and_b32_e32 v3, 0x7fffffff, v4
	v_cmp_ne_u32_e32 vcc, 0, v3
                                        ; implicit-def: $vgpr13
	s_and_saveexec_b64 s[0:1], vcc
	s_xor_b64 s[30:31], exec, s[0:1]
	s_cbranch_execz .LBB249_191
; %bb.162:                              ;   in Loop: Header=BB249_4 Depth=1
	v_xor_b32_e32 v14, 0x80000000, v4
	v_cmp_gt_u32_e32 vcc, s47, v2
                                        ; implicit-def: $vgpr13
	s_and_saveexec_b64 s[0:1], vcc
	s_xor_b64 s[34:35], exec, s[0:1]
	s_cbranch_execz .LBB249_184
; %bb.163:                              ;   in Loop: Header=BB249_4 Depth=1
	v_add_u32_e32 v3, 0xbd4e8de8, v14
	v_cmp_lt_u32_e32 vcc, s48, v3
                                        ; implicit-def: $vgpr13
	s_and_saveexec_b64 s[0:1], vcc
	s_xor_b64 s[36:37], exec, s[0:1]
	s_cbranch_execz .LBB249_173
; %bb.164:                              ;   in Loop: Header=BB249_4 Depth=1
	v_cmp_nlt_f32_e64 s[38:39], |v5|, s49
                                        ; implicit-def: $vgpr3
                                        ; implicit-def: $vgpr13
	s_and_saveexec_b64 s[0:1], s[38:39]
	s_xor_b64 s[40:41], exec, s[0:1]
	s_cbranch_execz .LBB249_166
; %bb.165:                              ;   in Loop: Header=BB249_4 Depth=1
	v_lshrrev_b32_e32 v3, 23, v2
	v_add_u32_e32 v3, 0xffffff88, v3
	v_cmp_lt_u32_e32 vcc, 63, v3
	v_cndmask_b32_e32 v13, 0, v21, vcc
	v_add_u32_e32 v3, v13, v3
	v_cmp_lt_u32_e64 s[0:1], 31, v3
	v_cndmask_b32_e64 v13, 0, v22, s[0:1]
	v_add_u32_e32 v3, v13, v3
	v_cmp_lt_u32_e64 s[2:3], 31, v3
	v_cndmask_b32_e64 v13, 0, v22, s[2:3]
	v_add_u32_e32 v3, v13, v3
	v_and_b32_e32 v13, 0x7fffff, v2
	v_or_b32_e32 v13, 0x800000, v13
	v_mad_u64_u32 v[26:27], s[6:7], v13, s50, 0
	v_mov_b32_e32 v14, v27
	v_mad_u64_u32 v[28:29], s[6:7], v13, s51, v[14:15]
	v_mov_b32_e32 v14, v29
	;; [unrolled: 2-line block ×6, first 2 shown]
	v_mad_u64_u32 v[38:39], s[6:7], v13, s56, v[14:15]
	v_cndmask_b32_e32 v25, v36, v32, vcc
	v_cndmask_b32_e32 v13, v38, v34, vcc
	;; [unrolled: 1-line block ×3, first 2 shown]
	v_cndmask_b32_e64 v14, v13, v25, s[0:1]
	v_cndmask_b32_e64 v13, v27, v13, s[0:1]
	v_cndmask_b32_e32 v27, v34, v30, vcc
	v_cndmask_b32_e64 v25, v25, v27, s[0:1]
	v_cndmask_b32_e64 v13, v13, v14, s[2:3]
	;; [unrolled: 1-line block ×3, first 2 shown]
	v_sub_u32_e32 v29, 32, v3
	v_alignbit_b32 v31, v13, v14, v29
	v_cmp_eq_u32_e64 s[6:7], 0, v3
	v_cndmask_b32_e64 v3, v31, v13, s[6:7]
	v_cndmask_b32_e32 v13, v32, v28, vcc
	v_cndmask_b32_e64 v27, v27, v13, s[0:1]
	v_cndmask_b32_e64 v25, v25, v27, s[2:3]
	v_alignbit_b32 v28, v14, v25, v29
	v_cndmask_b32_e32 v26, v30, v26, vcc
	v_cndmask_b32_e64 v14, v28, v14, s[6:7]
	v_bfe_u32 v32, v3, 29, 1
	v_cndmask_b32_e64 v13, v13, v26, s[0:1]
	v_alignbit_b32 v28, v3, v14, 30
	v_sub_u32_e32 v33, 0, v32
	v_cndmask_b32_e64 v13, v27, v13, s[2:3]
	v_xor_b32_e32 v34, v28, v33
	v_alignbit_b32 v26, v25, v13, v29
	v_cndmask_b32_e64 v25, v26, v25, s[6:7]
	v_ffbh_u32_e32 v26, v34
	v_add_u32_e32 v26, 1, v26
	v_cmp_ne_u32_e32 vcc, v28, v33
	v_alignbit_b32 v14, v14, v25, 30
	v_cndmask_b32_e32 v26, 33, v26, vcc
	v_alignbit_b32 v13, v25, v13, 30
	v_xor_b32_e32 v14, v14, v33
	v_sub_u32_e32 v27, 32, v26
	v_xor_b32_e32 v13, v13, v33
	v_alignbit_b32 v28, v34, v14, v27
	v_alignbit_b32 v13, v14, v13, v27
	;; [unrolled: 1-line block ×3, first 2 shown]
	v_ffbh_u32_e32 v25, v14
	v_min_u32_e32 v25, 32, v25
	v_lshrrev_b32_e32 v31, 29, v3
	v_sub_u32_e32 v27, 31, v25
	v_alignbit_b32 v13, v14, v13, v27
	v_lshlrev_b32_e32 v14, 31, v31
	v_or_b32_e32 v27, 0x33800000, v14
	v_add_lshl_u32 v25, v25, v26, 23
	v_lshrrev_b32_e32 v13, 9, v13
	v_sub_u32_e32 v25, v27, v25
	v_or_b32_e32 v13, v25, v13
	v_alignbit_b32 v25, v26, v28, 9
	v_or_b32_e32 v14, v25, v14
	v_xor_b32_e32 v14, 1.0, v14
	v_mul_f32_e32 v25, 0x3fc90fda, v14
	v_fma_f32 v26, v14, s57, -v25
	v_fmac_f32_e32 v26, 0x33a22168, v14
	v_fmac_f32_e32 v26, 0x3fc90fda, v13
	v_lshrrev_b32_e32 v3, 30, v3
	v_add_f32_e32 v13, v25, v26
	v_add_u32_e32 v3, v32, v3
	s_andn2_saveexec_b64 s[0:1], s[40:41]
	s_branch .LBB249_167
.LBB249_166:                            ;   in Loop: Header=BB249_4 Depth=1
	s_andn2_saveexec_b64 s[0:1], s[40:41]
.LBB249_167:                            ;   in Loop: Header=BB249_4 Depth=1
	v_mul_f32_e64 v3, |v5|, s58
	v_rndne_f32_e32 v14, v3
	v_cvt_i32_f32_e32 v3, v14
	v_fma_f32 v13, v14, s59, |v5|
	v_fmac_f32_e32 v13, 0xb3a22168, v14
	v_fmac_f32_e32 v13, 0xa7c234c4, v14
; %bb.168:                              ;   in Loop: Header=BB249_4 Depth=1
	s_or_b64 exec, exec, s[0:1]
                                        ; implicit-def: $vgpr14
                                        ; implicit-def: $vgpr25
	s_and_saveexec_b64 s[0:1], s[38:39]
	s_xor_b64 s[38:39], exec, s[0:1]
	s_cbranch_execz .LBB249_170
; %bb.169:                              ;   in Loop: Header=BB249_4 Depth=1
	v_lshrrev_b32_e32 v14, 23, v2
	v_add_u32_e32 v14, 0xffffff88, v14
	v_cmp_lt_u32_e32 vcc, 63, v14
	v_cndmask_b32_e32 v25, 0, v21, vcc
	v_add_u32_e32 v14, v25, v14
	v_cmp_lt_u32_e64 s[0:1], 31, v14
	v_cndmask_b32_e64 v25, 0, v22, s[0:1]
	v_add_u32_e32 v14, v25, v14
	v_cmp_lt_u32_e64 s[2:3], 31, v14
	v_cndmask_b32_e64 v25, 0, v22, s[2:3]
	v_add_u32_e32 v25, v25, v14
	v_and_b32_e32 v14, 0x7fffff, v2
	v_or_b32_e32 v38, 0x800000, v14
	v_mad_u64_u32 v[26:27], s[6:7], v38, s50, 0
	v_mov_b32_e32 v14, v27
	v_mad_u64_u32 v[28:29], s[6:7], v38, s51, v[14:15]
	v_mov_b32_e32 v14, v29
	;; [unrolled: 2-line block ×6, first 2 shown]
	v_mad_u64_u32 v[38:39], s[6:7], v38, s56, v[14:15]
	v_cndmask_b32_e32 v27, v36, v32, vcc
	v_cndmask_b32_e32 v14, v38, v34, vcc
	;; [unrolled: 1-line block ×3, first 2 shown]
	v_cndmask_b32_e64 v29, v14, v27, s[0:1]
	v_cndmask_b32_e64 v14, v31, v14, s[0:1]
	v_cndmask_b32_e32 v31, v34, v30, vcc
	v_cndmask_b32_e64 v27, v27, v31, s[0:1]
	v_sub_u32_e32 v33, 32, v25
	v_cmp_eq_u32_e64 s[6:7], 0, v25
	v_cndmask_b32_e32 v25, v32, v28, vcc
	v_cndmask_b32_e64 v14, v14, v29, s[2:3]
	v_cndmask_b32_e64 v29, v29, v27, s[2:3]
	;; [unrolled: 1-line block ×3, first 2 shown]
	v_alignbit_b32 v34, v14, v29, v33
	v_cndmask_b32_e64 v27, v27, v28, s[2:3]
	v_cndmask_b32_e64 v14, v34, v14, s[6:7]
	v_alignbit_b32 v31, v29, v27, v33
	v_cndmask_b32_e64 v29, v31, v29, s[6:7]
	v_bfe_u32 v34, v14, 29, 1
	v_cndmask_b32_e32 v26, v30, v26, vcc
	v_alignbit_b32 v31, v14, v29, 30
	v_sub_u32_e32 v35, 0, v34
	v_cndmask_b32_e64 v25, v25, v26, s[0:1]
	v_xor_b32_e32 v36, v31, v35
	v_cndmask_b32_e64 v25, v28, v25, s[2:3]
	v_alignbit_b32 v26, v27, v25, v33
	v_ffbh_u32_e32 v28, v36
	v_cndmask_b32_e64 v26, v26, v27, s[6:7]
	v_add_u32_e32 v28, 1, v28
	v_cmp_ne_u32_e32 vcc, v31, v35
	v_alignbit_b32 v27, v29, v26, 30
	v_cndmask_b32_e32 v28, 33, v28, vcc
	v_alignbit_b32 v25, v26, v25, 30
	v_xor_b32_e32 v27, v27, v35
	v_sub_u32_e32 v29, 32, v28
	v_xor_b32_e32 v25, v25, v35
	v_alignbit_b32 v30, v36, v27, v29
	v_alignbit_b32 v25, v27, v25, v29
	v_alignbit_b32 v26, v30, v25, 9
	v_ffbh_u32_e32 v27, v26
	v_min_u32_e32 v27, 32, v27
	v_lshrrev_b32_e32 v32, 29, v14
	v_sub_u32_e32 v29, 31, v27
	v_alignbit_b32 v25, v26, v25, v29
	v_lshlrev_b32_e32 v26, 31, v32
	v_or_b32_e32 v29, 0x33800000, v26
	v_add_lshl_u32 v27, v27, v28, 23
	v_lshrrev_b32_e32 v25, 9, v25
	v_sub_u32_e32 v27, v29, v27
	v_or_b32_e32 v25, v27, v25
	v_alignbit_b32 v27, v28, v30, 9
	v_or_b32_e32 v26, v27, v26
	v_xor_b32_e32 v26, 1.0, v26
	v_mul_f32_e32 v27, 0x3fc90fda, v26
	v_fma_f32 v28, v26, s57, -v27
	v_fmac_f32_e32 v28, 0x33a22168, v26
	v_fmac_f32_e32 v28, 0x3fc90fda, v25
	v_lshrrev_b32_e32 v14, 30, v14
	v_add_f32_e32 v25, v27, v28
	v_add_u32_e32 v14, v34, v14
	s_andn2_saveexec_b64 s[0:1], s[38:39]
	s_cbranch_execnz .LBB249_171
	s_branch .LBB249_172
.LBB249_170:                            ;   in Loop: Header=BB249_4 Depth=1
	s_andn2_saveexec_b64 s[0:1], s[38:39]
.LBB249_171:                            ;   in Loop: Header=BB249_4 Depth=1
	v_mul_f32_e64 v14, |v5|, s58
	v_rndne_f32_e32 v26, v14
	v_cvt_i32_f32_e32 v14, v26
	v_fma_f32 v25, v26, s59, |v5|
	v_fmac_f32_e32 v25, 0xb3a22168, v26
	v_fmac_f32_e32 v25, 0xa7c234c4, v26
.LBB249_172:                            ;   in Loop: Header=BB249_4 Depth=1
	s_or_b64 exec, exec, s[0:1]
	v_mul_f32_e32 v26, 0xbfb8aa3b, v4
	v_rndne_f32_e32 v27, v26
	v_sub_f32_e32 v28, v26, v27
	v_fma_f32 v26, v4, s60, -v26
	v_fmac_f32_e32 v26, 0xb2a5705f, v4
	v_add_f32_e32 v26, v28, v26
	v_cvt_i32_f32_e32 v27, v27
	v_exp_f32_e32 v26, v26
	v_cmp_nlt_f32_e32 vcc, s61, v4
	v_ldexp_f32 v26, v26, v27
	v_cndmask_b32_e32 v26, 0, v26, vcc
	v_cmp_ngt_f32_e32 vcc, s62, v4
	v_cndmask_b32_e32 v4, v23, v26, vcc
	v_mul_f32_e32 v26, v13, v13
	v_mov_b32_e32 v27, 0x3c0881c4
	v_fmac_f32_e32 v27, 0xb94c1982, v26
	v_fma_f32 v27, v26, v27, v1
	v_mul_f32_e32 v27, v26, v27
	v_fmac_f32_e32 v13, v13, v27
	v_mov_b32_e32 v27, 0xbab64f3b
	v_fmac_f32_e32 v27, 0x37d75334, v26
	v_fma_f32 v27, v26, v27, v17
	v_fma_f32 v27, v26, v27, v20
	v_fma_f32 v26, v26, v27, 1.0
	v_and_b32_e32 v27, 1, v3
	v_cmp_eq_u32_e32 vcc, 0, v27
	v_lshlrev_b32_e32 v3, 30, v3
	v_cndmask_b32_e64 v13, -v13, v26, vcc
	v_and_b32_e32 v3, 0x80000000, v3
	v_xor_b32_e32 v3, v3, v13
	v_cmp_class_f32_e64 vcc, v5, s63
	v_cndmask_b32_e32 v3, v24, v3, vcc
	v_mul_f32_e32 v13, v4, v3
	v_mul_f32_e32 v3, v25, v25
	v_mov_b32_e32 v5, 0x3c0881c4
	v_fmac_f32_e32 v5, 0xb94c1982, v3
	v_fma_f32 v5, v3, v5, v1
	v_mul_f32_e32 v5, v3, v5
	v_fmac_f32_e32 v25, v25, v5
	v_mov_b32_e32 v5, 0xbab64f3b
	v_fmac_f32_e32 v5, 0x37d75334, v3
	v_fma_f32 v5, v3, v5, v17
	v_fma_f32 v5, v3, v5, v20
	v_fma_f32 v3, v3, v5, 1.0
	v_and_b32_e32 v5, 1, v14
	v_cmp_eq_u32_e64 s[0:1], 0, v5
	v_lshlrev_b32_e32 v5, 30, v14
	v_cndmask_b32_e64 v3, v3, v25, s[0:1]
	v_and_or_b32 v2, v5, s46, v2
	v_xor_b32_e32 v2, v2, v3
	v_xor_b32_e32 v2, v2, v12
	v_cndmask_b32_e32 v2, v24, v2, vcc
	v_mul_f32_e32 v12, v4, v2
                                        ; implicit-def: $vgpr2_vgpr3_vgpr4_vgpr5
                                        ; implicit-def: $vgpr2
.LBB249_173:                            ;   in Loop: Header=BB249_4 Depth=1
	s_andn2_saveexec_b64 s[36:37], s[36:37]
	s_cbranch_execz .LBB249_183
; %bb.174:                              ;   in Loop: Header=BB249_4 Depth=1
	v_cmp_nlt_f32_e64 s[38:39], |v5|, s49
                                        ; implicit-def: $vgpr13
                                        ; implicit-def: $vgpr3
	s_and_saveexec_b64 s[0:1], s[38:39]
	s_xor_b64 s[40:41], exec, s[0:1]
	s_cbranch_execz .LBB249_176
; %bb.175:                              ;   in Loop: Header=BB249_4 Depth=1
	v_lshrrev_b32_e32 v3, 23, v2
	v_add_u32_e32 v3, 0xffffff88, v3
	v_cmp_lt_u32_e32 vcc, 63, v3
	v_cndmask_b32_e32 v13, 0, v21, vcc
	v_add_u32_e32 v3, v13, v3
	v_cmp_lt_u32_e64 s[0:1], 31, v3
	v_cndmask_b32_e64 v13, 0, v22, s[0:1]
	v_add_u32_e32 v3, v13, v3
	v_cmp_lt_u32_e64 s[2:3], 31, v3
	v_cndmask_b32_e64 v13, 0, v22, s[2:3]
	v_add_u32_e32 v3, v13, v3
	v_and_b32_e32 v13, 0x7fffff, v2
	v_or_b32_e32 v13, 0x800000, v13
	v_mad_u64_u32 v[26:27], s[6:7], v13, s50, 0
	v_mov_b32_e32 v14, v27
	v_mad_u64_u32 v[28:29], s[6:7], v13, s51, v[14:15]
	v_mov_b32_e32 v14, v29
	v_mad_u64_u32 v[30:31], s[6:7], v13, s52, v[14:15]
	v_mov_b32_e32 v14, v31
	v_mad_u64_u32 v[32:33], s[6:7], v13, s53, v[14:15]
	v_mov_b32_e32 v14, v33
	v_mad_u64_u32 v[34:35], s[6:7], v13, s54, v[14:15]
	v_mov_b32_e32 v14, v35
	v_mad_u64_u32 v[36:37], s[6:7], v13, s55, v[14:15]
	v_mov_b32_e32 v14, v37
	v_mad_u64_u32 v[38:39], s[6:7], v13, s56, v[14:15]
	v_cndmask_b32_e32 v25, v36, v32, vcc
	v_cndmask_b32_e32 v13, v38, v34, vcc
	;; [unrolled: 1-line block ×3, first 2 shown]
	v_cndmask_b32_e64 v14, v13, v25, s[0:1]
	v_cndmask_b32_e64 v13, v27, v13, s[0:1]
	v_cndmask_b32_e32 v27, v34, v30, vcc
	v_cndmask_b32_e64 v25, v25, v27, s[0:1]
	v_sub_u32_e32 v29, 32, v3
	v_cmp_eq_u32_e64 s[6:7], 0, v3
	v_cndmask_b32_e32 v3, v32, v28, vcc
	v_cndmask_b32_e64 v13, v13, v14, s[2:3]
	v_cndmask_b32_e64 v14, v14, v25, s[2:3]
	;; [unrolled: 1-line block ×3, first 2 shown]
	v_alignbit_b32 v31, v13, v14, v29
	v_cndmask_b32_e64 v25, v25, v27, s[2:3]
	v_cndmask_b32_e64 v13, v31, v13, s[6:7]
	v_alignbit_b32 v28, v14, v25, v29
	v_cndmask_b32_e32 v26, v30, v26, vcc
	v_cndmask_b32_e64 v14, v28, v14, s[6:7]
	v_bfe_u32 v32, v13, 29, 1
	v_cndmask_b32_e64 v3, v3, v26, s[0:1]
	v_alignbit_b32 v28, v13, v14, 30
	v_sub_u32_e32 v33, 0, v32
	v_cndmask_b32_e64 v3, v27, v3, s[2:3]
	v_xor_b32_e32 v34, v28, v33
	v_alignbit_b32 v26, v25, v3, v29
	v_cndmask_b32_e64 v25, v26, v25, s[6:7]
	v_ffbh_u32_e32 v26, v34
	v_add_u32_e32 v26, 1, v26
	v_cmp_ne_u32_e32 vcc, v28, v33
	v_alignbit_b32 v14, v14, v25, 30
	v_cndmask_b32_e32 v26, 33, v26, vcc
	v_alignbit_b32 v3, v25, v3, 30
	v_xor_b32_e32 v14, v14, v33
	v_sub_u32_e32 v27, 32, v26
	v_xor_b32_e32 v3, v3, v33
	v_alignbit_b32 v28, v34, v14, v27
	v_alignbit_b32 v3, v14, v3, v27
	;; [unrolled: 1-line block ×3, first 2 shown]
	v_ffbh_u32_e32 v25, v14
	v_min_u32_e32 v25, 32, v25
	v_lshrrev_b32_e32 v31, 29, v13
	v_sub_u32_e32 v27, 31, v25
	v_alignbit_b32 v3, v14, v3, v27
	v_lshlrev_b32_e32 v14, 31, v31
	v_or_b32_e32 v27, 0x33800000, v14
	v_add_lshl_u32 v25, v25, v26, 23
	v_lshrrev_b32_e32 v3, 9, v3
	v_sub_u32_e32 v25, v27, v25
	v_or_b32_e32 v3, v25, v3
	v_alignbit_b32 v25, v26, v28, 9
	v_or_b32_e32 v14, v25, v14
	v_xor_b32_e32 v14, 1.0, v14
	v_mul_f32_e32 v25, 0x3fc90fda, v14
	v_fma_f32 v26, v14, s57, -v25
	v_fmac_f32_e32 v26, 0x33a22168, v14
	v_fmac_f32_e32 v26, 0x3fc90fda, v3
	v_lshrrev_b32_e32 v13, 30, v13
	v_add_f32_e32 v3, v25, v26
	v_add_u32_e32 v13, v32, v13
	s_andn2_saveexec_b64 s[0:1], s[40:41]
	s_branch .LBB249_177
.LBB249_176:                            ;   in Loop: Header=BB249_4 Depth=1
	s_andn2_saveexec_b64 s[0:1], s[40:41]
.LBB249_177:                            ;   in Loop: Header=BB249_4 Depth=1
	v_mul_f32_e64 v3, |v5|, s58
	v_rndne_f32_e32 v14, v3
	v_cvt_i32_f32_e32 v13, v14
	v_fma_f32 v3, v14, s59, |v5|
	v_fmac_f32_e32 v3, 0xb3a22168, v14
	v_fmac_f32_e32 v3, 0xa7c234c4, v14
; %bb.178:                              ;   in Loop: Header=BB249_4 Depth=1
	s_or_b64 exec, exec, s[0:1]
                                        ; implicit-def: $vgpr14
                                        ; implicit-def: $vgpr25
	s_and_saveexec_b64 s[0:1], s[38:39]
	s_xor_b64 s[38:39], exec, s[0:1]
	s_cbranch_execz .LBB249_180
; %bb.179:                              ;   in Loop: Header=BB249_4 Depth=1
	v_lshrrev_b32_e32 v14, 23, v2
	v_add_u32_e32 v14, 0xffffff88, v14
	v_cmp_lt_u32_e32 vcc, 63, v14
	v_cndmask_b32_e32 v25, 0, v21, vcc
	v_add_u32_e32 v14, v25, v14
	v_cmp_lt_u32_e64 s[0:1], 31, v14
	v_cndmask_b32_e64 v25, 0, v22, s[0:1]
	v_add_u32_e32 v14, v25, v14
	v_cmp_lt_u32_e64 s[2:3], 31, v14
	v_cndmask_b32_e64 v25, 0, v22, s[2:3]
	v_add_u32_e32 v25, v25, v14
	v_and_b32_e32 v14, 0x7fffff, v2
	v_or_b32_e32 v38, 0x800000, v14
	v_mad_u64_u32 v[26:27], s[6:7], v38, s50, 0
	v_mov_b32_e32 v14, v27
	v_mad_u64_u32 v[28:29], s[6:7], v38, s51, v[14:15]
	v_mov_b32_e32 v14, v29
	;; [unrolled: 2-line block ×6, first 2 shown]
	v_mad_u64_u32 v[38:39], s[6:7], v38, s56, v[14:15]
	v_cndmask_b32_e32 v27, v36, v32, vcc
	v_cndmask_b32_e32 v14, v38, v34, vcc
	;; [unrolled: 1-line block ×3, first 2 shown]
	v_cndmask_b32_e64 v29, v14, v27, s[0:1]
	v_cndmask_b32_e64 v14, v31, v14, s[0:1]
	v_cndmask_b32_e32 v31, v34, v30, vcc
	v_cndmask_b32_e64 v27, v27, v31, s[0:1]
	v_sub_u32_e32 v33, 32, v25
	v_cmp_eq_u32_e64 s[6:7], 0, v25
	v_cndmask_b32_e32 v25, v32, v28, vcc
	v_cndmask_b32_e64 v14, v14, v29, s[2:3]
	v_cndmask_b32_e64 v29, v29, v27, s[2:3]
	;; [unrolled: 1-line block ×3, first 2 shown]
	v_alignbit_b32 v34, v14, v29, v33
	v_cndmask_b32_e64 v27, v27, v28, s[2:3]
	v_cndmask_b32_e64 v14, v34, v14, s[6:7]
	v_alignbit_b32 v31, v29, v27, v33
	v_cndmask_b32_e64 v29, v31, v29, s[6:7]
	v_bfe_u32 v34, v14, 29, 1
	v_cndmask_b32_e32 v26, v30, v26, vcc
	v_alignbit_b32 v31, v14, v29, 30
	v_sub_u32_e32 v35, 0, v34
	v_cndmask_b32_e64 v25, v25, v26, s[0:1]
	v_xor_b32_e32 v36, v31, v35
	v_cndmask_b32_e64 v25, v28, v25, s[2:3]
	v_alignbit_b32 v26, v27, v25, v33
	v_ffbh_u32_e32 v28, v36
	v_cndmask_b32_e64 v26, v26, v27, s[6:7]
	v_add_u32_e32 v28, 1, v28
	v_cmp_ne_u32_e32 vcc, v31, v35
	v_alignbit_b32 v27, v29, v26, 30
	v_cndmask_b32_e32 v28, 33, v28, vcc
	v_alignbit_b32 v25, v26, v25, 30
	v_xor_b32_e32 v27, v27, v35
	v_sub_u32_e32 v29, 32, v28
	v_xor_b32_e32 v25, v25, v35
	v_alignbit_b32 v30, v36, v27, v29
	v_alignbit_b32 v25, v27, v25, v29
	;; [unrolled: 1-line block ×3, first 2 shown]
	v_ffbh_u32_e32 v27, v26
	v_min_u32_e32 v27, 32, v27
	v_lshrrev_b32_e32 v32, 29, v14
	v_sub_u32_e32 v29, 31, v27
	v_alignbit_b32 v25, v26, v25, v29
	v_lshlrev_b32_e32 v26, 31, v32
	v_or_b32_e32 v29, 0x33800000, v26
	v_add_lshl_u32 v27, v27, v28, 23
	v_lshrrev_b32_e32 v25, 9, v25
	v_sub_u32_e32 v27, v29, v27
	v_or_b32_e32 v25, v27, v25
	v_alignbit_b32 v27, v28, v30, 9
	v_or_b32_e32 v26, v27, v26
	v_xor_b32_e32 v26, 1.0, v26
	v_mul_f32_e32 v27, 0x3fc90fda, v26
	v_fma_f32 v28, v26, s57, -v27
	v_fmac_f32_e32 v28, 0x33a22168, v26
	v_fmac_f32_e32 v28, 0x3fc90fda, v25
	v_lshrrev_b32_e32 v14, 30, v14
	v_add_f32_e32 v25, v27, v28
	v_add_u32_e32 v14, v34, v14
	s_andn2_saveexec_b64 s[0:1], s[38:39]
	s_cbranch_execnz .LBB249_181
	s_branch .LBB249_182
.LBB249_180:                            ;   in Loop: Header=BB249_4 Depth=1
	s_andn2_saveexec_b64 s[0:1], s[38:39]
.LBB249_181:                            ;   in Loop: Header=BB249_4 Depth=1
	v_mul_f32_e64 v14, |v5|, s58
	v_rndne_f32_e32 v26, v14
	v_cvt_i32_f32_e32 v14, v26
	v_fma_f32 v25, v26, s59, |v5|
	v_fmac_f32_e32 v25, 0xb3a22168, v26
	v_fmac_f32_e32 v25, 0xa7c234c4, v26
.LBB249_182:                            ;   in Loop: Header=BB249_4 Depth=1
	s_or_b64 exec, exec, s[0:1]
	v_mul_f32_e32 v27, v3, v3
	v_mov_b32_e32 v28, 0xbab64f3b
	v_fmac_f32_e32 v28, 0x37d75334, v27
	v_mov_b32_e32 v29, 0x3c0881c4
	v_fma_f32 v28, v27, v28, v17
	v_fmac_f32_e32 v29, 0xb94c1982, v27
	v_fma_f32 v28, v27, v28, v20
	v_fma_f32 v29, v27, v29, v1
	v_lshlrev_b32_e32 v26, 30, v13
	v_and_b32_e32 v13, 1, v13
	v_fma_f32 v28, v27, v28, 1.0
	v_mul_f32_e32 v27, v27, v29
	v_sub_f32_e32 v4, 0xc322e3bc, v4
	v_fmac_f32_e32 v3, v3, v27
	v_cmp_eq_u32_e32 vcc, 0, v13
	v_mul_f32_e32 v13, 0x3fb8aa3b, v4
	v_cndmask_b32_e64 v3, -v3, v28, vcc
	v_fma_f32 v27, v4, s64, -v13
	v_rndne_f32_e32 v28, v13
	v_fmac_f32_e32 v27, 0x32a5705f, v4
	v_sub_f32_e32 v13, v13, v28
	v_add_f32_e32 v13, v13, v27
	v_exp_f32_e32 v13, v13
	v_cvt_i32_f32_e32 v27, v28
	v_cmp_class_f32_e64 vcc, v5, s63
	v_cmp_ngt_f32_e64 s[0:1], s65, v4
	v_and_b32_e32 v26, 0x80000000, v26
	v_ldexp_f32 v5, v13, v27
	v_cndmask_b32_e64 v5, 0, v5, s[0:1]
	v_cmp_nlt_f32_e64 s[0:1], s66, v4
	v_cndmask_b32_e64 v4, v23, v5, s[0:1]
	v_and_b32_e32 v5, 0x7fffff, v4
	v_lshrrev_b32_e32 v4, 23, v4
	v_subrev_u32_e32 v4, 19, v4
	v_lshrrev_b16_e32 v13, 15, v4
	v_add_u16_e32 v13, v4, v13
	v_xor_b32_e32 v3, v26, v3
	v_ashrrev_i16_e32 v13, 1, v13
	v_cndmask_b32_e32 v3, v24, v3, vcc
	v_or_b32_e32 v5, 0x7f000000, v5
	v_bfe_i32 v13, v13, 0, 16
	v_mul_f32_e32 v3, v3, v5
	v_lshl_add_u32 v26, v13, 23, 1.0
	v_sub_u32_e32 v4, v4, v13
	v_mul_f32_e32 v3, v3, v26
	v_lshl_add_u32 v4, v4, 23, 1.0
	v_mul_f32_e32 v13, v3, v4
	v_mul_f32_e32 v3, v25, v25
	v_mov_b32_e32 v27, 0x3c0881c4
	v_fmac_f32_e32 v27, 0xb94c1982, v3
	v_fma_f32 v27, v3, v27, v1
	v_mul_f32_e32 v27, v3, v27
	v_fmac_f32_e32 v25, v25, v27
	v_mov_b32_e32 v27, 0xbab64f3b
	v_fmac_f32_e32 v27, 0x37d75334, v3
	v_fma_f32 v27, v3, v27, v17
	v_fma_f32 v27, v3, v27, v20
	v_fma_f32 v3, v3, v27, 1.0
	v_and_b32_e32 v27, 1, v14
	v_cmp_eq_u32_e64 s[0:1], 0, v27
	v_lshlrev_b32_e32 v14, 30, v14
	v_cndmask_b32_e64 v3, v3, v25, s[0:1]
	v_and_or_b32 v2, v14, s46, v2
	v_xor_b32_e32 v2, v2, v3
	v_xor_b32_e32 v2, v2, v12
	v_cndmask_b32_e32 v2, v24, v2, vcc
	v_mul_f32_e32 v2, v2, v5
	v_mul_f32_e32 v2, v2, v26
	;; [unrolled: 1-line block ×3, first 2 shown]
.LBB249_183:                            ;   in Loop: Header=BB249_4 Depth=1
	s_or_b64 exec, exec, s[36:37]
                                        ; implicit-def: $vgpr2_vgpr3_vgpr4_vgpr5
                                        ; implicit-def: $vgpr14
                                        ; implicit-def: $vgpr3
.LBB249_184:                            ;   in Loop: Header=BB249_4 Depth=1
	s_andn2_saveexec_b64 s[0:1], s[34:35]
	s_cbranch_execz .LBB249_190
; %bb.185:                              ;   in Loop: Header=BB249_4 Depth=1
	v_cmp_ne_u32_e32 vcc, s47, v3
	v_sub_f32_e32 v12, v5, v5
	s_and_saveexec_b64 s[2:3], vcc
	s_xor_b64 s[2:3], exec, s[2:3]
; %bb.186:                              ;   in Loop: Header=BB249_4 Depth=1
                                        ; implicit-def: $vgpr14
                                        ; implicit-def: $vgpr2_vgpr3_vgpr4_vgpr5
; %bb.187:                              ;   in Loop: Header=BB249_4 Depth=1
	s_or_saveexec_b64 s[2:3], s[2:3]
	v_mov_b32_e32 v13, v12
	s_xor_b64 exec, exec, s[2:3]
; %bb.188:                              ;   in Loop: Header=BB249_4 Depth=1
	v_cmp_lt_i32_e32 vcc, -1, v14
	v_cndmask_b32_e64 v13, 0, -v4, vcc
	v_cndmask_b32_e32 v12, 0, v12, vcc
; %bb.189:                              ;   in Loop: Header=BB249_4 Depth=1
	s_or_b64 exec, exec, s[2:3]
.LBB249_190:                            ;   in Loop: Header=BB249_4 Depth=1
	s_or_b64 exec, exec, s[0:1]
                                        ; implicit-def: $vgpr2_vgpr3_vgpr4_vgpr5
                                        ; implicit-def: $vgpr2
.LBB249_191:                            ;   in Loop: Header=BB249_4 Depth=1
	s_andn2_saveexec_b64 s[30:31], s[30:31]
	s_cbranch_execz .LBB249_201
; %bb.192:                              ;   in Loop: Header=BB249_4 Depth=1
	v_lshrrev_b32_e32 v3, 23, v2
	v_and_b32_e32 v4, 0x7fffff, v2
	v_cmp_nlt_f32_e64 s[34:35], |v5|, s49
	v_add_u32_e32 v25, 0xffffff88, v3
	v_or_b32_e32 v13, 0x800000, v4
                                        ; implicit-def: $vgpr3
                                        ; implicit-def: $vgpr4
	s_and_saveexec_b64 s[0:1], s[34:35]
	s_xor_b64 s[36:37], exec, s[0:1]
	s_cbranch_execz .LBB249_194
; %bb.193:                              ;   in Loop: Header=BB249_4 Depth=1
	v_mad_u64_u32 v[26:27], s[6:7], v13, s50, 0
	v_mov_b32_e32 v14, v27
	v_mad_u64_u32 v[28:29], s[6:7], v13, s51, v[14:15]
	v_mov_b32_e32 v14, v29
	v_mad_u64_u32 v[30:31], s[6:7], v13, s52, v[14:15]
	v_cmp_lt_u32_e32 vcc, 63, v25
	v_mov_b32_e32 v14, v31
	v_cndmask_b32_e32 v3, 0, v21, vcc
	v_mad_u64_u32 v[32:33], s[6:7], v13, s53, v[14:15]
	v_add_u32_e32 v3, v3, v25
	v_mov_b32_e32 v14, v33
	v_cmp_lt_u32_e64 s[0:1], 31, v3
	v_mad_u64_u32 v[34:35], s[6:7], v13, s54, v[14:15]
	v_cndmask_b32_e64 v4, 0, v22, s[0:1]
	v_mov_b32_e32 v14, v35
	v_add_u32_e32 v3, v4, v3
	v_mad_u64_u32 v[36:37], s[6:7], v13, s55, v[14:15]
	v_cmp_lt_u32_e64 s[2:3], 31, v3
	v_mov_b32_e32 v14, v37
	v_cndmask_b32_e64 v4, 0, v22, s[2:3]
	v_mad_u64_u32 v[38:39], s[6:7], v13, s56, v[14:15]
	v_add_u32_e32 v3, v4, v3
	v_cndmask_b32_e32 v4, v36, v32, vcc
	v_cndmask_b32_e32 v14, v38, v34, vcc
	;; [unrolled: 1-line block ×3, first 2 shown]
	v_cndmask_b32_e64 v27, v14, v4, s[0:1]
	v_cndmask_b32_e64 v14, v29, v14, s[0:1]
	v_cndmask_b32_e32 v29, v34, v30, vcc
	v_cndmask_b32_e64 v4, v4, v29, s[0:1]
	v_cndmask_b32_e64 v14, v14, v27, s[2:3]
	;; [unrolled: 1-line block ×3, first 2 shown]
	v_sub_u32_e32 v31, 32, v3
	v_alignbit_b32 v33, v14, v27, v31
	v_cmp_eq_u32_e64 s[6:7], 0, v3
	v_cndmask_b32_e64 v3, v33, v14, s[6:7]
	v_cndmask_b32_e32 v14, v32, v28, vcc
	v_cndmask_b32_e64 v28, v29, v14, s[0:1]
	v_cndmask_b32_e64 v4, v4, v28, s[2:3]
	v_cndmask_b32_e32 v26, v30, v26, vcc
	v_alignbit_b32 v29, v27, v4, v31
	v_cndmask_b32_e64 v14, v14, v26, s[0:1]
	v_cndmask_b32_e64 v27, v29, v27, s[6:7]
	v_bfe_u32 v33, v3, 29, 1
	v_cndmask_b32_e64 v14, v28, v14, s[2:3]
	v_alignbit_b32 v29, v3, v27, 30
	v_sub_u32_e32 v34, 0, v33
	v_alignbit_b32 v26, v4, v14, v31
	v_xor_b32_e32 v35, v29, v34
	v_cndmask_b32_e64 v4, v26, v4, s[6:7]
	v_alignbit_b32 v26, v27, v4, 30
	v_ffbh_u32_e32 v27, v35
	v_add_u32_e32 v27, 1, v27
	v_cmp_ne_u32_e32 vcc, v29, v34
	v_cndmask_b32_e32 v27, 33, v27, vcc
	v_alignbit_b32 v4, v4, v14, 30
	v_xor_b32_e32 v26, v26, v34
	v_sub_u32_e32 v28, 32, v27
	v_xor_b32_e32 v4, v4, v34
	v_alignbit_b32 v29, v35, v26, v28
	v_alignbit_b32 v4, v26, v4, v28
	;; [unrolled: 1-line block ×3, first 2 shown]
	v_ffbh_u32_e32 v26, v14
	v_min_u32_e32 v26, 32, v26
	v_lshrrev_b32_e32 v32, 29, v3
	v_sub_u32_e32 v28, 31, v26
	v_alignbit_b32 v4, v14, v4, v28
	v_lshlrev_b32_e32 v14, 31, v32
	v_or_b32_e32 v28, 0x33800000, v14
	v_add_lshl_u32 v26, v26, v27, 23
	v_lshrrev_b32_e32 v4, 9, v4
	v_sub_u32_e32 v26, v28, v26
	v_or_b32_e32 v4, v26, v4
	v_alignbit_b32 v26, v27, v29, 9
	v_or_b32_e32 v14, v26, v14
	v_xor_b32_e32 v14, 1.0, v14
	v_mul_f32_e32 v26, 0x3fc90fda, v14
	v_fma_f32 v27, v14, s57, -v26
	v_fmac_f32_e32 v27, 0x33a22168, v14
	v_fmac_f32_e32 v27, 0x3fc90fda, v4
	v_lshrrev_b32_e32 v3, 30, v3
	v_add_f32_e32 v4, v26, v27
	v_add_u32_e32 v3, v33, v3
.LBB249_194:                            ;   in Loop: Header=BB249_4 Depth=1
	s_or_saveexec_b64 s[0:1], s[36:37]
	v_mul_f32_e64 v14, |v5|, s58
	v_rndne_f32_e32 v27, v14
	s_xor_b64 exec, exec, s[0:1]
; %bb.195:                              ;   in Loop: Header=BB249_4 Depth=1
	v_cvt_i32_f32_e32 v3, v27
	v_fma_f32 v4, v27, s59, |v5|
	v_fmac_f32_e32 v4, 0xb3a22168, v27
	v_fmac_f32_e32 v4, 0xa7c234c4, v27
; %bb.196:                              ;   in Loop: Header=BB249_4 Depth=1
	s_or_b64 exec, exec, s[0:1]
                                        ; implicit-def: $vgpr14
                                        ; implicit-def: $vgpr26
	s_and_saveexec_b64 s[0:1], s[34:35]
	s_xor_b64 s[34:35], exec, s[0:1]
	s_cbranch_execz .LBB249_198
; %bb.197:                              ;   in Loop: Header=BB249_4 Depth=1
	v_cmp_lt_u32_e32 vcc, 63, v25
	v_cndmask_b32_e32 v14, 0, v21, vcc
	v_add_u32_e32 v14, v14, v25
	v_cmp_lt_u32_e64 s[0:1], 31, v14
	v_cndmask_b32_e64 v25, 0, v22, s[0:1]
	v_add_u32_e32 v14, v25, v14
	v_cmp_lt_u32_e64 s[2:3], 31, v14
	v_cndmask_b32_e64 v25, 0, v22, s[2:3]
	v_mad_u64_u32 v[26:27], s[6:7], v13, s50, 0
	v_add_u32_e32 v25, v25, v14
	v_mov_b32_e32 v14, v27
	v_mad_u64_u32 v[28:29], s[6:7], v13, s51, v[14:15]
	v_mov_b32_e32 v14, v29
	v_mad_u64_u32 v[30:31], s[6:7], v13, s52, v[14:15]
	v_mov_b32_e32 v14, v31
	v_mad_u64_u32 v[32:33], s[6:7], v13, s53, v[14:15]
	v_mov_b32_e32 v14, v33
	v_mad_u64_u32 v[34:35], s[6:7], v13, s54, v[14:15]
	v_mov_b32_e32 v14, v35
	v_mad_u64_u32 v[36:37], s[6:7], v13, s55, v[14:15]
	v_mov_b32_e32 v14, v37
	v_mad_u64_u32 v[38:39], s[6:7], v13, s56, v[14:15]
	v_cndmask_b32_e32 v27, v36, v32, vcc
	v_cndmask_b32_e32 v13, v38, v34, vcc
	;; [unrolled: 1-line block ×3, first 2 shown]
	v_cndmask_b32_e64 v14, v13, v27, s[0:1]
	v_cndmask_b32_e64 v13, v29, v13, s[0:1]
	v_cndmask_b32_e32 v29, v34, v30, vcc
	v_cndmask_b32_e64 v27, v27, v29, s[0:1]
	v_sub_u32_e32 v31, 32, v25
	v_cmp_eq_u32_e64 s[6:7], 0, v25
	v_cndmask_b32_e32 v25, v32, v28, vcc
	v_cndmask_b32_e64 v13, v13, v14, s[2:3]
	v_cndmask_b32_e64 v14, v14, v27, s[2:3]
	;; [unrolled: 1-line block ×3, first 2 shown]
	v_alignbit_b32 v33, v13, v14, v31
	v_cndmask_b32_e64 v27, v27, v28, s[2:3]
	v_cndmask_b32_e64 v13, v33, v13, s[6:7]
	v_alignbit_b32 v29, v14, v27, v31
	v_cndmask_b32_e32 v26, v30, v26, vcc
	v_cndmask_b32_e64 v14, v29, v14, s[6:7]
	v_bfe_u32 v33, v13, 29, 1
	v_cndmask_b32_e64 v25, v25, v26, s[0:1]
	v_alignbit_b32 v29, v13, v14, 30
	v_sub_u32_e32 v34, 0, v33
	v_cndmask_b32_e64 v25, v28, v25, s[2:3]
	v_xor_b32_e32 v35, v29, v34
	v_alignbit_b32 v26, v27, v25, v31
	v_cndmask_b32_e64 v26, v26, v27, s[6:7]
	v_ffbh_u32_e32 v27, v35
	v_add_u32_e32 v27, 1, v27
	v_cmp_ne_u32_e32 vcc, v29, v34
	v_alignbit_b32 v14, v14, v26, 30
	v_cndmask_b32_e32 v27, 33, v27, vcc
	v_alignbit_b32 v25, v26, v25, 30
	v_xor_b32_e32 v14, v14, v34
	v_sub_u32_e32 v28, 32, v27
	v_xor_b32_e32 v25, v25, v34
	v_alignbit_b32 v29, v35, v14, v28
	v_alignbit_b32 v14, v14, v25, v28
	;; [unrolled: 1-line block ×3, first 2 shown]
	v_ffbh_u32_e32 v26, v25
	v_min_u32_e32 v26, 32, v26
	v_lshrrev_b32_e32 v32, 29, v13
	v_sub_u32_e32 v28, 31, v26
	v_alignbit_b32 v14, v25, v14, v28
	v_lshlrev_b32_e32 v25, 31, v32
	v_or_b32_e32 v28, 0x33800000, v25
	v_add_lshl_u32 v26, v26, v27, 23
	v_lshrrev_b32_e32 v14, 9, v14
	v_sub_u32_e32 v26, v28, v26
	v_or_b32_e32 v14, v26, v14
	v_alignbit_b32 v26, v27, v29, 9
	v_or_b32_e32 v25, v26, v25
	v_xor_b32_e32 v25, 1.0, v25
	v_mul_f32_e32 v26, 0x3fc90fda, v25
	v_fma_f32 v27, v25, s57, -v26
	v_fmac_f32_e32 v27, 0x33a22168, v25
	v_fmac_f32_e32 v27, 0x3fc90fda, v14
	v_lshrrev_b32_e32 v13, 30, v13
	v_add_f32_e32 v26, v26, v27
	v_add_u32_e32 v14, v33, v13
                                        ; implicit-def: $vgpr27
	s_andn2_saveexec_b64 s[0:1], s[34:35]
	s_cbranch_execnz .LBB249_199
	s_branch .LBB249_200
.LBB249_198:                            ;   in Loop: Header=BB249_4 Depth=1
	s_andn2_saveexec_b64 s[0:1], s[34:35]
.LBB249_199:                            ;   in Loop: Header=BB249_4 Depth=1
	v_cvt_i32_f32_e32 v14, v27
	v_fma_f32 v26, v27, s59, |v5|
	v_fmac_f32_e32 v26, 0xb3a22168, v27
	v_fmac_f32_e32 v26, 0xa7c234c4, v27
.LBB249_200:                            ;   in Loop: Header=BB249_4 Depth=1
	s_or_b64 exec, exec, s[0:1]
	v_mul_f32_e32 v13, v4, v4
	v_mov_b32_e32 v25, 0x3c0881c4
	v_fmac_f32_e32 v25, 0xb94c1982, v13
	v_fma_f32 v25, v13, v25, v1
	v_mul_f32_e32 v25, v13, v25
	v_fmac_f32_e32 v4, v4, v25
	v_mov_b32_e32 v25, 0xbab64f3b
	v_fmac_f32_e32 v25, 0x37d75334, v13
	v_fma_f32 v25, v13, v25, v17
	v_fma_f32 v25, v13, v25, v20
	v_fma_f32 v13, v13, v25, 1.0
	v_and_b32_e32 v25, 1, v3
	v_cmp_eq_u32_e32 vcc, 0, v25
	v_lshlrev_b32_e32 v3, 30, v3
	v_cndmask_b32_e64 v4, -v4, v13, vcc
	v_and_b32_e32 v3, 0x80000000, v3
	v_xor_b32_e32 v3, v3, v4
	v_cmp_class_f32_e64 vcc, v5, s63
	v_cndmask_b32_e32 v13, v24, v3, vcc
	v_mul_f32_e32 v3, v26, v26
	v_mov_b32_e32 v4, 0x3c0881c4
	v_fmac_f32_e32 v4, 0xb94c1982, v3
	v_fma_f32 v4, v3, v4, v1
	v_mul_f32_e32 v4, v3, v4
	v_fmac_f32_e32 v26, v26, v4
	v_mov_b32_e32 v4, 0xbab64f3b
	v_fmac_f32_e32 v4, 0x37d75334, v3
	v_fma_f32 v4, v3, v4, v17
	v_fma_f32 v4, v3, v4, v20
	v_fma_f32 v3, v3, v4, 1.0
	v_and_b32_e32 v4, 1, v14
	v_cmp_eq_u32_e64 s[0:1], 0, v4
	v_lshlrev_b32_e32 v4, 30, v14
	v_cndmask_b32_e64 v3, v3, v26, s[0:1]
	v_and_or_b32 v2, v4, s46, v2
	v_xor_b32_e32 v2, v2, v3
	v_xor_b32_e32 v2, v2, v12
	v_cndmask_b32_e32 v12, v24, v2, vcc
.LBB249_201:                            ;   in Loop: Header=BB249_4 Depth=1
	s_or_b64 exec, exec, s[30:31]
                                        ; implicit-def: $vgpr2_vgpr3_vgpr4_vgpr5
.LBB249_202:                            ;   in Loop: Header=BB249_4 Depth=1
	s_andn2_saveexec_b64 s[0:1], s[28:29]
	s_cbranch_execz .LBB249_204
; %bb.203:                              ;   in Loop: Header=BB249_4 Depth=1
	v_mul_f32_e32 v2, 0xbfb8aa3b, v4
	v_rndne_f32_e32 v3, v2
	v_sub_f32_e32 v5, v2, v3
	v_fma_f32 v2, v4, s60, -v2
	v_fmac_f32_e32 v2, 0xb2a5705f, v4
	v_add_f32_e32 v2, v5, v2
	v_cvt_i32_f32_e32 v3, v3
	v_exp_f32_e32 v2, v2
	v_cmp_nlt_f32_e32 vcc, s61, v4
	v_ldexp_f32 v2, v2, v3
	v_cndmask_b32_e32 v2, 0, v2, vcc
	v_cmp_ngt_f32_e32 vcc, s62, v4
	v_cndmask_b32_e32 v13, v23, v2, vcc
.LBB249_204:                            ;   in Loop: Header=BB249_4 Depth=1
	s_or_b64 exec, exec, s[0:1]
	v_add_f32_e32 v3, s14, v13
	v_add_f32_e32 v2, s15, v12
	v_cmp_gt_f32_e32 vcc, 0, v3
	v_cndmask_b32_e64 v5, v3, -v3, vcc
	v_cmp_gt_f32_e32 vcc, 0, v2
	v_cndmask_b32_e64 v4, v2, -v2, vcc
	v_cmp_ge_f32_e32 vcc, v5, v4
	s_and_saveexec_b64 s[0:1], vcc
	s_xor_b64 s[2:3], exec, s[0:1]
	s_cbranch_execz .LBB249_210
; %bb.205:                              ;   in Loop: Header=BB249_4 Depth=1
	v_cmp_neq_f32_e32 vcc, 0, v3
	v_cmp_neq_f32_e64 s[0:1], 0, v2
	s_or_b64 s[0:1], vcc, s[0:1]
	s_and_saveexec_b64 s[6:7], s[0:1]
	s_xor_b64 s[0:1], exec, s[6:7]
	s_cbranch_execz .LBB249_207
; %bb.206:                              ;   in Loop: Header=BB249_4 Depth=1
	v_div_scale_f32 v4, s[6:7], v3, v3, v2
	v_rcp_f32_e32 v5, v4
	v_div_scale_f32 v12, vcc, v2, v3, v2
	v_fma_f32 v13, -v4, v5, 1.0
	v_fmac_f32_e32 v5, v13, v5
	v_mul_f32_e32 v13, v12, v5
	v_fma_f32 v14, -v4, v13, v12
	v_fmac_f32_e32 v13, v14, v5
	v_fma_f32 v4, -v4, v13, v12
	v_div_fmas_f32 v4, v4, v5, v13
	v_div_fixup_f32 v4, v4, v3, v2
	v_fmac_f32_e32 v3, v2, v4
	v_div_scale_f32 v2, s[6:7], v3, v3, 1.0
	v_rcp_f32_e32 v5, v2
	v_fma_f32 v12, -v2, v5, 1.0
	v_fmac_f32_e32 v5, v12, v5
	v_div_scale_f32 v12, vcc, 1.0, v3, 1.0
	v_mul_f32_e32 v13, v12, v5
	v_fma_f32 v14, -v2, v13, v12
	v_fmac_f32_e32 v13, v14, v5
	v_fma_f32 v2, -v2, v13, v12
	v_div_fmas_f32 v2, v2, v5, v13
	v_div_fixup_f32 v2, v2, v3, 1.0
	v_mov_b32_e32 v3, s14
	v_fma_f32 v3, s15, v4, v3
	v_mul_f32_e32 v12, v3, v2
	v_mov_b32_e32 v3, s15
	v_fma_f32 v3, -v4, s14, v3
	v_mul_f32_e32 v13, v3, v2
                                        ; implicit-def: $vgpr5
                                        ; implicit-def: $vgpr4
.LBB249_207:                            ;   in Loop: Header=BB249_4 Depth=1
	s_andn2_saveexec_b64 s[0:1], s[0:1]
	s_cbranch_execz .LBB249_209
; %bb.208:                              ;   in Loop: Header=BB249_4 Depth=1
	v_div_scale_f32 v2, s[6:7], v5, v5, s14
	v_rcp_f32_e32 v3, v2
	v_div_scale_f32 v12, vcc, s14, v5, s14
	v_fma_f32 v13, -v2, v3, 1.0
	v_fmac_f32_e32 v3, v13, v3
	v_mul_f32_e32 v13, v12, v3
	v_fma_f32 v14, -v2, v13, v12
	v_fmac_f32_e32 v13, v14, v3
	v_div_scale_f32 v14, s[6:7], v4, v4, s15
	v_rcp_f32_e32 v25, v14
	v_fma_f32 v2, -v2, v13, v12
	v_div_fmas_f32 v2, v2, v3, v13
	v_div_fixup_f32 v12, v2, v5, s14
	v_fma_f32 v2, -v14, v25, 1.0
	v_fmac_f32_e32 v25, v2, v25
	v_div_scale_f32 v2, vcc, s15, v4, s15
	v_mul_f32_e32 v3, v2, v25
	v_fma_f32 v5, -v14, v3, v2
	v_fmac_f32_e32 v3, v5, v25
	v_fma_f32 v2, -v14, v3, v2
	v_div_fmas_f32 v2, v2, v25, v3
	v_div_fixup_f32 v13, v2, v4, s15
.LBB249_209:                            ;   in Loop: Header=BB249_4 Depth=1
	s_or_b64 exec, exec, s[0:1]
                                        ; implicit-def: $vgpr2
                                        ; implicit-def: $vgpr3
.LBB249_210:                            ;   in Loop: Header=BB249_4 Depth=1
	s_andn2_saveexec_b64 s[0:1], s[2:3]
	s_cbranch_execz .LBB249_3
; %bb.211:                              ;   in Loop: Header=BB249_4 Depth=1
	v_div_scale_f32 v4, s[2:3], v2, v2, v3
	v_rcp_f32_e32 v5, v4
	v_div_scale_f32 v12, vcc, v3, v2, v3
	v_fma_f32 v13, -v4, v5, 1.0
	v_fmac_f32_e32 v5, v13, v5
	v_mul_f32_e32 v13, v12, v5
	v_fma_f32 v14, -v4, v13, v12
	v_fmac_f32_e32 v13, v14, v5
	v_fma_f32 v4, -v4, v13, v12
	v_div_fmas_f32 v4, v4, v5, v13
	v_div_fixup_f32 v4, v4, v2, v3
	v_fmac_f32_e32 v2, v3, v4
	v_div_scale_f32 v3, s[2:3], v2, v2, 1.0
	v_rcp_f32_e32 v5, v3
	v_fma_f32 v12, -v3, v5, 1.0
	v_fmac_f32_e32 v5, v12, v5
	v_div_scale_f32 v12, vcc, 1.0, v2, 1.0
	v_mul_f32_e32 v13, v12, v5
	v_fma_f32 v14, -v3, v13, v12
	v_fmac_f32_e32 v13, v14, v5
	v_fma_f32 v3, -v3, v13, v12
	v_div_fmas_f32 v3, v3, v5, v13
	v_div_fixup_f32 v2, v3, v2, 1.0
	v_mov_b32_e32 v3, s15
	v_fma_f32 v3, s14, v4, v3
	v_mul_f32_e32 v12, v3, v2
	v_mov_b32_e32 v3, s14
	v_fma_f32 v3, v4, s15, -v3
	v_mul_f32_e32 v13, v3, v2
	s_branch .LBB249_3
.LBB249_212:
	s_or_b64 exec, exec, s[20:21]
	s_mov_b64 s[0:1], 0
.LBB249_213:
	s_andn2_b64 vcc, exec, s[0:1]
	s_cbranch_vccnz .LBB249_441
; %bb.214:
	v_cmp_lt_i64_e64 s[0:1], s[18:19], 1
	s_and_b64 vcc, exec, s[0:1]
	s_cbranch_vccnz .LBB249_441
; %bb.215:
	s_load_dword s0, s[4:5], 0xc64
	v_mov_b32_e32 v2, 0x10000
	v_mov_b32_e32 v3, 0
	v_cmp_lt_u64_e32 vcc, s[18:19], v[2:3]
	v_lshlrev_b32_e32 v10, 3, v0
	s_waitcnt lgkmcnt(0)
	s_and_b32 s42, s0, 0xffff
	s_and_b64 s[0:1], vcc, exec
	v_mov_b32_e32 v15, s11
	v_add_co_u32_e32 v2, vcc, s10, v10
	v_addc_co_u32_e32 v3, vcc, 0, v15, vcc
	v_mov_b32_e32 v16, s9
	v_add_co_u32_e32 v4, vcc, s8, v10
	v_mov_b32_e32 v1, 0
	v_addc_co_u32_e32 v5, vcc, 0, v16, vcc
	v_mov_b32_e32 v11, v1
	v_add_co_u32_e32 v4, vcc, 4, v4
	v_addc_co_u32_e32 v5, vcc, 0, v5, vcc
	v_mad_u64_u32 v[8:9], s[0:1], s42, 24, v[10:11]
	v_add_co_u32_e32 v6, vcc, s10, v8
	v_addc_co_u32_e32 v7, vcc, v15, v9, vcc
	v_mov_b32_e32 v11, s9
	v_add_co_u32_e32 v8, vcc, s8, v8
	s_cselect_b32 s21, s19, 0
	s_cselect_b32 s20, s18, 0x10000
	v_addc_co_u32_e32 v9, vcc, v11, v9, vcc
	s_lshl_b32 s0, s42, 4
	v_add_co_u32_e32 v12, vcc, s0, v10
	v_addc_co_u32_e64 v13, s[0:1], 0, 0, vcc
	v_add_co_u32_e32 v10, vcc, s10, v12
	v_addc_co_u32_e32 v11, vcc, v15, v13, vcc
	v_add_co_u32_e32 v12, vcc, s8, v12
	v_addc_co_u32_e32 v13, vcc, v13, v16, vcc
	v_add_co_u32_e32 v12, vcc, 4, v12
	v_addc_co_u32_e32 v13, vcc, 0, v13, vcc
	v_add_lshl_u32 v17, v0, s42, 3
	v_add_co_u32_e32 v14, vcc, s10, v17
	v_addc_co_u32_e32 v15, vcc, 0, v15, vcc
	v_add_co_u32_e32 v17, vcc, s8, v17
	s_mov_b32 s33, 0
	v_addc_co_u32_e32 v18, vcc, 0, v16, vcc
	s_lshl_b32 s24, s42, 2
	s_mov_b32 s25, s33
	v_add_co_u32_e32 v16, vcc, 4, v17
	s_lshl_b32 s43, s42, 1
	s_mov_b32 s44, s33
	s_mul_i32 s45, s42, 3
	s_mov_b32 s46, s33
	s_mov_b32 s22, s15
	;; [unrolled: 1-line block ×3, first 2 shown]
	s_lshl_b32 s47, s42, 5
	s_mov_b32 s48, s33
	v_addc_co_u32_e32 v17, vcc, 0, v18, vcc
	s_brev_b32 s49, 1
	s_mov_b32 s50, 0x7f800000
	s_mov_b32 s51, 0x8e8e5c
	s_brev_b32 s52, 18
	s_mov_b32 s53, 0xfe5163ab
	s_mov_b32 s54, 0x3c439041
	;; [unrolled: 1-line block ×13, first 2 shown]
	v_mov_b32_e32 v30, 0xbe2aaa9d
	v_mov_b32_e32 v31, 0x3d2aabf7
	;; [unrolled: 1-line block ×3, first 2 shown]
	s_movk_i32 s66, 0x1f8
	s_mov_b32 s67, 0x3fb8aa3b
	s_mov_b32 s68, 0xc2ce8ed0
	;; [unrolled: 1-line block ×3, first 2 shown]
	v_not_b32_e32 v33, 63
	v_not_b32_e32 v34, 31
	v_mov_b32_e32 v35, 0x7f800000
	v_mov_b32_e32 v36, 0x7fc00000
	v_pk_mov_b32 v[18:19], v[0:1], v[0:1] op_sel:[0,1]
	s_mov_b64 s[26:27], s[24:25]
	s_branch .LBB249_217
.LBB249_216:                            ;   in Loop: Header=BB249_217 Depth=1
	s_or_b64 exec, exec, s[0:1]
	v_pk_mov_b32 v[20:21], s[18:19], s[18:19] op_sel:[0,1]
	v_cmp_ge_i64_e32 vcc, s[26:27], v[20:21]
	v_mov_b32_e32 v20, 0xffff
	v_mov_b32_e32 v21, 0
	v_cmp_gt_u64_e64 s[0:1], s[26:27], v[20:21]
	s_or_b64 s[0:1], vcc, s[0:1]
	v_mov_b32_e32 v0, s48
	v_add_co_u32_e32 v2, vcc, s47, v2
	v_addc_co_u32_e32 v3, vcc, v3, v0, vcc
	v_mov_b32_e32 v20, s25
	v_add_co_u32_e32 v18, vcc, s24, v18
	v_addc_co_u32_e32 v19, vcc, v19, v20, vcc
	v_add_co_u32_e32 v4, vcc, s47, v4
	v_addc_co_u32_e32 v5, vcc, v5, v0, vcc
	;; [unrolled: 2-line block ×7, first 2 shown]
	v_add_co_u32_e32 v16, vcc, s47, v16
	s_add_u32 s26, s26, s24
	v_addc_co_u32_e32 v17, vcc, v17, v0, vcc
	s_addc_u32 s27, s27, 0
	s_and_b64 vcc, exec, s[0:1]
	s_cbranch_vccnz .LBB249_441
.LBB249_217:                            ; =>This Inner Loop Header: Depth=1
	v_cmp_gt_u64_e64 s[0:1], s[20:21], v[18:19]
	v_mov_b32_e32 v22, 0
	v_mov_b32_e32 v23, 0
	s_and_saveexec_b64 s[2:3], s[0:1]
	s_cbranch_execz .LBB249_219
; %bb.218:                              ;   in Loop: Header=BB249_217 Depth=1
	v_mov_b32_e32 v0, s17
	v_add_co_u32_e32 v20, vcc, s16, v2
	v_addc_co_u32_e32 v21, vcc, v3, v0, vcc
	global_load_dwordx2 v[22:23], v[20:21], off
.LBB249_219:                            ;   in Loop: Header=BB249_217 Depth=1
	s_or_b64 exec, exec, s[2:3]
	v_mov_b32_e32 v0, s33
	v_add_co_u32_e32 v20, vcc, s42, v18
	v_addc_co_u32_e32 v21, vcc, v0, v19, vcc
	v_cmp_gt_u64_e64 s[2:3], s[20:21], v[20:21]
	v_mov_b32_e32 v24, 0
	v_mov_b32_e32 v26, 0
	;; [unrolled: 1-line block ×3, first 2 shown]
	s_and_saveexec_b64 s[4:5], s[2:3]
	s_cbranch_execz .LBB249_221
; %bb.220:                              ;   in Loop: Header=BB249_217 Depth=1
	v_mov_b32_e32 v0, s17
	v_add_co_u32_e32 v20, vcc, s16, v14
	v_addc_co_u32_e32 v21, vcc, v15, v0, vcc
	global_load_dwordx2 v[26:27], v[20:21], off
.LBB249_221:                            ;   in Loop: Header=BB249_217 Depth=1
	s_or_b64 exec, exec, s[4:5]
	v_mov_b32_e32 v0, s44
	v_add_co_u32_e32 v20, vcc, s43, v18
	v_addc_co_u32_e32 v21, vcc, v0, v19, vcc
	v_cmp_gt_u64_e64 s[4:5], s[20:21], v[20:21]
	v_mov_b32_e32 v25, 0
	s_and_saveexec_b64 s[6:7], s[4:5]
	s_cbranch_execz .LBB249_223
; %bb.222:                              ;   in Loop: Header=BB249_217 Depth=1
	v_mov_b32_e32 v0, s17
	v_add_co_u32_e32 v20, vcc, s16, v10
	v_addc_co_u32_e32 v21, vcc, v11, v0, vcc
	global_load_dwordx2 v[24:25], v[20:21], off
.LBB249_223:                            ;   in Loop: Header=BB249_217 Depth=1
	s_or_b64 exec, exec, s[6:7]
	v_mov_b32_e32 v0, s46
	v_add_co_u32_e32 v20, vcc, s45, v18
	v_addc_co_u32_e32 v21, vcc, v0, v19, vcc
	v_cmp_gt_u64_e64 s[6:7], s[20:21], v[20:21]
	v_mov_b32_e32 v20, 0
	v_mov_b32_e32 v21, v20
	s_and_saveexec_b64 s[8:9], s[6:7]
	s_cbranch_execz .LBB249_225
; %bb.224:                              ;   in Loop: Header=BB249_217 Depth=1
	v_mov_b32_e32 v0, s17
	v_add_co_u32_e32 v20, vcc, s16, v6
	v_addc_co_u32_e32 v21, vcc, v7, v0, vcc
	global_load_dwordx2 v[20:21], v[20:21], off
.LBB249_225:                            ;   in Loop: Header=BB249_217 Depth=1
	s_or_b64 exec, exec, s[8:9]
	s_waitcnt vmcnt(0)
	v_and_b32_e32 v29, 0x7fffffff, v23
	v_xor_b32_e32 v28, 0x80000000, v23
	v_cmp_ne_u32_e32 vcc, 0, v29
                                        ; implicit-def: $vgpr0
	s_and_saveexec_b64 s[8:9], vcc
	s_xor_b64 s[28:29], exec, s[8:9]
	s_cbranch_execz .LBB249_266
; %bb.226:                              ;   in Loop: Header=BB249_217 Depth=1
	v_and_b32_e32 v38, 0x7fffffff, v22
	v_cmp_ne_u32_e32 vcc, 0, v38
                                        ; implicit-def: $vgpr0
	s_and_saveexec_b64 s[8:9], vcc
	s_xor_b64 s[30:31], exec, s[8:9]
	s_cbranch_execz .LBB249_255
; %bb.227:                              ;   in Loop: Header=BB249_217 Depth=1
	v_xor_b32_e32 v37, 0x80000000, v22
	v_cmp_gt_u32_e32 vcc, s50, v29
                                        ; implicit-def: $vgpr0
	s_and_saveexec_b64 s[8:9], vcc
	s_xor_b64 s[34:35], exec, s[8:9]
	s_cbranch_execz .LBB249_248
; %bb.228:                              ;   in Loop: Header=BB249_217 Depth=1
	v_add_u32_e32 v0, 0xbd4e8de8, v37
	v_cmp_lt_u32_e32 vcc, s51, v0
                                        ; implicit-def: $vgpr0
	s_and_saveexec_b64 s[8:9], vcc
	s_xor_b64 s[36:37], exec, s[8:9]
	s_cbranch_execz .LBB249_238
; %bb.229:                              ;   in Loop: Header=BB249_217 Depth=1
	v_cmp_nlt_f32_e64 s[38:39], |v23|, s52
                                        ; implicit-def: $vgpr37
                                        ; implicit-def: $vgpr38
	s_and_saveexec_b64 s[8:9], s[38:39]
	s_xor_b64 s[40:41], exec, s[8:9]
	s_cbranch_execz .LBB249_231
; %bb.230:                              ;   in Loop: Header=BB249_217 Depth=1
	v_lshrrev_b32_e32 v0, 23, v29
	v_add_u32_e32 v0, 0xffffff88, v0
	v_cmp_lt_u32_e32 vcc, 63, v0
	v_cndmask_b32_e32 v37, 0, v33, vcc
	v_add_u32_e32 v0, v37, v0
	v_cmp_lt_u32_e64 s[8:9], 31, v0
	v_cndmask_b32_e64 v37, 0, v34, s[8:9]
	v_add_u32_e32 v0, v37, v0
	v_cmp_lt_u32_e64 s[10:11], 31, v0
	v_cndmask_b32_e64 v37, 0, v34, s[10:11]
	v_add_u32_e32 v37, v37, v0
	v_and_b32_e32 v0, 0x7fffff, v29
	v_or_b32_e32 v50, 0x800000, v0
	v_mad_u64_u32 v[38:39], s[12:13], v50, s53, 0
	v_mov_b32_e32 v0, v39
	v_mad_u64_u32 v[40:41], s[12:13], v50, s54, v[0:1]
	v_mov_b32_e32 v0, v41
	;; [unrolled: 2-line block ×6, first 2 shown]
	v_mad_u64_u32 v[50:51], s[12:13], v50, s59, v[0:1]
	v_cndmask_b32_e32 v39, v48, v44, vcc
	v_cndmask_b32_e32 v0, v50, v46, vcc
	;; [unrolled: 1-line block ×3, first 2 shown]
	v_cndmask_b32_e64 v41, v0, v39, s[8:9]
	v_cndmask_b32_e64 v0, v43, v0, s[8:9]
	v_cndmask_b32_e32 v43, v46, v42, vcc
	v_cndmask_b32_e64 v39, v39, v43, s[8:9]
	v_sub_u32_e32 v45, 32, v37
	v_cmp_eq_u32_e64 s[12:13], 0, v37
	v_cndmask_b32_e32 v37, v44, v40, vcc
	v_cndmask_b32_e64 v0, v0, v41, s[10:11]
	v_cndmask_b32_e64 v41, v41, v39, s[10:11]
	;; [unrolled: 1-line block ×3, first 2 shown]
	v_alignbit_b32 v46, v0, v41, v45
	v_cndmask_b32_e64 v39, v39, v40, s[10:11]
	v_cndmask_b32_e64 v0, v46, v0, s[12:13]
	v_alignbit_b32 v43, v41, v39, v45
	v_cndmask_b32_e64 v41, v43, v41, s[12:13]
	v_bfe_u32 v46, v0, 29, 1
	v_cndmask_b32_e32 v38, v42, v38, vcc
	v_alignbit_b32 v43, v0, v41, 30
	v_sub_u32_e32 v47, 0, v46
	v_cndmask_b32_e64 v37, v37, v38, s[8:9]
	v_xor_b32_e32 v48, v43, v47
	v_cndmask_b32_e64 v37, v40, v37, s[10:11]
	v_alignbit_b32 v38, v39, v37, v45
	v_ffbh_u32_e32 v40, v48
	v_cndmask_b32_e64 v38, v38, v39, s[12:13]
	v_add_u32_e32 v40, 1, v40
	v_cmp_ne_u32_e32 vcc, v43, v47
	v_alignbit_b32 v39, v41, v38, 30
	v_cndmask_b32_e32 v40, 33, v40, vcc
	v_alignbit_b32 v37, v38, v37, 30
	v_xor_b32_e32 v39, v39, v47
	v_sub_u32_e32 v41, 32, v40
	v_xor_b32_e32 v37, v37, v47
	v_alignbit_b32 v42, v48, v39, v41
	v_alignbit_b32 v37, v39, v37, v41
	;; [unrolled: 1-line block ×3, first 2 shown]
	v_ffbh_u32_e32 v39, v38
	v_min_u32_e32 v39, 32, v39
	v_lshrrev_b32_e32 v44, 29, v0
	v_sub_u32_e32 v41, 31, v39
	v_alignbit_b32 v37, v38, v37, v41
	v_lshlrev_b32_e32 v38, 31, v44
	v_or_b32_e32 v41, 0x33800000, v38
	v_add_lshl_u32 v39, v39, v40, 23
	v_lshrrev_b32_e32 v37, 9, v37
	v_sub_u32_e32 v39, v41, v39
	v_or_b32_e32 v37, v39, v37
	v_alignbit_b32 v39, v40, v42, 9
	v_or_b32_e32 v38, v39, v38
	v_xor_b32_e32 v38, 1.0, v38
	v_mul_f32_e32 v39, 0x3fc90fda, v38
	v_fma_f32 v40, v38, s60, -v39
	v_fmac_f32_e32 v40, 0x33a22168, v38
	v_fmac_f32_e32 v40, 0x3fc90fda, v37
	v_lshrrev_b32_e32 v0, 30, v0
	v_add_f32_e32 v38, v39, v40
	v_add_u32_e32 v37, v46, v0
	s_andn2_saveexec_b64 s[8:9], s[40:41]
	s_branch .LBB249_232
.LBB249_231:                            ;   in Loop: Header=BB249_217 Depth=1
	s_andn2_saveexec_b64 s[8:9], s[40:41]
.LBB249_232:                            ;   in Loop: Header=BB249_217 Depth=1
	v_mul_f32_e64 v0, |v23|, s61
	v_rndne_f32_e32 v0, v0
	v_cvt_i32_f32_e32 v37, v0
	v_fma_f32 v38, v0, s62, |v23|
	v_fmac_f32_e32 v38, 0xb3a22168, v0
	v_fmac_f32_e32 v38, 0xa7c234c4, v0
; %bb.233:                              ;   in Loop: Header=BB249_217 Depth=1
	s_or_b64 exec, exec, s[8:9]
                                        ; implicit-def: $vgpr39
                                        ; implicit-def: $vgpr40
	s_and_saveexec_b64 s[8:9], s[38:39]
	s_xor_b64 s[38:39], exec, s[8:9]
	s_cbranch_execz .LBB249_235
; %bb.234:                              ;   in Loop: Header=BB249_217 Depth=1
	v_lshrrev_b32_e32 v0, 23, v29
	v_add_u32_e32 v0, 0xffffff88, v0
	v_cmp_lt_u32_e32 vcc, 63, v0
	v_cndmask_b32_e32 v39, 0, v33, vcc
	v_add_u32_e32 v0, v39, v0
	v_cmp_lt_u32_e64 s[8:9], 31, v0
	v_cndmask_b32_e64 v39, 0, v34, s[8:9]
	v_add_u32_e32 v0, v39, v0
	v_cmp_lt_u32_e64 s[10:11], 31, v0
	v_cndmask_b32_e64 v39, 0, v34, s[10:11]
	v_add_u32_e32 v39, v39, v0
	v_and_b32_e32 v0, 0x7fffff, v29
	v_or_b32_e32 v52, 0x800000, v0
	v_mad_u64_u32 v[40:41], s[12:13], v52, s53, 0
	v_mov_b32_e32 v0, v41
	v_mad_u64_u32 v[42:43], s[12:13], v52, s54, v[0:1]
	v_mov_b32_e32 v0, v43
	;; [unrolled: 2-line block ×6, first 2 shown]
	v_mad_u64_u32 v[52:53], s[12:13], v52, s59, v[0:1]
	v_cndmask_b32_e32 v41, v50, v46, vcc
	v_cndmask_b32_e32 v0, v52, v48, vcc
	;; [unrolled: 1-line block ×3, first 2 shown]
	v_cndmask_b32_e64 v43, v0, v41, s[8:9]
	v_cndmask_b32_e64 v0, v45, v0, s[8:9]
	v_cndmask_b32_e32 v45, v48, v44, vcc
	v_cndmask_b32_e64 v41, v41, v45, s[8:9]
	v_sub_u32_e32 v47, 32, v39
	v_cmp_eq_u32_e64 s[12:13], 0, v39
	v_cndmask_b32_e32 v39, v46, v42, vcc
	v_cndmask_b32_e64 v0, v0, v43, s[10:11]
	v_cndmask_b32_e64 v43, v43, v41, s[10:11]
	v_cndmask_b32_e64 v42, v45, v39, s[8:9]
	v_alignbit_b32 v48, v0, v43, v47
	v_cndmask_b32_e64 v41, v41, v42, s[10:11]
	v_cndmask_b32_e64 v0, v48, v0, s[12:13]
	v_alignbit_b32 v45, v43, v41, v47
	v_cndmask_b32_e64 v43, v45, v43, s[12:13]
	v_bfe_u32 v48, v0, 29, 1
	v_cndmask_b32_e32 v40, v44, v40, vcc
	v_alignbit_b32 v45, v0, v43, 30
	v_sub_u32_e32 v49, 0, v48
	v_cndmask_b32_e64 v39, v39, v40, s[8:9]
	v_xor_b32_e32 v50, v45, v49
	v_cndmask_b32_e64 v39, v42, v39, s[10:11]
	v_alignbit_b32 v40, v41, v39, v47
	v_ffbh_u32_e32 v42, v50
	v_cndmask_b32_e64 v40, v40, v41, s[12:13]
	v_add_u32_e32 v42, 1, v42
	v_cmp_ne_u32_e32 vcc, v45, v49
	v_alignbit_b32 v41, v43, v40, 30
	v_cndmask_b32_e32 v42, 33, v42, vcc
	v_alignbit_b32 v39, v40, v39, 30
	v_xor_b32_e32 v41, v41, v49
	v_sub_u32_e32 v43, 32, v42
	v_xor_b32_e32 v39, v39, v49
	v_alignbit_b32 v44, v50, v41, v43
	v_alignbit_b32 v39, v41, v39, v43
	;; [unrolled: 1-line block ×3, first 2 shown]
	v_ffbh_u32_e32 v41, v40
	v_min_u32_e32 v41, 32, v41
	v_lshrrev_b32_e32 v46, 29, v0
	v_sub_u32_e32 v43, 31, v41
	v_alignbit_b32 v39, v40, v39, v43
	v_lshlrev_b32_e32 v40, 31, v46
	v_or_b32_e32 v43, 0x33800000, v40
	v_add_lshl_u32 v41, v41, v42, 23
	v_lshrrev_b32_e32 v39, 9, v39
	v_sub_u32_e32 v41, v43, v41
	v_or_b32_e32 v39, v41, v39
	v_alignbit_b32 v41, v42, v44, 9
	v_or_b32_e32 v40, v41, v40
	v_xor_b32_e32 v40, 1.0, v40
	v_mul_f32_e32 v41, 0x3fc90fda, v40
	v_fma_f32 v42, v40, s60, -v41
	v_fmac_f32_e32 v42, 0x33a22168, v40
	v_fmac_f32_e32 v42, 0x3fc90fda, v39
	v_lshrrev_b32_e32 v0, 30, v0
	v_add_f32_e32 v40, v41, v42
	v_add_u32_e32 v39, v48, v0
	s_andn2_saveexec_b64 s[8:9], s[38:39]
	s_cbranch_execnz .LBB249_236
	s_branch .LBB249_237
.LBB249_235:                            ;   in Loop: Header=BB249_217 Depth=1
	s_andn2_saveexec_b64 s[8:9], s[38:39]
.LBB249_236:                            ;   in Loop: Header=BB249_217 Depth=1
	v_mul_f32_e64 v0, |v23|, s61
	v_rndne_f32_e32 v0, v0
	v_cvt_i32_f32_e32 v39, v0
	v_fma_f32 v40, v0, s62, |v23|
	v_fmac_f32_e32 v40, 0xb3a22168, v0
	v_fmac_f32_e32 v40, 0xa7c234c4, v0
.LBB249_237:                            ;   in Loop: Header=BB249_217 Depth=1
	s_or_b64 exec, exec, s[8:9]
	v_mul_f32_e32 v0, 0xbfb8aa3b, v22
	v_rndne_f32_e32 v41, v0
	v_sub_f32_e32 v42, v0, v41
	v_fma_f32 v0, v22, s63, -v0
	v_fmac_f32_e32 v0, 0xb2a5705f, v22
	v_add_f32_e32 v0, v42, v0
	v_cvt_i32_f32_e32 v41, v41
	v_exp_f32_e32 v0, v0
	v_cmp_nlt_f32_e32 vcc, s64, v22
	v_ldexp_f32 v0, v0, v41
	v_cndmask_b32_e32 v0, 0, v0, vcc
	v_cmp_ngt_f32_e32 vcc, s65, v22
	v_cndmask_b32_e32 v22, v35, v0, vcc
	v_mul_f32_e32 v0, v38, v38
	v_mov_b32_e32 v41, 0x3c0881c4
	v_fmac_f32_e32 v41, 0xb94c1982, v0
	v_fma_f32 v41, v0, v41, v30
	v_mul_f32_e32 v41, v0, v41
	v_fmac_f32_e32 v38, v38, v41
	v_mov_b32_e32 v41, 0xbab64f3b
	v_fmac_f32_e32 v41, 0x37d75334, v0
	v_fma_f32 v41, v0, v41, v31
	v_fma_f32 v41, v0, v41, v32
	v_fma_f32 v0, v0, v41, 1.0
	v_and_b32_e32 v41, 1, v37
	v_cmp_eq_u32_e32 vcc, 0, v41
	v_lshlrev_b32_e32 v37, 30, v37
	v_cndmask_b32_e64 v0, -v38, v0, vcc
	v_and_b32_e32 v37, 0x80000000, v37
	v_xor_b32_e32 v0, v37, v0
	v_cmp_class_f32_e64 vcc, v23, s66
	v_mul_f32_e32 v23, v40, v40
	v_mov_b32_e32 v37, 0x3c0881c4
	v_fmac_f32_e32 v37, 0xb94c1982, v23
	v_fma_f32 v37, v23, v37, v30
	v_mul_f32_e32 v37, v23, v37
	v_fmac_f32_e32 v40, v40, v37
	v_mov_b32_e32 v37, 0xbab64f3b
	v_fmac_f32_e32 v37, 0x37d75334, v23
	v_fma_f32 v37, v23, v37, v31
	v_fma_f32 v37, v23, v37, v32
	v_fma_f32 v23, v23, v37, 1.0
	v_and_b32_e32 v37, 1, v39
	v_cmp_eq_u32_e64 s[8:9], 0, v37
	v_lshlrev_b32_e32 v37, 30, v39
	v_cndmask_b32_e64 v23, v23, v40, s[8:9]
	v_and_or_b32 v29, v37, s49, v29
	v_xor_b32_e32 v23, v29, v23
	v_xor_b32_e32 v23, v23, v28
	v_cndmask_b32_e32 v0, v36, v0, vcc
	v_cndmask_b32_e32 v23, v36, v23, vcc
	v_mul_f32_e32 v0, v22, v0
	v_mul_f32_e32 v28, v22, v23
                                        ; implicit-def: $vgpr23
                                        ; implicit-def: $vgpr29
.LBB249_238:                            ;   in Loop: Header=BB249_217 Depth=1
	s_andn2_saveexec_b64 s[36:37], s[36:37]
	s_cbranch_execz .LBB249_282
; %bb.239:                              ;   in Loop: Header=BB249_217 Depth=1
	v_cmp_nlt_f32_e64 s[38:39], |v23|, s52
                                        ; implicit-def: $vgpr38
                                        ; implicit-def: $vgpr37
	s_and_saveexec_b64 s[8:9], s[38:39]
	s_xor_b64 s[40:41], exec, s[8:9]
	s_cbranch_execz .LBB249_241
; %bb.240:                              ;   in Loop: Header=BB249_217 Depth=1
	v_lshrrev_b32_e32 v0, 23, v29
	v_add_u32_e32 v0, 0xffffff88, v0
	v_cmp_lt_u32_e32 vcc, 63, v0
	v_cndmask_b32_e32 v37, 0, v33, vcc
	v_add_u32_e32 v0, v37, v0
	v_cmp_lt_u32_e64 s[8:9], 31, v0
	v_cndmask_b32_e64 v37, 0, v34, s[8:9]
	v_add_u32_e32 v0, v37, v0
	v_cmp_lt_u32_e64 s[10:11], 31, v0
	v_cndmask_b32_e64 v37, 0, v34, s[10:11]
	v_add_u32_e32 v37, v37, v0
	v_and_b32_e32 v0, 0x7fffff, v29
	v_or_b32_e32 v50, 0x800000, v0
	v_mad_u64_u32 v[38:39], s[12:13], v50, s53, 0
	v_mov_b32_e32 v0, v39
	v_mad_u64_u32 v[40:41], s[12:13], v50, s54, v[0:1]
	v_mov_b32_e32 v0, v41
	;; [unrolled: 2-line block ×6, first 2 shown]
	v_mad_u64_u32 v[50:51], s[12:13], v50, s59, v[0:1]
	v_cndmask_b32_e32 v39, v48, v44, vcc
	v_cndmask_b32_e32 v0, v50, v46, vcc
	;; [unrolled: 1-line block ×3, first 2 shown]
	v_cndmask_b32_e64 v41, v0, v39, s[8:9]
	v_cndmask_b32_e64 v0, v43, v0, s[8:9]
	v_cndmask_b32_e32 v43, v46, v42, vcc
	v_cndmask_b32_e64 v39, v39, v43, s[8:9]
	v_sub_u32_e32 v45, 32, v37
	v_cmp_eq_u32_e64 s[12:13], 0, v37
	v_cndmask_b32_e32 v37, v44, v40, vcc
	v_cndmask_b32_e64 v0, v0, v41, s[10:11]
	v_cndmask_b32_e64 v41, v41, v39, s[10:11]
	;; [unrolled: 1-line block ×3, first 2 shown]
	v_alignbit_b32 v46, v0, v41, v45
	v_cndmask_b32_e64 v39, v39, v40, s[10:11]
	v_cndmask_b32_e64 v0, v46, v0, s[12:13]
	v_alignbit_b32 v43, v41, v39, v45
	v_cndmask_b32_e64 v41, v43, v41, s[12:13]
	v_bfe_u32 v46, v0, 29, 1
	v_cndmask_b32_e32 v38, v42, v38, vcc
	v_alignbit_b32 v43, v0, v41, 30
	v_sub_u32_e32 v47, 0, v46
	v_cndmask_b32_e64 v37, v37, v38, s[8:9]
	v_xor_b32_e32 v48, v43, v47
	v_cndmask_b32_e64 v37, v40, v37, s[10:11]
	v_alignbit_b32 v38, v39, v37, v45
	v_ffbh_u32_e32 v40, v48
	v_cndmask_b32_e64 v38, v38, v39, s[12:13]
	v_add_u32_e32 v40, 1, v40
	v_cmp_ne_u32_e32 vcc, v43, v47
	v_alignbit_b32 v39, v41, v38, 30
	v_cndmask_b32_e32 v40, 33, v40, vcc
	v_alignbit_b32 v37, v38, v37, 30
	v_xor_b32_e32 v39, v39, v47
	v_sub_u32_e32 v41, 32, v40
	v_xor_b32_e32 v37, v37, v47
	v_alignbit_b32 v42, v48, v39, v41
	v_alignbit_b32 v37, v39, v37, v41
	;; [unrolled: 1-line block ×3, first 2 shown]
	v_ffbh_u32_e32 v39, v38
	v_min_u32_e32 v39, 32, v39
	v_lshrrev_b32_e32 v44, 29, v0
	v_sub_u32_e32 v41, 31, v39
	v_alignbit_b32 v37, v38, v37, v41
	v_lshlrev_b32_e32 v38, 31, v44
	v_or_b32_e32 v41, 0x33800000, v38
	v_add_lshl_u32 v39, v39, v40, 23
	v_lshrrev_b32_e32 v37, 9, v37
	v_sub_u32_e32 v39, v41, v39
	v_or_b32_e32 v37, v39, v37
	v_alignbit_b32 v39, v40, v42, 9
	v_or_b32_e32 v38, v39, v38
	v_xor_b32_e32 v38, 1.0, v38
	v_mul_f32_e32 v39, 0x3fc90fda, v38
	v_fma_f32 v40, v38, s60, -v39
	v_fmac_f32_e32 v40, 0x33a22168, v38
	v_fmac_f32_e32 v40, 0x3fc90fda, v37
	v_lshrrev_b32_e32 v0, 30, v0
	v_add_f32_e32 v37, v39, v40
	v_add_u32_e32 v38, v46, v0
	s_andn2_saveexec_b64 s[8:9], s[40:41]
	s_branch .LBB249_242
.LBB249_241:                            ;   in Loop: Header=BB249_217 Depth=1
	s_andn2_saveexec_b64 s[8:9], s[40:41]
.LBB249_242:                            ;   in Loop: Header=BB249_217 Depth=1
	v_mul_f32_e64 v0, |v23|, s61
	v_rndne_f32_e32 v0, v0
	v_cvt_i32_f32_e32 v38, v0
	v_fma_f32 v37, v0, s62, |v23|
	v_fmac_f32_e32 v37, 0xb3a22168, v0
	v_fmac_f32_e32 v37, 0xa7c234c4, v0
; %bb.243:                              ;   in Loop: Header=BB249_217 Depth=1
	s_or_b64 exec, exec, s[8:9]
                                        ; implicit-def: $vgpr39
                                        ; implicit-def: $vgpr40
	s_and_saveexec_b64 s[8:9], s[38:39]
	s_xor_b64 s[38:39], exec, s[8:9]
	s_cbranch_execz .LBB249_245
; %bb.244:                              ;   in Loop: Header=BB249_217 Depth=1
	v_lshrrev_b32_e32 v0, 23, v29
	v_add_u32_e32 v0, 0xffffff88, v0
	v_cmp_lt_u32_e32 vcc, 63, v0
	v_cndmask_b32_e32 v39, 0, v33, vcc
	v_add_u32_e32 v0, v39, v0
	v_cmp_lt_u32_e64 s[8:9], 31, v0
	v_cndmask_b32_e64 v39, 0, v34, s[8:9]
	v_add_u32_e32 v0, v39, v0
	v_cmp_lt_u32_e64 s[10:11], 31, v0
	v_cndmask_b32_e64 v39, 0, v34, s[10:11]
	v_add_u32_e32 v39, v39, v0
	v_and_b32_e32 v0, 0x7fffff, v29
	v_or_b32_e32 v52, 0x800000, v0
	v_mad_u64_u32 v[40:41], s[12:13], v52, s53, 0
	v_mov_b32_e32 v0, v41
	v_mad_u64_u32 v[42:43], s[12:13], v52, s54, v[0:1]
	v_mov_b32_e32 v0, v43
	;; [unrolled: 2-line block ×6, first 2 shown]
	v_mad_u64_u32 v[52:53], s[12:13], v52, s59, v[0:1]
	v_cndmask_b32_e32 v41, v50, v46, vcc
	v_cndmask_b32_e32 v0, v52, v48, vcc
	v_cndmask_b32_e32 v45, v53, v50, vcc
	v_cndmask_b32_e64 v43, v0, v41, s[8:9]
	v_cndmask_b32_e64 v0, v45, v0, s[8:9]
	v_cndmask_b32_e32 v45, v48, v44, vcc
	v_cndmask_b32_e64 v41, v41, v45, s[8:9]
	v_sub_u32_e32 v47, 32, v39
	v_cmp_eq_u32_e64 s[12:13], 0, v39
	v_cndmask_b32_e32 v39, v46, v42, vcc
	v_cndmask_b32_e64 v0, v0, v43, s[10:11]
	v_cndmask_b32_e64 v43, v43, v41, s[10:11]
	;; [unrolled: 1-line block ×3, first 2 shown]
	v_alignbit_b32 v48, v0, v43, v47
	v_cndmask_b32_e64 v41, v41, v42, s[10:11]
	v_cndmask_b32_e64 v0, v48, v0, s[12:13]
	v_alignbit_b32 v45, v43, v41, v47
	v_cndmask_b32_e64 v43, v45, v43, s[12:13]
	v_bfe_u32 v48, v0, 29, 1
	v_cndmask_b32_e32 v40, v44, v40, vcc
	v_alignbit_b32 v45, v0, v43, 30
	v_sub_u32_e32 v49, 0, v48
	v_cndmask_b32_e64 v39, v39, v40, s[8:9]
	v_xor_b32_e32 v50, v45, v49
	v_cndmask_b32_e64 v39, v42, v39, s[10:11]
	v_alignbit_b32 v40, v41, v39, v47
	v_ffbh_u32_e32 v42, v50
	v_cndmask_b32_e64 v40, v40, v41, s[12:13]
	v_add_u32_e32 v42, 1, v42
	v_cmp_ne_u32_e32 vcc, v45, v49
	v_alignbit_b32 v41, v43, v40, 30
	v_cndmask_b32_e32 v42, 33, v42, vcc
	v_alignbit_b32 v39, v40, v39, 30
	v_xor_b32_e32 v41, v41, v49
	v_sub_u32_e32 v43, 32, v42
	v_xor_b32_e32 v39, v39, v49
	v_alignbit_b32 v44, v50, v41, v43
	v_alignbit_b32 v39, v41, v39, v43
	;; [unrolled: 1-line block ×3, first 2 shown]
	v_ffbh_u32_e32 v41, v40
	v_min_u32_e32 v41, 32, v41
	v_lshrrev_b32_e32 v46, 29, v0
	v_sub_u32_e32 v43, 31, v41
	v_alignbit_b32 v39, v40, v39, v43
	v_lshlrev_b32_e32 v40, 31, v46
	v_or_b32_e32 v43, 0x33800000, v40
	v_add_lshl_u32 v41, v41, v42, 23
	v_lshrrev_b32_e32 v39, 9, v39
	v_sub_u32_e32 v41, v43, v41
	v_or_b32_e32 v39, v41, v39
	v_alignbit_b32 v41, v42, v44, 9
	v_or_b32_e32 v40, v41, v40
	v_xor_b32_e32 v40, 1.0, v40
	v_mul_f32_e32 v41, 0x3fc90fda, v40
	v_fma_f32 v42, v40, s60, -v41
	v_fmac_f32_e32 v42, 0x33a22168, v40
	v_fmac_f32_e32 v42, 0x3fc90fda, v39
	v_lshrrev_b32_e32 v0, 30, v0
	v_add_f32_e32 v40, v41, v42
	v_add_u32_e32 v39, v48, v0
	s_andn2_saveexec_b64 s[8:9], s[38:39]
	s_cbranch_execnz .LBB249_246
	s_branch .LBB249_247
.LBB249_245:                            ;   in Loop: Header=BB249_217 Depth=1
	s_andn2_saveexec_b64 s[8:9], s[38:39]
.LBB249_246:                            ;   in Loop: Header=BB249_217 Depth=1
	v_mul_f32_e64 v0, |v23|, s61
	v_rndne_f32_e32 v0, v0
	v_cvt_i32_f32_e32 v39, v0
	v_fma_f32 v40, v0, s62, |v23|
	v_fmac_f32_e32 v40, 0xb3a22168, v0
	v_fmac_f32_e32 v40, 0xa7c234c4, v0
.LBB249_247:                            ;   in Loop: Header=BB249_217 Depth=1
	s_or_b64 exec, exec, s[8:9]
	v_mul_f32_e32 v41, v37, v37
	v_mov_b32_e32 v42, 0xbab64f3b
	v_fmac_f32_e32 v42, 0x37d75334, v41
	v_mov_b32_e32 v43, 0x3c0881c4
	v_fma_f32 v42, v41, v42, v31
	v_fmac_f32_e32 v43, 0xb94c1982, v41
	v_fma_f32 v42, v41, v42, v32
	v_fma_f32 v43, v41, v43, v30
	v_lshlrev_b32_e32 v0, 30, v38
	v_and_b32_e32 v38, 1, v38
	v_fma_f32 v42, v41, v42, 1.0
	v_mul_f32_e32 v41, v41, v43
	v_sub_f32_e32 v22, 0xc322e3bc, v22
	v_fmac_f32_e32 v37, v37, v41
	v_cmp_eq_u32_e32 vcc, 0, v38
	v_mul_f32_e32 v38, 0x3fb8aa3b, v22
	v_cndmask_b32_e64 v37, -v37, v42, vcc
	v_fma_f32 v41, v22, s67, -v38
	v_rndne_f32_e32 v42, v38
	v_fmac_f32_e32 v41, 0x32a5705f, v22
	v_sub_f32_e32 v38, v38, v42
	v_add_f32_e32 v38, v38, v41
	v_exp_f32_e32 v38, v38
	v_cvt_i32_f32_e32 v41, v42
	v_cmp_class_f32_e64 vcc, v23, s66
	v_cmp_ngt_f32_e64 s[8:9], s68, v22
	v_and_b32_e32 v0, 0x80000000, v0
	v_ldexp_f32 v23, v38, v41
	v_cndmask_b32_e64 v23, 0, v23, s[8:9]
	v_cmp_nlt_f32_e64 s[8:9], s69, v22
	v_cndmask_b32_e64 v22, v35, v23, s[8:9]
	v_and_b32_e32 v23, 0x7fffff, v22
	v_lshrrev_b32_e32 v22, 23, v22
	v_subrev_u32_e32 v22, 19, v22
	v_xor_b32_e32 v0, v0, v37
	v_lshrrev_b16_e32 v37, 15, v22
	v_add_u16_e32 v37, v22, v37
	v_ashrrev_i16_e32 v37, 1, v37
	v_bfe_i32 v37, v37, 0, 16
	v_lshl_add_u32 v38, v37, 23, 1.0
	v_sub_u32_e32 v22, v22, v37
	v_mul_f32_e32 v37, v40, v40
	v_mov_b32_e32 v41, 0x3c0881c4
	v_fmac_f32_e32 v41, 0xb94c1982, v37
	v_fma_f32 v41, v37, v41, v30
	v_mul_f32_e32 v41, v37, v41
	v_fmac_f32_e32 v40, v40, v41
	v_mov_b32_e32 v41, 0xbab64f3b
	v_fmac_f32_e32 v41, 0x37d75334, v37
	v_fma_f32 v41, v37, v41, v31
	v_fma_f32 v41, v37, v41, v32
	v_fma_f32 v37, v37, v41, 1.0
	v_and_b32_e32 v41, 1, v39
	v_cmp_eq_u32_e64 s[8:9], 0, v41
	v_lshlrev_b32_e32 v39, 30, v39
	v_cndmask_b32_e64 v37, v37, v40, s[8:9]
	v_and_or_b32 v29, v39, s49, v29
	v_xor_b32_e32 v29, v29, v37
	v_xor_b32_e32 v28, v29, v28
	v_cndmask_b32_e32 v0, v36, v0, vcc
	v_or_b32_e32 v23, 0x7f000000, v23
	v_cndmask_b32_e32 v28, v36, v28, vcc
	v_mul_f32_e32 v0, v0, v23
	v_mul_f32_e32 v23, v28, v23
	;; [unrolled: 1-line block ×3, first 2 shown]
	v_lshl_add_u32 v22, v22, 23, 1.0
	v_mul_f32_e32 v23, v23, v38
	v_mul_f32_e32 v0, v0, v22
	;; [unrolled: 1-line block ×3, first 2 shown]
	s_or_b64 exec, exec, s[36:37]
                                        ; implicit-def: $vgpr37
                                        ; implicit-def: $vgpr23
                                        ; implicit-def: $vgpr38
.LBB249_248:                            ;   in Loop: Header=BB249_217 Depth=1
	s_andn2_saveexec_b64 s[8:9], s[34:35]
	s_cbranch_execz .LBB249_254
.LBB249_249:                            ;   in Loop: Header=BB249_217 Depth=1
	v_cmp_ne_u32_e32 vcc, s50, v38
                                        ; implicit-def: $vgpr28
	s_and_saveexec_b64 s[10:11], vcc
	s_xor_b64 s[10:11], exec, s[10:11]
; %bb.250:                              ;   in Loop: Header=BB249_217 Depth=1
	v_sub_f32_e32 v28, v23, v23
                                        ; implicit-def: $vgpr37
                                        ; implicit-def: $vgpr23
; %bb.251:                              ;   in Loop: Header=BB249_217 Depth=1
	s_or_saveexec_b64 s[10:11], s[10:11]
	v_mov_b32_e32 v0, v28
	s_xor_b64 exec, exec, s[10:11]
; %bb.252:                              ;   in Loop: Header=BB249_217 Depth=1
	v_sub_f32_e32 v23, v23, v23
	v_cmp_lt_i32_e32 vcc, -1, v37
	v_cndmask_b32_e64 v0, 0, -v22, vcc
	v_cndmask_b32_e32 v28, 0, v23, vcc
; %bb.253:                              ;   in Loop: Header=BB249_217 Depth=1
	s_or_b64 exec, exec, s[10:11]
.LBB249_254:                            ;   in Loop: Header=BB249_217 Depth=1
	s_or_b64 exec, exec, s[8:9]
                                        ; implicit-def: $vgpr23
                                        ; implicit-def: $vgpr29
.LBB249_255:                            ;   in Loop: Header=BB249_217 Depth=1
	s_andn2_saveexec_b64 s[30:31], s[30:31]
	s_cbranch_execz .LBB249_265
; %bb.256:                              ;   in Loop: Header=BB249_217 Depth=1
	v_cmp_nlt_f32_e64 s[34:35], |v23|, s52
                                        ; implicit-def: $vgpr22
                                        ; implicit-def: $vgpr37
	s_and_saveexec_b64 s[8:9], s[34:35]
	s_xor_b64 s[36:37], exec, s[8:9]
	s_cbranch_execz .LBB249_258
; %bb.257:                              ;   in Loop: Header=BB249_217 Depth=1
	v_lshrrev_b32_e32 v0, 23, v29
	v_add_u32_e32 v0, 0xffffff88, v0
	v_cmp_lt_u32_e32 vcc, 63, v0
	v_cndmask_b32_e32 v22, 0, v33, vcc
	v_add_u32_e32 v0, v22, v0
	v_cmp_lt_u32_e64 s[8:9], 31, v0
	v_cndmask_b32_e64 v22, 0, v34, s[8:9]
	v_add_u32_e32 v0, v22, v0
	v_cmp_lt_u32_e64 s[10:11], 31, v0
	v_cndmask_b32_e64 v22, 0, v34, s[10:11]
	v_add_u32_e32 v22, v22, v0
	v_and_b32_e32 v0, 0x7fffff, v29
	v_or_b32_e32 v37, 0x800000, v0
	v_mad_u64_u32 v[38:39], s[12:13], v37, s53, 0
	v_mov_b32_e32 v0, v39
	v_mad_u64_u32 v[40:41], s[12:13], v37, s54, v[0:1]
	v_mov_b32_e32 v0, v41
	;; [unrolled: 2-line block ×6, first 2 shown]
	v_mad_u64_u32 v[50:51], s[12:13], v37, s59, v[0:1]
	v_cndmask_b32_e32 v39, v48, v44, vcc
	v_cndmask_b32_e32 v0, v50, v46, vcc
	;; [unrolled: 1-line block ×3, first 2 shown]
	v_cndmask_b32_e64 v37, v0, v39, s[8:9]
	v_cndmask_b32_e64 v0, v41, v0, s[8:9]
	v_cndmask_b32_e32 v41, v46, v42, vcc
	v_cndmask_b32_e64 v39, v39, v41, s[8:9]
	v_sub_u32_e32 v43, 32, v22
	v_cmp_eq_u32_e64 s[12:13], 0, v22
	v_cndmask_b32_e32 v22, v44, v40, vcc
	v_cndmask_b32_e64 v0, v0, v37, s[10:11]
	v_cndmask_b32_e64 v37, v37, v39, s[10:11]
	;; [unrolled: 1-line block ×3, first 2 shown]
	v_alignbit_b32 v45, v0, v37, v43
	v_cndmask_b32_e64 v39, v39, v40, s[10:11]
	v_cndmask_b32_e64 v0, v45, v0, s[12:13]
	v_alignbit_b32 v41, v37, v39, v43
	v_cndmask_b32_e32 v38, v42, v38, vcc
	v_cndmask_b32_e64 v37, v41, v37, s[12:13]
	v_bfe_u32 v45, v0, 29, 1
	v_cndmask_b32_e64 v22, v22, v38, s[8:9]
	v_alignbit_b32 v41, v0, v37, 30
	v_sub_u32_e32 v46, 0, v45
	v_cndmask_b32_e64 v22, v40, v22, s[10:11]
	v_xor_b32_e32 v47, v41, v46
	v_alignbit_b32 v38, v39, v22, v43
	v_cndmask_b32_e64 v38, v38, v39, s[12:13]
	v_ffbh_u32_e32 v39, v47
	v_add_u32_e32 v39, 1, v39
	v_cmp_ne_u32_e32 vcc, v41, v46
	v_alignbit_b32 v37, v37, v38, 30
	v_cndmask_b32_e32 v39, 33, v39, vcc
	v_alignbit_b32 v22, v38, v22, 30
	v_xor_b32_e32 v37, v37, v46
	v_sub_u32_e32 v40, 32, v39
	v_xor_b32_e32 v22, v22, v46
	v_alignbit_b32 v41, v47, v37, v40
	v_alignbit_b32 v22, v37, v22, v40
	v_alignbit_b32 v37, v41, v22, 9
	v_ffbh_u32_e32 v38, v37
	v_min_u32_e32 v38, 32, v38
	v_lshrrev_b32_e32 v44, 29, v0
	v_sub_u32_e32 v40, 31, v38
	v_alignbit_b32 v22, v37, v22, v40
	v_lshlrev_b32_e32 v37, 31, v44
	v_or_b32_e32 v40, 0x33800000, v37
	v_add_lshl_u32 v38, v38, v39, 23
	v_lshrrev_b32_e32 v22, 9, v22
	v_sub_u32_e32 v38, v40, v38
	v_or_b32_e32 v22, v38, v22
	v_alignbit_b32 v38, v39, v41, 9
	v_or_b32_e32 v37, v38, v37
	v_xor_b32_e32 v37, 1.0, v37
	v_mul_f32_e32 v38, 0x3fc90fda, v37
	v_fma_f32 v39, v37, s60, -v38
	v_fmac_f32_e32 v39, 0x33a22168, v37
	v_fmac_f32_e32 v39, 0x3fc90fda, v22
	v_lshrrev_b32_e32 v0, 30, v0
	v_add_f32_e32 v37, v38, v39
	v_add_u32_e32 v22, v45, v0
	s_andn2_saveexec_b64 s[8:9], s[36:37]
	s_branch .LBB249_259
.LBB249_258:                            ;   in Loop: Header=BB249_217 Depth=1
	s_andn2_saveexec_b64 s[8:9], s[36:37]
.LBB249_259:                            ;   in Loop: Header=BB249_217 Depth=1
	v_mul_f32_e64 v0, |v23|, s61
	v_rndne_f32_e32 v0, v0
	v_cvt_i32_f32_e32 v22, v0
	v_fma_f32 v37, v0, s62, |v23|
	v_fmac_f32_e32 v37, 0xb3a22168, v0
	v_fmac_f32_e32 v37, 0xa7c234c4, v0
; %bb.260:                              ;   in Loop: Header=BB249_217 Depth=1
	s_or_b64 exec, exec, s[8:9]
                                        ; implicit-def: $vgpr38
                                        ; implicit-def: $vgpr39
	s_and_saveexec_b64 s[8:9], s[34:35]
	s_xor_b64 s[34:35], exec, s[8:9]
	s_cbranch_execz .LBB249_262
; %bb.261:                              ;   in Loop: Header=BB249_217 Depth=1
	v_lshrrev_b32_e32 v0, 23, v29
	v_add_u32_e32 v0, 0xffffff88, v0
	v_cmp_lt_u32_e32 vcc, 63, v0
	v_cndmask_b32_e32 v38, 0, v33, vcc
	v_add_u32_e32 v0, v38, v0
	v_cmp_lt_u32_e64 s[8:9], 31, v0
	v_cndmask_b32_e64 v38, 0, v34, s[8:9]
	v_add_u32_e32 v0, v38, v0
	v_cmp_lt_u32_e64 s[10:11], 31, v0
	v_cndmask_b32_e64 v38, 0, v34, s[10:11]
	v_add_u32_e32 v52, v38, v0
	v_and_b32_e32 v0, 0x7fffff, v29
	v_or_b32_e32 v50, 0x800000, v0
	v_mad_u64_u32 v[38:39], s[12:13], v50, s53, 0
	v_mov_b32_e32 v0, v39
	v_mad_u64_u32 v[40:41], s[12:13], v50, s54, v[0:1]
	v_mov_b32_e32 v0, v41
	;; [unrolled: 2-line block ×6, first 2 shown]
	v_mad_u64_u32 v[50:51], s[12:13], v50, s59, v[0:1]
	v_cndmask_b32_e32 v39, v48, v44, vcc
	v_cndmask_b32_e32 v0, v50, v46, vcc
	;; [unrolled: 1-line block ×3, first 2 shown]
	v_cndmask_b32_e64 v41, v0, v39, s[8:9]
	v_cndmask_b32_e64 v0, v43, v0, s[8:9]
	v_cndmask_b32_e32 v43, v46, v42, vcc
	v_cndmask_b32_e64 v39, v39, v43, s[8:9]
	v_cndmask_b32_e32 v40, v44, v40, vcc
	v_cndmask_b32_e64 v0, v0, v41, s[10:11]
	v_cndmask_b32_e64 v41, v41, v39, s[10:11]
	v_sub_u32_e32 v45, 32, v52
	v_cndmask_b32_e64 v43, v43, v40, s[8:9]
	v_alignbit_b32 v46, v0, v41, v45
	v_cmp_eq_u32_e64 s[12:13], 0, v52
	v_cndmask_b32_e64 v39, v39, v43, s[10:11]
	v_cndmask_b32_e32 v38, v42, v38, vcc
	v_cndmask_b32_e64 v0, v46, v0, s[12:13]
	v_alignbit_b32 v44, v41, v39, v45
	v_cndmask_b32_e64 v38, v40, v38, s[8:9]
	v_cndmask_b32_e64 v41, v44, v41, s[12:13]
	v_bfe_u32 v47, v0, 29, 1
	v_cndmask_b32_e64 v38, v43, v38, s[10:11]
	v_alignbit_b32 v44, v0, v41, 30
	v_sub_u32_e32 v48, 0, v47
	v_alignbit_b32 v40, v39, v38, v45
	v_xor_b32_e32 v49, v44, v48
	v_cndmask_b32_e64 v39, v40, v39, s[12:13]
	v_alignbit_b32 v40, v41, v39, 30
	v_ffbh_u32_e32 v41, v49
	v_add_u32_e32 v41, 1, v41
	v_cmp_ne_u32_e32 vcc, v44, v48
	v_cndmask_b32_e32 v41, 33, v41, vcc
	v_alignbit_b32 v38, v39, v38, 30
	v_xor_b32_e32 v40, v40, v48
	v_sub_u32_e32 v42, 32, v41
	v_xor_b32_e32 v38, v38, v48
	v_alignbit_b32 v43, v49, v40, v42
	v_alignbit_b32 v38, v40, v38, v42
	;; [unrolled: 1-line block ×3, first 2 shown]
	v_ffbh_u32_e32 v40, v39
	v_min_u32_e32 v40, 32, v40
	v_lshrrev_b32_e32 v46, 29, v0
	v_sub_u32_e32 v42, 31, v40
	v_alignbit_b32 v38, v39, v38, v42
	v_lshlrev_b32_e32 v39, 31, v46
	v_or_b32_e32 v42, 0x33800000, v39
	v_add_lshl_u32 v40, v40, v41, 23
	v_lshrrev_b32_e32 v38, 9, v38
	v_sub_u32_e32 v40, v42, v40
	v_or_b32_e32 v38, v40, v38
	v_alignbit_b32 v40, v41, v43, 9
	v_or_b32_e32 v39, v40, v39
	v_xor_b32_e32 v39, 1.0, v39
	v_mul_f32_e32 v40, 0x3fc90fda, v39
	v_fma_f32 v41, v39, s60, -v40
	v_fmac_f32_e32 v41, 0x33a22168, v39
	v_fmac_f32_e32 v41, 0x3fc90fda, v38
	v_lshrrev_b32_e32 v0, 30, v0
	v_add_f32_e32 v39, v40, v41
	v_add_u32_e32 v38, v47, v0
	s_andn2_saveexec_b64 s[8:9], s[34:35]
	s_cbranch_execnz .LBB249_263
	s_branch .LBB249_264
.LBB249_262:                            ;   in Loop: Header=BB249_217 Depth=1
	s_andn2_saveexec_b64 s[8:9], s[34:35]
.LBB249_263:                            ;   in Loop: Header=BB249_217 Depth=1
	v_mul_f32_e64 v0, |v23|, s61
	v_rndne_f32_e32 v0, v0
	v_cvt_i32_f32_e32 v38, v0
	v_fma_f32 v39, v0, s62, |v23|
	v_fmac_f32_e32 v39, 0xb3a22168, v0
	v_fmac_f32_e32 v39, 0xa7c234c4, v0
.LBB249_264:                            ;   in Loop: Header=BB249_217 Depth=1
	s_or_b64 exec, exec, s[8:9]
	v_mul_f32_e32 v0, v37, v37
	v_mov_b32_e32 v40, 0x3c0881c4
	v_fmac_f32_e32 v40, 0xb94c1982, v0
	v_fma_f32 v40, v0, v40, v30
	v_mul_f32_e32 v40, v0, v40
	v_fmac_f32_e32 v37, v37, v40
	v_mov_b32_e32 v40, 0xbab64f3b
	v_fmac_f32_e32 v40, 0x37d75334, v0
	v_fma_f32 v40, v0, v40, v31
	v_fma_f32 v40, v0, v40, v32
	v_fma_f32 v0, v0, v40, 1.0
	v_and_b32_e32 v40, 1, v22
	v_cmp_eq_u32_e32 vcc, 0, v40
	v_lshlrev_b32_e32 v22, 30, v22
	v_cndmask_b32_e64 v0, -v37, v0, vcc
	v_and_b32_e32 v22, 0x80000000, v22
	v_xor_b32_e32 v0, v22, v0
	v_cmp_class_f32_e64 vcc, v23, s66
	v_mul_f32_e32 v22, v39, v39
	v_mov_b32_e32 v23, 0x3c0881c4
	v_fmac_f32_e32 v23, 0xb94c1982, v22
	v_fma_f32 v23, v22, v23, v30
	v_mul_f32_e32 v23, v22, v23
	v_fmac_f32_e32 v39, v39, v23
	v_mov_b32_e32 v23, 0xbab64f3b
	v_fmac_f32_e32 v23, 0x37d75334, v22
	v_fma_f32 v23, v22, v23, v31
	v_fma_f32 v23, v22, v23, v32
	v_fma_f32 v22, v22, v23, 1.0
	v_and_b32_e32 v23, 1, v38
	v_cmp_eq_u32_e64 s[8:9], 0, v23
	v_lshlrev_b32_e32 v23, 30, v38
	v_cndmask_b32_e64 v22, v22, v39, s[8:9]
	v_and_or_b32 v23, v23, s49, v29
	v_xor_b32_e32 v22, v23, v22
	v_xor_b32_e32 v22, v22, v28
	v_cndmask_b32_e32 v0, v36, v0, vcc
	v_cndmask_b32_e32 v28, v36, v22, vcc
.LBB249_265:                            ;   in Loop: Header=BB249_217 Depth=1
	s_or_b64 exec, exec, s[30:31]
                                        ; implicit-def: $vgpr22
.LBB249_266:                            ;   in Loop: Header=BB249_217 Depth=1
	s_andn2_saveexec_b64 s[8:9], s[28:29]
	s_cbranch_execz .LBB249_268
; %bb.267:                              ;   in Loop: Header=BB249_217 Depth=1
	v_mul_f32_e32 v0, 0xbfb8aa3b, v22
	v_rndne_f32_e32 v23, v0
	v_sub_f32_e32 v29, v0, v23
	v_fma_f32 v0, v22, s63, -v0
	v_fmac_f32_e32 v0, 0xb2a5705f, v22
	v_add_f32_e32 v0, v29, v0
	v_cvt_i32_f32_e32 v23, v23
	v_exp_f32_e32 v0, v0
	v_cmp_nlt_f32_e32 vcc, s64, v22
	v_ldexp_f32 v0, v0, v23
	v_cndmask_b32_e32 v0, 0, v0, vcc
	v_cmp_ngt_f32_e32 vcc, s65, v22
	v_cndmask_b32_e32 v0, v35, v0, vcc
.LBB249_268:                            ;   in Loop: Header=BB249_217 Depth=1
	s_or_b64 exec, exec, s[8:9]
	v_add_f32_e32 v29, s14, v0
	v_add_f32_e32 v0, s15, v28
	v_cmp_gt_f32_e32 vcc, 0, v29
	v_cndmask_b32_e64 v37, v29, -v29, vcc
	v_cmp_gt_f32_e32 vcc, 0, v0
	v_cndmask_b32_e64 v28, v0, -v0, vcc
	v_cmp_ge_f32_e32 vcc, v37, v28
                                        ; implicit-def: $vgpr23
	s_and_saveexec_b64 s[8:9], vcc
	s_xor_b64 s[10:11], exec, s[8:9]
	s_cbranch_execz .LBB249_274
; %bb.269:                              ;   in Loop: Header=BB249_217 Depth=1
	v_cmp_neq_f32_e32 vcc, 0, v29
	v_cmp_neq_f32_e64 s[8:9], 0, v0
	s_or_b64 s[8:9], vcc, s[8:9]
                                        ; implicit-def: $vgpr23
	s_and_saveexec_b64 s[12:13], s[8:9]
	s_xor_b64 s[8:9], exec, s[12:13]
	s_cbranch_execz .LBB249_271
; %bb.270:                              ;   in Loop: Header=BB249_217 Depth=1
	v_div_scale_f32 v22, s[12:13], v29, v29, v0
	v_rcp_f32_e32 v23, v22
	v_div_scale_f32 v28, vcc, v0, v29, v0
	v_fma_f32 v37, -v22, v23, 1.0
	v_fmac_f32_e32 v23, v37, v23
	v_mul_f32_e32 v37, v28, v23
	v_fma_f32 v38, -v22, v37, v28
	v_fmac_f32_e32 v37, v38, v23
	v_fma_f32 v22, -v22, v37, v28
	v_div_fmas_f32 v22, v22, v23, v37
	v_div_fixup_f32 v23, v22, v29, v0
	v_fmac_f32_e32 v29, v0, v23
	v_div_scale_f32 v0, s[12:13], v29, v29, 1.0
	v_rcp_f32_e32 v22, v0
	v_fma_f32 v28, -v0, v22, 1.0
	v_fmac_f32_e32 v22, v28, v22
	v_div_scale_f32 v28, vcc, 1.0, v29, 1.0
	v_mul_f32_e32 v37, v28, v22
	v_fma_f32 v38, -v0, v37, v28
	v_fmac_f32_e32 v37, v38, v22
	v_fma_f32 v0, -v0, v37, v28
	v_div_fmas_f32 v0, v0, v22, v37
	v_mov_b32_e32 v22, s14
	v_mov_b32_e32 v28, s15
	v_div_fixup_f32 v0, v0, v29, 1.0
	v_fma_f32 v22, s15, v23, v22
	v_fma_f32 v23, -v23, s14, v28
	v_mul_f32_e32 v22, v22, v0
	v_mul_f32_e32 v23, v23, v0
                                        ; implicit-def: $vgpr37
                                        ; implicit-def: $vgpr28
.LBB249_271:                            ;   in Loop: Header=BB249_217 Depth=1
	s_andn2_saveexec_b64 s[8:9], s[8:9]
	s_cbranch_execz .LBB249_273
; %bb.272:                              ;   in Loop: Header=BB249_217 Depth=1
	v_div_scale_f32 v0, s[12:13], v37, v37, s14
	v_rcp_f32_e32 v22, v0
	v_div_scale_f32 v23, vcc, s14, v37, s14
	v_fma_f32 v29, -v0, v22, 1.0
	v_fmac_f32_e32 v22, v29, v22
	v_mul_f32_e32 v29, v23, v22
	v_fma_f32 v38, -v0, v29, v23
	v_fmac_f32_e32 v29, v38, v22
	v_fma_f32 v0, -v0, v29, v23
	v_div_scale_f32 v23, s[12:13], v28, v28, s15
	v_rcp_f32_e32 v38, v23
	v_div_fmas_f32 v0, v0, v22, v29
	v_div_fixup_f32 v22, v0, v37, s14
	v_fma_f32 v0, -v23, v38, 1.0
	v_fmac_f32_e32 v38, v0, v38
	v_div_scale_f32 v0, vcc, s15, v28, s15
	v_mul_f32_e32 v29, v0, v38
	v_fma_f32 v37, -v23, v29, v0
	v_fmac_f32_e32 v29, v37, v38
	v_fma_f32 v0, -v23, v29, v0
	v_div_fmas_f32 v0, v0, v38, v29
	v_div_fixup_f32 v23, v0, v28, s15
.LBB249_273:                            ;   in Loop: Header=BB249_217 Depth=1
	s_or_b64 exec, exec, s[8:9]
                                        ; implicit-def: $vgpr0
                                        ; implicit-def: $vgpr29
.LBB249_274:                            ;   in Loop: Header=BB249_217 Depth=1
	s_andn2_saveexec_b64 s[8:9], s[10:11]
	s_cbranch_execz .LBB249_276
; %bb.275:                              ;   in Loop: Header=BB249_217 Depth=1
	v_div_scale_f32 v22, s[10:11], v0, v0, v29
	v_rcp_f32_e32 v23, v22
	v_div_scale_f32 v28, vcc, v29, v0, v29
	v_fma_f32 v37, -v22, v23, 1.0
	v_fmac_f32_e32 v23, v37, v23
	v_mul_f32_e32 v37, v28, v23
	v_fma_f32 v38, -v22, v37, v28
	v_fmac_f32_e32 v37, v38, v23
	v_fma_f32 v22, -v22, v37, v28
	v_div_fmas_f32 v22, v22, v23, v37
	v_div_fixup_f32 v23, v22, v0, v29
	v_fmac_f32_e32 v0, v29, v23
	v_div_scale_f32 v22, s[10:11], v0, v0, 1.0
	v_rcp_f32_e32 v28, v22
	v_fma_f32 v29, -v22, v28, 1.0
	v_fmac_f32_e32 v28, v29, v28
	v_div_scale_f32 v29, vcc, 1.0, v0, 1.0
	v_mul_f32_e32 v37, v29, v28
	v_fma_f32 v38, -v22, v37, v29
	v_fmac_f32_e32 v37, v38, v28
	v_fma_f32 v22, -v22, v37, v29
	v_div_fmas_f32 v22, v22, v28, v37
	v_div_fixup_f32 v0, v22, v0, 1.0
	v_mov_b32_e32 v22, s15
	v_mov_b32_e32 v28, s14
	v_fma_f32 v22, s14, v23, v22
	v_fma_f32 v23, v23, s15, -v28
	v_mul_f32_e32 v22, v22, v0
	v_mul_f32_e32 v23, v23, v0
.LBB249_276:                            ;   in Loop: Header=BB249_217 Depth=1
	s_or_b64 exec, exec, s[8:9]
	v_and_b32_e32 v29, 0x7fffffff, v27
	v_xor_b32_e32 v28, 0x80000000, v27
	v_cmp_ne_u32_e32 vcc, 0, v29
                                        ; implicit-def: $vgpr0
	s_and_saveexec_b64 s[8:9], vcc
	s_xor_b64 s[28:29], exec, s[8:9]
	s_cbranch_execz .LBB249_319
; %bb.277:                              ;   in Loop: Header=BB249_217 Depth=1
	v_and_b32_e32 v38, 0x7fffffff, v26
	v_cmp_ne_u32_e32 vcc, 0, v38
                                        ; implicit-def: $vgpr0
	s_and_saveexec_b64 s[8:9], vcc
	s_xor_b64 s[30:31], exec, s[8:9]
	s_cbranch_execz .LBB249_308
; %bb.278:                              ;   in Loop: Header=BB249_217 Depth=1
	v_xor_b32_e32 v37, 0x80000000, v26
	v_cmp_gt_u32_e32 vcc, s50, v29
                                        ; implicit-def: $vgpr0
	s_and_saveexec_b64 s[8:9], vcc
	s_xor_b64 s[34:35], exec, s[8:9]
	s_cbranch_execz .LBB249_301
; %bb.279:                              ;   in Loop: Header=BB249_217 Depth=1
	v_add_u32_e32 v0, 0xbd4e8de8, v37
	v_cmp_lt_u32_e32 vcc, s51, v0
                                        ; implicit-def: $vgpr0
	s_and_saveexec_b64 s[8:9], vcc
	s_xor_b64 s[36:37], exec, s[8:9]
	s_cbranch_execz .LBB249_290
; %bb.280:                              ;   in Loop: Header=BB249_217 Depth=1
	v_cmp_nlt_f32_e64 s[38:39], |v27|, s52
                                        ; implicit-def: $vgpr37
                                        ; implicit-def: $vgpr38
	s_and_saveexec_b64 s[8:9], s[38:39]
	s_xor_b64 s[40:41], exec, s[8:9]
	s_cbranch_execz .LBB249_283
; %bb.281:                              ;   in Loop: Header=BB249_217 Depth=1
	v_lshrrev_b32_e32 v0, 23, v29
	v_add_u32_e32 v0, 0xffffff88, v0
	v_cmp_lt_u32_e32 vcc, 63, v0
	v_cndmask_b32_e32 v37, 0, v33, vcc
	v_add_u32_e32 v0, v37, v0
	v_cmp_lt_u32_e64 s[8:9], 31, v0
	v_cndmask_b32_e64 v37, 0, v34, s[8:9]
	v_add_u32_e32 v0, v37, v0
	v_cmp_lt_u32_e64 s[10:11], 31, v0
	v_cndmask_b32_e64 v37, 0, v34, s[10:11]
	v_add_u32_e32 v37, v37, v0
	v_and_b32_e32 v0, 0x7fffff, v29
	v_or_b32_e32 v50, 0x800000, v0
	v_mad_u64_u32 v[38:39], s[12:13], v50, s53, 0
	v_mov_b32_e32 v0, v39
	v_mad_u64_u32 v[40:41], s[12:13], v50, s54, v[0:1]
	v_mov_b32_e32 v0, v41
	;; [unrolled: 2-line block ×6, first 2 shown]
	v_mad_u64_u32 v[50:51], s[12:13], v50, s59, v[0:1]
	v_cndmask_b32_e32 v39, v48, v44, vcc
	v_cndmask_b32_e32 v0, v50, v46, vcc
	;; [unrolled: 1-line block ×3, first 2 shown]
	v_cndmask_b32_e64 v41, v0, v39, s[8:9]
	v_cndmask_b32_e64 v0, v43, v0, s[8:9]
	v_cndmask_b32_e32 v43, v46, v42, vcc
	v_cndmask_b32_e64 v39, v39, v43, s[8:9]
	v_sub_u32_e32 v45, 32, v37
	v_cmp_eq_u32_e64 s[12:13], 0, v37
	v_cndmask_b32_e32 v37, v44, v40, vcc
	v_cndmask_b32_e64 v0, v0, v41, s[10:11]
	v_cndmask_b32_e64 v41, v41, v39, s[10:11]
	;; [unrolled: 1-line block ×3, first 2 shown]
	v_alignbit_b32 v46, v0, v41, v45
	v_cndmask_b32_e64 v39, v39, v40, s[10:11]
	v_cndmask_b32_e64 v0, v46, v0, s[12:13]
	v_alignbit_b32 v43, v41, v39, v45
	v_cndmask_b32_e64 v41, v43, v41, s[12:13]
	v_bfe_u32 v46, v0, 29, 1
	v_cndmask_b32_e32 v38, v42, v38, vcc
	v_alignbit_b32 v43, v0, v41, 30
	v_sub_u32_e32 v47, 0, v46
	v_cndmask_b32_e64 v37, v37, v38, s[8:9]
	v_xor_b32_e32 v48, v43, v47
	v_cndmask_b32_e64 v37, v40, v37, s[10:11]
	v_alignbit_b32 v38, v39, v37, v45
	v_ffbh_u32_e32 v40, v48
	v_cndmask_b32_e64 v38, v38, v39, s[12:13]
	v_add_u32_e32 v40, 1, v40
	v_cmp_ne_u32_e32 vcc, v43, v47
	v_alignbit_b32 v39, v41, v38, 30
	v_cndmask_b32_e32 v40, 33, v40, vcc
	v_alignbit_b32 v37, v38, v37, 30
	v_xor_b32_e32 v39, v39, v47
	v_sub_u32_e32 v41, 32, v40
	v_xor_b32_e32 v37, v37, v47
	v_alignbit_b32 v42, v48, v39, v41
	v_alignbit_b32 v37, v39, v37, v41
	;; [unrolled: 1-line block ×3, first 2 shown]
	v_ffbh_u32_e32 v39, v38
	v_min_u32_e32 v39, 32, v39
	v_lshrrev_b32_e32 v44, 29, v0
	v_sub_u32_e32 v41, 31, v39
	v_alignbit_b32 v37, v38, v37, v41
	v_lshlrev_b32_e32 v38, 31, v44
	v_or_b32_e32 v41, 0x33800000, v38
	v_add_lshl_u32 v39, v39, v40, 23
	v_lshrrev_b32_e32 v37, 9, v37
	v_sub_u32_e32 v39, v41, v39
	v_or_b32_e32 v37, v39, v37
	v_alignbit_b32 v39, v40, v42, 9
	v_or_b32_e32 v38, v39, v38
	v_xor_b32_e32 v38, 1.0, v38
	v_mul_f32_e32 v39, 0x3fc90fda, v38
	v_fma_f32 v40, v38, s60, -v39
	v_fmac_f32_e32 v40, 0x33a22168, v38
	v_fmac_f32_e32 v40, 0x3fc90fda, v37
	v_lshrrev_b32_e32 v0, 30, v0
	v_add_f32_e32 v38, v39, v40
	v_add_u32_e32 v37, v46, v0
	s_andn2_saveexec_b64 s[8:9], s[40:41]
	s_branch .LBB249_284
.LBB249_282:                            ;   in Loop: Header=BB249_217 Depth=1
	s_or_b64 exec, exec, s[36:37]
                                        ; implicit-def: $vgpr37
                                        ; implicit-def: $vgpr23
                                        ; implicit-def: $vgpr38
	s_andn2_saveexec_b64 s[8:9], s[34:35]
	s_cbranch_execnz .LBB249_249
	s_branch .LBB249_254
.LBB249_283:                            ;   in Loop: Header=BB249_217 Depth=1
	s_andn2_saveexec_b64 s[8:9], s[40:41]
.LBB249_284:                            ;   in Loop: Header=BB249_217 Depth=1
	v_mul_f32_e64 v0, |v27|, s61
	v_rndne_f32_e32 v0, v0
	v_cvt_i32_f32_e32 v37, v0
	v_fma_f32 v38, v0, s62, |v27|
	v_fmac_f32_e32 v38, 0xb3a22168, v0
	v_fmac_f32_e32 v38, 0xa7c234c4, v0
; %bb.285:                              ;   in Loop: Header=BB249_217 Depth=1
	s_or_b64 exec, exec, s[8:9]
                                        ; implicit-def: $vgpr39
                                        ; implicit-def: $vgpr40
	s_and_saveexec_b64 s[8:9], s[38:39]
	s_xor_b64 s[38:39], exec, s[8:9]
	s_cbranch_execz .LBB249_287
; %bb.286:                              ;   in Loop: Header=BB249_217 Depth=1
	v_lshrrev_b32_e32 v0, 23, v29
	v_add_u32_e32 v0, 0xffffff88, v0
	v_cmp_lt_u32_e32 vcc, 63, v0
	v_cndmask_b32_e32 v39, 0, v33, vcc
	v_add_u32_e32 v0, v39, v0
	v_cmp_lt_u32_e64 s[8:9], 31, v0
	v_cndmask_b32_e64 v39, 0, v34, s[8:9]
	v_add_u32_e32 v0, v39, v0
	v_cmp_lt_u32_e64 s[10:11], 31, v0
	v_cndmask_b32_e64 v39, 0, v34, s[10:11]
	v_add_u32_e32 v39, v39, v0
	v_and_b32_e32 v0, 0x7fffff, v29
	v_or_b32_e32 v52, 0x800000, v0
	v_mad_u64_u32 v[40:41], s[12:13], v52, s53, 0
	v_mov_b32_e32 v0, v41
	v_mad_u64_u32 v[42:43], s[12:13], v52, s54, v[0:1]
	v_mov_b32_e32 v0, v43
	;; [unrolled: 2-line block ×6, first 2 shown]
	v_mad_u64_u32 v[52:53], s[12:13], v52, s59, v[0:1]
	v_cndmask_b32_e32 v41, v50, v46, vcc
	v_cndmask_b32_e32 v0, v52, v48, vcc
	;; [unrolled: 1-line block ×3, first 2 shown]
	v_cndmask_b32_e64 v43, v0, v41, s[8:9]
	v_cndmask_b32_e64 v0, v45, v0, s[8:9]
	v_cndmask_b32_e32 v45, v48, v44, vcc
	v_cndmask_b32_e64 v41, v41, v45, s[8:9]
	v_sub_u32_e32 v47, 32, v39
	v_cmp_eq_u32_e64 s[12:13], 0, v39
	v_cndmask_b32_e32 v39, v46, v42, vcc
	v_cndmask_b32_e64 v0, v0, v43, s[10:11]
	v_cndmask_b32_e64 v43, v43, v41, s[10:11]
	;; [unrolled: 1-line block ×3, first 2 shown]
	v_alignbit_b32 v48, v0, v43, v47
	v_cndmask_b32_e64 v41, v41, v42, s[10:11]
	v_cndmask_b32_e64 v0, v48, v0, s[12:13]
	v_alignbit_b32 v45, v43, v41, v47
	v_cndmask_b32_e64 v43, v45, v43, s[12:13]
	v_bfe_u32 v48, v0, 29, 1
	v_cndmask_b32_e32 v40, v44, v40, vcc
	v_alignbit_b32 v45, v0, v43, 30
	v_sub_u32_e32 v49, 0, v48
	v_cndmask_b32_e64 v39, v39, v40, s[8:9]
	v_xor_b32_e32 v50, v45, v49
	v_cndmask_b32_e64 v39, v42, v39, s[10:11]
	v_alignbit_b32 v40, v41, v39, v47
	v_ffbh_u32_e32 v42, v50
	v_cndmask_b32_e64 v40, v40, v41, s[12:13]
	v_add_u32_e32 v42, 1, v42
	v_cmp_ne_u32_e32 vcc, v45, v49
	v_alignbit_b32 v41, v43, v40, 30
	v_cndmask_b32_e32 v42, 33, v42, vcc
	v_alignbit_b32 v39, v40, v39, 30
	v_xor_b32_e32 v41, v41, v49
	v_sub_u32_e32 v43, 32, v42
	v_xor_b32_e32 v39, v39, v49
	v_alignbit_b32 v44, v50, v41, v43
	v_alignbit_b32 v39, v41, v39, v43
	;; [unrolled: 1-line block ×3, first 2 shown]
	v_ffbh_u32_e32 v41, v40
	v_min_u32_e32 v41, 32, v41
	v_lshrrev_b32_e32 v46, 29, v0
	v_sub_u32_e32 v43, 31, v41
	v_alignbit_b32 v39, v40, v39, v43
	v_lshlrev_b32_e32 v40, 31, v46
	v_or_b32_e32 v43, 0x33800000, v40
	v_add_lshl_u32 v41, v41, v42, 23
	v_lshrrev_b32_e32 v39, 9, v39
	v_sub_u32_e32 v41, v43, v41
	v_or_b32_e32 v39, v41, v39
	v_alignbit_b32 v41, v42, v44, 9
	v_or_b32_e32 v40, v41, v40
	v_xor_b32_e32 v40, 1.0, v40
	v_mul_f32_e32 v41, 0x3fc90fda, v40
	v_fma_f32 v42, v40, s60, -v41
	v_fmac_f32_e32 v42, 0x33a22168, v40
	v_fmac_f32_e32 v42, 0x3fc90fda, v39
	v_lshrrev_b32_e32 v0, 30, v0
	v_add_f32_e32 v40, v41, v42
	v_add_u32_e32 v39, v48, v0
	s_andn2_saveexec_b64 s[8:9], s[38:39]
	s_cbranch_execnz .LBB249_288
	s_branch .LBB249_289
.LBB249_287:                            ;   in Loop: Header=BB249_217 Depth=1
	s_andn2_saveexec_b64 s[8:9], s[38:39]
.LBB249_288:                            ;   in Loop: Header=BB249_217 Depth=1
	v_mul_f32_e64 v0, |v27|, s61
	v_rndne_f32_e32 v0, v0
	v_cvt_i32_f32_e32 v39, v0
	v_fma_f32 v40, v0, s62, |v27|
	v_fmac_f32_e32 v40, 0xb3a22168, v0
	v_fmac_f32_e32 v40, 0xa7c234c4, v0
.LBB249_289:                            ;   in Loop: Header=BB249_217 Depth=1
	s_or_b64 exec, exec, s[8:9]
	v_mul_f32_e32 v0, 0xbfb8aa3b, v26
	v_rndne_f32_e32 v41, v0
	v_sub_f32_e32 v42, v0, v41
	v_fma_f32 v0, v26, s63, -v0
	v_fmac_f32_e32 v0, 0xb2a5705f, v26
	v_add_f32_e32 v0, v42, v0
	v_cvt_i32_f32_e32 v41, v41
	v_exp_f32_e32 v0, v0
	v_cmp_nlt_f32_e32 vcc, s64, v26
	v_ldexp_f32 v0, v0, v41
	v_cndmask_b32_e32 v0, 0, v0, vcc
	v_cmp_ngt_f32_e32 vcc, s65, v26
	v_cndmask_b32_e32 v26, v35, v0, vcc
	v_mul_f32_e32 v0, v38, v38
	v_mov_b32_e32 v41, 0x3c0881c4
	v_fmac_f32_e32 v41, 0xb94c1982, v0
	v_fma_f32 v41, v0, v41, v30
	v_mul_f32_e32 v41, v0, v41
	v_fmac_f32_e32 v38, v38, v41
	v_mov_b32_e32 v41, 0xbab64f3b
	v_fmac_f32_e32 v41, 0x37d75334, v0
	v_fma_f32 v41, v0, v41, v31
	v_fma_f32 v41, v0, v41, v32
	v_fma_f32 v0, v0, v41, 1.0
	v_and_b32_e32 v41, 1, v37
	v_cmp_eq_u32_e32 vcc, 0, v41
	v_lshlrev_b32_e32 v37, 30, v37
	v_cndmask_b32_e64 v0, -v38, v0, vcc
	v_and_b32_e32 v37, 0x80000000, v37
	v_xor_b32_e32 v0, v37, v0
	v_cmp_class_f32_e64 vcc, v27, s66
	v_mul_f32_e32 v27, v40, v40
	v_mov_b32_e32 v37, 0x3c0881c4
	v_fmac_f32_e32 v37, 0xb94c1982, v27
	v_fma_f32 v37, v27, v37, v30
	v_mul_f32_e32 v37, v27, v37
	v_fmac_f32_e32 v40, v40, v37
	v_mov_b32_e32 v37, 0xbab64f3b
	v_fmac_f32_e32 v37, 0x37d75334, v27
	v_fma_f32 v37, v27, v37, v31
	v_fma_f32 v37, v27, v37, v32
	v_fma_f32 v27, v27, v37, 1.0
	v_and_b32_e32 v37, 1, v39
	v_cmp_eq_u32_e64 s[8:9], 0, v37
	v_lshlrev_b32_e32 v37, 30, v39
	v_cndmask_b32_e64 v27, v27, v40, s[8:9]
	v_and_or_b32 v29, v37, s49, v29
	v_xor_b32_e32 v27, v29, v27
	v_xor_b32_e32 v27, v27, v28
	v_cndmask_b32_e32 v0, v36, v0, vcc
	v_cndmask_b32_e32 v27, v36, v27, vcc
	v_mul_f32_e32 v0, v26, v0
	v_mul_f32_e32 v28, v26, v27
                                        ; implicit-def: $vgpr27
                                        ; implicit-def: $vgpr29
.LBB249_290:                            ;   in Loop: Header=BB249_217 Depth=1
	s_andn2_saveexec_b64 s[36:37], s[36:37]
	s_cbranch_execz .LBB249_300
; %bb.291:                              ;   in Loop: Header=BB249_217 Depth=1
	v_cmp_nlt_f32_e64 s[38:39], |v27|, s52
                                        ; implicit-def: $vgpr38
                                        ; implicit-def: $vgpr37
	s_and_saveexec_b64 s[8:9], s[38:39]
	s_xor_b64 s[40:41], exec, s[8:9]
	s_cbranch_execz .LBB249_293
; %bb.292:                              ;   in Loop: Header=BB249_217 Depth=1
	v_lshrrev_b32_e32 v0, 23, v29
	v_add_u32_e32 v0, 0xffffff88, v0
	v_cmp_lt_u32_e32 vcc, 63, v0
	v_cndmask_b32_e32 v37, 0, v33, vcc
	v_add_u32_e32 v0, v37, v0
	v_cmp_lt_u32_e64 s[8:9], 31, v0
	v_cndmask_b32_e64 v37, 0, v34, s[8:9]
	v_add_u32_e32 v0, v37, v0
	v_cmp_lt_u32_e64 s[10:11], 31, v0
	v_cndmask_b32_e64 v37, 0, v34, s[10:11]
	v_add_u32_e32 v37, v37, v0
	v_and_b32_e32 v0, 0x7fffff, v29
	v_or_b32_e32 v50, 0x800000, v0
	v_mad_u64_u32 v[38:39], s[12:13], v50, s53, 0
	v_mov_b32_e32 v0, v39
	v_mad_u64_u32 v[40:41], s[12:13], v50, s54, v[0:1]
	v_mov_b32_e32 v0, v41
	;; [unrolled: 2-line block ×6, first 2 shown]
	v_mad_u64_u32 v[50:51], s[12:13], v50, s59, v[0:1]
	v_cndmask_b32_e32 v39, v48, v44, vcc
	v_cndmask_b32_e32 v0, v50, v46, vcc
	;; [unrolled: 1-line block ×3, first 2 shown]
	v_cndmask_b32_e64 v41, v0, v39, s[8:9]
	v_cndmask_b32_e64 v0, v43, v0, s[8:9]
	v_cndmask_b32_e32 v43, v46, v42, vcc
	v_cndmask_b32_e64 v39, v39, v43, s[8:9]
	v_sub_u32_e32 v45, 32, v37
	v_cmp_eq_u32_e64 s[12:13], 0, v37
	v_cndmask_b32_e32 v37, v44, v40, vcc
	v_cndmask_b32_e64 v0, v0, v41, s[10:11]
	v_cndmask_b32_e64 v41, v41, v39, s[10:11]
	v_cndmask_b32_e64 v40, v43, v37, s[8:9]
	v_alignbit_b32 v46, v0, v41, v45
	v_cndmask_b32_e64 v39, v39, v40, s[10:11]
	v_cndmask_b32_e64 v0, v46, v0, s[12:13]
	v_alignbit_b32 v43, v41, v39, v45
	v_cndmask_b32_e64 v41, v43, v41, s[12:13]
	v_bfe_u32 v46, v0, 29, 1
	v_cndmask_b32_e32 v38, v42, v38, vcc
	v_alignbit_b32 v43, v0, v41, 30
	v_sub_u32_e32 v47, 0, v46
	v_cndmask_b32_e64 v37, v37, v38, s[8:9]
	v_xor_b32_e32 v48, v43, v47
	v_cndmask_b32_e64 v37, v40, v37, s[10:11]
	v_alignbit_b32 v38, v39, v37, v45
	v_ffbh_u32_e32 v40, v48
	v_cndmask_b32_e64 v38, v38, v39, s[12:13]
	v_add_u32_e32 v40, 1, v40
	v_cmp_ne_u32_e32 vcc, v43, v47
	v_alignbit_b32 v39, v41, v38, 30
	v_cndmask_b32_e32 v40, 33, v40, vcc
	v_alignbit_b32 v37, v38, v37, 30
	v_xor_b32_e32 v39, v39, v47
	v_sub_u32_e32 v41, 32, v40
	v_xor_b32_e32 v37, v37, v47
	v_alignbit_b32 v42, v48, v39, v41
	v_alignbit_b32 v37, v39, v37, v41
	;; [unrolled: 1-line block ×3, first 2 shown]
	v_ffbh_u32_e32 v39, v38
	v_min_u32_e32 v39, 32, v39
	v_lshrrev_b32_e32 v44, 29, v0
	v_sub_u32_e32 v41, 31, v39
	v_alignbit_b32 v37, v38, v37, v41
	v_lshlrev_b32_e32 v38, 31, v44
	v_or_b32_e32 v41, 0x33800000, v38
	v_add_lshl_u32 v39, v39, v40, 23
	v_lshrrev_b32_e32 v37, 9, v37
	v_sub_u32_e32 v39, v41, v39
	v_or_b32_e32 v37, v39, v37
	v_alignbit_b32 v39, v40, v42, 9
	v_or_b32_e32 v38, v39, v38
	v_xor_b32_e32 v38, 1.0, v38
	v_mul_f32_e32 v39, 0x3fc90fda, v38
	v_fma_f32 v40, v38, s60, -v39
	v_fmac_f32_e32 v40, 0x33a22168, v38
	v_fmac_f32_e32 v40, 0x3fc90fda, v37
	v_lshrrev_b32_e32 v0, 30, v0
	v_add_f32_e32 v37, v39, v40
	v_add_u32_e32 v38, v46, v0
	s_andn2_saveexec_b64 s[8:9], s[40:41]
	s_branch .LBB249_294
.LBB249_293:                            ;   in Loop: Header=BB249_217 Depth=1
	s_andn2_saveexec_b64 s[8:9], s[40:41]
.LBB249_294:                            ;   in Loop: Header=BB249_217 Depth=1
	v_mul_f32_e64 v0, |v27|, s61
	v_rndne_f32_e32 v0, v0
	v_cvt_i32_f32_e32 v38, v0
	v_fma_f32 v37, v0, s62, |v27|
	v_fmac_f32_e32 v37, 0xb3a22168, v0
	v_fmac_f32_e32 v37, 0xa7c234c4, v0
; %bb.295:                              ;   in Loop: Header=BB249_217 Depth=1
	s_or_b64 exec, exec, s[8:9]
                                        ; implicit-def: $vgpr39
                                        ; implicit-def: $vgpr40
	s_and_saveexec_b64 s[8:9], s[38:39]
	s_xor_b64 s[38:39], exec, s[8:9]
	s_cbranch_execz .LBB249_297
; %bb.296:                              ;   in Loop: Header=BB249_217 Depth=1
	v_lshrrev_b32_e32 v0, 23, v29
	v_add_u32_e32 v0, 0xffffff88, v0
	v_cmp_lt_u32_e32 vcc, 63, v0
	v_cndmask_b32_e32 v39, 0, v33, vcc
	v_add_u32_e32 v0, v39, v0
	v_cmp_lt_u32_e64 s[8:9], 31, v0
	v_cndmask_b32_e64 v39, 0, v34, s[8:9]
	v_add_u32_e32 v0, v39, v0
	v_cmp_lt_u32_e64 s[10:11], 31, v0
	v_cndmask_b32_e64 v39, 0, v34, s[10:11]
	v_add_u32_e32 v39, v39, v0
	v_and_b32_e32 v0, 0x7fffff, v29
	v_or_b32_e32 v52, 0x800000, v0
	v_mad_u64_u32 v[40:41], s[12:13], v52, s53, 0
	v_mov_b32_e32 v0, v41
	v_mad_u64_u32 v[42:43], s[12:13], v52, s54, v[0:1]
	v_mov_b32_e32 v0, v43
	;; [unrolled: 2-line block ×6, first 2 shown]
	v_mad_u64_u32 v[52:53], s[12:13], v52, s59, v[0:1]
	v_cndmask_b32_e32 v41, v50, v46, vcc
	v_cndmask_b32_e32 v0, v52, v48, vcc
	;; [unrolled: 1-line block ×3, first 2 shown]
	v_cndmask_b32_e64 v43, v0, v41, s[8:9]
	v_cndmask_b32_e64 v0, v45, v0, s[8:9]
	v_cndmask_b32_e32 v45, v48, v44, vcc
	v_cndmask_b32_e64 v41, v41, v45, s[8:9]
	v_sub_u32_e32 v47, 32, v39
	v_cmp_eq_u32_e64 s[12:13], 0, v39
	v_cndmask_b32_e32 v39, v46, v42, vcc
	v_cndmask_b32_e64 v0, v0, v43, s[10:11]
	v_cndmask_b32_e64 v43, v43, v41, s[10:11]
	;; [unrolled: 1-line block ×3, first 2 shown]
	v_alignbit_b32 v48, v0, v43, v47
	v_cndmask_b32_e64 v41, v41, v42, s[10:11]
	v_cndmask_b32_e64 v0, v48, v0, s[12:13]
	v_alignbit_b32 v45, v43, v41, v47
	v_cndmask_b32_e64 v43, v45, v43, s[12:13]
	v_bfe_u32 v48, v0, 29, 1
	v_cndmask_b32_e32 v40, v44, v40, vcc
	v_alignbit_b32 v45, v0, v43, 30
	v_sub_u32_e32 v49, 0, v48
	v_cndmask_b32_e64 v39, v39, v40, s[8:9]
	v_xor_b32_e32 v50, v45, v49
	v_cndmask_b32_e64 v39, v42, v39, s[10:11]
	v_alignbit_b32 v40, v41, v39, v47
	v_ffbh_u32_e32 v42, v50
	v_cndmask_b32_e64 v40, v40, v41, s[12:13]
	v_add_u32_e32 v42, 1, v42
	v_cmp_ne_u32_e32 vcc, v45, v49
	v_alignbit_b32 v41, v43, v40, 30
	v_cndmask_b32_e32 v42, 33, v42, vcc
	v_alignbit_b32 v39, v40, v39, 30
	v_xor_b32_e32 v41, v41, v49
	v_sub_u32_e32 v43, 32, v42
	v_xor_b32_e32 v39, v39, v49
	v_alignbit_b32 v44, v50, v41, v43
	v_alignbit_b32 v39, v41, v39, v43
	;; [unrolled: 1-line block ×3, first 2 shown]
	v_ffbh_u32_e32 v41, v40
	v_min_u32_e32 v41, 32, v41
	v_lshrrev_b32_e32 v46, 29, v0
	v_sub_u32_e32 v43, 31, v41
	v_alignbit_b32 v39, v40, v39, v43
	v_lshlrev_b32_e32 v40, 31, v46
	v_or_b32_e32 v43, 0x33800000, v40
	v_add_lshl_u32 v41, v41, v42, 23
	v_lshrrev_b32_e32 v39, 9, v39
	v_sub_u32_e32 v41, v43, v41
	v_or_b32_e32 v39, v41, v39
	v_alignbit_b32 v41, v42, v44, 9
	v_or_b32_e32 v40, v41, v40
	v_xor_b32_e32 v40, 1.0, v40
	v_mul_f32_e32 v41, 0x3fc90fda, v40
	v_fma_f32 v42, v40, s60, -v41
	v_fmac_f32_e32 v42, 0x33a22168, v40
	v_fmac_f32_e32 v42, 0x3fc90fda, v39
	v_lshrrev_b32_e32 v0, 30, v0
	v_add_f32_e32 v40, v41, v42
	v_add_u32_e32 v39, v48, v0
	s_andn2_saveexec_b64 s[8:9], s[38:39]
	s_cbranch_execnz .LBB249_298
	s_branch .LBB249_299
.LBB249_297:                            ;   in Loop: Header=BB249_217 Depth=1
	s_andn2_saveexec_b64 s[8:9], s[38:39]
.LBB249_298:                            ;   in Loop: Header=BB249_217 Depth=1
	v_mul_f32_e64 v0, |v27|, s61
	v_rndne_f32_e32 v0, v0
	v_cvt_i32_f32_e32 v39, v0
	v_fma_f32 v40, v0, s62, |v27|
	v_fmac_f32_e32 v40, 0xb3a22168, v0
	v_fmac_f32_e32 v40, 0xa7c234c4, v0
.LBB249_299:                            ;   in Loop: Header=BB249_217 Depth=1
	s_or_b64 exec, exec, s[8:9]
	v_mul_f32_e32 v41, v37, v37
	v_mov_b32_e32 v42, 0xbab64f3b
	v_fmac_f32_e32 v42, 0x37d75334, v41
	v_mov_b32_e32 v43, 0x3c0881c4
	v_fma_f32 v42, v41, v42, v31
	v_fmac_f32_e32 v43, 0xb94c1982, v41
	v_fma_f32 v42, v41, v42, v32
	v_fma_f32 v43, v41, v43, v30
	v_lshlrev_b32_e32 v0, 30, v38
	v_and_b32_e32 v38, 1, v38
	v_fma_f32 v42, v41, v42, 1.0
	v_mul_f32_e32 v41, v41, v43
	v_sub_f32_e32 v26, 0xc322e3bc, v26
	v_fmac_f32_e32 v37, v37, v41
	v_cmp_eq_u32_e32 vcc, 0, v38
	v_mul_f32_e32 v38, 0x3fb8aa3b, v26
	v_cndmask_b32_e64 v37, -v37, v42, vcc
	v_fma_f32 v41, v26, s67, -v38
	v_rndne_f32_e32 v42, v38
	v_fmac_f32_e32 v41, 0x32a5705f, v26
	v_sub_f32_e32 v38, v38, v42
	v_add_f32_e32 v38, v38, v41
	v_exp_f32_e32 v38, v38
	v_cvt_i32_f32_e32 v41, v42
	v_cmp_class_f32_e64 vcc, v27, s66
	v_cmp_ngt_f32_e64 s[8:9], s68, v26
	v_and_b32_e32 v0, 0x80000000, v0
	v_ldexp_f32 v27, v38, v41
	v_cndmask_b32_e64 v27, 0, v27, s[8:9]
	v_cmp_nlt_f32_e64 s[8:9], s69, v26
	v_cndmask_b32_e64 v26, v35, v27, s[8:9]
	v_and_b32_e32 v27, 0x7fffff, v26
	v_lshrrev_b32_e32 v26, 23, v26
	v_subrev_u32_e32 v26, 19, v26
	v_xor_b32_e32 v0, v0, v37
	v_lshrrev_b16_e32 v37, 15, v26
	v_add_u16_e32 v37, v26, v37
	v_ashrrev_i16_e32 v37, 1, v37
	v_bfe_i32 v37, v37, 0, 16
	v_lshl_add_u32 v38, v37, 23, 1.0
	v_sub_u32_e32 v26, v26, v37
	v_mul_f32_e32 v37, v40, v40
	v_mov_b32_e32 v41, 0x3c0881c4
	v_fmac_f32_e32 v41, 0xb94c1982, v37
	v_fma_f32 v41, v37, v41, v30
	v_mul_f32_e32 v41, v37, v41
	v_fmac_f32_e32 v40, v40, v41
	v_mov_b32_e32 v41, 0xbab64f3b
	v_fmac_f32_e32 v41, 0x37d75334, v37
	v_fma_f32 v41, v37, v41, v31
	v_fma_f32 v41, v37, v41, v32
	v_fma_f32 v37, v37, v41, 1.0
	v_and_b32_e32 v41, 1, v39
	v_cmp_eq_u32_e64 s[8:9], 0, v41
	v_lshlrev_b32_e32 v39, 30, v39
	v_cndmask_b32_e64 v37, v37, v40, s[8:9]
	v_and_or_b32 v29, v39, s49, v29
	v_xor_b32_e32 v29, v29, v37
	v_xor_b32_e32 v28, v29, v28
	v_cndmask_b32_e32 v0, v36, v0, vcc
	v_or_b32_e32 v27, 0x7f000000, v27
	v_cndmask_b32_e32 v28, v36, v28, vcc
	v_mul_f32_e32 v0, v0, v27
	v_mul_f32_e32 v27, v28, v27
	;; [unrolled: 1-line block ×3, first 2 shown]
	v_lshl_add_u32 v26, v26, 23, 1.0
	v_mul_f32_e32 v27, v27, v38
	v_mul_f32_e32 v0, v0, v26
	;; [unrolled: 1-line block ×3, first 2 shown]
.LBB249_300:                            ;   in Loop: Header=BB249_217 Depth=1
	s_or_b64 exec, exec, s[36:37]
                                        ; implicit-def: $vgpr37
                                        ; implicit-def: $vgpr27
                                        ; implicit-def: $vgpr38
.LBB249_301:                            ;   in Loop: Header=BB249_217 Depth=1
	s_andn2_saveexec_b64 s[8:9], s[34:35]
	s_cbranch_execz .LBB249_307
; %bb.302:                              ;   in Loop: Header=BB249_217 Depth=1
	v_cmp_ne_u32_e32 vcc, s50, v38
                                        ; implicit-def: $vgpr28
	s_and_saveexec_b64 s[10:11], vcc
	s_xor_b64 s[10:11], exec, s[10:11]
; %bb.303:                              ;   in Loop: Header=BB249_217 Depth=1
	v_sub_f32_e32 v28, v27, v27
                                        ; implicit-def: $vgpr37
                                        ; implicit-def: $vgpr27
; %bb.304:                              ;   in Loop: Header=BB249_217 Depth=1
	s_or_saveexec_b64 s[10:11], s[10:11]
	v_mov_b32_e32 v0, v28
	s_xor_b64 exec, exec, s[10:11]
; %bb.305:                              ;   in Loop: Header=BB249_217 Depth=1
	v_sub_f32_e32 v27, v27, v27
	v_cmp_lt_i32_e32 vcc, -1, v37
	v_cndmask_b32_e64 v0, 0, -v26, vcc
	v_cndmask_b32_e32 v28, 0, v27, vcc
; %bb.306:                              ;   in Loop: Header=BB249_217 Depth=1
	s_or_b64 exec, exec, s[10:11]
.LBB249_307:                            ;   in Loop: Header=BB249_217 Depth=1
	s_or_b64 exec, exec, s[8:9]
                                        ; implicit-def: $vgpr27
                                        ; implicit-def: $vgpr29
.LBB249_308:                            ;   in Loop: Header=BB249_217 Depth=1
	s_andn2_saveexec_b64 s[30:31], s[30:31]
	s_cbranch_execz .LBB249_318
; %bb.309:                              ;   in Loop: Header=BB249_217 Depth=1
	v_cmp_nlt_f32_e64 s[34:35], |v27|, s52
                                        ; implicit-def: $vgpr26
                                        ; implicit-def: $vgpr37
	s_and_saveexec_b64 s[8:9], s[34:35]
	s_xor_b64 s[36:37], exec, s[8:9]
	s_cbranch_execz .LBB249_311
; %bb.310:                              ;   in Loop: Header=BB249_217 Depth=1
	v_lshrrev_b32_e32 v0, 23, v29
	v_add_u32_e32 v0, 0xffffff88, v0
	v_cmp_lt_u32_e32 vcc, 63, v0
	v_cndmask_b32_e32 v26, 0, v33, vcc
	v_add_u32_e32 v0, v26, v0
	v_cmp_lt_u32_e64 s[8:9], 31, v0
	v_cndmask_b32_e64 v26, 0, v34, s[8:9]
	v_add_u32_e32 v0, v26, v0
	v_cmp_lt_u32_e64 s[10:11], 31, v0
	v_cndmask_b32_e64 v26, 0, v34, s[10:11]
	v_add_u32_e32 v26, v26, v0
	v_and_b32_e32 v0, 0x7fffff, v29
	v_or_b32_e32 v37, 0x800000, v0
	v_mad_u64_u32 v[38:39], s[12:13], v37, s53, 0
	v_mov_b32_e32 v0, v39
	v_mad_u64_u32 v[40:41], s[12:13], v37, s54, v[0:1]
	v_mov_b32_e32 v0, v41
	;; [unrolled: 2-line block ×6, first 2 shown]
	v_mad_u64_u32 v[50:51], s[12:13], v37, s59, v[0:1]
	v_cndmask_b32_e32 v39, v48, v44, vcc
	v_cndmask_b32_e32 v0, v50, v46, vcc
	;; [unrolled: 1-line block ×3, first 2 shown]
	v_cndmask_b32_e64 v37, v0, v39, s[8:9]
	v_cndmask_b32_e64 v0, v41, v0, s[8:9]
	v_cndmask_b32_e32 v41, v46, v42, vcc
	v_cndmask_b32_e64 v39, v39, v41, s[8:9]
	v_sub_u32_e32 v43, 32, v26
	v_cmp_eq_u32_e64 s[12:13], 0, v26
	v_cndmask_b32_e32 v26, v44, v40, vcc
	v_cndmask_b32_e64 v0, v0, v37, s[10:11]
	v_cndmask_b32_e64 v37, v37, v39, s[10:11]
	;; [unrolled: 1-line block ×3, first 2 shown]
	v_alignbit_b32 v45, v0, v37, v43
	v_cndmask_b32_e64 v39, v39, v40, s[10:11]
	v_cndmask_b32_e64 v0, v45, v0, s[12:13]
	v_alignbit_b32 v41, v37, v39, v43
	v_cndmask_b32_e32 v38, v42, v38, vcc
	v_cndmask_b32_e64 v37, v41, v37, s[12:13]
	v_bfe_u32 v45, v0, 29, 1
	v_cndmask_b32_e64 v26, v26, v38, s[8:9]
	v_alignbit_b32 v41, v0, v37, 30
	v_sub_u32_e32 v46, 0, v45
	v_cndmask_b32_e64 v26, v40, v26, s[10:11]
	v_xor_b32_e32 v47, v41, v46
	v_alignbit_b32 v38, v39, v26, v43
	v_cndmask_b32_e64 v38, v38, v39, s[12:13]
	v_ffbh_u32_e32 v39, v47
	v_add_u32_e32 v39, 1, v39
	v_cmp_ne_u32_e32 vcc, v41, v46
	v_alignbit_b32 v37, v37, v38, 30
	v_cndmask_b32_e32 v39, 33, v39, vcc
	v_alignbit_b32 v26, v38, v26, 30
	v_xor_b32_e32 v37, v37, v46
	v_sub_u32_e32 v40, 32, v39
	v_xor_b32_e32 v26, v26, v46
	v_alignbit_b32 v41, v47, v37, v40
	v_alignbit_b32 v26, v37, v26, v40
	;; [unrolled: 1-line block ×3, first 2 shown]
	v_ffbh_u32_e32 v38, v37
	v_min_u32_e32 v38, 32, v38
	v_lshrrev_b32_e32 v44, 29, v0
	v_sub_u32_e32 v40, 31, v38
	v_alignbit_b32 v26, v37, v26, v40
	v_lshlrev_b32_e32 v37, 31, v44
	v_or_b32_e32 v40, 0x33800000, v37
	v_add_lshl_u32 v38, v38, v39, 23
	v_lshrrev_b32_e32 v26, 9, v26
	v_sub_u32_e32 v38, v40, v38
	v_or_b32_e32 v26, v38, v26
	v_alignbit_b32 v38, v39, v41, 9
	v_or_b32_e32 v37, v38, v37
	v_xor_b32_e32 v37, 1.0, v37
	v_mul_f32_e32 v38, 0x3fc90fda, v37
	v_fma_f32 v39, v37, s60, -v38
	v_fmac_f32_e32 v39, 0x33a22168, v37
	v_fmac_f32_e32 v39, 0x3fc90fda, v26
	v_lshrrev_b32_e32 v0, 30, v0
	v_add_f32_e32 v37, v38, v39
	v_add_u32_e32 v26, v45, v0
	s_andn2_saveexec_b64 s[8:9], s[36:37]
	s_branch .LBB249_312
.LBB249_311:                            ;   in Loop: Header=BB249_217 Depth=1
	s_andn2_saveexec_b64 s[8:9], s[36:37]
.LBB249_312:                            ;   in Loop: Header=BB249_217 Depth=1
	v_mul_f32_e64 v0, |v27|, s61
	v_rndne_f32_e32 v0, v0
	v_cvt_i32_f32_e32 v26, v0
	v_fma_f32 v37, v0, s62, |v27|
	v_fmac_f32_e32 v37, 0xb3a22168, v0
	v_fmac_f32_e32 v37, 0xa7c234c4, v0
; %bb.313:                              ;   in Loop: Header=BB249_217 Depth=1
	s_or_b64 exec, exec, s[8:9]
                                        ; implicit-def: $vgpr38
                                        ; implicit-def: $vgpr39
	s_and_saveexec_b64 s[8:9], s[34:35]
	s_xor_b64 s[34:35], exec, s[8:9]
	s_cbranch_execz .LBB249_315
; %bb.314:                              ;   in Loop: Header=BB249_217 Depth=1
	v_lshrrev_b32_e32 v0, 23, v29
	v_add_u32_e32 v0, 0xffffff88, v0
	v_cmp_lt_u32_e32 vcc, 63, v0
	v_cndmask_b32_e32 v38, 0, v33, vcc
	v_add_u32_e32 v0, v38, v0
	v_cmp_lt_u32_e64 s[8:9], 31, v0
	v_cndmask_b32_e64 v38, 0, v34, s[8:9]
	v_add_u32_e32 v0, v38, v0
	v_cmp_lt_u32_e64 s[10:11], 31, v0
	v_cndmask_b32_e64 v38, 0, v34, s[10:11]
	v_add_u32_e32 v52, v38, v0
	v_and_b32_e32 v0, 0x7fffff, v29
	v_or_b32_e32 v50, 0x800000, v0
	v_mad_u64_u32 v[38:39], s[12:13], v50, s53, 0
	v_mov_b32_e32 v0, v39
	v_mad_u64_u32 v[40:41], s[12:13], v50, s54, v[0:1]
	v_mov_b32_e32 v0, v41
	;; [unrolled: 2-line block ×6, first 2 shown]
	v_mad_u64_u32 v[50:51], s[12:13], v50, s59, v[0:1]
	v_cndmask_b32_e32 v39, v48, v44, vcc
	v_cndmask_b32_e32 v0, v50, v46, vcc
	;; [unrolled: 1-line block ×3, first 2 shown]
	v_cndmask_b32_e64 v41, v0, v39, s[8:9]
	v_cndmask_b32_e64 v0, v43, v0, s[8:9]
	v_cndmask_b32_e32 v43, v46, v42, vcc
	v_cndmask_b32_e64 v39, v39, v43, s[8:9]
	v_cndmask_b32_e32 v40, v44, v40, vcc
	v_cndmask_b32_e64 v0, v0, v41, s[10:11]
	v_cndmask_b32_e64 v41, v41, v39, s[10:11]
	v_sub_u32_e32 v45, 32, v52
	v_cndmask_b32_e64 v43, v43, v40, s[8:9]
	v_alignbit_b32 v46, v0, v41, v45
	v_cmp_eq_u32_e64 s[12:13], 0, v52
	v_cndmask_b32_e64 v39, v39, v43, s[10:11]
	v_cndmask_b32_e32 v38, v42, v38, vcc
	v_cndmask_b32_e64 v0, v46, v0, s[12:13]
	v_alignbit_b32 v44, v41, v39, v45
	v_cndmask_b32_e64 v38, v40, v38, s[8:9]
	v_cndmask_b32_e64 v41, v44, v41, s[12:13]
	v_bfe_u32 v47, v0, 29, 1
	v_cndmask_b32_e64 v38, v43, v38, s[10:11]
	v_alignbit_b32 v44, v0, v41, 30
	v_sub_u32_e32 v48, 0, v47
	v_alignbit_b32 v40, v39, v38, v45
	v_xor_b32_e32 v49, v44, v48
	v_cndmask_b32_e64 v39, v40, v39, s[12:13]
	v_alignbit_b32 v40, v41, v39, 30
	v_ffbh_u32_e32 v41, v49
	v_add_u32_e32 v41, 1, v41
	v_cmp_ne_u32_e32 vcc, v44, v48
	v_cndmask_b32_e32 v41, 33, v41, vcc
	v_alignbit_b32 v38, v39, v38, 30
	v_xor_b32_e32 v40, v40, v48
	v_sub_u32_e32 v42, 32, v41
	v_xor_b32_e32 v38, v38, v48
	v_alignbit_b32 v43, v49, v40, v42
	v_alignbit_b32 v38, v40, v38, v42
	;; [unrolled: 1-line block ×3, first 2 shown]
	v_ffbh_u32_e32 v40, v39
	v_min_u32_e32 v40, 32, v40
	v_lshrrev_b32_e32 v46, 29, v0
	v_sub_u32_e32 v42, 31, v40
	v_alignbit_b32 v38, v39, v38, v42
	v_lshlrev_b32_e32 v39, 31, v46
	v_or_b32_e32 v42, 0x33800000, v39
	v_add_lshl_u32 v40, v40, v41, 23
	v_lshrrev_b32_e32 v38, 9, v38
	v_sub_u32_e32 v40, v42, v40
	v_or_b32_e32 v38, v40, v38
	v_alignbit_b32 v40, v41, v43, 9
	v_or_b32_e32 v39, v40, v39
	v_xor_b32_e32 v39, 1.0, v39
	v_mul_f32_e32 v40, 0x3fc90fda, v39
	v_fma_f32 v41, v39, s60, -v40
	v_fmac_f32_e32 v41, 0x33a22168, v39
	v_fmac_f32_e32 v41, 0x3fc90fda, v38
	v_lshrrev_b32_e32 v0, 30, v0
	v_add_f32_e32 v39, v40, v41
	v_add_u32_e32 v38, v47, v0
	s_andn2_saveexec_b64 s[8:9], s[34:35]
	s_cbranch_execnz .LBB249_316
	s_branch .LBB249_317
.LBB249_315:                            ;   in Loop: Header=BB249_217 Depth=1
	s_andn2_saveexec_b64 s[8:9], s[34:35]
.LBB249_316:                            ;   in Loop: Header=BB249_217 Depth=1
	v_mul_f32_e64 v0, |v27|, s61
	v_rndne_f32_e32 v0, v0
	v_cvt_i32_f32_e32 v38, v0
	v_fma_f32 v39, v0, s62, |v27|
	v_fmac_f32_e32 v39, 0xb3a22168, v0
	v_fmac_f32_e32 v39, 0xa7c234c4, v0
.LBB249_317:                            ;   in Loop: Header=BB249_217 Depth=1
	s_or_b64 exec, exec, s[8:9]
	v_mul_f32_e32 v0, v37, v37
	v_mov_b32_e32 v40, 0x3c0881c4
	v_fmac_f32_e32 v40, 0xb94c1982, v0
	v_fma_f32 v40, v0, v40, v30
	v_mul_f32_e32 v40, v0, v40
	v_fmac_f32_e32 v37, v37, v40
	v_mov_b32_e32 v40, 0xbab64f3b
	v_fmac_f32_e32 v40, 0x37d75334, v0
	v_fma_f32 v40, v0, v40, v31
	v_fma_f32 v40, v0, v40, v32
	v_fma_f32 v0, v0, v40, 1.0
	v_and_b32_e32 v40, 1, v26
	v_cmp_eq_u32_e32 vcc, 0, v40
	v_lshlrev_b32_e32 v26, 30, v26
	v_cndmask_b32_e64 v0, -v37, v0, vcc
	v_and_b32_e32 v26, 0x80000000, v26
	v_xor_b32_e32 v0, v26, v0
	v_cmp_class_f32_e64 vcc, v27, s66
	v_mul_f32_e32 v26, v39, v39
	v_mov_b32_e32 v27, 0x3c0881c4
	v_fmac_f32_e32 v27, 0xb94c1982, v26
	v_fma_f32 v27, v26, v27, v30
	v_mul_f32_e32 v27, v26, v27
	v_fmac_f32_e32 v39, v39, v27
	v_mov_b32_e32 v27, 0xbab64f3b
	v_fmac_f32_e32 v27, 0x37d75334, v26
	v_fma_f32 v27, v26, v27, v31
	v_fma_f32 v27, v26, v27, v32
	v_fma_f32 v26, v26, v27, 1.0
	v_and_b32_e32 v27, 1, v38
	v_cmp_eq_u32_e64 s[8:9], 0, v27
	v_lshlrev_b32_e32 v27, 30, v38
	v_cndmask_b32_e64 v26, v26, v39, s[8:9]
	v_and_or_b32 v27, v27, s49, v29
	v_xor_b32_e32 v26, v27, v26
	v_xor_b32_e32 v26, v26, v28
	v_cndmask_b32_e32 v0, v36, v0, vcc
	v_cndmask_b32_e32 v28, v36, v26, vcc
.LBB249_318:                            ;   in Loop: Header=BB249_217 Depth=1
	s_or_b64 exec, exec, s[30:31]
                                        ; implicit-def: $vgpr26
.LBB249_319:                            ;   in Loop: Header=BB249_217 Depth=1
	s_andn2_saveexec_b64 s[8:9], s[28:29]
	s_cbranch_execz .LBB249_321
; %bb.320:                              ;   in Loop: Header=BB249_217 Depth=1
	v_mul_f32_e32 v0, 0xbfb8aa3b, v26
	v_rndne_f32_e32 v27, v0
	v_sub_f32_e32 v29, v0, v27
	v_fma_f32 v0, v26, s63, -v0
	v_fmac_f32_e32 v0, 0xb2a5705f, v26
	v_add_f32_e32 v0, v29, v0
	v_cvt_i32_f32_e32 v27, v27
	v_exp_f32_e32 v0, v0
	v_cmp_nlt_f32_e32 vcc, s64, v26
	v_ldexp_f32 v0, v0, v27
	v_cndmask_b32_e32 v0, 0, v0, vcc
	v_cmp_ngt_f32_e32 vcc, s65, v26
	v_cndmask_b32_e32 v0, v35, v0, vcc
.LBB249_321:                            ;   in Loop: Header=BB249_217 Depth=1
	s_or_b64 exec, exec, s[8:9]
	v_add_f32_e32 v29, s14, v0
	v_add_f32_e32 v0, s15, v28
	v_cmp_gt_f32_e32 vcc, 0, v29
	v_cndmask_b32_e64 v37, v29, -v29, vcc
	v_cmp_gt_f32_e32 vcc, 0, v0
	v_cndmask_b32_e64 v28, v0, -v0, vcc
	v_cmp_ge_f32_e32 vcc, v37, v28
                                        ; implicit-def: $vgpr27
	s_and_saveexec_b64 s[8:9], vcc
	s_xor_b64 s[10:11], exec, s[8:9]
	s_cbranch_execz .LBB249_327
; %bb.322:                              ;   in Loop: Header=BB249_217 Depth=1
	v_cmp_neq_f32_e32 vcc, 0, v29
	v_cmp_neq_f32_e64 s[8:9], 0, v0
	s_or_b64 s[8:9], vcc, s[8:9]
                                        ; implicit-def: $vgpr27
	s_and_saveexec_b64 s[12:13], s[8:9]
	s_xor_b64 s[8:9], exec, s[12:13]
	s_cbranch_execz .LBB249_324
; %bb.323:                              ;   in Loop: Header=BB249_217 Depth=1
	v_div_scale_f32 v26, s[12:13], v29, v29, v0
	v_rcp_f32_e32 v27, v26
	v_div_scale_f32 v28, vcc, v0, v29, v0
	v_fma_f32 v37, -v26, v27, 1.0
	v_fmac_f32_e32 v27, v37, v27
	v_mul_f32_e32 v37, v28, v27
	v_fma_f32 v38, -v26, v37, v28
	v_fmac_f32_e32 v37, v38, v27
	v_fma_f32 v26, -v26, v37, v28
	v_div_fmas_f32 v26, v26, v27, v37
	v_div_fixup_f32 v27, v26, v29, v0
	v_fmac_f32_e32 v29, v0, v27
	v_div_scale_f32 v0, s[12:13], v29, v29, 1.0
	v_rcp_f32_e32 v26, v0
	v_fma_f32 v28, -v0, v26, 1.0
	v_fmac_f32_e32 v26, v28, v26
	v_div_scale_f32 v28, vcc, 1.0, v29, 1.0
	v_mul_f32_e32 v37, v28, v26
	v_fma_f32 v38, -v0, v37, v28
	v_fmac_f32_e32 v37, v38, v26
	v_fma_f32 v0, -v0, v37, v28
	v_div_fmas_f32 v0, v0, v26, v37
	v_mov_b32_e32 v26, s14
	v_mov_b32_e32 v28, s15
	v_div_fixup_f32 v0, v0, v29, 1.0
	v_fma_f32 v26, s15, v27, v26
	v_fma_f32 v27, -v27, s14, v28
	v_mul_f32_e32 v26, v26, v0
	v_mul_f32_e32 v27, v27, v0
                                        ; implicit-def: $vgpr37
                                        ; implicit-def: $vgpr28
.LBB249_324:                            ;   in Loop: Header=BB249_217 Depth=1
	s_andn2_saveexec_b64 s[8:9], s[8:9]
	s_cbranch_execz .LBB249_326
; %bb.325:                              ;   in Loop: Header=BB249_217 Depth=1
	v_div_scale_f32 v0, s[12:13], v37, v37, s14
	v_rcp_f32_e32 v26, v0
	v_div_scale_f32 v27, vcc, s14, v37, s14
	v_fma_f32 v29, -v0, v26, 1.0
	v_fmac_f32_e32 v26, v29, v26
	v_mul_f32_e32 v29, v27, v26
	v_fma_f32 v38, -v0, v29, v27
	v_fmac_f32_e32 v29, v38, v26
	v_fma_f32 v0, -v0, v29, v27
	v_div_scale_f32 v27, s[12:13], v28, v28, s15
	v_rcp_f32_e32 v38, v27
	v_div_fmas_f32 v0, v0, v26, v29
	v_div_fixup_f32 v26, v0, v37, s14
	v_fma_f32 v0, -v27, v38, 1.0
	v_fmac_f32_e32 v38, v0, v38
	v_div_scale_f32 v0, vcc, s15, v28, s15
	v_mul_f32_e32 v29, v0, v38
	v_fma_f32 v37, -v27, v29, v0
	v_fmac_f32_e32 v29, v37, v38
	v_fma_f32 v0, -v27, v29, v0
	v_div_fmas_f32 v0, v0, v38, v29
	v_div_fixup_f32 v27, v0, v28, s15
.LBB249_326:                            ;   in Loop: Header=BB249_217 Depth=1
	s_or_b64 exec, exec, s[8:9]
                                        ; implicit-def: $vgpr0
                                        ; implicit-def: $vgpr29
.LBB249_327:                            ;   in Loop: Header=BB249_217 Depth=1
	s_andn2_saveexec_b64 s[8:9], s[10:11]
	s_cbranch_execz .LBB249_329
; %bb.328:                              ;   in Loop: Header=BB249_217 Depth=1
	v_div_scale_f32 v26, s[10:11], v0, v0, v29
	v_rcp_f32_e32 v27, v26
	v_div_scale_f32 v28, vcc, v29, v0, v29
	v_fma_f32 v37, -v26, v27, 1.0
	v_fmac_f32_e32 v27, v37, v27
	v_mul_f32_e32 v37, v28, v27
	v_fma_f32 v38, -v26, v37, v28
	v_fmac_f32_e32 v37, v38, v27
	v_fma_f32 v26, -v26, v37, v28
	v_div_fmas_f32 v26, v26, v27, v37
	v_div_fixup_f32 v27, v26, v0, v29
	v_fmac_f32_e32 v0, v29, v27
	v_div_scale_f32 v26, s[10:11], v0, v0, 1.0
	v_rcp_f32_e32 v28, v26
	v_fma_f32 v29, -v26, v28, 1.0
	v_fmac_f32_e32 v28, v29, v28
	v_div_scale_f32 v29, vcc, 1.0, v0, 1.0
	v_mul_f32_e32 v37, v29, v28
	v_fma_f32 v38, -v26, v37, v29
	v_fmac_f32_e32 v37, v38, v28
	v_fma_f32 v26, -v26, v37, v29
	v_div_fmas_f32 v26, v26, v28, v37
	v_div_fixup_f32 v0, v26, v0, 1.0
	v_mov_b32_e32 v26, s15
	v_mov_b32_e32 v28, s14
	v_fma_f32 v26, s14, v27, v26
	v_fma_f32 v27, v27, s15, -v28
	v_mul_f32_e32 v26, v26, v0
	v_mul_f32_e32 v27, v27, v0
.LBB249_329:                            ;   in Loop: Header=BB249_217 Depth=1
	s_or_b64 exec, exec, s[8:9]
	v_and_b32_e32 v29, 0x7fffffff, v25
	v_xor_b32_e32 v28, 0x80000000, v25
	v_cmp_ne_u32_e32 vcc, 0, v29
                                        ; implicit-def: $vgpr0
	s_and_saveexec_b64 s[8:9], vcc
	s_xor_b64 s[28:29], exec, s[8:9]
	s_cbranch_execz .LBB249_371
; %bb.330:                              ;   in Loop: Header=BB249_217 Depth=1
	v_and_b32_e32 v38, 0x7fffffff, v24
	v_cmp_ne_u32_e32 vcc, 0, v38
                                        ; implicit-def: $vgpr0
	s_and_saveexec_b64 s[8:9], vcc
	s_xor_b64 s[30:31], exec, s[8:9]
	s_cbranch_execz .LBB249_360
; %bb.331:                              ;   in Loop: Header=BB249_217 Depth=1
	v_xor_b32_e32 v37, 0x80000000, v24
	v_cmp_gt_u32_e32 vcc, s50, v29
                                        ; implicit-def: $vgpr0
	s_and_saveexec_b64 s[8:9], vcc
	s_xor_b64 s[34:35], exec, s[8:9]
	s_cbranch_execz .LBB249_353
; %bb.332:                              ;   in Loop: Header=BB249_217 Depth=1
	v_add_u32_e32 v0, 0xbd4e8de8, v37
	v_cmp_lt_u32_e32 vcc, s51, v0
                                        ; implicit-def: $vgpr0
	s_and_saveexec_b64 s[8:9], vcc
	s_xor_b64 s[36:37], exec, s[8:9]
	s_cbranch_execz .LBB249_342
; %bb.333:                              ;   in Loop: Header=BB249_217 Depth=1
	v_cmp_nlt_f32_e64 s[38:39], |v25|, s52
                                        ; implicit-def: $vgpr37
                                        ; implicit-def: $vgpr38
	s_and_saveexec_b64 s[8:9], s[38:39]
	s_xor_b64 s[40:41], exec, s[8:9]
	s_cbranch_execz .LBB249_335
; %bb.334:                              ;   in Loop: Header=BB249_217 Depth=1
	v_lshrrev_b32_e32 v0, 23, v29
	v_add_u32_e32 v0, 0xffffff88, v0
	v_cmp_lt_u32_e32 vcc, 63, v0
	v_cndmask_b32_e32 v37, 0, v33, vcc
	v_add_u32_e32 v0, v37, v0
	v_cmp_lt_u32_e64 s[8:9], 31, v0
	v_cndmask_b32_e64 v37, 0, v34, s[8:9]
	v_add_u32_e32 v0, v37, v0
	v_cmp_lt_u32_e64 s[10:11], 31, v0
	v_cndmask_b32_e64 v37, 0, v34, s[10:11]
	v_add_u32_e32 v37, v37, v0
	v_and_b32_e32 v0, 0x7fffff, v29
	v_or_b32_e32 v50, 0x800000, v0
	v_mad_u64_u32 v[38:39], s[12:13], v50, s53, 0
	v_mov_b32_e32 v0, v39
	v_mad_u64_u32 v[40:41], s[12:13], v50, s54, v[0:1]
	v_mov_b32_e32 v0, v41
	;; [unrolled: 2-line block ×6, first 2 shown]
	v_mad_u64_u32 v[50:51], s[12:13], v50, s59, v[0:1]
	v_cndmask_b32_e32 v39, v48, v44, vcc
	v_cndmask_b32_e32 v0, v50, v46, vcc
	;; [unrolled: 1-line block ×3, first 2 shown]
	v_cndmask_b32_e64 v41, v0, v39, s[8:9]
	v_cndmask_b32_e64 v0, v43, v0, s[8:9]
	v_cndmask_b32_e32 v43, v46, v42, vcc
	v_cndmask_b32_e64 v39, v39, v43, s[8:9]
	v_sub_u32_e32 v45, 32, v37
	v_cmp_eq_u32_e64 s[12:13], 0, v37
	v_cndmask_b32_e32 v37, v44, v40, vcc
	v_cndmask_b32_e64 v0, v0, v41, s[10:11]
	v_cndmask_b32_e64 v41, v41, v39, s[10:11]
	;; [unrolled: 1-line block ×3, first 2 shown]
	v_alignbit_b32 v46, v0, v41, v45
	v_cndmask_b32_e64 v39, v39, v40, s[10:11]
	v_cndmask_b32_e64 v0, v46, v0, s[12:13]
	v_alignbit_b32 v43, v41, v39, v45
	v_cndmask_b32_e64 v41, v43, v41, s[12:13]
	v_bfe_u32 v46, v0, 29, 1
	v_cndmask_b32_e32 v38, v42, v38, vcc
	v_alignbit_b32 v43, v0, v41, 30
	v_sub_u32_e32 v47, 0, v46
	v_cndmask_b32_e64 v37, v37, v38, s[8:9]
	v_xor_b32_e32 v48, v43, v47
	v_cndmask_b32_e64 v37, v40, v37, s[10:11]
	v_alignbit_b32 v38, v39, v37, v45
	v_ffbh_u32_e32 v40, v48
	v_cndmask_b32_e64 v38, v38, v39, s[12:13]
	v_add_u32_e32 v40, 1, v40
	v_cmp_ne_u32_e32 vcc, v43, v47
	v_alignbit_b32 v39, v41, v38, 30
	v_cndmask_b32_e32 v40, 33, v40, vcc
	v_alignbit_b32 v37, v38, v37, 30
	v_xor_b32_e32 v39, v39, v47
	v_sub_u32_e32 v41, 32, v40
	v_xor_b32_e32 v37, v37, v47
	v_alignbit_b32 v42, v48, v39, v41
	v_alignbit_b32 v37, v39, v37, v41
	;; [unrolled: 1-line block ×3, first 2 shown]
	v_ffbh_u32_e32 v39, v38
	v_min_u32_e32 v39, 32, v39
	v_lshrrev_b32_e32 v44, 29, v0
	v_sub_u32_e32 v41, 31, v39
	v_alignbit_b32 v37, v38, v37, v41
	v_lshlrev_b32_e32 v38, 31, v44
	v_or_b32_e32 v41, 0x33800000, v38
	v_add_lshl_u32 v39, v39, v40, 23
	v_lshrrev_b32_e32 v37, 9, v37
	v_sub_u32_e32 v39, v41, v39
	v_or_b32_e32 v37, v39, v37
	v_alignbit_b32 v39, v40, v42, 9
	v_or_b32_e32 v38, v39, v38
	v_xor_b32_e32 v38, 1.0, v38
	v_mul_f32_e32 v39, 0x3fc90fda, v38
	v_fma_f32 v40, v38, s60, -v39
	v_fmac_f32_e32 v40, 0x33a22168, v38
	v_fmac_f32_e32 v40, 0x3fc90fda, v37
	v_lshrrev_b32_e32 v0, 30, v0
	v_add_f32_e32 v38, v39, v40
	v_add_u32_e32 v37, v46, v0
	s_andn2_saveexec_b64 s[8:9], s[40:41]
	s_branch .LBB249_336
.LBB249_335:                            ;   in Loop: Header=BB249_217 Depth=1
	s_andn2_saveexec_b64 s[8:9], s[40:41]
.LBB249_336:                            ;   in Loop: Header=BB249_217 Depth=1
	v_mul_f32_e64 v0, |v25|, s61
	v_rndne_f32_e32 v0, v0
	v_cvt_i32_f32_e32 v37, v0
	v_fma_f32 v38, v0, s62, |v25|
	v_fmac_f32_e32 v38, 0xb3a22168, v0
	v_fmac_f32_e32 v38, 0xa7c234c4, v0
; %bb.337:                              ;   in Loop: Header=BB249_217 Depth=1
	s_or_b64 exec, exec, s[8:9]
                                        ; implicit-def: $vgpr39
                                        ; implicit-def: $vgpr40
	s_and_saveexec_b64 s[8:9], s[38:39]
	s_xor_b64 s[38:39], exec, s[8:9]
	s_cbranch_execz .LBB249_339
; %bb.338:                              ;   in Loop: Header=BB249_217 Depth=1
	v_lshrrev_b32_e32 v0, 23, v29
	v_add_u32_e32 v0, 0xffffff88, v0
	v_cmp_lt_u32_e32 vcc, 63, v0
	v_cndmask_b32_e32 v39, 0, v33, vcc
	v_add_u32_e32 v0, v39, v0
	v_cmp_lt_u32_e64 s[8:9], 31, v0
	v_cndmask_b32_e64 v39, 0, v34, s[8:9]
	v_add_u32_e32 v0, v39, v0
	v_cmp_lt_u32_e64 s[10:11], 31, v0
	v_cndmask_b32_e64 v39, 0, v34, s[10:11]
	v_add_u32_e32 v39, v39, v0
	v_and_b32_e32 v0, 0x7fffff, v29
	v_or_b32_e32 v52, 0x800000, v0
	v_mad_u64_u32 v[40:41], s[12:13], v52, s53, 0
	v_mov_b32_e32 v0, v41
	v_mad_u64_u32 v[42:43], s[12:13], v52, s54, v[0:1]
	v_mov_b32_e32 v0, v43
	;; [unrolled: 2-line block ×6, first 2 shown]
	v_mad_u64_u32 v[52:53], s[12:13], v52, s59, v[0:1]
	v_cndmask_b32_e32 v41, v50, v46, vcc
	v_cndmask_b32_e32 v0, v52, v48, vcc
	;; [unrolled: 1-line block ×3, first 2 shown]
	v_cndmask_b32_e64 v43, v0, v41, s[8:9]
	v_cndmask_b32_e64 v0, v45, v0, s[8:9]
	v_cndmask_b32_e32 v45, v48, v44, vcc
	v_cndmask_b32_e64 v41, v41, v45, s[8:9]
	v_sub_u32_e32 v47, 32, v39
	v_cmp_eq_u32_e64 s[12:13], 0, v39
	v_cndmask_b32_e32 v39, v46, v42, vcc
	v_cndmask_b32_e64 v0, v0, v43, s[10:11]
	v_cndmask_b32_e64 v43, v43, v41, s[10:11]
	;; [unrolled: 1-line block ×3, first 2 shown]
	v_alignbit_b32 v48, v0, v43, v47
	v_cndmask_b32_e64 v41, v41, v42, s[10:11]
	v_cndmask_b32_e64 v0, v48, v0, s[12:13]
	v_alignbit_b32 v45, v43, v41, v47
	v_cndmask_b32_e64 v43, v45, v43, s[12:13]
	v_bfe_u32 v48, v0, 29, 1
	v_cndmask_b32_e32 v40, v44, v40, vcc
	v_alignbit_b32 v45, v0, v43, 30
	v_sub_u32_e32 v49, 0, v48
	v_cndmask_b32_e64 v39, v39, v40, s[8:9]
	v_xor_b32_e32 v50, v45, v49
	v_cndmask_b32_e64 v39, v42, v39, s[10:11]
	v_alignbit_b32 v40, v41, v39, v47
	v_ffbh_u32_e32 v42, v50
	v_cndmask_b32_e64 v40, v40, v41, s[12:13]
	v_add_u32_e32 v42, 1, v42
	v_cmp_ne_u32_e32 vcc, v45, v49
	v_alignbit_b32 v41, v43, v40, 30
	v_cndmask_b32_e32 v42, 33, v42, vcc
	v_alignbit_b32 v39, v40, v39, 30
	v_xor_b32_e32 v41, v41, v49
	v_sub_u32_e32 v43, 32, v42
	v_xor_b32_e32 v39, v39, v49
	v_alignbit_b32 v44, v50, v41, v43
	v_alignbit_b32 v39, v41, v39, v43
	;; [unrolled: 1-line block ×3, first 2 shown]
	v_ffbh_u32_e32 v41, v40
	v_min_u32_e32 v41, 32, v41
	v_lshrrev_b32_e32 v46, 29, v0
	v_sub_u32_e32 v43, 31, v41
	v_alignbit_b32 v39, v40, v39, v43
	v_lshlrev_b32_e32 v40, 31, v46
	v_or_b32_e32 v43, 0x33800000, v40
	v_add_lshl_u32 v41, v41, v42, 23
	v_lshrrev_b32_e32 v39, 9, v39
	v_sub_u32_e32 v41, v43, v41
	v_or_b32_e32 v39, v41, v39
	v_alignbit_b32 v41, v42, v44, 9
	v_or_b32_e32 v40, v41, v40
	v_xor_b32_e32 v40, 1.0, v40
	v_mul_f32_e32 v41, 0x3fc90fda, v40
	v_fma_f32 v42, v40, s60, -v41
	v_fmac_f32_e32 v42, 0x33a22168, v40
	v_fmac_f32_e32 v42, 0x3fc90fda, v39
	v_lshrrev_b32_e32 v0, 30, v0
	v_add_f32_e32 v40, v41, v42
	v_add_u32_e32 v39, v48, v0
	s_andn2_saveexec_b64 s[8:9], s[38:39]
	s_cbranch_execnz .LBB249_340
	s_branch .LBB249_341
.LBB249_339:                            ;   in Loop: Header=BB249_217 Depth=1
	s_andn2_saveexec_b64 s[8:9], s[38:39]
.LBB249_340:                            ;   in Loop: Header=BB249_217 Depth=1
	v_mul_f32_e64 v0, |v25|, s61
	v_rndne_f32_e32 v0, v0
	v_cvt_i32_f32_e32 v39, v0
	v_fma_f32 v40, v0, s62, |v25|
	v_fmac_f32_e32 v40, 0xb3a22168, v0
	v_fmac_f32_e32 v40, 0xa7c234c4, v0
.LBB249_341:                            ;   in Loop: Header=BB249_217 Depth=1
	s_or_b64 exec, exec, s[8:9]
	v_mul_f32_e32 v0, 0xbfb8aa3b, v24
	v_rndne_f32_e32 v41, v0
	v_sub_f32_e32 v42, v0, v41
	v_fma_f32 v0, v24, s63, -v0
	v_fmac_f32_e32 v0, 0xb2a5705f, v24
	v_add_f32_e32 v0, v42, v0
	v_cvt_i32_f32_e32 v41, v41
	v_exp_f32_e32 v0, v0
	v_cmp_nlt_f32_e32 vcc, s64, v24
	v_ldexp_f32 v0, v0, v41
	v_cndmask_b32_e32 v0, 0, v0, vcc
	v_cmp_ngt_f32_e32 vcc, s65, v24
	v_cndmask_b32_e32 v24, v35, v0, vcc
	v_mul_f32_e32 v0, v38, v38
	v_mov_b32_e32 v41, 0x3c0881c4
	v_fmac_f32_e32 v41, 0xb94c1982, v0
	v_fma_f32 v41, v0, v41, v30
	v_mul_f32_e32 v41, v0, v41
	v_fmac_f32_e32 v38, v38, v41
	v_mov_b32_e32 v41, 0xbab64f3b
	v_fmac_f32_e32 v41, 0x37d75334, v0
	v_fma_f32 v41, v0, v41, v31
	v_fma_f32 v41, v0, v41, v32
	v_fma_f32 v0, v0, v41, 1.0
	v_and_b32_e32 v41, 1, v37
	v_cmp_eq_u32_e32 vcc, 0, v41
	v_lshlrev_b32_e32 v37, 30, v37
	v_cndmask_b32_e64 v0, -v38, v0, vcc
	v_and_b32_e32 v37, 0x80000000, v37
	v_xor_b32_e32 v0, v37, v0
	v_cmp_class_f32_e64 vcc, v25, s66
	v_mul_f32_e32 v25, v40, v40
	v_mov_b32_e32 v37, 0x3c0881c4
	v_fmac_f32_e32 v37, 0xb94c1982, v25
	v_fma_f32 v37, v25, v37, v30
	v_mul_f32_e32 v37, v25, v37
	v_fmac_f32_e32 v40, v40, v37
	v_mov_b32_e32 v37, 0xbab64f3b
	v_fmac_f32_e32 v37, 0x37d75334, v25
	v_fma_f32 v37, v25, v37, v31
	v_fma_f32 v37, v25, v37, v32
	v_fma_f32 v25, v25, v37, 1.0
	v_and_b32_e32 v37, 1, v39
	v_cmp_eq_u32_e64 s[8:9], 0, v37
	v_lshlrev_b32_e32 v37, 30, v39
	v_cndmask_b32_e64 v25, v25, v40, s[8:9]
	v_and_or_b32 v29, v37, s49, v29
	v_xor_b32_e32 v25, v29, v25
	v_xor_b32_e32 v25, v25, v28
	v_cndmask_b32_e32 v0, v36, v0, vcc
	v_cndmask_b32_e32 v25, v36, v25, vcc
	v_mul_f32_e32 v0, v24, v0
	v_mul_f32_e32 v28, v24, v25
                                        ; implicit-def: $vgpr25
                                        ; implicit-def: $vgpr29
.LBB249_342:                            ;   in Loop: Header=BB249_217 Depth=1
	s_andn2_saveexec_b64 s[36:37], s[36:37]
	s_cbranch_execz .LBB249_352
; %bb.343:                              ;   in Loop: Header=BB249_217 Depth=1
	v_cmp_nlt_f32_e64 s[38:39], |v25|, s52
                                        ; implicit-def: $vgpr38
                                        ; implicit-def: $vgpr37
	s_and_saveexec_b64 s[8:9], s[38:39]
	s_xor_b64 s[40:41], exec, s[8:9]
	s_cbranch_execz .LBB249_345
; %bb.344:                              ;   in Loop: Header=BB249_217 Depth=1
	v_lshrrev_b32_e32 v0, 23, v29
	v_add_u32_e32 v0, 0xffffff88, v0
	v_cmp_lt_u32_e32 vcc, 63, v0
	v_cndmask_b32_e32 v37, 0, v33, vcc
	v_add_u32_e32 v0, v37, v0
	v_cmp_lt_u32_e64 s[8:9], 31, v0
	v_cndmask_b32_e64 v37, 0, v34, s[8:9]
	v_add_u32_e32 v0, v37, v0
	v_cmp_lt_u32_e64 s[10:11], 31, v0
	v_cndmask_b32_e64 v37, 0, v34, s[10:11]
	v_add_u32_e32 v37, v37, v0
	v_and_b32_e32 v0, 0x7fffff, v29
	v_or_b32_e32 v50, 0x800000, v0
	v_mad_u64_u32 v[38:39], s[12:13], v50, s53, 0
	v_mov_b32_e32 v0, v39
	v_mad_u64_u32 v[40:41], s[12:13], v50, s54, v[0:1]
	v_mov_b32_e32 v0, v41
	;; [unrolled: 2-line block ×6, first 2 shown]
	v_mad_u64_u32 v[50:51], s[12:13], v50, s59, v[0:1]
	v_cndmask_b32_e32 v39, v48, v44, vcc
	v_cndmask_b32_e32 v0, v50, v46, vcc
	;; [unrolled: 1-line block ×3, first 2 shown]
	v_cndmask_b32_e64 v41, v0, v39, s[8:9]
	v_cndmask_b32_e64 v0, v43, v0, s[8:9]
	v_cndmask_b32_e32 v43, v46, v42, vcc
	v_cndmask_b32_e64 v39, v39, v43, s[8:9]
	v_sub_u32_e32 v45, 32, v37
	v_cmp_eq_u32_e64 s[12:13], 0, v37
	v_cndmask_b32_e32 v37, v44, v40, vcc
	v_cndmask_b32_e64 v0, v0, v41, s[10:11]
	v_cndmask_b32_e64 v41, v41, v39, s[10:11]
	;; [unrolled: 1-line block ×3, first 2 shown]
	v_alignbit_b32 v46, v0, v41, v45
	v_cndmask_b32_e64 v39, v39, v40, s[10:11]
	v_cndmask_b32_e64 v0, v46, v0, s[12:13]
	v_alignbit_b32 v43, v41, v39, v45
	v_cndmask_b32_e64 v41, v43, v41, s[12:13]
	v_bfe_u32 v46, v0, 29, 1
	v_cndmask_b32_e32 v38, v42, v38, vcc
	v_alignbit_b32 v43, v0, v41, 30
	v_sub_u32_e32 v47, 0, v46
	v_cndmask_b32_e64 v37, v37, v38, s[8:9]
	v_xor_b32_e32 v48, v43, v47
	v_cndmask_b32_e64 v37, v40, v37, s[10:11]
	v_alignbit_b32 v38, v39, v37, v45
	v_ffbh_u32_e32 v40, v48
	v_cndmask_b32_e64 v38, v38, v39, s[12:13]
	v_add_u32_e32 v40, 1, v40
	v_cmp_ne_u32_e32 vcc, v43, v47
	v_alignbit_b32 v39, v41, v38, 30
	v_cndmask_b32_e32 v40, 33, v40, vcc
	v_alignbit_b32 v37, v38, v37, 30
	v_xor_b32_e32 v39, v39, v47
	v_sub_u32_e32 v41, 32, v40
	v_xor_b32_e32 v37, v37, v47
	v_alignbit_b32 v42, v48, v39, v41
	v_alignbit_b32 v37, v39, v37, v41
	;; [unrolled: 1-line block ×3, first 2 shown]
	v_ffbh_u32_e32 v39, v38
	v_min_u32_e32 v39, 32, v39
	v_lshrrev_b32_e32 v44, 29, v0
	v_sub_u32_e32 v41, 31, v39
	v_alignbit_b32 v37, v38, v37, v41
	v_lshlrev_b32_e32 v38, 31, v44
	v_or_b32_e32 v41, 0x33800000, v38
	v_add_lshl_u32 v39, v39, v40, 23
	v_lshrrev_b32_e32 v37, 9, v37
	v_sub_u32_e32 v39, v41, v39
	v_or_b32_e32 v37, v39, v37
	v_alignbit_b32 v39, v40, v42, 9
	v_or_b32_e32 v38, v39, v38
	v_xor_b32_e32 v38, 1.0, v38
	v_mul_f32_e32 v39, 0x3fc90fda, v38
	v_fma_f32 v40, v38, s60, -v39
	v_fmac_f32_e32 v40, 0x33a22168, v38
	v_fmac_f32_e32 v40, 0x3fc90fda, v37
	v_lshrrev_b32_e32 v0, 30, v0
	v_add_f32_e32 v37, v39, v40
	v_add_u32_e32 v38, v46, v0
	s_andn2_saveexec_b64 s[8:9], s[40:41]
	s_branch .LBB249_346
.LBB249_345:                            ;   in Loop: Header=BB249_217 Depth=1
	s_andn2_saveexec_b64 s[8:9], s[40:41]
.LBB249_346:                            ;   in Loop: Header=BB249_217 Depth=1
	v_mul_f32_e64 v0, |v25|, s61
	v_rndne_f32_e32 v0, v0
	v_cvt_i32_f32_e32 v38, v0
	v_fma_f32 v37, v0, s62, |v25|
	v_fmac_f32_e32 v37, 0xb3a22168, v0
	v_fmac_f32_e32 v37, 0xa7c234c4, v0
; %bb.347:                              ;   in Loop: Header=BB249_217 Depth=1
	s_or_b64 exec, exec, s[8:9]
                                        ; implicit-def: $vgpr39
                                        ; implicit-def: $vgpr40
	s_and_saveexec_b64 s[8:9], s[38:39]
	s_xor_b64 s[38:39], exec, s[8:9]
	s_cbranch_execz .LBB249_349
; %bb.348:                              ;   in Loop: Header=BB249_217 Depth=1
	v_lshrrev_b32_e32 v0, 23, v29
	v_add_u32_e32 v0, 0xffffff88, v0
	v_cmp_lt_u32_e32 vcc, 63, v0
	v_cndmask_b32_e32 v39, 0, v33, vcc
	v_add_u32_e32 v0, v39, v0
	v_cmp_lt_u32_e64 s[8:9], 31, v0
	v_cndmask_b32_e64 v39, 0, v34, s[8:9]
	v_add_u32_e32 v0, v39, v0
	v_cmp_lt_u32_e64 s[10:11], 31, v0
	v_cndmask_b32_e64 v39, 0, v34, s[10:11]
	v_add_u32_e32 v39, v39, v0
	v_and_b32_e32 v0, 0x7fffff, v29
	v_or_b32_e32 v52, 0x800000, v0
	v_mad_u64_u32 v[40:41], s[12:13], v52, s53, 0
	v_mov_b32_e32 v0, v41
	v_mad_u64_u32 v[42:43], s[12:13], v52, s54, v[0:1]
	v_mov_b32_e32 v0, v43
	;; [unrolled: 2-line block ×6, first 2 shown]
	v_mad_u64_u32 v[52:53], s[12:13], v52, s59, v[0:1]
	v_cndmask_b32_e32 v41, v50, v46, vcc
	v_cndmask_b32_e32 v0, v52, v48, vcc
	;; [unrolled: 1-line block ×3, first 2 shown]
	v_cndmask_b32_e64 v43, v0, v41, s[8:9]
	v_cndmask_b32_e64 v0, v45, v0, s[8:9]
	v_cndmask_b32_e32 v45, v48, v44, vcc
	v_cndmask_b32_e64 v41, v41, v45, s[8:9]
	v_sub_u32_e32 v47, 32, v39
	v_cmp_eq_u32_e64 s[12:13], 0, v39
	v_cndmask_b32_e32 v39, v46, v42, vcc
	v_cndmask_b32_e64 v0, v0, v43, s[10:11]
	v_cndmask_b32_e64 v43, v43, v41, s[10:11]
	;; [unrolled: 1-line block ×3, first 2 shown]
	v_alignbit_b32 v48, v0, v43, v47
	v_cndmask_b32_e64 v41, v41, v42, s[10:11]
	v_cndmask_b32_e64 v0, v48, v0, s[12:13]
	v_alignbit_b32 v45, v43, v41, v47
	v_cndmask_b32_e64 v43, v45, v43, s[12:13]
	v_bfe_u32 v48, v0, 29, 1
	v_cndmask_b32_e32 v40, v44, v40, vcc
	v_alignbit_b32 v45, v0, v43, 30
	v_sub_u32_e32 v49, 0, v48
	v_cndmask_b32_e64 v39, v39, v40, s[8:9]
	v_xor_b32_e32 v50, v45, v49
	v_cndmask_b32_e64 v39, v42, v39, s[10:11]
	v_alignbit_b32 v40, v41, v39, v47
	v_ffbh_u32_e32 v42, v50
	v_cndmask_b32_e64 v40, v40, v41, s[12:13]
	v_add_u32_e32 v42, 1, v42
	v_cmp_ne_u32_e32 vcc, v45, v49
	v_alignbit_b32 v41, v43, v40, 30
	v_cndmask_b32_e32 v42, 33, v42, vcc
	v_alignbit_b32 v39, v40, v39, 30
	v_xor_b32_e32 v41, v41, v49
	v_sub_u32_e32 v43, 32, v42
	v_xor_b32_e32 v39, v39, v49
	v_alignbit_b32 v44, v50, v41, v43
	v_alignbit_b32 v39, v41, v39, v43
	;; [unrolled: 1-line block ×3, first 2 shown]
	v_ffbh_u32_e32 v41, v40
	v_min_u32_e32 v41, 32, v41
	v_lshrrev_b32_e32 v46, 29, v0
	v_sub_u32_e32 v43, 31, v41
	v_alignbit_b32 v39, v40, v39, v43
	v_lshlrev_b32_e32 v40, 31, v46
	v_or_b32_e32 v43, 0x33800000, v40
	v_add_lshl_u32 v41, v41, v42, 23
	v_lshrrev_b32_e32 v39, 9, v39
	v_sub_u32_e32 v41, v43, v41
	v_or_b32_e32 v39, v41, v39
	v_alignbit_b32 v41, v42, v44, 9
	v_or_b32_e32 v40, v41, v40
	v_xor_b32_e32 v40, 1.0, v40
	v_mul_f32_e32 v41, 0x3fc90fda, v40
	v_fma_f32 v42, v40, s60, -v41
	v_fmac_f32_e32 v42, 0x33a22168, v40
	v_fmac_f32_e32 v42, 0x3fc90fda, v39
	v_lshrrev_b32_e32 v0, 30, v0
	v_add_f32_e32 v40, v41, v42
	v_add_u32_e32 v39, v48, v0
	s_andn2_saveexec_b64 s[8:9], s[38:39]
	s_cbranch_execnz .LBB249_350
	s_branch .LBB249_351
.LBB249_349:                            ;   in Loop: Header=BB249_217 Depth=1
	s_andn2_saveexec_b64 s[8:9], s[38:39]
.LBB249_350:                            ;   in Loop: Header=BB249_217 Depth=1
	v_mul_f32_e64 v0, |v25|, s61
	v_rndne_f32_e32 v0, v0
	v_cvt_i32_f32_e32 v39, v0
	v_fma_f32 v40, v0, s62, |v25|
	v_fmac_f32_e32 v40, 0xb3a22168, v0
	v_fmac_f32_e32 v40, 0xa7c234c4, v0
.LBB249_351:                            ;   in Loop: Header=BB249_217 Depth=1
	s_or_b64 exec, exec, s[8:9]
	v_mul_f32_e32 v41, v37, v37
	v_mov_b32_e32 v42, 0xbab64f3b
	v_fmac_f32_e32 v42, 0x37d75334, v41
	v_mov_b32_e32 v43, 0x3c0881c4
	v_fma_f32 v42, v41, v42, v31
	v_fmac_f32_e32 v43, 0xb94c1982, v41
	v_fma_f32 v42, v41, v42, v32
	v_fma_f32 v43, v41, v43, v30
	v_lshlrev_b32_e32 v0, 30, v38
	v_and_b32_e32 v38, 1, v38
	v_fma_f32 v42, v41, v42, 1.0
	v_mul_f32_e32 v41, v41, v43
	v_sub_f32_e32 v24, 0xc322e3bc, v24
	v_fmac_f32_e32 v37, v37, v41
	v_cmp_eq_u32_e32 vcc, 0, v38
	v_mul_f32_e32 v38, 0x3fb8aa3b, v24
	v_cndmask_b32_e64 v37, -v37, v42, vcc
	v_fma_f32 v41, v24, s67, -v38
	v_rndne_f32_e32 v42, v38
	v_fmac_f32_e32 v41, 0x32a5705f, v24
	v_sub_f32_e32 v38, v38, v42
	v_add_f32_e32 v38, v38, v41
	v_exp_f32_e32 v38, v38
	v_cvt_i32_f32_e32 v41, v42
	v_cmp_class_f32_e64 vcc, v25, s66
	v_cmp_ngt_f32_e64 s[8:9], s68, v24
	v_and_b32_e32 v0, 0x80000000, v0
	v_ldexp_f32 v25, v38, v41
	v_cndmask_b32_e64 v25, 0, v25, s[8:9]
	v_cmp_nlt_f32_e64 s[8:9], s69, v24
	v_cndmask_b32_e64 v24, v35, v25, s[8:9]
	v_and_b32_e32 v25, 0x7fffff, v24
	v_lshrrev_b32_e32 v24, 23, v24
	v_subrev_u32_e32 v24, 19, v24
	v_xor_b32_e32 v0, v0, v37
	v_lshrrev_b16_e32 v37, 15, v24
	v_add_u16_e32 v37, v24, v37
	v_ashrrev_i16_e32 v37, 1, v37
	v_bfe_i32 v37, v37, 0, 16
	v_lshl_add_u32 v38, v37, 23, 1.0
	v_sub_u32_e32 v24, v24, v37
	v_mul_f32_e32 v37, v40, v40
	v_mov_b32_e32 v41, 0x3c0881c4
	v_fmac_f32_e32 v41, 0xb94c1982, v37
	v_fma_f32 v41, v37, v41, v30
	v_mul_f32_e32 v41, v37, v41
	v_fmac_f32_e32 v40, v40, v41
	v_mov_b32_e32 v41, 0xbab64f3b
	v_fmac_f32_e32 v41, 0x37d75334, v37
	v_fma_f32 v41, v37, v41, v31
	v_fma_f32 v41, v37, v41, v32
	v_fma_f32 v37, v37, v41, 1.0
	v_and_b32_e32 v41, 1, v39
	v_cmp_eq_u32_e64 s[8:9], 0, v41
	v_lshlrev_b32_e32 v39, 30, v39
	v_cndmask_b32_e64 v37, v37, v40, s[8:9]
	v_and_or_b32 v29, v39, s49, v29
	v_xor_b32_e32 v29, v29, v37
	v_xor_b32_e32 v28, v29, v28
	v_cndmask_b32_e32 v0, v36, v0, vcc
	v_or_b32_e32 v25, 0x7f000000, v25
	v_cndmask_b32_e32 v28, v36, v28, vcc
	v_mul_f32_e32 v0, v0, v25
	v_mul_f32_e32 v25, v28, v25
	;; [unrolled: 1-line block ×3, first 2 shown]
	v_lshl_add_u32 v24, v24, 23, 1.0
	v_mul_f32_e32 v25, v25, v38
	v_mul_f32_e32 v0, v0, v24
	;; [unrolled: 1-line block ×3, first 2 shown]
.LBB249_352:                            ;   in Loop: Header=BB249_217 Depth=1
	s_or_b64 exec, exec, s[36:37]
                                        ; implicit-def: $vgpr37
                                        ; implicit-def: $vgpr25
                                        ; implicit-def: $vgpr38
.LBB249_353:                            ;   in Loop: Header=BB249_217 Depth=1
	s_andn2_saveexec_b64 s[8:9], s[34:35]
	s_cbranch_execz .LBB249_359
; %bb.354:                              ;   in Loop: Header=BB249_217 Depth=1
	v_cmp_ne_u32_e32 vcc, s50, v38
                                        ; implicit-def: $vgpr28
	s_and_saveexec_b64 s[10:11], vcc
	s_xor_b64 s[10:11], exec, s[10:11]
; %bb.355:                              ;   in Loop: Header=BB249_217 Depth=1
	v_sub_f32_e32 v28, v25, v25
                                        ; implicit-def: $vgpr37
                                        ; implicit-def: $vgpr25
; %bb.356:                              ;   in Loop: Header=BB249_217 Depth=1
	s_or_saveexec_b64 s[10:11], s[10:11]
	v_mov_b32_e32 v0, v28
	s_xor_b64 exec, exec, s[10:11]
; %bb.357:                              ;   in Loop: Header=BB249_217 Depth=1
	v_sub_f32_e32 v25, v25, v25
	v_cmp_lt_i32_e32 vcc, -1, v37
	v_cndmask_b32_e64 v0, 0, -v24, vcc
	v_cndmask_b32_e32 v28, 0, v25, vcc
; %bb.358:                              ;   in Loop: Header=BB249_217 Depth=1
	s_or_b64 exec, exec, s[10:11]
.LBB249_359:                            ;   in Loop: Header=BB249_217 Depth=1
	s_or_b64 exec, exec, s[8:9]
                                        ; implicit-def: $vgpr25
                                        ; implicit-def: $vgpr29
.LBB249_360:                            ;   in Loop: Header=BB249_217 Depth=1
	s_andn2_saveexec_b64 s[30:31], s[30:31]
	s_cbranch_execz .LBB249_370
; %bb.361:                              ;   in Loop: Header=BB249_217 Depth=1
	v_cmp_nlt_f32_e64 s[34:35], |v25|, s52
                                        ; implicit-def: $vgpr24
                                        ; implicit-def: $vgpr37
	s_and_saveexec_b64 s[8:9], s[34:35]
	s_xor_b64 s[36:37], exec, s[8:9]
	s_cbranch_execz .LBB249_363
; %bb.362:                              ;   in Loop: Header=BB249_217 Depth=1
	v_lshrrev_b32_e32 v0, 23, v29
	v_add_u32_e32 v0, 0xffffff88, v0
	v_cmp_lt_u32_e32 vcc, 63, v0
	v_cndmask_b32_e32 v24, 0, v33, vcc
	v_add_u32_e32 v0, v24, v0
	v_cmp_lt_u32_e64 s[8:9], 31, v0
	v_cndmask_b32_e64 v24, 0, v34, s[8:9]
	v_add_u32_e32 v0, v24, v0
	v_cmp_lt_u32_e64 s[10:11], 31, v0
	v_cndmask_b32_e64 v24, 0, v34, s[10:11]
	v_add_u32_e32 v24, v24, v0
	v_and_b32_e32 v0, 0x7fffff, v29
	v_or_b32_e32 v37, 0x800000, v0
	v_mad_u64_u32 v[38:39], s[12:13], v37, s53, 0
	v_mov_b32_e32 v0, v39
	v_mad_u64_u32 v[40:41], s[12:13], v37, s54, v[0:1]
	v_mov_b32_e32 v0, v41
	;; [unrolled: 2-line block ×6, first 2 shown]
	v_mad_u64_u32 v[50:51], s[12:13], v37, s59, v[0:1]
	v_cndmask_b32_e32 v39, v48, v44, vcc
	v_cndmask_b32_e32 v0, v50, v46, vcc
	;; [unrolled: 1-line block ×3, first 2 shown]
	v_cndmask_b32_e64 v37, v0, v39, s[8:9]
	v_cndmask_b32_e64 v0, v41, v0, s[8:9]
	v_cndmask_b32_e32 v41, v46, v42, vcc
	v_cndmask_b32_e64 v39, v39, v41, s[8:9]
	v_sub_u32_e32 v43, 32, v24
	v_cmp_eq_u32_e64 s[12:13], 0, v24
	v_cndmask_b32_e32 v24, v44, v40, vcc
	v_cndmask_b32_e64 v0, v0, v37, s[10:11]
	v_cndmask_b32_e64 v37, v37, v39, s[10:11]
	;; [unrolled: 1-line block ×3, first 2 shown]
	v_alignbit_b32 v45, v0, v37, v43
	v_cndmask_b32_e64 v39, v39, v40, s[10:11]
	v_cndmask_b32_e64 v0, v45, v0, s[12:13]
	v_alignbit_b32 v41, v37, v39, v43
	v_cndmask_b32_e32 v38, v42, v38, vcc
	v_cndmask_b32_e64 v37, v41, v37, s[12:13]
	v_bfe_u32 v45, v0, 29, 1
	v_cndmask_b32_e64 v24, v24, v38, s[8:9]
	v_alignbit_b32 v41, v0, v37, 30
	v_sub_u32_e32 v46, 0, v45
	v_cndmask_b32_e64 v24, v40, v24, s[10:11]
	v_xor_b32_e32 v47, v41, v46
	v_alignbit_b32 v38, v39, v24, v43
	v_cndmask_b32_e64 v38, v38, v39, s[12:13]
	v_ffbh_u32_e32 v39, v47
	v_add_u32_e32 v39, 1, v39
	v_cmp_ne_u32_e32 vcc, v41, v46
	v_alignbit_b32 v37, v37, v38, 30
	v_cndmask_b32_e32 v39, 33, v39, vcc
	v_alignbit_b32 v24, v38, v24, 30
	v_xor_b32_e32 v37, v37, v46
	v_sub_u32_e32 v40, 32, v39
	v_xor_b32_e32 v24, v24, v46
	v_alignbit_b32 v41, v47, v37, v40
	v_alignbit_b32 v24, v37, v24, v40
	;; [unrolled: 1-line block ×3, first 2 shown]
	v_ffbh_u32_e32 v38, v37
	v_min_u32_e32 v38, 32, v38
	v_lshrrev_b32_e32 v44, 29, v0
	v_sub_u32_e32 v40, 31, v38
	v_alignbit_b32 v24, v37, v24, v40
	v_lshlrev_b32_e32 v37, 31, v44
	v_or_b32_e32 v40, 0x33800000, v37
	v_add_lshl_u32 v38, v38, v39, 23
	v_lshrrev_b32_e32 v24, 9, v24
	v_sub_u32_e32 v38, v40, v38
	v_or_b32_e32 v24, v38, v24
	v_alignbit_b32 v38, v39, v41, 9
	v_or_b32_e32 v37, v38, v37
	v_xor_b32_e32 v37, 1.0, v37
	v_mul_f32_e32 v38, 0x3fc90fda, v37
	v_fma_f32 v39, v37, s60, -v38
	v_fmac_f32_e32 v39, 0x33a22168, v37
	v_fmac_f32_e32 v39, 0x3fc90fda, v24
	v_lshrrev_b32_e32 v0, 30, v0
	v_add_f32_e32 v37, v38, v39
	v_add_u32_e32 v24, v45, v0
	s_andn2_saveexec_b64 s[8:9], s[36:37]
	s_branch .LBB249_364
.LBB249_363:                            ;   in Loop: Header=BB249_217 Depth=1
	s_andn2_saveexec_b64 s[8:9], s[36:37]
.LBB249_364:                            ;   in Loop: Header=BB249_217 Depth=1
	v_mul_f32_e64 v0, |v25|, s61
	v_rndne_f32_e32 v0, v0
	v_cvt_i32_f32_e32 v24, v0
	v_fma_f32 v37, v0, s62, |v25|
	v_fmac_f32_e32 v37, 0xb3a22168, v0
	v_fmac_f32_e32 v37, 0xa7c234c4, v0
; %bb.365:                              ;   in Loop: Header=BB249_217 Depth=1
	s_or_b64 exec, exec, s[8:9]
                                        ; implicit-def: $vgpr38
                                        ; implicit-def: $vgpr39
	s_and_saveexec_b64 s[8:9], s[34:35]
	s_xor_b64 s[34:35], exec, s[8:9]
	s_cbranch_execz .LBB249_367
; %bb.366:                              ;   in Loop: Header=BB249_217 Depth=1
	v_lshrrev_b32_e32 v0, 23, v29
	v_add_u32_e32 v0, 0xffffff88, v0
	v_cmp_lt_u32_e32 vcc, 63, v0
	v_cndmask_b32_e32 v38, 0, v33, vcc
	v_add_u32_e32 v0, v38, v0
	v_cmp_lt_u32_e64 s[8:9], 31, v0
	v_cndmask_b32_e64 v38, 0, v34, s[8:9]
	v_add_u32_e32 v0, v38, v0
	v_cmp_lt_u32_e64 s[10:11], 31, v0
	v_cndmask_b32_e64 v38, 0, v34, s[10:11]
	v_add_u32_e32 v52, v38, v0
	v_and_b32_e32 v0, 0x7fffff, v29
	v_or_b32_e32 v50, 0x800000, v0
	v_mad_u64_u32 v[38:39], s[12:13], v50, s53, 0
	v_mov_b32_e32 v0, v39
	v_mad_u64_u32 v[40:41], s[12:13], v50, s54, v[0:1]
	v_mov_b32_e32 v0, v41
	;; [unrolled: 2-line block ×6, first 2 shown]
	v_mad_u64_u32 v[50:51], s[12:13], v50, s59, v[0:1]
	v_cndmask_b32_e32 v39, v48, v44, vcc
	v_cndmask_b32_e32 v0, v50, v46, vcc
	;; [unrolled: 1-line block ×3, first 2 shown]
	v_cndmask_b32_e64 v41, v0, v39, s[8:9]
	v_cndmask_b32_e64 v0, v43, v0, s[8:9]
	v_cndmask_b32_e32 v43, v46, v42, vcc
	v_cndmask_b32_e64 v39, v39, v43, s[8:9]
	v_cndmask_b32_e32 v40, v44, v40, vcc
	v_cndmask_b32_e64 v0, v0, v41, s[10:11]
	v_cndmask_b32_e64 v41, v41, v39, s[10:11]
	v_sub_u32_e32 v45, 32, v52
	v_cndmask_b32_e64 v43, v43, v40, s[8:9]
	v_alignbit_b32 v46, v0, v41, v45
	v_cmp_eq_u32_e64 s[12:13], 0, v52
	v_cndmask_b32_e64 v39, v39, v43, s[10:11]
	v_cndmask_b32_e32 v38, v42, v38, vcc
	v_cndmask_b32_e64 v0, v46, v0, s[12:13]
	v_alignbit_b32 v44, v41, v39, v45
	v_cndmask_b32_e64 v38, v40, v38, s[8:9]
	v_cndmask_b32_e64 v41, v44, v41, s[12:13]
	v_bfe_u32 v47, v0, 29, 1
	v_cndmask_b32_e64 v38, v43, v38, s[10:11]
	v_alignbit_b32 v44, v0, v41, 30
	v_sub_u32_e32 v48, 0, v47
	v_alignbit_b32 v40, v39, v38, v45
	v_xor_b32_e32 v49, v44, v48
	v_cndmask_b32_e64 v39, v40, v39, s[12:13]
	v_alignbit_b32 v40, v41, v39, 30
	v_ffbh_u32_e32 v41, v49
	v_add_u32_e32 v41, 1, v41
	v_cmp_ne_u32_e32 vcc, v44, v48
	v_cndmask_b32_e32 v41, 33, v41, vcc
	v_alignbit_b32 v38, v39, v38, 30
	v_xor_b32_e32 v40, v40, v48
	v_sub_u32_e32 v42, 32, v41
	v_xor_b32_e32 v38, v38, v48
	v_alignbit_b32 v43, v49, v40, v42
	v_alignbit_b32 v38, v40, v38, v42
	;; [unrolled: 1-line block ×3, first 2 shown]
	v_ffbh_u32_e32 v40, v39
	v_min_u32_e32 v40, 32, v40
	v_lshrrev_b32_e32 v46, 29, v0
	v_sub_u32_e32 v42, 31, v40
	v_alignbit_b32 v38, v39, v38, v42
	v_lshlrev_b32_e32 v39, 31, v46
	v_or_b32_e32 v42, 0x33800000, v39
	v_add_lshl_u32 v40, v40, v41, 23
	v_lshrrev_b32_e32 v38, 9, v38
	v_sub_u32_e32 v40, v42, v40
	v_or_b32_e32 v38, v40, v38
	v_alignbit_b32 v40, v41, v43, 9
	v_or_b32_e32 v39, v40, v39
	v_xor_b32_e32 v39, 1.0, v39
	v_mul_f32_e32 v40, 0x3fc90fda, v39
	v_fma_f32 v41, v39, s60, -v40
	v_fmac_f32_e32 v41, 0x33a22168, v39
	v_fmac_f32_e32 v41, 0x3fc90fda, v38
	v_lshrrev_b32_e32 v0, 30, v0
	v_add_f32_e32 v39, v40, v41
	v_add_u32_e32 v38, v47, v0
	s_andn2_saveexec_b64 s[8:9], s[34:35]
	s_cbranch_execnz .LBB249_368
	s_branch .LBB249_369
.LBB249_367:                            ;   in Loop: Header=BB249_217 Depth=1
	s_andn2_saveexec_b64 s[8:9], s[34:35]
.LBB249_368:                            ;   in Loop: Header=BB249_217 Depth=1
	v_mul_f32_e64 v0, |v25|, s61
	v_rndne_f32_e32 v0, v0
	v_cvt_i32_f32_e32 v38, v0
	v_fma_f32 v39, v0, s62, |v25|
	v_fmac_f32_e32 v39, 0xb3a22168, v0
	v_fmac_f32_e32 v39, 0xa7c234c4, v0
.LBB249_369:                            ;   in Loop: Header=BB249_217 Depth=1
	s_or_b64 exec, exec, s[8:9]
	v_mul_f32_e32 v0, v37, v37
	v_mov_b32_e32 v40, 0x3c0881c4
	v_fmac_f32_e32 v40, 0xb94c1982, v0
	v_fma_f32 v40, v0, v40, v30
	v_mul_f32_e32 v40, v0, v40
	v_fmac_f32_e32 v37, v37, v40
	v_mov_b32_e32 v40, 0xbab64f3b
	v_fmac_f32_e32 v40, 0x37d75334, v0
	v_fma_f32 v40, v0, v40, v31
	v_fma_f32 v40, v0, v40, v32
	v_fma_f32 v0, v0, v40, 1.0
	v_and_b32_e32 v40, 1, v24
	v_cmp_eq_u32_e32 vcc, 0, v40
	v_lshlrev_b32_e32 v24, 30, v24
	v_cndmask_b32_e64 v0, -v37, v0, vcc
	v_and_b32_e32 v24, 0x80000000, v24
	v_xor_b32_e32 v0, v24, v0
	v_cmp_class_f32_e64 vcc, v25, s66
	v_mul_f32_e32 v24, v39, v39
	v_mov_b32_e32 v25, 0x3c0881c4
	v_fmac_f32_e32 v25, 0xb94c1982, v24
	v_fma_f32 v25, v24, v25, v30
	v_mul_f32_e32 v25, v24, v25
	v_fmac_f32_e32 v39, v39, v25
	v_mov_b32_e32 v25, 0xbab64f3b
	v_fmac_f32_e32 v25, 0x37d75334, v24
	v_fma_f32 v25, v24, v25, v31
	v_fma_f32 v25, v24, v25, v32
	v_fma_f32 v24, v24, v25, 1.0
	v_and_b32_e32 v25, 1, v38
	v_cmp_eq_u32_e64 s[8:9], 0, v25
	v_lshlrev_b32_e32 v25, 30, v38
	v_cndmask_b32_e64 v24, v24, v39, s[8:9]
	v_and_or_b32 v25, v25, s49, v29
	v_xor_b32_e32 v24, v25, v24
	v_xor_b32_e32 v24, v24, v28
	v_cndmask_b32_e32 v0, v36, v0, vcc
	v_cndmask_b32_e32 v28, v36, v24, vcc
.LBB249_370:                            ;   in Loop: Header=BB249_217 Depth=1
	s_or_b64 exec, exec, s[30:31]
                                        ; implicit-def: $vgpr24
.LBB249_371:                            ;   in Loop: Header=BB249_217 Depth=1
	s_andn2_saveexec_b64 s[8:9], s[28:29]
	s_cbranch_execz .LBB249_373
; %bb.372:                              ;   in Loop: Header=BB249_217 Depth=1
	v_mul_f32_e32 v0, 0xbfb8aa3b, v24
	v_rndne_f32_e32 v25, v0
	v_sub_f32_e32 v29, v0, v25
	v_fma_f32 v0, v24, s63, -v0
	v_fmac_f32_e32 v0, 0xb2a5705f, v24
	v_add_f32_e32 v0, v29, v0
	v_cvt_i32_f32_e32 v25, v25
	v_exp_f32_e32 v0, v0
	v_cmp_nlt_f32_e32 vcc, s64, v24
	v_ldexp_f32 v0, v0, v25
	v_cndmask_b32_e32 v0, 0, v0, vcc
	v_cmp_ngt_f32_e32 vcc, s65, v24
	v_cndmask_b32_e32 v0, v35, v0, vcc
.LBB249_373:                            ;   in Loop: Header=BB249_217 Depth=1
	s_or_b64 exec, exec, s[8:9]
	v_add_f32_e32 v29, s14, v0
	v_add_f32_e32 v0, s15, v28
	v_cmp_gt_f32_e32 vcc, 0, v29
	v_cndmask_b32_e64 v37, v29, -v29, vcc
	v_cmp_gt_f32_e32 vcc, 0, v0
	v_cndmask_b32_e64 v28, v0, -v0, vcc
	v_cmp_ge_f32_e32 vcc, v37, v28
                                        ; implicit-def: $vgpr25
	s_and_saveexec_b64 s[8:9], vcc
	s_xor_b64 s[10:11], exec, s[8:9]
	s_cbranch_execz .LBB249_379
; %bb.374:                              ;   in Loop: Header=BB249_217 Depth=1
	v_cmp_neq_f32_e32 vcc, 0, v29
	v_cmp_neq_f32_e64 s[8:9], 0, v0
	s_or_b64 s[8:9], vcc, s[8:9]
                                        ; implicit-def: $vgpr25
	s_and_saveexec_b64 s[12:13], s[8:9]
	s_xor_b64 s[8:9], exec, s[12:13]
	s_cbranch_execz .LBB249_376
; %bb.375:                              ;   in Loop: Header=BB249_217 Depth=1
	v_div_scale_f32 v24, s[12:13], v29, v29, v0
	v_rcp_f32_e32 v25, v24
	v_div_scale_f32 v28, vcc, v0, v29, v0
	v_fma_f32 v37, -v24, v25, 1.0
	v_fmac_f32_e32 v25, v37, v25
	v_mul_f32_e32 v37, v28, v25
	v_fma_f32 v38, -v24, v37, v28
	v_fmac_f32_e32 v37, v38, v25
	v_fma_f32 v24, -v24, v37, v28
	v_div_fmas_f32 v24, v24, v25, v37
	v_div_fixup_f32 v25, v24, v29, v0
	v_fmac_f32_e32 v29, v0, v25
	v_div_scale_f32 v0, s[12:13], v29, v29, 1.0
	v_rcp_f32_e32 v24, v0
	v_fma_f32 v28, -v0, v24, 1.0
	v_fmac_f32_e32 v24, v28, v24
	v_div_scale_f32 v28, vcc, 1.0, v29, 1.0
	v_mul_f32_e32 v37, v28, v24
	v_fma_f32 v38, -v0, v37, v28
	v_fmac_f32_e32 v37, v38, v24
	v_fma_f32 v0, -v0, v37, v28
	v_div_fmas_f32 v0, v0, v24, v37
	v_mov_b32_e32 v24, s14
	v_mov_b32_e32 v28, s15
	v_div_fixup_f32 v0, v0, v29, 1.0
	v_fma_f32 v24, s15, v25, v24
	v_fma_f32 v25, -v25, s14, v28
	v_mul_f32_e32 v24, v24, v0
	v_mul_f32_e32 v25, v25, v0
                                        ; implicit-def: $vgpr37
                                        ; implicit-def: $vgpr28
.LBB249_376:                            ;   in Loop: Header=BB249_217 Depth=1
	s_andn2_saveexec_b64 s[8:9], s[8:9]
	s_cbranch_execz .LBB249_378
; %bb.377:                              ;   in Loop: Header=BB249_217 Depth=1
	v_div_scale_f32 v0, s[12:13], v37, v37, s14
	v_rcp_f32_e32 v24, v0
	v_div_scale_f32 v25, vcc, s14, v37, s14
	v_fma_f32 v29, -v0, v24, 1.0
	v_fmac_f32_e32 v24, v29, v24
	v_mul_f32_e32 v29, v25, v24
	v_fma_f32 v38, -v0, v29, v25
	v_fmac_f32_e32 v29, v38, v24
	v_fma_f32 v0, -v0, v29, v25
	v_div_scale_f32 v25, s[12:13], v28, v28, s15
	v_rcp_f32_e32 v38, v25
	v_div_fmas_f32 v0, v0, v24, v29
	v_div_fixup_f32 v24, v0, v37, s14
	v_fma_f32 v0, -v25, v38, 1.0
	v_fmac_f32_e32 v38, v0, v38
	v_div_scale_f32 v0, vcc, s15, v28, s15
	v_mul_f32_e32 v29, v0, v38
	v_fma_f32 v37, -v25, v29, v0
	v_fmac_f32_e32 v29, v37, v38
	v_fma_f32 v0, -v25, v29, v0
	v_div_fmas_f32 v0, v0, v38, v29
	v_div_fixup_f32 v25, v0, v28, s15
.LBB249_378:                            ;   in Loop: Header=BB249_217 Depth=1
	s_or_b64 exec, exec, s[8:9]
                                        ; implicit-def: $vgpr0
                                        ; implicit-def: $vgpr29
.LBB249_379:                            ;   in Loop: Header=BB249_217 Depth=1
	s_andn2_saveexec_b64 s[8:9], s[10:11]
	s_cbranch_execz .LBB249_381
; %bb.380:                              ;   in Loop: Header=BB249_217 Depth=1
	v_div_scale_f32 v24, s[10:11], v0, v0, v29
	v_rcp_f32_e32 v25, v24
	v_div_scale_f32 v28, vcc, v29, v0, v29
	v_fma_f32 v37, -v24, v25, 1.0
	v_fmac_f32_e32 v25, v37, v25
	v_mul_f32_e32 v37, v28, v25
	v_fma_f32 v38, -v24, v37, v28
	v_fmac_f32_e32 v37, v38, v25
	v_fma_f32 v24, -v24, v37, v28
	v_div_fmas_f32 v24, v24, v25, v37
	v_div_fixup_f32 v25, v24, v0, v29
	v_fmac_f32_e32 v0, v29, v25
	v_div_scale_f32 v24, s[10:11], v0, v0, 1.0
	v_rcp_f32_e32 v28, v24
	v_fma_f32 v29, -v24, v28, 1.0
	v_fmac_f32_e32 v28, v29, v28
	v_div_scale_f32 v29, vcc, 1.0, v0, 1.0
	v_mul_f32_e32 v37, v29, v28
	v_fma_f32 v38, -v24, v37, v29
	v_fmac_f32_e32 v37, v38, v28
	v_fma_f32 v24, -v24, v37, v29
	v_div_fmas_f32 v24, v24, v28, v37
	v_div_fixup_f32 v0, v24, v0, 1.0
	v_mov_b32_e32 v24, s15
	v_mov_b32_e32 v28, s14
	v_fma_f32 v24, s14, v25, v24
	v_fma_f32 v25, v25, s15, -v28
	v_mul_f32_e32 v24, v24, v0
	v_mul_f32_e32 v25, v25, v0
.LBB249_381:                            ;   in Loop: Header=BB249_217 Depth=1
	s_or_b64 exec, exec, s[8:9]
	v_and_b32_e32 v37, 0x7fffffff, v21
	v_xor_b32_e32 v29, 0x80000000, v21
	v_cmp_ne_u32_e32 vcc, 0, v37
	s_and_saveexec_b64 s[8:9], vcc
	s_xor_b64 s[28:29], exec, s[8:9]
	s_cbranch_execz .LBB249_423
; %bb.382:                              ;   in Loop: Header=BB249_217 Depth=1
	v_and_b32_e32 v38, 0x7fffffff, v20
	v_cmp_ne_u32_e32 vcc, 0, v38
	s_and_saveexec_b64 s[8:9], vcc
	s_xor_b64 s[30:31], exec, s[8:9]
	s_cbranch_execz .LBB249_412
; %bb.383:                              ;   in Loop: Header=BB249_217 Depth=1
	v_xor_b32_e32 v0, 0x80000000, v20
	v_cmp_gt_u32_e32 vcc, s50, v37
	s_and_saveexec_b64 s[8:9], vcc
	s_xor_b64 s[34:35], exec, s[8:9]
	s_cbranch_execz .LBB249_405
; %bb.384:                              ;   in Loop: Header=BB249_217 Depth=1
	v_add_u32_e32 v0, 0xbd4e8de8, v0
	v_cmp_lt_u32_e32 vcc, s51, v0
	s_and_saveexec_b64 s[8:9], vcc
	s_xor_b64 s[36:37], exec, s[8:9]
	s_cbranch_execz .LBB249_394
; %bb.385:                              ;   in Loop: Header=BB249_217 Depth=1
	v_cmp_nlt_f32_e64 s[38:39], |v21|, s52
                                        ; implicit-def: $vgpr28
                                        ; implicit-def: $vgpr38
	s_and_saveexec_b64 s[8:9], s[38:39]
	s_xor_b64 s[40:41], exec, s[8:9]
	s_cbranch_execz .LBB249_387
; %bb.386:                              ;   in Loop: Header=BB249_217 Depth=1
	v_lshrrev_b32_e32 v0, 23, v37
	v_add_u32_e32 v0, 0xffffff88, v0
	v_cmp_lt_u32_e32 vcc, 63, v0
	v_cndmask_b32_e32 v28, 0, v33, vcc
	v_add_u32_e32 v0, v28, v0
	v_cmp_lt_u32_e64 s[8:9], 31, v0
	v_cndmask_b32_e64 v28, 0, v34, s[8:9]
	v_add_u32_e32 v0, v28, v0
	v_cmp_lt_u32_e64 s[10:11], 31, v0
	v_cndmask_b32_e64 v28, 0, v34, s[10:11]
	v_add_u32_e32 v28, v28, v0
	v_and_b32_e32 v0, 0x7fffff, v37
	v_or_b32_e32 v50, 0x800000, v0
	v_mad_u64_u32 v[38:39], s[12:13], v50, s53, 0
	v_mov_b32_e32 v0, v39
	v_mad_u64_u32 v[40:41], s[12:13], v50, s54, v[0:1]
	v_mov_b32_e32 v0, v41
	;; [unrolled: 2-line block ×6, first 2 shown]
	v_mad_u64_u32 v[50:51], s[12:13], v50, s59, v[0:1]
	v_cndmask_b32_e32 v39, v48, v44, vcc
	v_cndmask_b32_e32 v0, v50, v46, vcc
	;; [unrolled: 1-line block ×3, first 2 shown]
	v_cndmask_b32_e64 v41, v0, v39, s[8:9]
	v_cndmask_b32_e64 v0, v43, v0, s[8:9]
	v_cndmask_b32_e32 v43, v46, v42, vcc
	v_cndmask_b32_e64 v39, v39, v43, s[8:9]
	v_sub_u32_e32 v45, 32, v28
	v_cmp_eq_u32_e64 s[12:13], 0, v28
	v_cndmask_b32_e32 v28, v44, v40, vcc
	v_cndmask_b32_e64 v0, v0, v41, s[10:11]
	v_cndmask_b32_e64 v41, v41, v39, s[10:11]
	;; [unrolled: 1-line block ×3, first 2 shown]
	v_alignbit_b32 v46, v0, v41, v45
	v_cndmask_b32_e64 v39, v39, v40, s[10:11]
	v_cndmask_b32_e64 v0, v46, v0, s[12:13]
	v_alignbit_b32 v43, v41, v39, v45
	v_cndmask_b32_e64 v41, v43, v41, s[12:13]
	v_bfe_u32 v46, v0, 29, 1
	v_cndmask_b32_e32 v38, v42, v38, vcc
	v_alignbit_b32 v43, v0, v41, 30
	v_sub_u32_e32 v47, 0, v46
	v_cndmask_b32_e64 v28, v28, v38, s[8:9]
	v_xor_b32_e32 v48, v43, v47
	v_cndmask_b32_e64 v28, v40, v28, s[10:11]
	v_alignbit_b32 v38, v39, v28, v45
	v_ffbh_u32_e32 v40, v48
	v_cndmask_b32_e64 v38, v38, v39, s[12:13]
	v_add_u32_e32 v40, 1, v40
	v_cmp_ne_u32_e32 vcc, v43, v47
	v_alignbit_b32 v39, v41, v38, 30
	v_cndmask_b32_e32 v40, 33, v40, vcc
	v_alignbit_b32 v28, v38, v28, 30
	v_xor_b32_e32 v39, v39, v47
	v_sub_u32_e32 v41, 32, v40
	v_xor_b32_e32 v28, v28, v47
	v_alignbit_b32 v42, v48, v39, v41
	v_alignbit_b32 v28, v39, v28, v41
	;; [unrolled: 1-line block ×3, first 2 shown]
	v_ffbh_u32_e32 v39, v38
	v_min_u32_e32 v39, 32, v39
	v_lshrrev_b32_e32 v44, 29, v0
	v_sub_u32_e32 v41, 31, v39
	v_alignbit_b32 v28, v38, v28, v41
	v_lshlrev_b32_e32 v38, 31, v44
	v_or_b32_e32 v41, 0x33800000, v38
	v_add_lshl_u32 v39, v39, v40, 23
	v_lshrrev_b32_e32 v28, 9, v28
	v_sub_u32_e32 v39, v41, v39
	v_or_b32_e32 v28, v39, v28
	v_alignbit_b32 v39, v40, v42, 9
	v_or_b32_e32 v38, v39, v38
	v_xor_b32_e32 v38, 1.0, v38
	v_mul_f32_e32 v39, 0x3fc90fda, v38
	v_fma_f32 v40, v38, s60, -v39
	v_fmac_f32_e32 v40, 0x33a22168, v38
	v_fmac_f32_e32 v40, 0x3fc90fda, v28
	v_lshrrev_b32_e32 v0, 30, v0
	v_add_f32_e32 v38, v39, v40
	v_add_u32_e32 v28, v46, v0
	s_andn2_saveexec_b64 s[8:9], s[40:41]
	s_branch .LBB249_388
.LBB249_387:                            ;   in Loop: Header=BB249_217 Depth=1
	s_andn2_saveexec_b64 s[8:9], s[40:41]
.LBB249_388:                            ;   in Loop: Header=BB249_217 Depth=1
	v_mul_f32_e64 v0, |v21|, s61
	v_rndne_f32_e32 v0, v0
	v_cvt_i32_f32_e32 v28, v0
	v_fma_f32 v38, v0, s62, |v21|
	v_fmac_f32_e32 v38, 0xb3a22168, v0
	v_fmac_f32_e32 v38, 0xa7c234c4, v0
; %bb.389:                              ;   in Loop: Header=BB249_217 Depth=1
	s_or_b64 exec, exec, s[8:9]
                                        ; implicit-def: $vgpr0
                                        ; implicit-def: $vgpr39
	s_and_saveexec_b64 s[8:9], s[38:39]
	s_xor_b64 s[38:39], exec, s[8:9]
	s_cbranch_execz .LBB249_391
; %bb.390:                              ;   in Loop: Header=BB249_217 Depth=1
	v_lshrrev_b32_e32 v0, 23, v37
	v_add_u32_e32 v0, 0xffffff88, v0
	v_cmp_lt_u32_e32 vcc, 63, v0
	v_cndmask_b32_e32 v39, 0, v33, vcc
	v_add_u32_e32 v0, v39, v0
	v_cmp_lt_u32_e64 s[8:9], 31, v0
	v_cndmask_b32_e64 v39, 0, v34, s[8:9]
	v_add_u32_e32 v0, v39, v0
	v_cmp_lt_u32_e64 s[10:11], 31, v0
	v_cndmask_b32_e64 v39, 0, v34, s[10:11]
	v_add_u32_e32 v39, v39, v0
	v_and_b32_e32 v0, 0x7fffff, v37
	v_or_b32_e32 v52, 0x800000, v0
	v_mad_u64_u32 v[40:41], s[12:13], v52, s53, 0
	v_mov_b32_e32 v0, v41
	v_mad_u64_u32 v[42:43], s[12:13], v52, s54, v[0:1]
	v_mov_b32_e32 v0, v43
	;; [unrolled: 2-line block ×6, first 2 shown]
	v_mad_u64_u32 v[52:53], s[12:13], v52, s59, v[0:1]
	v_cndmask_b32_e32 v41, v50, v46, vcc
	v_cndmask_b32_e32 v0, v52, v48, vcc
	;; [unrolled: 1-line block ×3, first 2 shown]
	v_cndmask_b32_e64 v43, v0, v41, s[8:9]
	v_cndmask_b32_e64 v0, v45, v0, s[8:9]
	v_cndmask_b32_e32 v45, v48, v44, vcc
	v_cndmask_b32_e64 v41, v41, v45, s[8:9]
	v_sub_u32_e32 v47, 32, v39
	v_cmp_eq_u32_e64 s[12:13], 0, v39
	v_cndmask_b32_e32 v39, v46, v42, vcc
	v_cndmask_b32_e64 v0, v0, v43, s[10:11]
	v_cndmask_b32_e64 v43, v43, v41, s[10:11]
	;; [unrolled: 1-line block ×3, first 2 shown]
	v_alignbit_b32 v48, v0, v43, v47
	v_cndmask_b32_e64 v41, v41, v42, s[10:11]
	v_cndmask_b32_e64 v0, v48, v0, s[12:13]
	v_alignbit_b32 v45, v43, v41, v47
	v_cndmask_b32_e64 v43, v45, v43, s[12:13]
	v_bfe_u32 v48, v0, 29, 1
	v_cndmask_b32_e32 v40, v44, v40, vcc
	v_alignbit_b32 v45, v0, v43, 30
	v_sub_u32_e32 v49, 0, v48
	v_cndmask_b32_e64 v39, v39, v40, s[8:9]
	v_xor_b32_e32 v50, v45, v49
	v_cndmask_b32_e64 v39, v42, v39, s[10:11]
	v_alignbit_b32 v40, v41, v39, v47
	v_ffbh_u32_e32 v42, v50
	v_cndmask_b32_e64 v40, v40, v41, s[12:13]
	v_add_u32_e32 v42, 1, v42
	v_cmp_ne_u32_e32 vcc, v45, v49
	v_alignbit_b32 v41, v43, v40, 30
	v_cndmask_b32_e32 v42, 33, v42, vcc
	v_alignbit_b32 v39, v40, v39, 30
	v_xor_b32_e32 v41, v41, v49
	v_sub_u32_e32 v43, 32, v42
	v_xor_b32_e32 v39, v39, v49
	v_alignbit_b32 v44, v50, v41, v43
	v_alignbit_b32 v39, v41, v39, v43
	;; [unrolled: 1-line block ×3, first 2 shown]
	v_ffbh_u32_e32 v41, v40
	v_min_u32_e32 v41, 32, v41
	v_lshrrev_b32_e32 v46, 29, v0
	v_sub_u32_e32 v43, 31, v41
	v_alignbit_b32 v39, v40, v39, v43
	v_lshlrev_b32_e32 v40, 31, v46
	v_or_b32_e32 v43, 0x33800000, v40
	v_add_lshl_u32 v41, v41, v42, 23
	v_lshrrev_b32_e32 v39, 9, v39
	v_sub_u32_e32 v41, v43, v41
	v_or_b32_e32 v39, v41, v39
	v_alignbit_b32 v41, v42, v44, 9
	v_or_b32_e32 v40, v41, v40
	v_xor_b32_e32 v40, 1.0, v40
	v_mul_f32_e32 v41, 0x3fc90fda, v40
	v_fma_f32 v42, v40, s60, -v41
	v_fmac_f32_e32 v42, 0x33a22168, v40
	v_fmac_f32_e32 v42, 0x3fc90fda, v39
	v_lshrrev_b32_e32 v0, 30, v0
	v_add_f32_e32 v39, v41, v42
	v_add_u32_e32 v0, v48, v0
	s_andn2_saveexec_b64 s[8:9], s[38:39]
	s_cbranch_execnz .LBB249_392
	s_branch .LBB249_393
.LBB249_391:                            ;   in Loop: Header=BB249_217 Depth=1
	s_andn2_saveexec_b64 s[8:9], s[38:39]
.LBB249_392:                            ;   in Loop: Header=BB249_217 Depth=1
	v_mul_f32_e64 v0, |v21|, s61
	v_rndne_f32_e32 v40, v0
	v_cvt_i32_f32_e32 v0, v40
	v_fma_f32 v39, v40, s62, |v21|
	v_fmac_f32_e32 v39, 0xb3a22168, v40
	v_fmac_f32_e32 v39, 0xa7c234c4, v40
.LBB249_393:                            ;   in Loop: Header=BB249_217 Depth=1
	s_or_b64 exec, exec, s[8:9]
	v_mul_f32_e32 v40, 0xbfb8aa3b, v20
	v_rndne_f32_e32 v41, v40
	v_sub_f32_e32 v42, v40, v41
	v_fma_f32 v40, v20, s63, -v40
	v_fmac_f32_e32 v40, 0xb2a5705f, v20
	v_add_f32_e32 v40, v42, v40
	v_cvt_i32_f32_e32 v41, v41
	v_exp_f32_e32 v40, v40
	v_cmp_nlt_f32_e32 vcc, s64, v20
	v_ldexp_f32 v40, v40, v41
	v_cndmask_b32_e32 v40, 0, v40, vcc
	v_cmp_ngt_f32_e32 vcc, s65, v20
	v_cndmask_b32_e32 v20, v35, v40, vcc
	v_mul_f32_e32 v40, v38, v38
	v_mov_b32_e32 v41, 0x3c0881c4
	v_fmac_f32_e32 v41, 0xb94c1982, v40
	v_fma_f32 v41, v40, v41, v30
	v_mul_f32_e32 v41, v40, v41
	v_fmac_f32_e32 v38, v38, v41
	v_mov_b32_e32 v41, 0xbab64f3b
	v_fmac_f32_e32 v41, 0x37d75334, v40
	v_fma_f32 v41, v40, v41, v31
	v_fma_f32 v41, v40, v41, v32
	v_fma_f32 v40, v40, v41, 1.0
	v_and_b32_e32 v41, 1, v28
	v_cmp_eq_u32_e32 vcc, 0, v41
	v_lshlrev_b32_e32 v28, 30, v28
	v_cndmask_b32_e64 v38, -v38, v40, vcc
	v_and_b32_e32 v28, 0x80000000, v28
	v_xor_b32_e32 v28, v28, v38
	v_cmp_class_f32_e64 vcc, v21, s66
	v_cndmask_b32_e32 v21, v36, v28, vcc
	v_mul_f32_e32 v28, v20, v21
	v_mul_f32_e32 v21, v39, v39
	v_mov_b32_e32 v38, 0x3c0881c4
	v_fmac_f32_e32 v38, 0xb94c1982, v21
	v_fma_f32 v38, v21, v38, v30
	v_mul_f32_e32 v38, v21, v38
	v_fmac_f32_e32 v39, v39, v38
	v_mov_b32_e32 v38, 0xbab64f3b
	v_fmac_f32_e32 v38, 0x37d75334, v21
	v_fma_f32 v38, v21, v38, v31
	v_fma_f32 v38, v21, v38, v32
	v_fma_f32 v21, v21, v38, 1.0
	v_and_b32_e32 v38, 1, v0
	v_cmp_eq_u32_e64 s[8:9], 0, v38
	v_lshlrev_b32_e32 v0, 30, v0
	v_cndmask_b32_e64 v21, v21, v39, s[8:9]
	v_and_or_b32 v0, v0, s49, v37
	v_xor_b32_e32 v0, v0, v21
	v_xor_b32_e32 v0, v0, v29
	v_cndmask_b32_e32 v0, v36, v0, vcc
	v_mul_f32_e32 v29, v20, v0
                                        ; implicit-def: $vgpr21
                                        ; implicit-def: $vgpr37
.LBB249_394:                            ;   in Loop: Header=BB249_217 Depth=1
	s_andn2_saveexec_b64 s[36:37], s[36:37]
	s_cbranch_execz .LBB249_404
; %bb.395:                              ;   in Loop: Header=BB249_217 Depth=1
	v_cmp_nlt_f32_e64 s[38:39], |v21|, s52
                                        ; implicit-def: $vgpr38
                                        ; implicit-def: $vgpr28
	s_and_saveexec_b64 s[8:9], s[38:39]
	s_xor_b64 s[40:41], exec, s[8:9]
	s_cbranch_execz .LBB249_397
; %bb.396:                              ;   in Loop: Header=BB249_217 Depth=1
	v_lshrrev_b32_e32 v0, 23, v37
	v_add_u32_e32 v0, 0xffffff88, v0
	v_cmp_lt_u32_e32 vcc, 63, v0
	v_cndmask_b32_e32 v28, 0, v33, vcc
	v_add_u32_e32 v0, v28, v0
	v_cmp_lt_u32_e64 s[8:9], 31, v0
	v_cndmask_b32_e64 v28, 0, v34, s[8:9]
	v_add_u32_e32 v0, v28, v0
	v_cmp_lt_u32_e64 s[10:11], 31, v0
	v_cndmask_b32_e64 v28, 0, v34, s[10:11]
	v_add_u32_e32 v28, v28, v0
	v_and_b32_e32 v0, 0x7fffff, v37
	v_or_b32_e32 v50, 0x800000, v0
	v_mad_u64_u32 v[38:39], s[12:13], v50, s53, 0
	v_mov_b32_e32 v0, v39
	v_mad_u64_u32 v[40:41], s[12:13], v50, s54, v[0:1]
	v_mov_b32_e32 v0, v41
	;; [unrolled: 2-line block ×6, first 2 shown]
	v_mad_u64_u32 v[50:51], s[12:13], v50, s59, v[0:1]
	v_cndmask_b32_e32 v39, v48, v44, vcc
	v_cndmask_b32_e32 v0, v50, v46, vcc
	;; [unrolled: 1-line block ×3, first 2 shown]
	v_cndmask_b32_e64 v41, v0, v39, s[8:9]
	v_cndmask_b32_e64 v0, v43, v0, s[8:9]
	v_cndmask_b32_e32 v43, v46, v42, vcc
	v_cndmask_b32_e64 v39, v39, v43, s[8:9]
	v_sub_u32_e32 v45, 32, v28
	v_cmp_eq_u32_e64 s[12:13], 0, v28
	v_cndmask_b32_e32 v28, v44, v40, vcc
	v_cndmask_b32_e64 v0, v0, v41, s[10:11]
	v_cndmask_b32_e64 v41, v41, v39, s[10:11]
	;; [unrolled: 1-line block ×3, first 2 shown]
	v_alignbit_b32 v46, v0, v41, v45
	v_cndmask_b32_e64 v39, v39, v40, s[10:11]
	v_cndmask_b32_e64 v0, v46, v0, s[12:13]
	v_alignbit_b32 v43, v41, v39, v45
	v_cndmask_b32_e64 v41, v43, v41, s[12:13]
	v_bfe_u32 v46, v0, 29, 1
	v_cndmask_b32_e32 v38, v42, v38, vcc
	v_alignbit_b32 v43, v0, v41, 30
	v_sub_u32_e32 v47, 0, v46
	v_cndmask_b32_e64 v28, v28, v38, s[8:9]
	v_xor_b32_e32 v48, v43, v47
	v_cndmask_b32_e64 v28, v40, v28, s[10:11]
	v_alignbit_b32 v38, v39, v28, v45
	v_ffbh_u32_e32 v40, v48
	v_cndmask_b32_e64 v38, v38, v39, s[12:13]
	v_add_u32_e32 v40, 1, v40
	v_cmp_ne_u32_e32 vcc, v43, v47
	v_alignbit_b32 v39, v41, v38, 30
	v_cndmask_b32_e32 v40, 33, v40, vcc
	v_alignbit_b32 v28, v38, v28, 30
	v_xor_b32_e32 v39, v39, v47
	v_sub_u32_e32 v41, 32, v40
	v_xor_b32_e32 v28, v28, v47
	v_alignbit_b32 v42, v48, v39, v41
	v_alignbit_b32 v28, v39, v28, v41
	;; [unrolled: 1-line block ×3, first 2 shown]
	v_ffbh_u32_e32 v39, v38
	v_min_u32_e32 v39, 32, v39
	v_lshrrev_b32_e32 v44, 29, v0
	v_sub_u32_e32 v41, 31, v39
	v_alignbit_b32 v28, v38, v28, v41
	v_lshlrev_b32_e32 v38, 31, v44
	v_or_b32_e32 v41, 0x33800000, v38
	v_add_lshl_u32 v39, v39, v40, 23
	v_lshrrev_b32_e32 v28, 9, v28
	v_sub_u32_e32 v39, v41, v39
	v_or_b32_e32 v28, v39, v28
	v_alignbit_b32 v39, v40, v42, 9
	v_or_b32_e32 v38, v39, v38
	v_xor_b32_e32 v38, 1.0, v38
	v_mul_f32_e32 v39, 0x3fc90fda, v38
	v_fma_f32 v40, v38, s60, -v39
	v_fmac_f32_e32 v40, 0x33a22168, v38
	v_fmac_f32_e32 v40, 0x3fc90fda, v28
	v_lshrrev_b32_e32 v0, 30, v0
	v_add_f32_e32 v28, v39, v40
	v_add_u32_e32 v38, v46, v0
	s_andn2_saveexec_b64 s[8:9], s[40:41]
	s_branch .LBB249_398
.LBB249_397:                            ;   in Loop: Header=BB249_217 Depth=1
	s_andn2_saveexec_b64 s[8:9], s[40:41]
.LBB249_398:                            ;   in Loop: Header=BB249_217 Depth=1
	v_mul_f32_e64 v0, |v21|, s61
	v_rndne_f32_e32 v0, v0
	v_cvt_i32_f32_e32 v38, v0
	v_fma_f32 v28, v0, s62, |v21|
	v_fmac_f32_e32 v28, 0xb3a22168, v0
	v_fmac_f32_e32 v28, 0xa7c234c4, v0
; %bb.399:                              ;   in Loop: Header=BB249_217 Depth=1
	s_or_b64 exec, exec, s[8:9]
                                        ; implicit-def: $vgpr0
                                        ; implicit-def: $vgpr39
	s_and_saveexec_b64 s[8:9], s[38:39]
	s_xor_b64 s[38:39], exec, s[8:9]
	s_cbranch_execz .LBB249_401
; %bb.400:                              ;   in Loop: Header=BB249_217 Depth=1
	v_lshrrev_b32_e32 v0, 23, v37
	v_add_u32_e32 v0, 0xffffff88, v0
	v_cmp_lt_u32_e32 vcc, 63, v0
	v_cndmask_b32_e32 v39, 0, v33, vcc
	v_add_u32_e32 v0, v39, v0
	v_cmp_lt_u32_e64 s[8:9], 31, v0
	v_cndmask_b32_e64 v39, 0, v34, s[8:9]
	v_add_u32_e32 v0, v39, v0
	v_cmp_lt_u32_e64 s[10:11], 31, v0
	v_cndmask_b32_e64 v39, 0, v34, s[10:11]
	v_add_u32_e32 v39, v39, v0
	v_and_b32_e32 v0, 0x7fffff, v37
	v_or_b32_e32 v52, 0x800000, v0
	v_mad_u64_u32 v[40:41], s[12:13], v52, s53, 0
	v_mov_b32_e32 v0, v41
	v_mad_u64_u32 v[42:43], s[12:13], v52, s54, v[0:1]
	v_mov_b32_e32 v0, v43
	;; [unrolled: 2-line block ×6, first 2 shown]
	v_mad_u64_u32 v[52:53], s[12:13], v52, s59, v[0:1]
	v_cndmask_b32_e32 v41, v50, v46, vcc
	v_cndmask_b32_e32 v0, v52, v48, vcc
	;; [unrolled: 1-line block ×3, first 2 shown]
	v_cndmask_b32_e64 v43, v0, v41, s[8:9]
	v_cndmask_b32_e64 v0, v45, v0, s[8:9]
	v_cndmask_b32_e32 v45, v48, v44, vcc
	v_cndmask_b32_e64 v41, v41, v45, s[8:9]
	v_sub_u32_e32 v47, 32, v39
	v_cmp_eq_u32_e64 s[12:13], 0, v39
	v_cndmask_b32_e32 v39, v46, v42, vcc
	v_cndmask_b32_e64 v0, v0, v43, s[10:11]
	v_cndmask_b32_e64 v43, v43, v41, s[10:11]
	;; [unrolled: 1-line block ×3, first 2 shown]
	v_alignbit_b32 v48, v0, v43, v47
	v_cndmask_b32_e64 v41, v41, v42, s[10:11]
	v_cndmask_b32_e64 v0, v48, v0, s[12:13]
	v_alignbit_b32 v45, v43, v41, v47
	v_cndmask_b32_e64 v43, v45, v43, s[12:13]
	v_bfe_u32 v48, v0, 29, 1
	v_cndmask_b32_e32 v40, v44, v40, vcc
	v_alignbit_b32 v45, v0, v43, 30
	v_sub_u32_e32 v49, 0, v48
	v_cndmask_b32_e64 v39, v39, v40, s[8:9]
	v_xor_b32_e32 v50, v45, v49
	v_cndmask_b32_e64 v39, v42, v39, s[10:11]
	v_alignbit_b32 v40, v41, v39, v47
	v_ffbh_u32_e32 v42, v50
	v_cndmask_b32_e64 v40, v40, v41, s[12:13]
	v_add_u32_e32 v42, 1, v42
	v_cmp_ne_u32_e32 vcc, v45, v49
	v_alignbit_b32 v41, v43, v40, 30
	v_cndmask_b32_e32 v42, 33, v42, vcc
	v_alignbit_b32 v39, v40, v39, 30
	v_xor_b32_e32 v41, v41, v49
	v_sub_u32_e32 v43, 32, v42
	v_xor_b32_e32 v39, v39, v49
	v_alignbit_b32 v44, v50, v41, v43
	v_alignbit_b32 v39, v41, v39, v43
	;; [unrolled: 1-line block ×3, first 2 shown]
	v_ffbh_u32_e32 v41, v40
	v_min_u32_e32 v41, 32, v41
	v_lshrrev_b32_e32 v46, 29, v0
	v_sub_u32_e32 v43, 31, v41
	v_alignbit_b32 v39, v40, v39, v43
	v_lshlrev_b32_e32 v40, 31, v46
	v_or_b32_e32 v43, 0x33800000, v40
	v_add_lshl_u32 v41, v41, v42, 23
	v_lshrrev_b32_e32 v39, 9, v39
	v_sub_u32_e32 v41, v43, v41
	v_or_b32_e32 v39, v41, v39
	v_alignbit_b32 v41, v42, v44, 9
	v_or_b32_e32 v40, v41, v40
	v_xor_b32_e32 v40, 1.0, v40
	v_mul_f32_e32 v41, 0x3fc90fda, v40
	v_fma_f32 v42, v40, s60, -v41
	v_fmac_f32_e32 v42, 0x33a22168, v40
	v_fmac_f32_e32 v42, 0x3fc90fda, v39
	v_lshrrev_b32_e32 v0, 30, v0
	v_add_f32_e32 v39, v41, v42
	v_add_u32_e32 v0, v48, v0
	s_andn2_saveexec_b64 s[8:9], s[38:39]
	s_cbranch_execnz .LBB249_402
	s_branch .LBB249_403
.LBB249_401:                            ;   in Loop: Header=BB249_217 Depth=1
	s_andn2_saveexec_b64 s[8:9], s[38:39]
.LBB249_402:                            ;   in Loop: Header=BB249_217 Depth=1
	v_mul_f32_e64 v0, |v21|, s61
	v_rndne_f32_e32 v40, v0
	v_cvt_i32_f32_e32 v0, v40
	v_fma_f32 v39, v40, s62, |v21|
	v_fmac_f32_e32 v39, 0xb3a22168, v40
	v_fmac_f32_e32 v39, 0xa7c234c4, v40
.LBB249_403:                            ;   in Loop: Header=BB249_217 Depth=1
	s_or_b64 exec, exec, s[8:9]
	v_mul_f32_e32 v41, v28, v28
	v_mov_b32_e32 v42, 0xbab64f3b
	v_fmac_f32_e32 v42, 0x37d75334, v41
	v_mov_b32_e32 v43, 0x3c0881c4
	v_fma_f32 v42, v41, v42, v31
	v_fmac_f32_e32 v43, 0xb94c1982, v41
	v_fma_f32 v42, v41, v42, v32
	v_fma_f32 v43, v41, v43, v30
	v_fma_f32 v42, v41, v42, 1.0
	v_mul_f32_e32 v41, v41, v43
	v_sub_f32_e32 v20, 0xc322e3bc, v20
	v_fmac_f32_e32 v28, v28, v41
	v_mul_f32_e32 v41, 0x3fb8aa3b, v20
	v_fma_f32 v43, v20, s67, -v41
	v_rndne_f32_e32 v44, v41
	v_fmac_f32_e32 v43, 0x32a5705f, v20
	v_sub_f32_e32 v41, v41, v44
	v_add_f32_e32 v41, v41, v43
	v_exp_f32_e32 v41, v41
	v_cvt_i32_f32_e32 v43, v44
	v_lshlrev_b32_e32 v40, 30, v38
	v_and_b32_e32 v38, 1, v38
	v_cmp_eq_u32_e32 vcc, 0, v38
	v_and_b32_e32 v40, 0x80000000, v40
	v_cndmask_b32_e64 v28, -v28, v42, vcc
	v_xor_b32_e32 v40, v40, v28
	v_ldexp_f32 v28, v41, v43
	v_cmp_ngt_f32_e32 vcc, s68, v20
	v_cndmask_b32_e32 v28, 0, v28, vcc
	v_cmp_nlt_f32_e32 vcc, s69, v20
	v_cndmask_b32_e32 v28, v35, v28, vcc
	v_and_b32_e32 v20, 0x7fffff, v28
	v_lshrrev_b32_e32 v28, 23, v28
	v_subrev_u32_e32 v38, 19, v28
	v_lshrrev_b16_e32 v28, 15, v38
	v_add_u16_e32 v28, v38, v28
	v_ashrrev_i16_e32 v28, 1, v28
	v_bfe_i32 v41, v28, 0, 16
	v_lshl_add_u32 v28, v41, 23, 1.0
	v_sub_u32_e32 v38, v38, v41
	v_mul_f32_e32 v41, v39, v39
	v_mov_b32_e32 v42, 0x3c0881c4
	v_fmac_f32_e32 v42, 0xb94c1982, v41
	v_fma_f32 v42, v41, v42, v30
	v_mul_f32_e32 v42, v41, v42
	v_fmac_f32_e32 v39, v39, v42
	v_mov_b32_e32 v42, 0xbab64f3b
	v_fmac_f32_e32 v42, 0x37d75334, v41
	v_fma_f32 v42, v41, v42, v31
	v_fma_f32 v42, v41, v42, v32
	v_fma_f32 v41, v41, v42, 1.0
	v_and_b32_e32 v42, 1, v0
	v_cmp_eq_u32_e32 vcc, 0, v42
	v_lshlrev_b32_e32 v0, 30, v0
	v_cndmask_b32_e32 v39, v41, v39, vcc
	v_and_or_b32 v0, v0, s49, v37
	v_xor_b32_e32 v0, v0, v39
	v_xor_b32_e32 v0, v0, v29
	v_cmp_class_f32_e64 vcc, v21, s66
	v_or_b32_e32 v20, 0x7f000000, v20
	v_cndmask_b32_e32 v40, v36, v40, vcc
	v_cndmask_b32_e32 v41, v36, v0, vcc
	v_pk_mul_f32 v[20:21], v[40:41], v[20:21] op_sel_hi:[1,0]
	v_lshl_add_u32 v38, v38, 23, 1.0
	v_pk_mul_f32 v[20:21], v[20:21], v[28:29] op_sel_hi:[1,0]
	v_pk_mul_f32 v[28:29], v[20:21], v[38:39] op_sel_hi:[1,0]
.LBB249_404:                            ;   in Loop: Header=BB249_217 Depth=1
	s_or_b64 exec, exec, s[36:37]
                                        ; implicit-def: $vgpr0
                                        ; implicit-def: $vgpr20
                                        ; implicit-def: $vgpr38
.LBB249_405:                            ;   in Loop: Header=BB249_217 Depth=1
	s_andn2_saveexec_b64 s[8:9], s[34:35]
	s_cbranch_execz .LBB249_411
; %bb.406:                              ;   in Loop: Header=BB249_217 Depth=1
	v_cmp_ne_u32_e32 vcc, s50, v38
                                        ; implicit-def: $vgpr29
	s_and_saveexec_b64 s[10:11], vcc
	s_xor_b64 s[10:11], exec, s[10:11]
; %bb.407:                              ;   in Loop: Header=BB249_217 Depth=1
	v_sub_f32_e32 v29, v21, v21
	v_mov_b32_e32 v28, v29
                                        ; implicit-def: $vgpr0
                                        ; implicit-def: $vgpr20_vgpr21
; %bb.408:                              ;   in Loop: Header=BB249_217 Depth=1
	s_andn2_saveexec_b64 s[10:11], s[10:11]
; %bb.409:                              ;   in Loop: Header=BB249_217 Depth=1
	v_pk_add_f32 v[28:29], v[20:21], v[20:21] neg_lo:[0,1] neg_hi:[0,1]
	v_cmp_lt_i32_e32 vcc, -1, v0
	v_cndmask_b32_e64 v28, 0, -v20, vcc
	v_cndmask_b32_e32 v29, 0, v29, vcc
; %bb.410:                              ;   in Loop: Header=BB249_217 Depth=1
	s_or_b64 exec, exec, s[10:11]
.LBB249_411:                            ;   in Loop: Header=BB249_217 Depth=1
	s_or_b64 exec, exec, s[8:9]
                                        ; implicit-def: $vgpr21
                                        ; implicit-def: $vgpr37
.LBB249_412:                            ;   in Loop: Header=BB249_217 Depth=1
	s_andn2_saveexec_b64 s[30:31], s[30:31]
	s_cbranch_execz .LBB249_422
; %bb.413:                              ;   in Loop: Header=BB249_217 Depth=1
	v_cmp_nlt_f32_e64 s[34:35], |v21|, s52
                                        ; implicit-def: $vgpr20
                                        ; implicit-def: $vgpr28
	s_and_saveexec_b64 s[8:9], s[34:35]
	s_xor_b64 s[36:37], exec, s[8:9]
	s_cbranch_execz .LBB249_415
; %bb.414:                              ;   in Loop: Header=BB249_217 Depth=1
	v_lshrrev_b32_e32 v0, 23, v37
	v_add_u32_e32 v0, 0xffffff88, v0
	v_cmp_lt_u32_e32 vcc, 63, v0
	v_cndmask_b32_e32 v20, 0, v33, vcc
	v_add_u32_e32 v0, v20, v0
	v_cmp_lt_u32_e64 s[8:9], 31, v0
	v_cndmask_b32_e64 v20, 0, v34, s[8:9]
	v_add_u32_e32 v0, v20, v0
	v_cmp_lt_u32_e64 s[10:11], 31, v0
	v_cndmask_b32_e64 v20, 0, v34, s[10:11]
	v_add_u32_e32 v20, v20, v0
	v_and_b32_e32 v0, 0x7fffff, v37
	v_or_b32_e32 v28, 0x800000, v0
	v_mad_u64_u32 v[38:39], s[12:13], v28, s53, 0
	v_mov_b32_e32 v0, v39
	v_mad_u64_u32 v[40:41], s[12:13], v28, s54, v[0:1]
	v_mov_b32_e32 v0, v41
	;; [unrolled: 2-line block ×6, first 2 shown]
	v_mad_u64_u32 v[50:51], s[12:13], v28, s59, v[0:1]
	v_cndmask_b32_e32 v39, v48, v44, vcc
	v_cndmask_b32_e32 v0, v50, v46, vcc
	;; [unrolled: 1-line block ×3, first 2 shown]
	v_cndmask_b32_e64 v28, v0, v39, s[8:9]
	v_cndmask_b32_e64 v0, v41, v0, s[8:9]
	v_cndmask_b32_e32 v41, v46, v42, vcc
	v_cndmask_b32_e64 v39, v39, v41, s[8:9]
	v_sub_u32_e32 v43, 32, v20
	v_cmp_eq_u32_e64 s[12:13], 0, v20
	v_cndmask_b32_e32 v20, v44, v40, vcc
	v_cndmask_b32_e64 v0, v0, v28, s[10:11]
	v_cndmask_b32_e64 v28, v28, v39, s[10:11]
	;; [unrolled: 1-line block ×3, first 2 shown]
	v_alignbit_b32 v45, v0, v28, v43
	v_cndmask_b32_e64 v39, v39, v40, s[10:11]
	v_cndmask_b32_e64 v0, v45, v0, s[12:13]
	v_alignbit_b32 v41, v28, v39, v43
	v_cndmask_b32_e32 v38, v42, v38, vcc
	v_cndmask_b32_e64 v28, v41, v28, s[12:13]
	v_bfe_u32 v45, v0, 29, 1
	v_cndmask_b32_e64 v20, v20, v38, s[8:9]
	v_alignbit_b32 v41, v0, v28, 30
	v_sub_u32_e32 v46, 0, v45
	v_cndmask_b32_e64 v20, v40, v20, s[10:11]
	v_xor_b32_e32 v47, v41, v46
	v_alignbit_b32 v38, v39, v20, v43
	v_cndmask_b32_e64 v38, v38, v39, s[12:13]
	v_ffbh_u32_e32 v39, v47
	v_add_u32_e32 v39, 1, v39
	v_cmp_ne_u32_e32 vcc, v41, v46
	v_alignbit_b32 v28, v28, v38, 30
	v_cndmask_b32_e32 v39, 33, v39, vcc
	v_alignbit_b32 v20, v38, v20, 30
	v_xor_b32_e32 v28, v28, v46
	v_sub_u32_e32 v40, 32, v39
	v_xor_b32_e32 v20, v20, v46
	v_alignbit_b32 v41, v47, v28, v40
	v_alignbit_b32 v20, v28, v20, v40
	;; [unrolled: 1-line block ×3, first 2 shown]
	v_ffbh_u32_e32 v38, v28
	v_min_u32_e32 v38, 32, v38
	v_lshrrev_b32_e32 v44, 29, v0
	v_sub_u32_e32 v40, 31, v38
	v_alignbit_b32 v20, v28, v20, v40
	v_lshlrev_b32_e32 v28, 31, v44
	v_or_b32_e32 v40, 0x33800000, v28
	v_add_lshl_u32 v38, v38, v39, 23
	v_lshrrev_b32_e32 v20, 9, v20
	v_sub_u32_e32 v38, v40, v38
	v_or_b32_e32 v20, v38, v20
	v_alignbit_b32 v38, v39, v41, 9
	v_or_b32_e32 v28, v38, v28
	v_xor_b32_e32 v28, 1.0, v28
	v_mul_f32_e32 v38, 0x3fc90fda, v28
	v_fma_f32 v39, v28, s60, -v38
	v_fmac_f32_e32 v39, 0x33a22168, v28
	v_fmac_f32_e32 v39, 0x3fc90fda, v20
	v_lshrrev_b32_e32 v0, 30, v0
	v_add_f32_e32 v28, v38, v39
	v_add_u32_e32 v20, v45, v0
	s_andn2_saveexec_b64 s[8:9], s[36:37]
	s_branch .LBB249_416
.LBB249_415:                            ;   in Loop: Header=BB249_217 Depth=1
	s_andn2_saveexec_b64 s[8:9], s[36:37]
.LBB249_416:                            ;   in Loop: Header=BB249_217 Depth=1
	v_mul_f32_e64 v0, |v21|, s61
	v_rndne_f32_e32 v0, v0
	v_cvt_i32_f32_e32 v20, v0
	v_fma_f32 v28, v0, s62, |v21|
	v_fmac_f32_e32 v28, 0xb3a22168, v0
	v_fmac_f32_e32 v28, 0xa7c234c4, v0
; %bb.417:                              ;   in Loop: Header=BB249_217 Depth=1
	s_or_b64 exec, exec, s[8:9]
                                        ; implicit-def: $vgpr0
                                        ; implicit-def: $vgpr38
	s_and_saveexec_b64 s[8:9], s[34:35]
	s_xor_b64 s[34:35], exec, s[8:9]
	s_cbranch_execz .LBB249_419
; %bb.418:                              ;   in Loop: Header=BB249_217 Depth=1
	v_lshrrev_b32_e32 v0, 23, v37
	v_add_u32_e32 v0, 0xffffff88, v0
	v_cmp_lt_u32_e32 vcc, 63, v0
	v_cndmask_b32_e32 v38, 0, v33, vcc
	v_add_u32_e32 v0, v38, v0
	v_cmp_lt_u32_e64 s[8:9], 31, v0
	v_cndmask_b32_e64 v38, 0, v34, s[8:9]
	v_add_u32_e32 v0, v38, v0
	v_cmp_lt_u32_e64 s[10:11], 31, v0
	v_cndmask_b32_e64 v38, 0, v34, s[10:11]
	v_add_u32_e32 v52, v38, v0
	v_and_b32_e32 v0, 0x7fffff, v37
	v_or_b32_e32 v50, 0x800000, v0
	v_mad_u64_u32 v[38:39], s[12:13], v50, s53, 0
	v_mov_b32_e32 v0, v39
	v_mad_u64_u32 v[40:41], s[12:13], v50, s54, v[0:1]
	v_mov_b32_e32 v0, v41
	;; [unrolled: 2-line block ×6, first 2 shown]
	v_mad_u64_u32 v[50:51], s[12:13], v50, s59, v[0:1]
	v_cndmask_b32_e32 v39, v48, v44, vcc
	v_cndmask_b32_e32 v0, v50, v46, vcc
	;; [unrolled: 1-line block ×3, first 2 shown]
	v_cndmask_b32_e64 v41, v0, v39, s[8:9]
	v_cndmask_b32_e64 v0, v43, v0, s[8:9]
	v_cndmask_b32_e32 v43, v46, v42, vcc
	v_cndmask_b32_e64 v39, v39, v43, s[8:9]
	v_cndmask_b32_e32 v40, v44, v40, vcc
	v_cndmask_b32_e64 v0, v0, v41, s[10:11]
	v_cndmask_b32_e64 v41, v41, v39, s[10:11]
	v_sub_u32_e32 v45, 32, v52
	v_cndmask_b32_e64 v43, v43, v40, s[8:9]
	v_alignbit_b32 v46, v0, v41, v45
	v_cmp_eq_u32_e64 s[12:13], 0, v52
	v_cndmask_b32_e64 v39, v39, v43, s[10:11]
	v_cndmask_b32_e32 v38, v42, v38, vcc
	v_cndmask_b32_e64 v0, v46, v0, s[12:13]
	v_alignbit_b32 v44, v41, v39, v45
	v_cndmask_b32_e64 v38, v40, v38, s[8:9]
	v_cndmask_b32_e64 v41, v44, v41, s[12:13]
	v_bfe_u32 v47, v0, 29, 1
	v_cndmask_b32_e64 v38, v43, v38, s[10:11]
	v_alignbit_b32 v44, v0, v41, 30
	v_sub_u32_e32 v48, 0, v47
	v_alignbit_b32 v40, v39, v38, v45
	v_xor_b32_e32 v49, v44, v48
	v_cndmask_b32_e64 v39, v40, v39, s[12:13]
	v_alignbit_b32 v40, v41, v39, 30
	v_ffbh_u32_e32 v41, v49
	v_add_u32_e32 v41, 1, v41
	v_cmp_ne_u32_e32 vcc, v44, v48
	v_cndmask_b32_e32 v41, 33, v41, vcc
	v_alignbit_b32 v38, v39, v38, 30
	v_xor_b32_e32 v40, v40, v48
	v_sub_u32_e32 v42, 32, v41
	v_xor_b32_e32 v38, v38, v48
	v_alignbit_b32 v43, v49, v40, v42
	v_alignbit_b32 v38, v40, v38, v42
	;; [unrolled: 1-line block ×3, first 2 shown]
	v_ffbh_u32_e32 v40, v39
	v_min_u32_e32 v40, 32, v40
	v_lshrrev_b32_e32 v46, 29, v0
	v_sub_u32_e32 v42, 31, v40
	v_alignbit_b32 v38, v39, v38, v42
	v_lshlrev_b32_e32 v39, 31, v46
	v_or_b32_e32 v42, 0x33800000, v39
	v_add_lshl_u32 v40, v40, v41, 23
	v_lshrrev_b32_e32 v38, 9, v38
	v_sub_u32_e32 v40, v42, v40
	v_or_b32_e32 v38, v40, v38
	v_alignbit_b32 v40, v41, v43, 9
	v_or_b32_e32 v39, v40, v39
	v_xor_b32_e32 v39, 1.0, v39
	v_mul_f32_e32 v40, 0x3fc90fda, v39
	v_fma_f32 v41, v39, s60, -v40
	v_fmac_f32_e32 v41, 0x33a22168, v39
	v_fmac_f32_e32 v41, 0x3fc90fda, v38
	v_lshrrev_b32_e32 v0, 30, v0
	v_add_f32_e32 v38, v40, v41
	v_add_u32_e32 v0, v47, v0
	s_andn2_saveexec_b64 s[8:9], s[34:35]
	s_cbranch_execnz .LBB249_420
	s_branch .LBB249_421
.LBB249_419:                            ;   in Loop: Header=BB249_217 Depth=1
	s_andn2_saveexec_b64 s[8:9], s[34:35]
.LBB249_420:                            ;   in Loop: Header=BB249_217 Depth=1
	v_mul_f32_e64 v0, |v21|, s61
	v_rndne_f32_e32 v39, v0
	v_cvt_i32_f32_e32 v0, v39
	v_fma_f32 v38, v39, s62, |v21|
	v_fmac_f32_e32 v38, 0xb3a22168, v39
	v_fmac_f32_e32 v38, 0xa7c234c4, v39
.LBB249_421:                            ;   in Loop: Header=BB249_217 Depth=1
	s_or_b64 exec, exec, s[8:9]
	v_mul_f32_e32 v39, v28, v28
	v_mov_b32_e32 v40, 0x3c0881c4
	v_fmac_f32_e32 v40, 0xb94c1982, v39
	v_fma_f32 v40, v39, v40, v30
	v_mul_f32_e32 v40, v39, v40
	v_fmac_f32_e32 v28, v28, v40
	v_mov_b32_e32 v40, 0xbab64f3b
	v_fmac_f32_e32 v40, 0x37d75334, v39
	v_fma_f32 v40, v39, v40, v31
	v_fma_f32 v40, v39, v40, v32
	v_fma_f32 v39, v39, v40, 1.0
	v_and_b32_e32 v40, 1, v20
	v_cmp_eq_u32_e32 vcc, 0, v40
	v_lshlrev_b32_e32 v20, 30, v20
	v_cndmask_b32_e64 v28, -v28, v39, vcc
	v_and_b32_e32 v20, 0x80000000, v20
	v_xor_b32_e32 v20, v20, v28
	v_cmp_class_f32_e64 vcc, v21, s66
	v_cndmask_b32_e32 v28, v36, v20, vcc
	v_mul_f32_e32 v20, v38, v38
	v_mov_b32_e32 v21, 0x3c0881c4
	v_fmac_f32_e32 v21, 0xb94c1982, v20
	v_fma_f32 v21, v20, v21, v30
	v_mul_f32_e32 v21, v20, v21
	v_fmac_f32_e32 v38, v38, v21
	v_mov_b32_e32 v21, 0xbab64f3b
	v_fmac_f32_e32 v21, 0x37d75334, v20
	v_fma_f32 v21, v20, v21, v31
	v_fma_f32 v21, v20, v21, v32
	v_fma_f32 v20, v20, v21, 1.0
	v_and_b32_e32 v21, 1, v0
	v_cmp_eq_u32_e64 s[8:9], 0, v21
	v_lshlrev_b32_e32 v0, 30, v0
	v_cndmask_b32_e64 v20, v20, v38, s[8:9]
	v_and_or_b32 v0, v0, s49, v37
	v_xor_b32_e32 v0, v0, v20
	v_xor_b32_e32 v0, v0, v29
	v_cndmask_b32_e32 v29, v36, v0, vcc
.LBB249_422:                            ;   in Loop: Header=BB249_217 Depth=1
	s_or_b64 exec, exec, s[30:31]
                                        ; implicit-def: $vgpr20
.LBB249_423:                            ;   in Loop: Header=BB249_217 Depth=1
	s_andn2_saveexec_b64 s[8:9], s[28:29]
	s_cbranch_execz .LBB249_425
; %bb.424:                              ;   in Loop: Header=BB249_217 Depth=1
	v_mul_f32_e32 v0, 0xbfb8aa3b, v20
	v_rndne_f32_e32 v21, v0
	v_sub_f32_e32 v28, v0, v21
	v_fma_f32 v0, v20, s63, -v0
	v_fmac_f32_e32 v0, 0xb2a5705f, v20
	v_add_f32_e32 v0, v28, v0
	v_cvt_i32_f32_e32 v21, v21
	v_exp_f32_e32 v0, v0
	v_cmp_nlt_f32_e32 vcc, s64, v20
	v_ldexp_f32 v0, v0, v21
	v_cndmask_b32_e32 v0, 0, v0, vcc
	v_cmp_ngt_f32_e32 vcc, s65, v20
	v_cndmask_b32_e32 v28, v35, v0, vcc
.LBB249_425:                            ;   in Loop: Header=BB249_217 Depth=1
	s_or_b64 exec, exec, s[8:9]
	v_pk_add_f32 v[28:29], v[28:29], s[14:15]
	v_cmp_gt_f32_e32 vcc, 0, v29
	v_cndmask_b32_e64 v37, v29, -v29, vcc
	v_cmp_gt_f32_e32 vcc, 0, v28
	v_cndmask_b32_e64 v0, v28, -v28, vcc
	v_cmp_ge_f32_e32 vcc, v0, v37
                                        ; implicit-def: $vgpr20_vgpr21
	s_and_saveexec_b64 s[8:9], vcc
	s_xor_b64 s[10:11], exec, s[8:9]
	s_cbranch_execz .LBB249_435
; %bb.426:                              ;   in Loop: Header=BB249_217 Depth=1
	v_cmp_neq_f32_e32 vcc, 0, v28
	v_cmp_neq_f32_e64 s[8:9], 0, v29
	s_or_b64 s[8:9], vcc, s[8:9]
                                        ; implicit-def: $vgpr20_vgpr21
	s_and_saveexec_b64 s[12:13], s[8:9]
	s_xor_b64 s[8:9], exec, s[12:13]
	s_cbranch_execz .LBB249_428
; %bb.427:                              ;   in Loop: Header=BB249_217 Depth=1
	v_div_scale_f32 v0, s[12:13], v28, v28, v29
	v_rcp_f32_e32 v20, v0
	v_div_scale_f32 v21, vcc, v29, v28, v29
	v_fma_f32 v37, -v0, v20, 1.0
	v_fmac_f32_e32 v20, v37, v20
	v_mul_f32_e32 v37, v21, v20
	v_fma_f32 v38, -v0, v37, v21
	v_fmac_f32_e32 v37, v38, v20
	v_fma_f32 v0, -v0, v37, v21
	v_div_fmas_f32 v0, v0, v20, v37
	v_div_fixup_f32 v0, v0, v28, v29
	v_fmac_f32_e32 v28, v29, v0
	v_div_scale_f32 v20, s[12:13], v28, v28, 1.0
	v_rcp_f32_e32 v21, v20
	v_fma_f32 v29, -v20, v21, 1.0
	v_fmac_f32_e32 v21, v29, v21
	v_div_scale_f32 v29, vcc, 1.0, v28, 1.0
	v_mul_f32_e32 v37, v29, v21
	v_fma_f32 v38, -v20, v37, v29
	v_fmac_f32_e32 v37, v38, v21
	v_fma_f32 v20, -v20, v37, v29
	v_div_fmas_f32 v20, v20, v21, v37
	v_div_fixup_f32 v20, v20, v28, 1.0
	v_pk_mov_b32 v[28:29], s[14:15], s[14:15] op_sel:[0,1]
	v_pk_fma_f32 v[38:39], v[0:1], s[22:23], v[28:29]
	v_pk_fma_f32 v[28:29], v[0:1], s[22:23], v[28:29] op_sel_hi:[0,1,1] neg_lo:[1,0,0] neg_hi:[1,0,0]
	v_mov_b32_e32 v39, v29
	v_pk_mul_f32 v[20:21], v[38:39], v[20:21] op_sel_hi:[1,0]
                                        ; implicit-def: $vgpr37
                                        ; implicit-def: $vgpr0
.LBB249_428:                            ;   in Loop: Header=BB249_217 Depth=1
	s_andn2_saveexec_b64 s[8:9], s[8:9]
	s_cbranch_execz .LBB249_430
; %bb.429:                              ;   in Loop: Header=BB249_217 Depth=1
	v_div_scale_f32 v20, s[12:13], v37, v37, s15
	v_rcp_f32_e32 v21, v20
	v_div_scale_f32 v28, vcc, s15, v37, s15
	v_fma_f32 v29, -v20, v21, 1.0
	v_fmac_f32_e32 v21, v29, v21
	v_mul_f32_e32 v29, v28, v21
	v_fma_f32 v38, -v20, v29, v28
	v_fmac_f32_e32 v29, v38, v21
	v_fma_f32 v20, -v20, v29, v28
	v_div_scale_f32 v28, s[12:13], v0, v0, s14
	v_rcp_f32_e32 v38, v28
	v_div_fmas_f32 v20, v20, v21, v29
	v_div_fixup_f32 v21, v20, v37, s15
	v_fma_f32 v20, -v28, v38, 1.0
	v_fmac_f32_e32 v38, v20, v38
	v_div_scale_f32 v20, vcc, s14, v0, s14
	v_mul_f32_e32 v29, v20, v38
	v_fma_f32 v37, -v28, v29, v20
	v_fmac_f32_e32 v29, v37, v38
	v_fma_f32 v20, -v28, v29, v20
	v_div_fmas_f32 v20, v20, v38, v29
	v_div_fixup_f32 v20, v20, v0, s14
.LBB249_430:                            ;   in Loop: Header=BB249_217 Depth=1
	s_or_b64 exec, exec, s[8:9]
                                        ; implicit-def: $vgpr28_vgpr29
	s_andn2_saveexec_b64 s[8:9], s[10:11]
	s_cbranch_execnz .LBB249_436
.LBB249_431:                            ;   in Loop: Header=BB249_217 Depth=1
	s_or_b64 exec, exec, s[8:9]
	s_and_saveexec_b64 s[8:9], s[0:1]
	s_xor_b64 s[0:1], exec, s[8:9]
	s_cbranch_execz .LBB249_437
.LBB249_432:                            ;   in Loop: Header=BB249_217 Depth=1
	v_mov_b32_e32 v0, s17
	v_add_co_u32_e32 v28, vcc, s16, v4
	v_addc_co_u32_e32 v29, vcc, v5, v0, vcc
	global_store_dwordx2 v[28:29], v[22:23], off offset:-4
	s_or_b64 exec, exec, s[0:1]
	s_and_saveexec_b64 s[0:1], s[2:3]
	s_cbranch_execnz .LBB249_438
.LBB249_433:                            ;   in Loop: Header=BB249_217 Depth=1
	s_or_b64 exec, exec, s[0:1]
	s_and_saveexec_b64 s[0:1], s[4:5]
	s_cbranch_execz .LBB249_439
.LBB249_434:                            ;   in Loop: Header=BB249_217 Depth=1
	v_mov_b32_e32 v0, s17
	v_add_co_u32_e32 v22, vcc, s16, v12
	v_addc_co_u32_e32 v23, vcc, v13, v0, vcc
	global_store_dwordx2 v[22:23], v[24:25], off offset:-4
	s_or_b64 exec, exec, s[0:1]
	s_and_saveexec_b64 s[0:1], s[6:7]
	s_cbranch_execz .LBB249_216
	s_branch .LBB249_440
.LBB249_435:                            ;   in Loop: Header=BB249_217 Depth=1
	s_andn2_saveexec_b64 s[8:9], s[10:11]
	s_cbranch_execz .LBB249_431
.LBB249_436:                            ;   in Loop: Header=BB249_217 Depth=1
	v_div_scale_f32 v0, s[10:11], v29, v29, v28
	v_rcp_f32_e32 v20, v0
	v_div_scale_f32 v21, vcc, v28, v29, v28
	v_fma_f32 v37, -v0, v20, 1.0
	v_fmac_f32_e32 v20, v37, v20
	v_mul_f32_e32 v37, v21, v20
	v_fma_f32 v38, -v0, v37, v21
	v_fmac_f32_e32 v37, v38, v20
	v_fma_f32 v0, -v0, v37, v21
	v_div_fmas_f32 v0, v0, v20, v37
	v_div_fixup_f32 v0, v0, v29, v28
	v_fmac_f32_e32 v29, v28, v0
	v_div_scale_f32 v20, s[10:11], v29, v29, 1.0
	v_rcp_f32_e32 v21, v20
	v_fma_f32 v28, -v20, v21, 1.0
	v_fmac_f32_e32 v21, v28, v21
	v_div_scale_f32 v28, vcc, 1.0, v29, 1.0
	v_mul_f32_e32 v37, v28, v21
	v_fma_f32 v38, -v20, v37, v28
	v_fmac_f32_e32 v37, v38, v21
	v_fma_f32 v20, -v20, v37, v28
	v_div_fmas_f32 v20, v20, v21, v37
	v_div_fixup_f32 v20, v20, v29, 1.0
	v_pk_mov_b32 v[28:29], s[22:23], s[22:23] op_sel:[0,1]
	v_pk_fma_f32 v[38:39], v[0:1], s[14:15], v[28:29]
	v_pk_fma_f32 v[28:29], v[0:1], s[14:15], v[28:29] op_sel_hi:[0,1,1] neg_lo:[0,0,1] neg_hi:[0,0,1]
	v_mov_b32_e32 v39, v29
	v_pk_mul_f32 v[20:21], v[38:39], v[20:21] op_sel_hi:[1,0]
	s_or_b64 exec, exec, s[8:9]
	s_and_saveexec_b64 s[8:9], s[0:1]
	s_xor_b64 s[0:1], exec, s[8:9]
	s_cbranch_execnz .LBB249_432
.LBB249_437:                            ;   in Loop: Header=BB249_217 Depth=1
	s_or_b64 exec, exec, s[0:1]
	s_and_saveexec_b64 s[0:1], s[2:3]
	s_cbranch_execz .LBB249_433
.LBB249_438:                            ;   in Loop: Header=BB249_217 Depth=1
	v_mov_b32_e32 v0, s17
	v_add_co_u32_e32 v22, vcc, s16, v16
	v_addc_co_u32_e32 v23, vcc, v17, v0, vcc
	global_store_dwordx2 v[22:23], v[26:27], off offset:-4
	s_or_b64 exec, exec, s[0:1]
	s_and_saveexec_b64 s[0:1], s[4:5]
	s_cbranch_execnz .LBB249_434
.LBB249_439:                            ;   in Loop: Header=BB249_217 Depth=1
	s_or_b64 exec, exec, s[0:1]
	s_and_saveexec_b64 s[0:1], s[6:7]
	s_cbranch_execz .LBB249_216
.LBB249_440:                            ;   in Loop: Header=BB249_217 Depth=1
	v_mov_b32_e32 v0, s17
	v_add_co_u32_e32 v22, vcc, s16, v8
	v_addc_co_u32_e32 v23, vcc, v9, v0, vcc
	global_store_dwordx2 v[22:23], v[20:21], off
	s_branch .LBB249_216
.LBB249_441:
	s_endpgm
	.section	.rodata,"a",@progbits
	.p2align	6, 0x0
	.amdhsa_kernel _ZN2at6native12_GLOBAL__N_125multi_tensor_apply_kernelINS1_18TensorListMetadataILi2EEENS1_14UnaryOpFunctorIN3c107complexIfEELi2ELi1ELi1EEEJNS0_7SigmoidIS8_EEEEEvT_T0_DpT1_
		.amdhsa_group_segment_fixed_size 0
		.amdhsa_private_segment_fixed_size 0
		.amdhsa_kernarg_size 3416
		.amdhsa_user_sgpr_count 6
		.amdhsa_user_sgpr_private_segment_buffer 1
		.amdhsa_user_sgpr_dispatch_ptr 0
		.amdhsa_user_sgpr_queue_ptr 0
		.amdhsa_user_sgpr_kernarg_segment_ptr 1
		.amdhsa_user_sgpr_dispatch_id 0
		.amdhsa_user_sgpr_flat_scratch_init 0
		.amdhsa_user_sgpr_kernarg_preload_length 0
		.amdhsa_user_sgpr_kernarg_preload_offset 0
		.amdhsa_user_sgpr_private_segment_size 0
		.amdhsa_uses_dynamic_stack 0
		.amdhsa_system_sgpr_private_segment_wavefront_offset 0
		.amdhsa_system_sgpr_workgroup_id_x 1
		.amdhsa_system_sgpr_workgroup_id_y 0
		.amdhsa_system_sgpr_workgroup_id_z 0
		.amdhsa_system_sgpr_workgroup_info 0
		.amdhsa_system_vgpr_workitem_id 0
		.amdhsa_next_free_vgpr 54
		.amdhsa_next_free_sgpr 70
		.amdhsa_accum_offset 56
		.amdhsa_reserve_vcc 1
		.amdhsa_reserve_flat_scratch 0
		.amdhsa_float_round_mode_32 0
		.amdhsa_float_round_mode_16_64 0
		.amdhsa_float_denorm_mode_32 3
		.amdhsa_float_denorm_mode_16_64 3
		.amdhsa_dx10_clamp 1
		.amdhsa_ieee_mode 1
		.amdhsa_fp16_overflow 0
		.amdhsa_tg_split 0
		.amdhsa_exception_fp_ieee_invalid_op 0
		.amdhsa_exception_fp_denorm_src 0
		.amdhsa_exception_fp_ieee_div_zero 0
		.amdhsa_exception_fp_ieee_overflow 0
		.amdhsa_exception_fp_ieee_underflow 0
		.amdhsa_exception_fp_ieee_inexact 0
		.amdhsa_exception_int_div_zero 0
	.end_amdhsa_kernel
	.section	.text._ZN2at6native12_GLOBAL__N_125multi_tensor_apply_kernelINS1_18TensorListMetadataILi2EEENS1_14UnaryOpFunctorIN3c107complexIfEELi2ELi1ELi1EEEJNS0_7SigmoidIS8_EEEEEvT_T0_DpT1_,"axG",@progbits,_ZN2at6native12_GLOBAL__N_125multi_tensor_apply_kernelINS1_18TensorListMetadataILi2EEENS1_14UnaryOpFunctorIN3c107complexIfEELi2ELi1ELi1EEEJNS0_7SigmoidIS8_EEEEEvT_T0_DpT1_,comdat
.Lfunc_end249:
	.size	_ZN2at6native12_GLOBAL__N_125multi_tensor_apply_kernelINS1_18TensorListMetadataILi2EEENS1_14UnaryOpFunctorIN3c107complexIfEELi2ELi1ELi1EEEJNS0_7SigmoidIS8_EEEEEvT_T0_DpT1_, .Lfunc_end249-_ZN2at6native12_GLOBAL__N_125multi_tensor_apply_kernelINS1_18TensorListMetadataILi2EEENS1_14UnaryOpFunctorIN3c107complexIfEELi2ELi1ELi1EEEJNS0_7SigmoidIS8_EEEEEvT_T0_DpT1_
                                        ; -- End function
	.section	.AMDGPU.csdata,"",@progbits
; Kernel info:
; codeLenInByte = 44992
; NumSgprs: 74
; NumVgprs: 54
; NumAgprs: 0
; TotalNumVgprs: 54
; ScratchSize: 0
; MemoryBound: 0
; FloatMode: 240
; IeeeMode: 1
; LDSByteSize: 0 bytes/workgroup (compile time only)
; SGPRBlocks: 9
; VGPRBlocks: 6
; NumSGPRsForWavesPerEU: 74
; NumVGPRsForWavesPerEU: 54
; AccumOffset: 56
; Occupancy: 8
; WaveLimiterHint : 0
; COMPUTE_PGM_RSRC2:SCRATCH_EN: 0
; COMPUTE_PGM_RSRC2:USER_SGPR: 6
; COMPUTE_PGM_RSRC2:TRAP_HANDLER: 0
; COMPUTE_PGM_RSRC2:TGID_X_EN: 1
; COMPUTE_PGM_RSRC2:TGID_Y_EN: 0
; COMPUTE_PGM_RSRC2:TGID_Z_EN: 0
; COMPUTE_PGM_RSRC2:TIDIG_COMP_CNT: 0
; COMPUTE_PGM_RSRC3_GFX90A:ACCUM_OFFSET: 13
; COMPUTE_PGM_RSRC3_GFX90A:TG_SPLIT: 0
	.section	.text._ZN2at6native12_GLOBAL__N_125multi_tensor_apply_kernelINS1_18TensorListMetadataILi2EEENS1_14UnaryOpFunctorIN3c104HalfELi2ELi1ELi1EEEJNS0_7SigmoidIfEEEEEvT_T0_DpT1_,"axG",@progbits,_ZN2at6native12_GLOBAL__N_125multi_tensor_apply_kernelINS1_18TensorListMetadataILi2EEENS1_14UnaryOpFunctorIN3c104HalfELi2ELi1ELi1EEEJNS0_7SigmoidIfEEEEEvT_T0_DpT1_,comdat
	.globl	_ZN2at6native12_GLOBAL__N_125multi_tensor_apply_kernelINS1_18TensorListMetadataILi2EEENS1_14UnaryOpFunctorIN3c104HalfELi2ELi1ELi1EEEJNS0_7SigmoidIfEEEEEvT_T0_DpT1_ ; -- Begin function _ZN2at6native12_GLOBAL__N_125multi_tensor_apply_kernelINS1_18TensorListMetadataILi2EEENS1_14UnaryOpFunctorIN3c104HalfELi2ELi1ELi1EEEJNS0_7SigmoidIfEEEEEvT_T0_DpT1_
	.p2align	8
	.type	_ZN2at6native12_GLOBAL__N_125multi_tensor_apply_kernelINS1_18TensorListMetadataILi2EEENS1_14UnaryOpFunctorIN3c104HalfELi2ELi1ELi1EEEJNS0_7SigmoidIfEEEEEvT_T0_DpT1_,@function
_ZN2at6native12_GLOBAL__N_125multi_tensor_apply_kernelINS1_18TensorListMetadataILi2EEENS1_14UnaryOpFunctorIN3c104HalfELi2ELi1ELi1EEEJNS0_7SigmoidIfEEEEEvT_T0_DpT1_: ; @_ZN2at6native12_GLOBAL__N_125multi_tensor_apply_kernelINS1_18TensorListMetadataILi2EEENS1_14UnaryOpFunctorIN3c104HalfELi2ELi1ELi1EEEJNS0_7SigmoidIfEEEEEvT_T0_DpT1_
; %bb.0:
	v_mov_b32_e32 v1, s6
	global_load_ubyte v1, v1, s[4:5] offset:1536
	s_add_u32 s0, s4, s6
	s_mul_hi_u32 s2, s6, 3
	s_mul_i32 s6, s6, 3
	s_addc_u32 s7, s5, 0
	s_add_u32 s6, s0, s6
	s_addc_u32 s7, s7, s2
	s_load_dword s6, s[6:7], 0x740
	s_mov_b32 s1, 0
	s_mov_b32 s15, s1
	;; [unrolled: 1-line block ×3, first 2 shown]
	s_waitcnt lgkmcnt(0)
	s_ashr_i32 s7, s6, 31
	s_lshl_b64 s[10:11], s[6:7], 17
	s_lshl_b64 s[6:7], s[6:7], 16
	s_waitcnt vmcnt(0)
	v_readfirstlane_b32 s0, v1
	s_lshl_b32 s0, s0, 3
	s_load_dwordx2 s[18:19], s[4:5], s0 offset:0x0
	s_load_dword s8, s[4:5], 0xc4c
	s_load_dwordx2 s[12:13], s[4:5], s0 offset:0x400
	s_load_dwordx2 s[16:17], s[4:5], s0 offset:0x200
	s_waitcnt lgkmcnt(0)
	s_and_b32 s0, s18, 7
	s_and_b32 s14, s12, 3
	;; [unrolled: 1-line block ×3, first 2 shown]
	s_or_b64 s[14:15], s[0:1], s[14:15]
	s_or_b64 s[2:3], s[2:3], s[14:15]
	s_sub_u32 s12, s12, s6
	s_subb_u32 s13, s13, s7
	s_cmp_eq_u64 s[2:3], 0
	s_mov_b64 s[2:3], -1
	s_cbranch_scc0 .LBB250_5
; %bb.1:
	v_mov_b32_e32 v3, 0
	v_lshlrev_b32_e32 v2, 2, v0
	v_cmp_gt_i64_e32 vcc, s[12:13], v[2:3]
	s_and_saveexec_b64 s[14:15], vcc
	s_cbranch_execz .LBB250_4
; %bb.2:
	s_load_dword s0, s[4:5], 0xc5c
	v_lshlrev_b32_e32 v1, 3, v0
	v_mov_b32_e32 v2, s11
	v_add_co_u32_e32 v4, vcc, s10, v1
	s_waitcnt lgkmcnt(0)
	s_and_b32 s0, s0, 0xffff
	s_mov_b32 s9, s8
	s_mov_b32 s20, s8
	;; [unrolled: 1-line block ×3, first 2 shown]
	v_addc_co_u32_e32 v1, vcc, 0, v2, vcc
	s_lshl_b32 s28, s0, 3
	v_add_lshl_u32 v2, v0, s0, 2
	s_lshl_b32 s29, s0, 2
	s_mov_b64 s[22:23], 0
	v_mov_b32_e32 v5, s19
	v_mov_b32_e32 v8, s17
	s_mov_b32 s30, 0x3fb8aa3b
	s_mov_b32 s31, 0x32a5705f
	;; [unrolled: 1-line block ×4, first 2 shown]
	v_mov_b32_e32 v9, 0x7f800000
	s_mov_b64 s[24:25], 0xffff
	v_mov_b32_e32 v10, s1
	v_mov_b32_e32 v11, s1
.LBB250_3:                              ; =>This Inner Loop Header: Depth=1
	v_add_co_u32_e32 v12, vcc, s18, v4
	v_addc_co_u32_e32 v13, vcc, v5, v1, vcc
	global_load_dwordx2 v[12:13], v[12:13], off
	v_add_co_u32_e32 v6, vcc, s16, v4
	v_add_co_u32_e64 v4, s[2:3], s28, v4
	v_addc_co_u32_e32 v7, vcc, v8, v1, vcc
	v_addc_co_u32_e64 v1, s[2:3], v1, v10, s[2:3]
	v_cmp_le_i64_e32 vcc, s[12:13], v[2:3]
	v_cmp_lt_u64_e64 s[0:1], s[24:25], v[2:3]
	v_add_co_u32_e64 v2, s[2:3], s29, v2
	v_addc_co_u32_e64 v3, s[2:3], v3, v11, s[2:3]
	s_or_b64 s[26:27], vcc, s[0:1]
	s_waitcnt vmcnt(0)
	v_cvt_f32_f16_e64 v14, -v12
	v_cvt_f32_f16_sdwa v15, -v12 dst_sel:DWORD dst_unused:UNUSED_PAD src0_sel:WORD_1
	v_cvt_f32_f16_e64 v16, -v13
	v_cvt_f32_f16_sdwa v17, -v13 dst_sel:DWORD dst_unused:UNUSED_PAD src0_sel:WORD_1
	v_mul_f32_e32 v18, 0x3fb8aa3b, v14
	v_mul_f32_e32 v19, 0x3fb8aa3b, v15
	;; [unrolled: 1-line block ×4, first 2 shown]
	v_fma_mix_f32 v22, -v12, s30, -v18 op_sel_hi:[1,0,0]
	v_rndne_f32_e32 v23, v18
	v_fma_mix_f32 v24, -v12, s30, -v19 op_sel:[1,0,0] op_sel_hi:[1,0,0]
	v_rndne_f32_e32 v25, v19
	v_fma_mix_f32 v26, -v13, s30, -v20 op_sel_hi:[1,0,0]
	v_rndne_f32_e32 v27, v20
	v_fma_mix_f32 v28, -v13, s30, -v21 op_sel:[1,0,0] op_sel_hi:[1,0,0]
	v_rndne_f32_e32 v29, v21
	v_fma_mix_f32 v22, -v12, s31, v22 op_sel_hi:[1,0,0]
	v_sub_f32_e32 v18, v18, v23
	v_fma_mix_f32 v12, -v12, s31, v24 op_sel:[1,0,0] op_sel_hi:[1,0,0]
	v_sub_f32_e32 v19, v19, v25
	v_cvt_i32_f32_e32 v24, v25
	v_fma_mix_f32 v25, -v13, s31, v26 op_sel_hi:[1,0,0]
	v_sub_f32_e32 v20, v20, v27
	v_fma_mix_f32 v13, -v13, s31, v28 op_sel:[1,0,0] op_sel_hi:[1,0,0]
	v_sub_f32_e32 v21, v21, v29
	v_add_f32_e32 v18, v18, v22
	v_add_f32_e32 v12, v19, v12
	v_cvt_i32_f32_e32 v23, v23
	v_add_f32_e32 v19, v20, v25
	v_add_f32_e32 v13, v21, v13
	v_exp_f32_e32 v18, v18
	v_exp_f32_e32 v12, v12
	v_cvt_i32_f32_e32 v26, v27
	v_cvt_i32_f32_e32 v27, v29
	v_exp_f32_e32 v19, v19
	v_exp_f32_e32 v13, v13
	v_ldexp_f32 v18, v18, v23
	v_ldexp_f32 v12, v12, v24
	v_cmp_ngt_f32_e32 vcc, s33, v15
	v_cmp_ngt_f32_e64 s[6:7], s33, v14
	v_ldexp_f32 v19, v19, v26
	v_cmp_ngt_f32_e64 s[0:1], s33, v16
	v_ldexp_f32 v13, v13, v27
	v_cmp_ngt_f32_e64 s[2:3], s33, v17
	v_cndmask_b32_e64 v18, 0, v18, s[6:7]
	v_cndmask_b32_e32 v20, 0, v12, vcc
	v_cmp_nlt_f32_e32 vcc, s34, v15
	v_cmp_nlt_f32_e64 s[6:7], s34, v14
	v_cndmask_b32_e64 v15, 0, v19, s[0:1]
	v_cmp_nlt_f32_e64 s[0:1], s34, v16
	v_cndmask_b32_e64 v16, 0, v13, s[2:3]
	v_cndmask_b32_e64 v12, v9, v18, s[6:7]
	v_cndmask_b32_e32 v13, v9, v20, vcc
	v_cmp_nlt_f32_e64 s[2:3], s34, v17
	v_pk_add_f32 v[12:13], v[12:13], s[8:9]
	v_cndmask_b32_e64 v14, v9, v15, s[0:1]
	v_cndmask_b32_e64 v15, v9, v16, s[2:3]
	v_div_scale_f32 v16, s[0:1], v12, v12, s8
	v_pk_add_f32 v[14:15], v[14:15], s[20:21]
	v_div_scale_f32 v18, s[0:1], v13, v13, s9
	v_rcp_f32_e32 v24, v16
	v_div_scale_f32 v20, s[2:3], v14, v14, s20
	v_rcp_f32_e32 v25, v18
	;; [unrolled: 2-line block ×3, first 2 shown]
	v_rcp_f32_e32 v27, v22
	v_fma_f32 v28, -v16, v24, 1.0
	v_div_scale_f32 v17, vcc, s8, v12, s8
	v_fma_f32 v29, -v18, v25, 1.0
	v_fmac_f32_e32 v24, v28, v24
	v_div_scale_f32 v19, s[0:1], s9, v13, s9
	v_fma_f32 v30, -v20, v26, 1.0
	v_fmac_f32_e32 v25, v29, v25
	v_mul_f32_e32 v28, v17, v24
	v_div_scale_f32 v21, s[2:3], s20, v14, s20
	v_fma_f32 v31, -v22, v27, 1.0
	v_fmac_f32_e32 v26, v30, v26
	v_mul_f32_e32 v29, v19, v25
	v_fma_f32 v32, -v16, v28, v17
	v_div_scale_f32 v23, s[6:7], s21, v15, s21
	v_fmac_f32_e32 v27, v31, v27
	v_mul_f32_e32 v30, v21, v26
	v_fma_f32 v33, -v18, v29, v19
	v_fmac_f32_e32 v28, v32, v24
	v_mul_f32_e32 v31, v23, v27
	v_fma_f32 v34, -v20, v30, v21
	v_fmac_f32_e32 v29, v33, v25
	v_fma_f32 v16, -v16, v28, v17
	v_fma_f32 v35, -v22, v31, v23
	v_fmac_f32_e32 v30, v34, v26
	v_fma_f32 v17, -v18, v29, v19
	v_div_fmas_f32 v16, v16, v24, v28
	s_mov_b64 vcc, s[0:1]
	v_fmac_f32_e32 v31, v35, v27
	v_fma_f32 v18, -v20, v30, v21
	v_div_fixup_f32 v12, v16, v12, s8
	v_div_fmas_f32 v16, v17, v25, v29
	s_mov_b64 vcc, s[2:3]
	v_fma_f32 v19, -v22, v31, v23
	v_div_fixup_f32 v13, v16, v13, s9
	v_div_fmas_f32 v16, v18, v26, v30
	s_mov_b64 vcc, s[6:7]
	v_div_fixup_f32 v14, v16, v14, s20
	v_div_fmas_f32 v16, v19, v27, v31
	v_div_fixup_f32 v15, v16, v15, s21
	v_cvt_f16_f32_e32 v12, v12
	v_cvt_f16_f32_e32 v13, v13
	;; [unrolled: 1-line block ×4, first 2 shown]
	s_and_b64 s[0:1], exec, s[26:27]
	s_or_b64 s[22:23], s[0:1], s[22:23]
	v_pack_b32_f16 v12, v12, v13
	v_pack_b32_f16 v13, v14, v15
	global_store_dwordx2 v[6:7], v[12:13], off
	s_andn2_b64 exec, exec, s[22:23]
	s_cbranch_execnz .LBB250_3
.LBB250_4:
	s_or_b64 exec, exec, s[14:15]
	s_mov_b64 s[2:3], 0
.LBB250_5:
	s_andn2_b64 vcc, exec, s[2:3]
	s_cbranch_vccnz .LBB250_25
; %bb.6:
	v_cmp_lt_i64_e64 s[0:1], s[12:13], 1
	s_and_b64 vcc, exec, s[0:1]
	s_cbranch_vccnz .LBB250_25
; %bb.7:
	s_load_dword s0, s[4:5], 0xc5c
	v_mov_b32_e32 v2, 0x10000
	v_mov_b32_e32 v3, 0
	v_cmp_lt_u64_e32 vcc, s[12:13], v[2:3]
	v_lshlrev_b32_e32 v10, 1, v0
	s_waitcnt lgkmcnt(0)
	s_and_b32 s2, s0, 0xffff
	s_and_b64 s[0:1], vcc, exec
	v_mov_b32_e32 v13, s19
	v_add_co_u32_e32 v2, vcc, s18, v10
	v_addc_co_u32_e32 v1, vcc, 0, v13, vcc
	v_mov_b32_e32 v11, 0
	v_mov_b32_e32 v15, s17
	v_add_co_u32_e32 v4, vcc, s16, v10
	v_addc_co_u32_e32 v3, vcc, 0, v15, vcc
	v_mad_u64_u32 v[8:9], s[0:1], s2, 6, v[10:11]
	v_add_co_u32_e32 v6, vcc, s18, v8
	v_addc_co_u32_e32 v5, vcc, v13, v9, vcc
	v_add_co_u32_e32 v8, vcc, s16, v8
	s_mul_i32 s4, s2, 3
	v_addc_co_u32_e32 v7, vcc, v15, v9, vcc
	s_cselect_b32 s15, s13, 0
	s_cselect_b32 s14, s12, 0x10000
	s_lshl_b32 s20, s2, 2
	v_add_co_u32_e32 v17, vcc, s4, v0
	v_addc_co_u32_e64 v18, s[0:1], 0, 0, vcc
	v_add_co_u32_e32 v11, vcc, s20, v10
	v_addc_co_u32_e64 v14, s[0:1], 0, 0, vcc
	v_add_co_u32_e32 v10, vcc, s18, v11
	v_addc_co_u32_e32 v9, vcc, v13, v14, vcc
	v_add_co_u32_e32 v12, vcc, s16, v11
	s_lshl_b32 s3, s2, 1
	v_addc_co_u32_e32 v11, vcc, v15, v14, vcc
	v_add_co_u32_e32 v19, vcc, s3, v0
	v_addc_co_u32_e64 v20, s[0:1], 0, 0, vcc
	v_add_co_u32_e32 v21, vcc, s2, v0
	v_lshlrev_b32_e32 v16, 1, v21
	v_addc_co_u32_e64 v22, s[0:1], 0, 0, vcc
	v_add_co_u32_e32 v14, vcc, s18, v16
	v_addc_co_u32_e32 v13, vcc, 0, v13, vcc
	v_add_co_u32_e32 v16, vcc, s16, v16
	s_mov_b32 s9, 0
	s_lshl_b32 s21, s2, 3
	v_addc_co_u32_e32 v15, vcc, 0, v15, vcc
	s_mov_b64 s[16:17], 0
	s_mov_b32 s22, 0x3fb8aa3b
	s_mov_b32 s23, 0x32a5705f
	;; [unrolled: 1-line block ×4, first 2 shown]
	v_mov_b32_e32 v23, 0x7f800000
	s_branch .LBB250_9
.LBB250_8:                              ;   in Loop: Header=BB250_9 Depth=1
	s_or_b64 exec, exec, s[2:3]
	s_add_u32 s16, s16, s20
	s_addc_u32 s17, s17, 0
	s_waitcnt vmcnt(0)
	v_pk_mov_b32 v[24:25], s[12:13], s[12:13] op_sel:[0,1]
	v_cmp_ge_i64_e32 vcc, s[16:17], v[24:25]
	v_mov_b32_e32 v24, 0xffff
	v_mov_b32_e32 v25, 0
	v_cmp_gt_u64_e64 s[0:1], s[16:17], v[24:25]
	s_or_b64 s[0:1], vcc, s[0:1]
	v_mov_b32_e32 v24, s9
	v_add_co_u32_e32 v2, vcc, s21, v2
	v_addc_co_u32_e32 v1, vcc, v1, v24, vcc
	v_add_co_u32_e32 v4, vcc, s21, v4
	v_addc_co_u32_e32 v3, vcc, v3, v24, vcc
	;; [unrolled: 2-line block ×8, first 2 shown]
	s_and_b64 vcc, exec, s[0:1]
	s_cbranch_vccnz .LBB250_25
.LBB250_9:                              ; =>This Inner Loop Header: Depth=1
	v_mov_b32_e32 v25, s17
	v_add_co_u32_e32 v24, vcc, s16, v0
	v_addc_co_u32_e32 v25, vcc, 0, v25, vcc
	v_cmp_gt_u64_e32 vcc, s[14:15], v[24:25]
	v_mov_b32_e32 v27, 0
	s_and_saveexec_b64 s[2:3], vcc
	s_cbranch_execz .LBB250_11
; %bb.10:                               ;   in Loop: Header=BB250_9 Depth=1
	v_mov_b32_e32 v25, s11
	v_add_co_u32_e64 v24, s[0:1], s10, v2
	v_addc_co_u32_e64 v25, s[0:1], v1, v25, s[0:1]
	global_load_ushort v27, v[24:25], off
.LBB250_11:                             ;   in Loop: Header=BB250_9 Depth=1
	s_or_b64 exec, exec, s[2:3]
	v_mov_b32_e32 v25, s17
	v_add_co_u32_e64 v24, s[0:1], s16, v21
	v_addc_co_u32_e64 v25, s[0:1], v22, v25, s[0:1]
	v_cmp_gt_u64_e64 s[4:5], s[14:15], v[24:25]
	v_mov_b32_e32 v26, 0
	s_and_saveexec_b64 s[2:3], s[4:5]
	s_cbranch_execz .LBB250_13
; %bb.12:                               ;   in Loop: Header=BB250_9 Depth=1
	v_mov_b32_e32 v25, s11
	v_add_co_u32_e64 v24, s[0:1], s10, v14
	v_addc_co_u32_e64 v25, s[0:1], v13, v25, s[0:1]
	global_load_ushort v26, v[24:25], off
.LBB250_13:                             ;   in Loop: Header=BB250_9 Depth=1
	s_or_b64 exec, exec, s[2:3]
	v_mov_b32_e32 v25, s17
	v_add_co_u32_e64 v24, s[0:1], s16, v19
	v_addc_co_u32_e64 v25, s[0:1], v20, v25, s[0:1]
	v_cmp_gt_u64_e64 s[2:3], s[14:15], v[24:25]
	v_mov_b32_e32 v24, 0
	v_mov_b32_e32 v25, 0
	s_and_saveexec_b64 s[6:7], s[2:3]
	s_cbranch_execz .LBB250_15
; %bb.14:                               ;   in Loop: Header=BB250_9 Depth=1
	v_mov_b32_e32 v25, s11
	v_add_co_u32_e64 v28, s[0:1], s10, v10
	v_addc_co_u32_e64 v29, s[0:1], v9, v25, s[0:1]
	global_load_ushort v25, v[28:29], off
.LBB250_15:                             ;   in Loop: Header=BB250_9 Depth=1
	s_or_b64 exec, exec, s[6:7]
	v_mov_b32_e32 v29, s17
	v_add_co_u32_e64 v28, s[0:1], s16, v17
	v_addc_co_u32_e64 v29, s[0:1], v18, v29, s[0:1]
	v_cmp_gt_u64_e64 s[0:1], s[14:15], v[28:29]
	s_and_saveexec_b64 s[18:19], s[0:1]
	s_cbranch_execnz .LBB250_20
; %bb.16:                               ;   in Loop: Header=BB250_9 Depth=1
	s_or_b64 exec, exec, s[18:19]
	s_and_saveexec_b64 s[6:7], vcc
	s_cbranch_execnz .LBB250_21
.LBB250_17:                             ;   in Loop: Header=BB250_9 Depth=1
	s_or_b64 exec, exec, s[6:7]
	s_and_saveexec_b64 s[6:7], s[4:5]
	s_cbranch_execnz .LBB250_22
.LBB250_18:                             ;   in Loop: Header=BB250_9 Depth=1
	s_or_b64 exec, exec, s[6:7]
	s_and_saveexec_b64 s[4:5], s[2:3]
	s_cbranch_execnz .LBB250_23
.LBB250_19:                             ;   in Loop: Header=BB250_9 Depth=1
	s_or_b64 exec, exec, s[4:5]
	s_and_saveexec_b64 s[2:3], s[0:1]
	s_cbranch_execz .LBB250_8
	s_branch .LBB250_24
.LBB250_20:                             ;   in Loop: Header=BB250_9 Depth=1
	v_mov_b32_e32 v24, s11
	v_add_co_u32_e64 v28, s[6:7], s10, v6
	v_addc_co_u32_e64 v29, s[6:7], v5, v24, s[6:7]
	global_load_ushort v24, v[28:29], off
	s_or_b64 exec, exec, s[18:19]
	s_and_saveexec_b64 s[6:7], vcc
	s_cbranch_execz .LBB250_17
.LBB250_21:                             ;   in Loop: Header=BB250_9 Depth=1
	s_waitcnt vmcnt(0)
	v_cvt_f32_f16_e64 v28, -v27
	v_mul_f32_e32 v29, 0x3fb8aa3b, v28
	v_rndne_f32_e32 v30, v29
	v_fma_mix_f32 v31, -v27, s22, -v29 op_sel_hi:[1,0,0]
	v_sub_f32_e32 v29, v29, v30
	v_fma_mix_f32 v27, -v27, s23, v31 op_sel_hi:[1,0,0]
	v_add_f32_e32 v27, v29, v27
	v_cvt_i32_f32_e32 v30, v30
	v_exp_f32_e32 v27, v27
	v_cmp_ngt_f32_e32 vcc, s24, v28
	v_ldexp_f32 v27, v27, v30
	v_cndmask_b32_e32 v27, 0, v27, vcc
	v_cmp_nlt_f32_e32 vcc, s25, v28
	v_cndmask_b32_e32 v27, v23, v27, vcc
	v_add_f32_e32 v27, s8, v27
	v_div_scale_f32 v28, s[18:19], v27, v27, s8
	v_rcp_f32_e32 v29, v28
	v_div_scale_f32 v30, vcc, s8, v27, s8
	v_fma_f32 v31, -v28, v29, 1.0
	v_fmac_f32_e32 v29, v31, v29
	v_mul_f32_e32 v31, v30, v29
	v_fma_f32 v32, -v28, v31, v30
	v_fmac_f32_e32 v31, v32, v29
	v_fma_f32 v28, -v28, v31, v30
	v_div_fmas_f32 v28, v28, v29, v31
	v_div_fixup_f32 v27, v28, v27, s8
	v_cvt_f16_f32_e32 v27, v27
	v_mov_b32_e32 v29, s11
	v_add_co_u32_e32 v28, vcc, s10, v4
	v_addc_co_u32_e32 v29, vcc, v3, v29, vcc
	global_store_short v[28:29], v27, off
	s_or_b64 exec, exec, s[6:7]
	s_and_saveexec_b64 s[6:7], s[4:5]
	s_cbranch_execz .LBB250_18
.LBB250_22:                             ;   in Loop: Header=BB250_9 Depth=1
	s_waitcnt vmcnt(0)
	v_cvt_f32_f16_e64 v27, -v26
	v_mul_f32_e32 v28, 0x3fb8aa3b, v27
	v_rndne_f32_e32 v29, v28
	v_fma_mix_f32 v30, -v26, s22, -v28 op_sel_hi:[1,0,0]
	v_sub_f32_e32 v28, v28, v29
	v_fma_mix_f32 v26, -v26, s23, v30 op_sel_hi:[1,0,0]
	v_add_f32_e32 v26, v28, v26
	v_cvt_i32_f32_e32 v29, v29
	v_exp_f32_e32 v26, v26
	v_cmp_ngt_f32_e32 vcc, s24, v27
	v_ldexp_f32 v26, v26, v29
	v_cndmask_b32_e32 v26, 0, v26, vcc
	v_cmp_nlt_f32_e32 vcc, s25, v27
	v_cndmask_b32_e32 v26, v23, v26, vcc
	v_add_f32_e32 v26, s8, v26
	v_div_scale_f32 v27, s[4:5], v26, v26, s8
	v_rcp_f32_e32 v28, v27
	v_div_scale_f32 v29, vcc, s8, v26, s8
	v_fma_f32 v30, -v27, v28, 1.0
	v_fmac_f32_e32 v28, v30, v28
	v_mul_f32_e32 v30, v29, v28
	v_fma_f32 v31, -v27, v30, v29
	v_fmac_f32_e32 v30, v31, v28
	v_fma_f32 v27, -v27, v30, v29
	v_div_fmas_f32 v27, v27, v28, v30
	v_div_fixup_f32 v26, v27, v26, s8
	v_cvt_f16_f32_e32 v28, v26
	v_mov_b32_e32 v27, s11
	v_add_co_u32_e32 v26, vcc, s10, v16
	v_addc_co_u32_e32 v27, vcc, v15, v27, vcc
	global_store_short v[26:27], v28, off
	s_or_b64 exec, exec, s[6:7]
	s_and_saveexec_b64 s[4:5], s[2:3]
	s_cbranch_execz .LBB250_19
.LBB250_23:                             ;   in Loop: Header=BB250_9 Depth=1
	s_waitcnt vmcnt(0)
	v_cvt_f32_f16_e64 v26, -v25
	v_mul_f32_e32 v27, 0x3fb8aa3b, v26
	v_rndne_f32_e32 v28, v27
	v_fma_mix_f32 v29, -v25, s22, -v27 op_sel_hi:[1,0,0]
	v_sub_f32_e32 v27, v27, v28
	v_fma_mix_f32 v25, -v25, s23, v29 op_sel_hi:[1,0,0]
	v_add_f32_e32 v25, v27, v25
	v_cvt_i32_f32_e32 v28, v28
	v_exp_f32_e32 v25, v25
	v_cmp_ngt_f32_e32 vcc, s24, v26
	v_ldexp_f32 v25, v25, v28
	v_cndmask_b32_e32 v25, 0, v25, vcc
	v_cmp_nlt_f32_e32 vcc, s25, v26
	v_cndmask_b32_e32 v25, v23, v25, vcc
	v_add_f32_e32 v25, s8, v25
	v_div_scale_f32 v26, s[2:3], v25, v25, s8
	v_rcp_f32_e32 v27, v26
	v_div_scale_f32 v28, vcc, s8, v25, s8
	v_fma_f32 v29, -v26, v27, 1.0
	v_fmac_f32_e32 v27, v29, v27
	v_mul_f32_e32 v29, v28, v27
	v_fma_f32 v30, -v26, v29, v28
	v_fmac_f32_e32 v29, v30, v27
	v_fma_f32 v26, -v26, v29, v28
	v_div_fmas_f32 v26, v26, v27, v29
	v_div_fixup_f32 v25, v26, v25, s8
	v_cvt_f16_f32_e32 v25, v25
	v_mov_b32_e32 v27, s11
	v_add_co_u32_e32 v26, vcc, s10, v12
	v_addc_co_u32_e32 v27, vcc, v11, v27, vcc
	global_store_short v[26:27], v25, off
	s_or_b64 exec, exec, s[4:5]
	s_and_saveexec_b64 s[2:3], s[0:1]
	s_cbranch_execz .LBB250_8
.LBB250_24:                             ;   in Loop: Header=BB250_9 Depth=1
	s_waitcnt vmcnt(0)
	v_cvt_f32_f16_e64 v25, -v24
	v_mul_f32_e32 v26, 0x3fb8aa3b, v25
	v_rndne_f32_e32 v27, v26
	v_fma_mix_f32 v28, -v24, s22, -v26 op_sel_hi:[1,0,0]
	v_sub_f32_e32 v26, v26, v27
	v_fma_mix_f32 v24, -v24, s23, v28 op_sel_hi:[1,0,0]
	v_add_f32_e32 v24, v26, v24
	v_cvt_i32_f32_e32 v27, v27
	v_exp_f32_e32 v24, v24
	v_cmp_ngt_f32_e32 vcc, s24, v25
	v_ldexp_f32 v24, v24, v27
	v_cndmask_b32_e32 v24, 0, v24, vcc
	v_cmp_nlt_f32_e32 vcc, s25, v25
	v_cndmask_b32_e32 v24, v23, v24, vcc
	v_add_f32_e32 v24, s8, v24
	v_div_scale_f32 v25, s[0:1], v24, v24, s8
	v_rcp_f32_e32 v26, v25
	v_div_scale_f32 v27, vcc, s8, v24, s8
	v_fma_f32 v28, -v25, v26, 1.0
	v_fmac_f32_e32 v26, v28, v26
	v_mul_f32_e32 v28, v27, v26
	v_fma_f32 v29, -v25, v28, v27
	v_fmac_f32_e32 v28, v29, v26
	v_fma_f32 v25, -v25, v28, v27
	v_div_fmas_f32 v25, v25, v26, v28
	v_div_fixup_f32 v24, v25, v24, s8
	v_cvt_f16_f32_e32 v26, v24
	v_mov_b32_e32 v25, s11
	v_add_co_u32_e32 v24, vcc, s10, v8
	v_addc_co_u32_e32 v25, vcc, v7, v25, vcc
	global_store_short v[24:25], v26, off
	s_branch .LBB250_8
.LBB250_25:
	s_endpgm
	.section	.rodata,"a",@progbits
	.p2align	6, 0x0
	.amdhsa_kernel _ZN2at6native12_GLOBAL__N_125multi_tensor_apply_kernelINS1_18TensorListMetadataILi2EEENS1_14UnaryOpFunctorIN3c104HalfELi2ELi1ELi1EEEJNS0_7SigmoidIfEEEEEvT_T0_DpT1_
		.amdhsa_group_segment_fixed_size 0
		.amdhsa_private_segment_fixed_size 0
		.amdhsa_kernarg_size 3408
		.amdhsa_user_sgpr_count 6
		.amdhsa_user_sgpr_private_segment_buffer 1
		.amdhsa_user_sgpr_dispatch_ptr 0
		.amdhsa_user_sgpr_queue_ptr 0
		.amdhsa_user_sgpr_kernarg_segment_ptr 1
		.amdhsa_user_sgpr_dispatch_id 0
		.amdhsa_user_sgpr_flat_scratch_init 0
		.amdhsa_user_sgpr_kernarg_preload_length 0
		.amdhsa_user_sgpr_kernarg_preload_offset 0
		.amdhsa_user_sgpr_private_segment_size 0
		.amdhsa_uses_dynamic_stack 0
		.amdhsa_system_sgpr_private_segment_wavefront_offset 0
		.amdhsa_system_sgpr_workgroup_id_x 1
		.amdhsa_system_sgpr_workgroup_id_y 0
		.amdhsa_system_sgpr_workgroup_id_z 0
		.amdhsa_system_sgpr_workgroup_info 0
		.amdhsa_system_vgpr_workitem_id 0
		.amdhsa_next_free_vgpr 36
		.amdhsa_next_free_sgpr 35
		.amdhsa_accum_offset 36
		.amdhsa_reserve_vcc 1
		.amdhsa_reserve_flat_scratch 0
		.amdhsa_float_round_mode_32 0
		.amdhsa_float_round_mode_16_64 0
		.amdhsa_float_denorm_mode_32 3
		.amdhsa_float_denorm_mode_16_64 3
		.amdhsa_dx10_clamp 1
		.amdhsa_ieee_mode 1
		.amdhsa_fp16_overflow 0
		.amdhsa_tg_split 0
		.amdhsa_exception_fp_ieee_invalid_op 0
		.amdhsa_exception_fp_denorm_src 0
		.amdhsa_exception_fp_ieee_div_zero 0
		.amdhsa_exception_fp_ieee_overflow 0
		.amdhsa_exception_fp_ieee_underflow 0
		.amdhsa_exception_fp_ieee_inexact 0
		.amdhsa_exception_int_div_zero 0
	.end_amdhsa_kernel
	.section	.text._ZN2at6native12_GLOBAL__N_125multi_tensor_apply_kernelINS1_18TensorListMetadataILi2EEENS1_14UnaryOpFunctorIN3c104HalfELi2ELi1ELi1EEEJNS0_7SigmoidIfEEEEEvT_T0_DpT1_,"axG",@progbits,_ZN2at6native12_GLOBAL__N_125multi_tensor_apply_kernelINS1_18TensorListMetadataILi2EEENS1_14UnaryOpFunctorIN3c104HalfELi2ELi1ELi1EEEJNS0_7SigmoidIfEEEEEvT_T0_DpT1_,comdat
.Lfunc_end250:
	.size	_ZN2at6native12_GLOBAL__N_125multi_tensor_apply_kernelINS1_18TensorListMetadataILi2EEENS1_14UnaryOpFunctorIN3c104HalfELi2ELi1ELi1EEEJNS0_7SigmoidIfEEEEEvT_T0_DpT1_, .Lfunc_end250-_ZN2at6native12_GLOBAL__N_125multi_tensor_apply_kernelINS1_18TensorListMetadataILi2EEENS1_14UnaryOpFunctorIN3c104HalfELi2ELi1ELi1EEEJNS0_7SigmoidIfEEEEEvT_T0_DpT1_
                                        ; -- End function
	.section	.AMDGPU.csdata,"",@progbits
; Kernel info:
; codeLenInByte = 2632
; NumSgprs: 39
; NumVgprs: 36
; NumAgprs: 0
; TotalNumVgprs: 36
; ScratchSize: 0
; MemoryBound: 0
; FloatMode: 240
; IeeeMode: 1
; LDSByteSize: 0 bytes/workgroup (compile time only)
; SGPRBlocks: 4
; VGPRBlocks: 4
; NumSGPRsForWavesPerEU: 39
; NumVGPRsForWavesPerEU: 36
; AccumOffset: 36
; Occupancy: 8
; WaveLimiterHint : 0
; COMPUTE_PGM_RSRC2:SCRATCH_EN: 0
; COMPUTE_PGM_RSRC2:USER_SGPR: 6
; COMPUTE_PGM_RSRC2:TRAP_HANDLER: 0
; COMPUTE_PGM_RSRC2:TGID_X_EN: 1
; COMPUTE_PGM_RSRC2:TGID_Y_EN: 0
; COMPUTE_PGM_RSRC2:TGID_Z_EN: 0
; COMPUTE_PGM_RSRC2:TIDIG_COMP_CNT: 0
; COMPUTE_PGM_RSRC3_GFX90A:ACCUM_OFFSET: 8
; COMPUTE_PGM_RSRC3_GFX90A:TG_SPLIT: 0
	.section	.text._ZN2at6native12_GLOBAL__N_125multi_tensor_apply_kernelINS1_18TensorListMetadataILi2EEENS1_14UnaryOpFunctorIN3c108BFloat16ELi2ELi1ELi1EEEJNS0_7SigmoidIfEEEEEvT_T0_DpT1_,"axG",@progbits,_ZN2at6native12_GLOBAL__N_125multi_tensor_apply_kernelINS1_18TensorListMetadataILi2EEENS1_14UnaryOpFunctorIN3c108BFloat16ELi2ELi1ELi1EEEJNS0_7SigmoidIfEEEEEvT_T0_DpT1_,comdat
	.globl	_ZN2at6native12_GLOBAL__N_125multi_tensor_apply_kernelINS1_18TensorListMetadataILi2EEENS1_14UnaryOpFunctorIN3c108BFloat16ELi2ELi1ELi1EEEJNS0_7SigmoidIfEEEEEvT_T0_DpT1_ ; -- Begin function _ZN2at6native12_GLOBAL__N_125multi_tensor_apply_kernelINS1_18TensorListMetadataILi2EEENS1_14UnaryOpFunctorIN3c108BFloat16ELi2ELi1ELi1EEEJNS0_7SigmoidIfEEEEEvT_T0_DpT1_
	.p2align	8
	.type	_ZN2at6native12_GLOBAL__N_125multi_tensor_apply_kernelINS1_18TensorListMetadataILi2EEENS1_14UnaryOpFunctorIN3c108BFloat16ELi2ELi1ELi1EEEJNS0_7SigmoidIfEEEEEvT_T0_DpT1_,@function
_ZN2at6native12_GLOBAL__N_125multi_tensor_apply_kernelINS1_18TensorListMetadataILi2EEENS1_14UnaryOpFunctorIN3c108BFloat16ELi2ELi1ELi1EEEJNS0_7SigmoidIfEEEEEvT_T0_DpT1_: ; @_ZN2at6native12_GLOBAL__N_125multi_tensor_apply_kernelINS1_18TensorListMetadataILi2EEENS1_14UnaryOpFunctorIN3c108BFloat16ELi2ELi1ELi1EEEJNS0_7SigmoidIfEEEEEvT_T0_DpT1_
; %bb.0:
	v_mov_b32_e32 v1, s6
	global_load_ubyte v1, v1, s[4:5] offset:1536
	s_add_u32 s0, s4, s6
	s_mul_hi_u32 s2, s6, 3
	s_mul_i32 s6, s6, 3
	s_addc_u32 s7, s5, 0
	s_add_u32 s6, s0, s6
	s_addc_u32 s7, s7, s2
	s_load_dword s6, s[6:7], 0x740
	s_mov_b32 s1, 0
	s_mov_b32 s17, s1
	;; [unrolled: 1-line block ×3, first 2 shown]
	s_waitcnt lgkmcnt(0)
	s_ashr_i32 s7, s6, 31
	s_lshl_b64 s[8:9], s[6:7], 17
	s_lshl_b64 s[6:7], s[6:7], 16
	s_waitcnt vmcnt(0)
	v_readfirstlane_b32 s0, v1
	s_lshl_b32 s0, s0, 3
	s_load_dwordx2 s[14:15], s[4:5], s0 offset:0x0
	s_load_dword s22, s[4:5], 0xc4c
	s_load_dwordx2 s[10:11], s[4:5], s0 offset:0x400
	s_load_dwordx2 s[12:13], s[4:5], s0 offset:0x200
	s_waitcnt lgkmcnt(0)
	s_and_b32 s0, s14, 7
	s_and_b32 s16, s10, 3
	;; [unrolled: 1-line block ×3, first 2 shown]
	s_or_b64 s[16:17], s[0:1], s[16:17]
	s_or_b64 s[2:3], s[2:3], s[16:17]
	s_sub_u32 s10, s10, s6
	s_subb_u32 s11, s11, s7
	s_cmp_eq_u64 s[2:3], 0
	s_mov_b64 s[2:3], -1
	s_cbranch_scc0 .LBB251_5
; %bb.1:
	v_mov_b32_e32 v3, 0
	v_lshlrev_b32_e32 v2, 2, v0
	v_cmp_gt_i64_e32 vcc, s[10:11], v[2:3]
	s_and_saveexec_b64 s[16:17], vcc
	s_cbranch_execz .LBB251_4
; %bb.2:
	s_load_dword s0, s[4:5], 0xc5c
	v_lshlrev_b32_e32 v1, 3, v0
	v_mov_b32_e32 v2, s9
	v_add_co_u32_e32 v4, vcc, s8, v1
	s_waitcnt lgkmcnt(0)
	s_and_b32 s0, s0, 0xffff
	v_addc_co_u32_e32 v1, vcc, 0, v2, vcc
	s_lshl_b32 s23, s0, 3
	v_add_lshl_u32 v2, v0, s0, 2
	s_lshl_b32 s24, s0, 2
	s_mov_b64 s[18:19], 0
	v_mov_b32_e32 v5, s15
	s_mov_b32 s25, 0xbfb8aa3b
	s_mov_b32 s26, 0x42ce8ed0
	;; [unrolled: 1-line block ×3, first 2 shown]
	v_mov_b32_e32 v6, 0x7f800000
	s_movk_i32 s28, 0x7fff
	v_mov_b32_e32 v7, s13
	v_mov_b32_e32 v8, 0x7fc00000
	;; [unrolled: 1-line block ×3, first 2 shown]
	s_mov_b64 s[20:21], 0xffff
	v_mov_b32_e32 v10, s1
	v_mov_b32_e32 v11, s1
.LBB251_3:                              ; =>This Inner Loop Header: Depth=1
	v_add_co_u32_e32 v12, vcc, s14, v4
	v_addc_co_u32_e32 v13, vcc, v5, v1, vcc
	global_load_dwordx2 v[12:13], v[12:13], off
	v_add_co_u32_e32 v14, vcc, s12, v4
	v_add_co_u32_e64 v4, s[2:3], s23, v4
	v_addc_co_u32_e32 v15, vcc, v7, v1, vcc
	v_addc_co_u32_e64 v1, s[2:3], v1, v10, s[2:3]
	v_cmp_le_i64_e32 vcc, s[10:11], v[2:3]
	v_cmp_lt_u64_e64 s[0:1], s[20:21], v[2:3]
	v_add_co_u32_e64 v2, s[2:3], s24, v2
	v_addc_co_u32_e64 v3, s[2:3], v3, v11, s[2:3]
	s_or_b64 s[0:1], vcc, s[0:1]
	s_and_b64 s[0:1], exec, s[0:1]
	s_or_b64 s[18:19], s[0:1], s[18:19]
	s_waitcnt vmcnt(0)
	v_lshlrev_b32_e32 v17, 16, v12
	v_and_b32_e32 v16, 0xffff0000, v12
	v_alignbit_b32 v12, v13, v12, 16
	v_and_b32_e32 v13, 0xffff0000, v13
	v_mul_f32_e32 v18, 0xbfb8aa3b, v17
	v_mul_f32_e32 v19, 0xbfb8aa3b, v16
	v_and_b32_e32 v12, 0xffff0000, v12
	v_mul_f32_e32 v20, 0xbfb8aa3b, v13
	v_fma_f32 v21, v17, s25, -v18
	v_rndne_f32_e32 v22, v18
	v_fma_f32 v23, v16, s25, -v19
	v_rndne_f32_e32 v24, v19
	v_mul_f32_e32 v25, 0xbfb8aa3b, v12
	v_fma_f32 v26, v13, s25, -v20
	v_rndne_f32_e32 v27, v20
	v_fmac_f32_e32 v21, 0xb2a5705f, v17
	v_sub_f32_e32 v18, v18, v22
	v_fmac_f32_e32 v23, 0xb2a5705f, v16
	v_sub_f32_e32 v19, v19, v24
	v_fma_f32 v28, v12, s25, -v25
	v_rndne_f32_e32 v29, v25
	v_fmac_f32_e32 v26, 0xb2a5705f, v13
	v_sub_f32_e32 v20, v20, v27
	v_add_f32_e32 v18, v18, v21
	v_cvt_i32_f32_e32 v22, v22
	v_add_f32_e32 v19, v19, v23
	v_fmac_f32_e32 v28, 0xb2a5705f, v12
	v_sub_f32_e32 v21, v25, v29
	v_add_f32_e32 v20, v20, v26
	v_exp_f32_e32 v18, v18
	v_cvt_i32_f32_e32 v24, v24
	v_cvt_i32_f32_e32 v27, v27
	v_exp_f32_e32 v19, v19
	v_add_f32_e32 v21, v21, v28
	v_exp_f32_e32 v20, v20
	v_cvt_i32_f32_e32 v23, v29
	v_exp_f32_e32 v21, v21
	v_ldexp_f32 v18, v18, v22
	v_cmp_nlt_f32_e64 s[2:3], s26, v17
	v_ldexp_f32 v19, v19, v24
	v_cmp_nlt_f32_e32 vcc, s26, v16
	v_ldexp_f32 v20, v20, v27
	v_cmp_nlt_f32_e64 s[0:1], s26, v13
	v_cndmask_b32_e64 v18, 0, v18, s[2:3]
	v_cmp_ngt_f32_e64 s[6:7], s27, v17
	v_cndmask_b32_e32 v19, 0, v19, vcc
	v_cmp_ngt_f32_e32 vcc, s27, v16
	v_ldexp_f32 v16, v21, v23
	v_cmp_nlt_f32_e64 s[2:3], s26, v12
	v_cndmask_b32_e64 v20, 0, v20, s[0:1]
	v_cmp_ngt_f32_e64 s[0:1], s27, v13
	v_cndmask_b32_e64 v13, v6, v18, s[6:7]
	v_cndmask_b32_e32 v17, v6, v19, vcc
	v_cndmask_b32_e64 v16, 0, v16, s[2:3]
	v_cndmask_b32_e64 v18, v6, v20, s[0:1]
	v_cmp_ngt_f32_e32 vcc, s27, v12
	v_add_f32_e32 v12, s22, v13
	v_add_f32_e32 v13, s22, v17
	v_cndmask_b32_e32 v16, v6, v16, vcc
	v_add_f32_e32 v17, s22, v18
	v_div_scale_f32 v18, s[0:1], v12, v12, s22
	v_div_scale_f32 v20, s[0:1], v13, v13, s22
	v_add_f32_e32 v16, s22, v16
	v_rcp_f32_e32 v24, v18
	v_div_scale_f32 v22, s[2:3], v17, v17, s22
	v_rcp_f32_e32 v25, v20
	v_div_scale_f32 v26, s[6:7], v16, v16, s22
	v_rcp_f32_e32 v28, v22
	v_rcp_f32_e32 v29, v26
	v_fma_f32 v30, -v18, v24, 1.0
	v_div_scale_f32 v19, vcc, s22, v12, s22
	v_fma_f32 v31, -v20, v25, 1.0
	v_fmac_f32_e32 v24, v30, v24
	v_div_scale_f32 v21, s[0:1], s22, v13, s22
	v_fma_f32 v32, -v22, v28, 1.0
	v_fmac_f32_e32 v25, v31, v25
	v_fma_f32 v30, -v26, v29, 1.0
	v_mul_f32_e32 v31, v19, v24
	v_div_scale_f32 v27, s[6:7], s22, v16, s22
	v_fmac_f32_e32 v28, v32, v28
	v_mul_f32_e32 v32, v21, v25
	v_fmac_f32_e32 v29, v30, v29
	v_fma_f32 v33, -v18, v31, v19
	v_div_scale_f32 v23, s[2:3], s22, v17, s22
	v_fma_f32 v34, -v20, v32, v21
	v_mul_f32_e32 v35, v27, v29
	v_fmac_f32_e32 v31, v33, v24
	v_mul_f32_e32 v30, v23, v28
	v_fmac_f32_e32 v32, v34, v25
	v_fma_f32 v33, -v26, v35, v27
	v_fma_f32 v18, -v18, v31, v19
	;; [unrolled: 1-line block ×4, first 2 shown]
	v_fmac_f32_e32 v35, v33, v29
	v_div_fmas_f32 v18, v18, v24, v31
	s_mov_b64 vcc, s[0:1]
	v_fmac_f32_e32 v30, v36, v28
	v_fma_f32 v21, -v26, v35, v27
	v_div_fixup_f32 v12, v18, v12, s22
	v_div_fmas_f32 v18, v19, v25, v32
	s_mov_b64 vcc, s[6:7]
	v_fma_f32 v20, -v22, v30, v23
	v_bfe_u32 v19, v12, 16, 1
	v_div_fixup_f32 v13, v18, v13, s22
	v_div_fmas_f32 v18, v21, v29, v35
	s_mov_b64 vcc, s[2:3]
	v_add3_u32 v19, v12, v19, s28
	v_bfe_u32 v21, v13, 16, 1
	v_div_fixup_f32 v16, v18, v16, s22
	v_div_fmas_f32 v18, v20, v28, v30
	v_lshrrev_b32_e32 v19, 16, v19
	v_add3_u32 v20, v13, v21, s28
	v_bfe_u32 v21, v16, 16, 1
	v_div_fixup_f32 v17, v18, v17, s22
	v_cmp_o_f32_e32 vcc, v12, v12
	v_and_b32_e32 v12, 0xffff0000, v20
	v_add3_u32 v18, v16, v21, s28
	v_bfe_u32 v20, v17, 16, 1
	v_cndmask_b32_e32 v19, v9, v19, vcc
	v_cmp_o_f32_e32 vcc, v13, v13
	v_lshrrev_b32_e32 v13, 16, v18
	v_add3_u32 v18, v17, v20, s28
	v_cndmask_b32_e32 v12, v8, v12, vcc
	v_cmp_o_f32_e32 vcc, v16, v16
	v_and_b32_e32 v16, 0xffff0000, v18
	v_cndmask_b32_e32 v13, v9, v13, vcc
	v_cmp_o_f32_e32 vcc, v17, v17
	v_or_b32_e32 v12, v19, v12
	v_cndmask_b32_e32 v16, v8, v16, vcc
	v_or3_b32 v12, v12, 0, 0
	v_or3_b32 v13, 0, v13, v16
	global_store_dwordx2 v[14:15], v[12:13], off
	s_andn2_b64 exec, exec, s[18:19]
	s_cbranch_execnz .LBB251_3
.LBB251_4:
	s_or_b64 exec, exec, s[16:17]
	s_mov_b64 s[2:3], 0
.LBB251_5:
	s_andn2_b64 vcc, exec, s[2:3]
	s_cbranch_vccnz .LBB251_25
; %bb.6:
	v_cmp_lt_i64_e64 s[0:1], s[10:11], 1
	s_and_b64 vcc, exec, s[0:1]
	s_cbranch_vccnz .LBB251_25
; %bb.7:
	s_load_dword s0, s[4:5], 0xc5c
	v_mov_b32_e32 v2, 0x10000
	v_mov_b32_e32 v3, 0
	v_cmp_lt_u64_e32 vcc, s[10:11], v[2:3]
	v_lshlrev_b32_e32 v10, 1, v0
	s_waitcnt lgkmcnt(0)
	s_and_b32 s2, s0, 0xffff
	s_and_b64 s[0:1], vcc, exec
	v_mov_b32_e32 v13, s15
	v_add_co_u32_e32 v2, vcc, s14, v10
	v_addc_co_u32_e32 v1, vcc, 0, v13, vcc
	v_mov_b32_e32 v11, 0
	v_mov_b32_e32 v15, s13
	v_add_co_u32_e32 v4, vcc, s12, v10
	v_addc_co_u32_e32 v3, vcc, 0, v15, vcc
	v_mad_u64_u32 v[8:9], s[0:1], s2, 6, v[10:11]
	v_add_co_u32_e32 v6, vcc, s14, v8
	v_addc_co_u32_e32 v5, vcc, v13, v9, vcc
	v_add_co_u32_e32 v8, vcc, s12, v8
	s_mul_i32 s4, s2, 3
	v_addc_co_u32_e32 v7, vcc, v15, v9, vcc
	s_cselect_b32 s17, s11, 0
	s_cselect_b32 s16, s10, 0x10000
	s_lshl_b32 s19, s2, 2
	v_add_co_u32_e32 v17, vcc, s4, v0
	v_addc_co_u32_e64 v18, s[0:1], 0, 0, vcc
	v_add_co_u32_e32 v11, vcc, s19, v10
	v_addc_co_u32_e64 v14, s[0:1], 0, 0, vcc
	v_add_co_u32_e32 v10, vcc, s14, v11
	v_addc_co_u32_e32 v9, vcc, v13, v14, vcc
	v_add_co_u32_e32 v12, vcc, s12, v11
	s_lshl_b32 s3, s2, 1
	v_addc_co_u32_e32 v11, vcc, v15, v14, vcc
	v_add_co_u32_e32 v19, vcc, s3, v0
	v_addc_co_u32_e64 v20, s[0:1], 0, 0, vcc
	v_add_co_u32_e32 v21, vcc, s2, v0
	v_lshlrev_b32_e32 v16, 1, v21
	v_addc_co_u32_e64 v22, s[0:1], 0, 0, vcc
	v_add_co_u32_e32 v14, vcc, s14, v16
	v_addc_co_u32_e32 v13, vcc, 0, v13, vcc
	v_add_co_u32_e32 v16, vcc, s12, v16
	s_mov_b32 s18, 0
	s_lshl_b32 s20, s2, 3
	v_addc_co_u32_e32 v15, vcc, 0, v15, vcc
	s_mov_b64 s[12:13], 0
	s_mov_b32 s21, 0xbfb8aa3b
	s_mov_b32 s23, 0x42ce8ed0
	;; [unrolled: 1-line block ×3, first 2 shown]
	s_movk_i32 s25, 0x7fff
	v_mov_b32_e32 v23, 0x7f800000
	v_mov_b32_e32 v24, 0x7fc0
	s_branch .LBB251_9
.LBB251_8:                              ;   in Loop: Header=BB251_9 Depth=1
	s_or_b64 exec, exec, s[2:3]
	s_add_u32 s12, s12, s19
	s_addc_u32 s13, s13, 0
	s_waitcnt vmcnt(0)
	v_pk_mov_b32 v[26:27], s[10:11], s[10:11] op_sel:[0,1]
	v_cmp_ge_i64_e32 vcc, s[12:13], v[26:27]
	v_mov_b32_e32 v26, 0xffff
	v_mov_b32_e32 v27, 0
	v_cmp_gt_u64_e64 s[0:1], s[12:13], v[26:27]
	s_or_b64 s[0:1], vcc, s[0:1]
	v_mov_b32_e32 v25, s18
	v_add_co_u32_e32 v2, vcc, s20, v2
	v_addc_co_u32_e32 v1, vcc, v1, v25, vcc
	v_add_co_u32_e32 v4, vcc, s20, v4
	v_addc_co_u32_e32 v3, vcc, v3, v25, vcc
	;; [unrolled: 2-line block ×8, first 2 shown]
	s_and_b64 vcc, exec, s[0:1]
	s_cbranch_vccnz .LBB251_25
.LBB251_9:                              ; =>This Inner Loop Header: Depth=1
	v_mov_b32_e32 v25, s13
	v_add_co_u32_e32 v26, vcc, s12, v0
	v_addc_co_u32_e32 v27, vcc, 0, v25, vcc
	v_cmp_gt_u64_e32 vcc, s[16:17], v[26:27]
	v_mov_b32_e32 v28, 0
	s_and_saveexec_b64 s[2:3], vcc
	s_cbranch_execz .LBB251_11
; %bb.10:                               ;   in Loop: Header=BB251_9 Depth=1
	v_mov_b32_e32 v25, s9
	v_add_co_u32_e64 v26, s[0:1], s8, v2
	v_addc_co_u32_e64 v27, s[0:1], v1, v25, s[0:1]
	global_load_ushort v28, v[26:27], off
.LBB251_11:                             ;   in Loop: Header=BB251_9 Depth=1
	s_or_b64 exec, exec, s[2:3]
	v_mov_b32_e32 v25, s13
	v_add_co_u32_e64 v26, s[0:1], s12, v21
	v_addc_co_u32_e64 v27, s[0:1], v22, v25, s[0:1]
	v_cmp_gt_u64_e64 s[4:5], s[16:17], v[26:27]
	v_mov_b32_e32 v27, 0
	s_and_saveexec_b64 s[2:3], s[4:5]
	s_cbranch_execz .LBB251_13
; %bb.12:                               ;   in Loop: Header=BB251_9 Depth=1
	v_mov_b32_e32 v25, s9
	v_add_co_u32_e64 v26, s[0:1], s8, v14
	v_addc_co_u32_e64 v27, s[0:1], v13, v25, s[0:1]
	global_load_ushort v27, v[26:27], off
.LBB251_13:                             ;   in Loop: Header=BB251_9 Depth=1
	s_or_b64 exec, exec, s[2:3]
	v_mov_b32_e32 v25, s13
	v_add_co_u32_e64 v30, s[0:1], s12, v19
	v_addc_co_u32_e64 v31, s[0:1], v20, v25, s[0:1]
	v_cmp_gt_u64_e64 s[2:3], s[16:17], v[30:31]
	v_mov_b32_e32 v25, 0
	v_mov_b32_e32 v26, 0
	s_and_saveexec_b64 s[6:7], s[2:3]
	s_cbranch_execz .LBB251_15
; %bb.14:                               ;   in Loop: Header=BB251_9 Depth=1
	v_mov_b32_e32 v26, s9
	v_add_co_u32_e64 v30, s[0:1], s8, v10
	v_addc_co_u32_e64 v31, s[0:1], v9, v26, s[0:1]
	global_load_ushort v26, v[30:31], off
.LBB251_15:                             ;   in Loop: Header=BB251_9 Depth=1
	s_or_b64 exec, exec, s[6:7]
	v_mov_b32_e32 v29, s13
	v_add_co_u32_e64 v30, s[0:1], s12, v17
	v_addc_co_u32_e64 v31, s[0:1], v18, v29, s[0:1]
	v_cmp_gt_u64_e64 s[0:1], s[16:17], v[30:31]
	s_and_saveexec_b64 s[14:15], s[0:1]
	s_cbranch_execnz .LBB251_20
; %bb.16:                               ;   in Loop: Header=BB251_9 Depth=1
	s_or_b64 exec, exec, s[14:15]
	s_and_saveexec_b64 s[6:7], vcc
	s_cbranch_execnz .LBB251_21
.LBB251_17:                             ;   in Loop: Header=BB251_9 Depth=1
	s_or_b64 exec, exec, s[6:7]
	s_and_saveexec_b64 s[6:7], s[4:5]
	s_cbranch_execnz .LBB251_22
.LBB251_18:                             ;   in Loop: Header=BB251_9 Depth=1
	s_or_b64 exec, exec, s[6:7]
	s_and_saveexec_b64 s[4:5], s[2:3]
	s_cbranch_execnz .LBB251_23
.LBB251_19:                             ;   in Loop: Header=BB251_9 Depth=1
	s_or_b64 exec, exec, s[4:5]
	s_and_saveexec_b64 s[2:3], s[0:1]
	s_cbranch_execz .LBB251_8
	s_branch .LBB251_24
.LBB251_20:                             ;   in Loop: Header=BB251_9 Depth=1
	v_mov_b32_e32 v25, s9
	v_add_co_u32_e64 v30, s[6:7], s8, v6
	v_addc_co_u32_e64 v31, s[6:7], v5, v25, s[6:7]
	global_load_ushort v25, v[30:31], off
	s_or_b64 exec, exec, s[14:15]
	s_and_saveexec_b64 s[6:7], vcc
	s_cbranch_execz .LBB251_17
.LBB251_21:                             ;   in Loop: Header=BB251_9 Depth=1
	s_waitcnt vmcnt(0)
	v_lshlrev_b32_e32 v28, 16, v28
	v_mul_f32_e32 v29, 0xbfb8aa3b, v28
	v_rndne_f32_e32 v30, v29
	v_sub_f32_e32 v31, v29, v30
	v_fma_f32 v29, v28, s21, -v29
	v_fmac_f32_e32 v29, 0xb2a5705f, v28
	v_add_f32_e32 v29, v31, v29
	v_cvt_i32_f32_e32 v30, v30
	v_exp_f32_e32 v29, v29
	v_cmp_nlt_f32_e32 vcc, s23, v28
	v_ldexp_f32 v29, v29, v30
	v_cndmask_b32_e32 v29, 0, v29, vcc
	v_cmp_ngt_f32_e32 vcc, s24, v28
	v_cndmask_b32_e32 v28, v23, v29, vcc
	v_add_f32_e32 v28, s22, v28
	v_div_scale_f32 v29, s[14:15], v28, v28, s22
	v_rcp_f32_e32 v30, v29
	v_fma_f32 v31, -v29, v30, 1.0
	v_fmac_f32_e32 v30, v31, v30
	v_div_scale_f32 v31, vcc, s22, v28, s22
	v_mul_f32_e32 v32, v31, v30
	v_fma_f32 v33, -v29, v32, v31
	v_fmac_f32_e32 v32, v33, v30
	v_fma_f32 v29, -v29, v32, v31
	v_div_fmas_f32 v29, v29, v30, v32
	v_div_fixup_f32 v28, v29, v28, s22
	v_bfe_u32 v29, v28, 16, 1
	v_add3_u32 v29, v28, v29, s25
	v_lshrrev_b32_e32 v29, 16, v29
	v_cmp_o_f32_e32 vcc, v28, v28
	v_cndmask_b32_e32 v30, v24, v29, vcc
	v_mov_b32_e32 v29, s9
	v_add_co_u32_e32 v28, vcc, s8, v4
	v_addc_co_u32_e32 v29, vcc, v3, v29, vcc
	global_store_short v[28:29], v30, off
	s_or_b64 exec, exec, s[6:7]
	s_and_saveexec_b64 s[6:7], s[4:5]
	s_cbranch_execz .LBB251_18
.LBB251_22:                             ;   in Loop: Header=BB251_9 Depth=1
	s_waitcnt vmcnt(0)
	v_lshlrev_b32_e32 v27, 16, v27
	v_mul_f32_e32 v28, 0xbfb8aa3b, v27
	v_rndne_f32_e32 v29, v28
	v_sub_f32_e32 v30, v28, v29
	v_fma_f32 v28, v27, s21, -v28
	v_fmac_f32_e32 v28, 0xb2a5705f, v27
	v_add_f32_e32 v28, v30, v28
	v_cvt_i32_f32_e32 v29, v29
	v_exp_f32_e32 v28, v28
	v_cmp_nlt_f32_e32 vcc, s23, v27
	v_ldexp_f32 v28, v28, v29
	v_cndmask_b32_e32 v28, 0, v28, vcc
	v_cmp_ngt_f32_e32 vcc, s24, v27
	v_cndmask_b32_e32 v27, v23, v28, vcc
	v_add_f32_e32 v27, s22, v27
	v_div_scale_f32 v28, s[4:5], v27, v27, s22
	v_rcp_f32_e32 v29, v28
	v_fma_f32 v30, -v28, v29, 1.0
	v_fmac_f32_e32 v29, v30, v29
	v_div_scale_f32 v30, vcc, s22, v27, s22
	v_mul_f32_e32 v31, v30, v29
	v_fma_f32 v32, -v28, v31, v30
	v_fmac_f32_e32 v31, v32, v29
	v_fma_f32 v28, -v28, v31, v30
	v_div_fmas_f32 v28, v28, v29, v31
	v_div_fixup_f32 v27, v28, v27, s22
	v_bfe_u32 v28, v27, 16, 1
	v_add3_u32 v28, v27, v28, s25
	v_lshrrev_b32_e32 v28, 16, v28
	v_cmp_o_f32_e32 vcc, v27, v27
	v_cndmask_b32_e32 v27, v24, v28, vcc
	v_mov_b32_e32 v29, s9
	v_add_co_u32_e32 v28, vcc, s8, v16
	v_addc_co_u32_e32 v29, vcc, v15, v29, vcc
	global_store_short v[28:29], v27, off
	s_or_b64 exec, exec, s[6:7]
	s_and_saveexec_b64 s[4:5], s[2:3]
	s_cbranch_execz .LBB251_19
.LBB251_23:                             ;   in Loop: Header=BB251_9 Depth=1
	s_waitcnt vmcnt(0)
	v_lshlrev_b32_e32 v26, 16, v26
	v_mul_f32_e32 v27, 0xbfb8aa3b, v26
	v_rndne_f32_e32 v28, v27
	v_sub_f32_e32 v29, v27, v28
	v_fma_f32 v27, v26, s21, -v27
	v_fmac_f32_e32 v27, 0xb2a5705f, v26
	v_add_f32_e32 v27, v29, v27
	v_cvt_i32_f32_e32 v28, v28
	v_exp_f32_e32 v27, v27
	v_cmp_nlt_f32_e32 vcc, s23, v26
	v_ldexp_f32 v27, v27, v28
	v_cndmask_b32_e32 v27, 0, v27, vcc
	v_cmp_ngt_f32_e32 vcc, s24, v26
	v_cndmask_b32_e32 v26, v23, v27, vcc
	v_add_f32_e32 v26, s22, v26
	v_div_scale_f32 v27, s[2:3], v26, v26, s22
	v_rcp_f32_e32 v28, v27
	v_fma_f32 v29, -v27, v28, 1.0
	v_fmac_f32_e32 v28, v29, v28
	v_div_scale_f32 v29, vcc, s22, v26, s22
	v_mul_f32_e32 v30, v29, v28
	v_fma_f32 v31, -v27, v30, v29
	v_fmac_f32_e32 v30, v31, v28
	v_fma_f32 v27, -v27, v30, v29
	v_div_fmas_f32 v27, v27, v28, v30
	v_div_fixup_f32 v26, v27, v26, s22
	v_bfe_u32 v27, v26, 16, 1
	v_add3_u32 v27, v26, v27, s25
	v_lshrrev_b32_e32 v27, 16, v27
	v_cmp_o_f32_e32 vcc, v26, v26
	v_cndmask_b32_e32 v28, v24, v27, vcc
	v_mov_b32_e32 v27, s9
	v_add_co_u32_e32 v26, vcc, s8, v12
	v_addc_co_u32_e32 v27, vcc, v11, v27, vcc
	global_store_short v[26:27], v28, off
	s_or_b64 exec, exec, s[4:5]
	s_and_saveexec_b64 s[2:3], s[0:1]
	s_cbranch_execz .LBB251_8
.LBB251_24:                             ;   in Loop: Header=BB251_9 Depth=1
	s_waitcnt vmcnt(0)
	v_lshlrev_b32_e32 v25, 16, v25
	v_mul_f32_e32 v26, 0xbfb8aa3b, v25
	v_rndne_f32_e32 v27, v26
	v_sub_f32_e32 v28, v26, v27
	v_fma_f32 v26, v25, s21, -v26
	v_fmac_f32_e32 v26, 0xb2a5705f, v25
	v_add_f32_e32 v26, v28, v26
	v_cvt_i32_f32_e32 v27, v27
	v_exp_f32_e32 v26, v26
	v_cmp_nlt_f32_e32 vcc, s23, v25
	v_ldexp_f32 v26, v26, v27
	v_cndmask_b32_e32 v26, 0, v26, vcc
	v_cmp_ngt_f32_e32 vcc, s24, v25
	v_cndmask_b32_e32 v25, v23, v26, vcc
	v_add_f32_e32 v25, s22, v25
	v_div_scale_f32 v26, s[0:1], v25, v25, s22
	v_rcp_f32_e32 v27, v26
	v_fma_f32 v28, -v26, v27, 1.0
	v_fmac_f32_e32 v27, v28, v27
	v_div_scale_f32 v28, vcc, s22, v25, s22
	v_mul_f32_e32 v29, v28, v27
	v_fma_f32 v30, -v26, v29, v28
	v_fmac_f32_e32 v29, v30, v27
	v_fma_f32 v26, -v26, v29, v28
	v_div_fmas_f32 v26, v26, v27, v29
	v_div_fixup_f32 v25, v26, v25, s22
	v_bfe_u32 v26, v25, 16, 1
	v_add3_u32 v26, v25, v26, s25
	v_lshrrev_b32_e32 v26, 16, v26
	v_cmp_o_f32_e32 vcc, v25, v25
	v_cndmask_b32_e32 v25, v24, v26, vcc
	v_mov_b32_e32 v27, s9
	v_add_co_u32_e32 v26, vcc, s8, v8
	v_addc_co_u32_e32 v27, vcc, v7, v27, vcc
	global_store_short v[26:27], v25, off
	s_branch .LBB251_8
.LBB251_25:
	s_endpgm
	.section	.rodata,"a",@progbits
	.p2align	6, 0x0
	.amdhsa_kernel _ZN2at6native12_GLOBAL__N_125multi_tensor_apply_kernelINS1_18TensorListMetadataILi2EEENS1_14UnaryOpFunctorIN3c108BFloat16ELi2ELi1ELi1EEEJNS0_7SigmoidIfEEEEEvT_T0_DpT1_
		.amdhsa_group_segment_fixed_size 0
		.amdhsa_private_segment_fixed_size 0
		.amdhsa_kernarg_size 3408
		.amdhsa_user_sgpr_count 6
		.amdhsa_user_sgpr_private_segment_buffer 1
		.amdhsa_user_sgpr_dispatch_ptr 0
		.amdhsa_user_sgpr_queue_ptr 0
		.amdhsa_user_sgpr_kernarg_segment_ptr 1
		.amdhsa_user_sgpr_dispatch_id 0
		.amdhsa_user_sgpr_flat_scratch_init 0
		.amdhsa_user_sgpr_kernarg_preload_length 0
		.amdhsa_user_sgpr_kernarg_preload_offset 0
		.amdhsa_user_sgpr_private_segment_size 0
		.amdhsa_uses_dynamic_stack 0
		.amdhsa_system_sgpr_private_segment_wavefront_offset 0
		.amdhsa_system_sgpr_workgroup_id_x 1
		.amdhsa_system_sgpr_workgroup_id_y 0
		.amdhsa_system_sgpr_workgroup_id_z 0
		.amdhsa_system_sgpr_workgroup_info 0
		.amdhsa_system_vgpr_workitem_id 0
		.amdhsa_next_free_vgpr 37
		.amdhsa_next_free_sgpr 29
		.amdhsa_accum_offset 40
		.amdhsa_reserve_vcc 1
		.amdhsa_reserve_flat_scratch 0
		.amdhsa_float_round_mode_32 0
		.amdhsa_float_round_mode_16_64 0
		.amdhsa_float_denorm_mode_32 3
		.amdhsa_float_denorm_mode_16_64 3
		.amdhsa_dx10_clamp 1
		.amdhsa_ieee_mode 1
		.amdhsa_fp16_overflow 0
		.amdhsa_tg_split 0
		.amdhsa_exception_fp_ieee_invalid_op 0
		.amdhsa_exception_fp_denorm_src 0
		.amdhsa_exception_fp_ieee_div_zero 0
		.amdhsa_exception_fp_ieee_overflow 0
		.amdhsa_exception_fp_ieee_underflow 0
		.amdhsa_exception_fp_ieee_inexact 0
		.amdhsa_exception_int_div_zero 0
	.end_amdhsa_kernel
	.section	.text._ZN2at6native12_GLOBAL__N_125multi_tensor_apply_kernelINS1_18TensorListMetadataILi2EEENS1_14UnaryOpFunctorIN3c108BFloat16ELi2ELi1ELi1EEEJNS0_7SigmoidIfEEEEEvT_T0_DpT1_,"axG",@progbits,_ZN2at6native12_GLOBAL__N_125multi_tensor_apply_kernelINS1_18TensorListMetadataILi2EEENS1_14UnaryOpFunctorIN3c108BFloat16ELi2ELi1ELi1EEEJNS0_7SigmoidIfEEEEEvT_T0_DpT1_,comdat
.Lfunc_end251:
	.size	_ZN2at6native12_GLOBAL__N_125multi_tensor_apply_kernelINS1_18TensorListMetadataILi2EEENS1_14UnaryOpFunctorIN3c108BFloat16ELi2ELi1ELi1EEEJNS0_7SigmoidIfEEEEEvT_T0_DpT1_, .Lfunc_end251-_ZN2at6native12_GLOBAL__N_125multi_tensor_apply_kernelINS1_18TensorListMetadataILi2EEENS1_14UnaryOpFunctorIN3c108BFloat16ELi2ELi1ELi1EEEJNS0_7SigmoidIfEEEEEvT_T0_DpT1_
                                        ; -- End function
	.section	.AMDGPU.csdata,"",@progbits
; Kernel info:
; codeLenInByte = 2820
; NumSgprs: 33
; NumVgprs: 37
; NumAgprs: 0
; TotalNumVgprs: 37
; ScratchSize: 0
; MemoryBound: 0
; FloatMode: 240
; IeeeMode: 1
; LDSByteSize: 0 bytes/workgroup (compile time only)
; SGPRBlocks: 4
; VGPRBlocks: 4
; NumSGPRsForWavesPerEU: 33
; NumVGPRsForWavesPerEU: 37
; AccumOffset: 40
; Occupancy: 8
; WaveLimiterHint : 0
; COMPUTE_PGM_RSRC2:SCRATCH_EN: 0
; COMPUTE_PGM_RSRC2:USER_SGPR: 6
; COMPUTE_PGM_RSRC2:TRAP_HANDLER: 0
; COMPUTE_PGM_RSRC2:TGID_X_EN: 1
; COMPUTE_PGM_RSRC2:TGID_Y_EN: 0
; COMPUTE_PGM_RSRC2:TGID_Z_EN: 0
; COMPUTE_PGM_RSRC2:TIDIG_COMP_CNT: 0
; COMPUTE_PGM_RSRC3_GFX90A:ACCUM_OFFSET: 9
; COMPUTE_PGM_RSRC3_GFX90A:TG_SPLIT: 0
	.section	.text._ZN2at6native12_GLOBAL__N_125multi_tensor_apply_kernelINS1_18TensorListMetadataILi1EEENS1_14UnaryOpFunctorIdLi1ELi1ELi0EEEJNS0_7SigmoidIdEEEEEvT_T0_DpT1_,"axG",@progbits,_ZN2at6native12_GLOBAL__N_125multi_tensor_apply_kernelINS1_18TensorListMetadataILi1EEENS1_14UnaryOpFunctorIdLi1ELi1ELi0EEEJNS0_7SigmoidIdEEEEEvT_T0_DpT1_,comdat
	.globl	_ZN2at6native12_GLOBAL__N_125multi_tensor_apply_kernelINS1_18TensorListMetadataILi1EEENS1_14UnaryOpFunctorIdLi1ELi1ELi0EEEJNS0_7SigmoidIdEEEEEvT_T0_DpT1_ ; -- Begin function _ZN2at6native12_GLOBAL__N_125multi_tensor_apply_kernelINS1_18TensorListMetadataILi1EEENS1_14UnaryOpFunctorIdLi1ELi1ELi0EEEJNS0_7SigmoidIdEEEEEvT_T0_DpT1_
	.p2align	8
	.type	_ZN2at6native12_GLOBAL__N_125multi_tensor_apply_kernelINS1_18TensorListMetadataILi1EEENS1_14UnaryOpFunctorIdLi1ELi1ELi0EEEJNS0_7SigmoidIdEEEEEvT_T0_DpT1_,@function
_ZN2at6native12_GLOBAL__N_125multi_tensor_apply_kernelINS1_18TensorListMetadataILi1EEENS1_14UnaryOpFunctorIdLi1ELi1ELi0EEEJNS0_7SigmoidIdEEEEEvT_T0_DpT1_: ; @_ZN2at6native12_GLOBAL__N_125multi_tensor_apply_kernelINS1_18TensorListMetadataILi1EEENS1_14UnaryOpFunctorIdLi1ELi1ELi0EEEJNS0_7SigmoidIdEEEEEvT_T0_DpT1_
; %bb.0:
	v_mov_b32_e32 v1, s6
	global_load_ubyte v1, v1, s[4:5] offset:1760
	s_add_u32 s0, s4, s6
	s_mul_hi_u32 s1, s6, 3
	s_mul_i32 s6, s6, 3
	s_addc_u32 s2, s5, 0
	s_add_u32 s0, s0, s6
	s_addc_u32 s1, s2, s1
	s_load_dword s0, s[0:1], 0x820
	s_mov_b32 s7, 0
	s_waitcnt vmcnt(0)
	v_readfirstlane_b32 s1, v1
	s_lshl_b32 s1, s1, 3
	s_load_dwordx2 s[10:11], s[4:5], 0xd30
	s_load_dwordx2 s[2:3], s[4:5], s1 offset:0x370
	s_load_dwordx2 s[14:15], s[4:5], s1 offset:0x0
	s_waitcnt lgkmcnt(0)
	s_ashr_i32 s1, s0, 31
	s_lshl_b64 s[16:17], s[0:1], 19
	s_lshl_b64 s[0:1], s[0:1], 16
	s_and_b32 s6, s14, 31
	s_sub_u32 s12, s2, s0
	s_subb_u32 s13, s3, s1
	s_and_b32 s0, s2, 3
	s_mov_b32 s1, s7
	s_or_b64 s[0:1], s[6:7], s[0:1]
	s_cmp_eq_u64 s[0:1], 0
	s_cbranch_scc1 .LBB252_21
; %bb.1:
	v_cmp_lt_i64_e64 s[0:1], s[12:13], 1
	s_and_b64 vcc, exec, s[0:1]
	s_cbranch_vccnz .LBB252_20
; %bb.2:
	s_load_dword s0, s[4:5], 0xd44
	v_mov_b32_e32 v2, 0x10000
	v_mov_b32_e32 v3, 0
	v_cmp_lt_u64_e32 vcc, s[12:13], v[2:3]
	v_lshlrev_b32_e32 v1, 3, v0
	s_waitcnt lgkmcnt(0)
	s_and_b32 s2, s0, 0xffff
	s_and_b64 s[0:1], vcc, exec
	s_cselect_b32 s19, s13, 0
	s_cselect_b32 s18, s12, 0x10000
	s_lshl_b32 s3, s2, 1
	s_lshl_b32 s38, s2, 2
	s_add_u32 s6, s14, s16
	s_addc_u32 s7, s15, s17
	v_mov_b32_e32 v3, s7
	v_add_co_u32_e32 v2, vcc, s6, v1
	s_mul_i32 s0, s2, 3
	v_addc_co_u32_e32 v3, vcc, 0, v3, vcc
	v_add_co_u32_e32 v1, vcc, s0, v0
	v_addc_co_u32_e64 v32, s[0:1], 0, 0, vcc
	v_add_co_u32_e32 v33, vcc, s3, v0
	v_addc_co_u32_e64 v34, s[0:1], 0, 0, vcc
	v_add_co_u32_e32 v35, vcc, s2, v0
	v_lshlrev_b32_e32 v4, 3, v35
	s_mov_b32 s33, 0
	v_addc_co_u32_e64 v36, s[0:1], 0, 0, vcc
	v_mov_b32_e32 v5, s7
	v_add_co_u32_e32 v4, vcc, s6, v4
	s_mov_b32 s22, 0x652b82fe
	s_mov_b32 s24, 0xfefa39ef
	;; [unrolled: 1-line block ×6, first 2 shown]
	s_lshl_b32 s39, s2, 5
	s_mul_i32 s40, s2, 24
	s_mov_b32 s41, s33
	s_lshl_b32 s42, s2, 4
	s_mov_b32 s43, s33
	v_addc_co_u32_e32 v5, vcc, 0, v5, vcc
	s_mov_b64 s[20:21], 0
	s_mov_b32 s23, 0xbff71547
	s_mov_b32 s25, 0xbfe62e42
	;; [unrolled: 1-line block ×6, first 2 shown]
	v_mov_b32_e32 v6, 0xfca7ab0c
	v_mov_b32_e32 v7, 0x3e928af3
	;; [unrolled: 1-line block ×19, first 2 shown]
	s_branch .LBB252_4
.LBB252_3:                              ;   in Loop: Header=BB252_4 Depth=1
	s_or_b64 exec, exec, s[2:3]
	s_add_u32 s20, s20, s38
	s_addc_u32 s21, s21, 0
	s_waitcnt vmcnt(0)
	v_pk_mov_b32 v[24:25], s[12:13], s[12:13] op_sel:[0,1]
	v_cmp_lt_i64_e32 vcc, s[20:21], v[24:25]
	v_mov_b32_e32 v24, 0x10000
	v_mov_b32_e32 v25, 0
	v_cmp_lt_u64_e64 s[0:1], s[20:21], v[24:25]
	s_and_b64 s[0:1], vcc, s[0:1]
	v_mov_b32_e32 v24, s33
	v_add_co_u32_e32 v2, vcc, s39, v2
	v_addc_co_u32_e32 v3, vcc, v3, v24, vcc
	v_add_co_u32_e32 v4, vcc, s39, v4
	v_addc_co_u32_e32 v5, vcc, v5, v24, vcc
	s_and_b64 vcc, exec, s[0:1]
	s_cbranch_vccz .LBB252_20
.LBB252_4:                              ; =>This Inner Loop Header: Depth=1
	v_mov_b32_e32 v25, s21
	v_add_co_u32_e32 v24, vcc, s20, v0
	v_addc_co_u32_e32 v25, vcc, 0, v25, vcc
	v_pk_mov_b32 v[28:29], 0, 0
	v_cmp_gt_u64_e32 vcc, s[18:19], v[24:25]
	v_pk_mov_b32 v[30:31], v[28:29], v[28:29] op_sel:[0,1]
	s_and_saveexec_b64 s[0:1], vcc
	s_cbranch_execz .LBB252_6
; %bb.5:                                ;   in Loop: Header=BB252_4 Depth=1
	global_load_dwordx2 v[30:31], v[2:3], off
.LBB252_6:                              ;   in Loop: Header=BB252_4 Depth=1
	s_or_b64 exec, exec, s[0:1]
	v_mov_b32_e32 v25, s21
	v_add_co_u32_e64 v24, s[0:1], s20, v35
	v_addc_co_u32_e64 v25, s[0:1], v36, v25, s[0:1]
	v_cmp_gt_u64_e64 s[6:7], s[18:19], v[24:25]
	s_and_saveexec_b64 s[0:1], s[6:7]
	s_cbranch_execz .LBB252_8
; %bb.7:                                ;   in Loop: Header=BB252_4 Depth=1
	global_load_dwordx2 v[28:29], v[4:5], off
.LBB252_8:                              ;   in Loop: Header=BB252_4 Depth=1
	s_or_b64 exec, exec, s[0:1]
	v_mov_b32_e32 v25, s21
	v_add_co_u32_e64 v24, s[0:1], s20, v33
	v_addc_co_u32_e64 v25, s[0:1], v34, v25, s[0:1]
	v_cmp_gt_u64_e64 s[2:3], s[18:19], v[24:25]
	v_pk_mov_b32 v[24:25], 0, 0
	v_pk_mov_b32 v[26:27], v[24:25], v[24:25] op_sel:[0,1]
	s_and_saveexec_b64 s[8:9], s[2:3]
	s_cbranch_execz .LBB252_10
; %bb.9:                                ;   in Loop: Header=BB252_4 Depth=1
	v_mov_b32_e32 v27, s43
	v_add_co_u32_e64 v26, s[0:1], s42, v2
	v_addc_co_u32_e64 v27, s[0:1], v3, v27, s[0:1]
	global_load_dwordx2 v[26:27], v[26:27], off
.LBB252_10:                             ;   in Loop: Header=BB252_4 Depth=1
	s_or_b64 exec, exec, s[8:9]
	v_mov_b32_e32 v39, s21
	v_add_co_u32_e64 v38, s[0:1], s20, v1
	v_addc_co_u32_e64 v39, s[0:1], v32, v39, s[0:1]
	v_cmp_gt_u64_e64 s[0:1], s[18:19], v[38:39]
	s_and_saveexec_b64 s[36:37], s[0:1]
	s_cbranch_execnz .LBB252_15
; %bb.11:                               ;   in Loop: Header=BB252_4 Depth=1
	s_or_b64 exec, exec, s[36:37]
	s_and_saveexec_b64 s[36:37], vcc
	s_cbranch_execnz .LBB252_16
.LBB252_12:                             ;   in Loop: Header=BB252_4 Depth=1
	s_or_b64 exec, exec, s[36:37]
	s_and_saveexec_b64 s[8:9], s[6:7]
	s_cbranch_execnz .LBB252_17
.LBB252_13:                             ;   in Loop: Header=BB252_4 Depth=1
	s_or_b64 exec, exec, s[8:9]
	s_and_saveexec_b64 s[6:7], s[2:3]
	s_cbranch_execnz .LBB252_18
.LBB252_14:                             ;   in Loop: Header=BB252_4 Depth=1
	s_or_b64 exec, exec, s[6:7]
	s_and_saveexec_b64 s[2:3], s[0:1]
	s_cbranch_execz .LBB252_3
	s_branch .LBB252_19
.LBB252_15:                             ;   in Loop: Header=BB252_4 Depth=1
	v_mov_b32_e32 v25, s41
	v_add_co_u32_e64 v24, s[8:9], s40, v2
	v_addc_co_u32_e64 v25, s[8:9], v3, v25, s[8:9]
	global_load_dwordx2 v[24:25], v[24:25], off
	s_or_b64 exec, exec, s[36:37]
	s_and_saveexec_b64 s[36:37], vcc
	s_cbranch_execz .LBB252_12
.LBB252_16:                             ;   in Loop: Header=BB252_4 Depth=1
	s_waitcnt vmcnt(0)
	v_mul_f64 v[38:39], v[30:31], s[22:23]
	v_rndne_f64_e32 v[38:39], v[38:39]
	v_fma_f64 v[40:41], v[38:39], s[24:25], -v[30:31]
	v_fmac_f64_e32 v[40:41], s[26:27], v[38:39]
	v_pk_mov_b32 v[42:43], v[6:7], v[6:7] op_sel:[0,1]
	v_fmac_f64_e32 v[42:43], s[28:29], v[40:41]
	v_pk_mov_b32 v[44:45], v[8:9], v[8:9] op_sel:[0,1]
	;; [unrolled: 2-line block ×9, first 2 shown]
	v_fmac_f64_e32 v[42:43], v[40:41], v[44:45]
	v_fma_f64 v[42:43], v[40:41], v[42:43], 1.0
	v_fma_f64 v[40:41], v[40:41], v[42:43], 1.0
	v_cvt_i32_f64_e32 v38, v[38:39]
	v_ldexp_f64 v[38:39], v[40:41], v38
	v_cmp_ngt_f64_e32 vcc, s[30:31], v[30:31]
	v_cmp_nlt_f64_e64 s[8:9], s[34:35], v[30:31]
	v_cndmask_b32_e32 v39, v37, v39, vcc
	s_and_b64 vcc, s[8:9], vcc
	v_cndmask_b32_e64 v31, 0, v39, s[8:9]
	v_cndmask_b32_e32 v30, 0, v38, vcc
	v_add_f64 v[30:31], v[30:31], s[10:11]
	v_div_scale_f64 v[38:39], s[8:9], v[30:31], v[30:31], s[10:11]
	v_rcp_f64_e32 v[40:41], v[38:39]
	v_fma_f64 v[42:43], -v[38:39], v[40:41], 1.0
	v_fmac_f64_e32 v[40:41], v[40:41], v[42:43]
	v_fma_f64 v[42:43], -v[38:39], v[40:41], 1.0
	v_fmac_f64_e32 v[40:41], v[40:41], v[42:43]
	v_div_scale_f64 v[42:43], vcc, s[10:11], v[30:31], s[10:11]
	v_mul_f64 v[44:45], v[42:43], v[40:41]
	v_fma_f64 v[38:39], -v[38:39], v[44:45], v[42:43]
	s_nop 1
	v_div_fmas_f64 v[38:39], v[38:39], v[40:41], v[44:45]
	v_div_fixup_f64 v[30:31], v[38:39], v[30:31], s[10:11]
	global_store_dwordx2 v[2:3], v[30:31], off
	s_or_b64 exec, exec, s[36:37]
	s_and_saveexec_b64 s[8:9], s[6:7]
	s_cbranch_execz .LBB252_13
.LBB252_17:                             ;   in Loop: Header=BB252_4 Depth=1
	s_waitcnt vmcnt(0)
	v_mul_f64 v[30:31], v[28:29], s[22:23]
	v_rndne_f64_e32 v[30:31], v[30:31]
	v_fma_f64 v[38:39], v[30:31], s[24:25], -v[28:29]
	v_fmac_f64_e32 v[38:39], s[26:27], v[30:31]
	v_pk_mov_b32 v[40:41], v[6:7], v[6:7] op_sel:[0,1]
	v_fmac_f64_e32 v[40:41], s[28:29], v[38:39]
	v_pk_mov_b32 v[42:43], v[8:9], v[8:9] op_sel:[0,1]
	;; [unrolled: 2-line block ×9, first 2 shown]
	v_fmac_f64_e32 v[40:41], v[38:39], v[42:43]
	v_fma_f64 v[40:41], v[38:39], v[40:41], 1.0
	v_fma_f64 v[38:39], v[38:39], v[40:41], 1.0
	v_cvt_i32_f64_e32 v30, v[30:31]
	v_ldexp_f64 v[30:31], v[38:39], v30
	v_cmp_ngt_f64_e32 vcc, s[30:31], v[28:29]
	v_cmp_nlt_f64_e64 s[6:7], s[34:35], v[28:29]
	v_cndmask_b32_e32 v31, v37, v31, vcc
	s_and_b64 vcc, s[6:7], vcc
	v_cndmask_b32_e64 v29, 0, v31, s[6:7]
	v_cndmask_b32_e32 v28, 0, v30, vcc
	v_add_f64 v[28:29], v[28:29], s[10:11]
	v_div_scale_f64 v[30:31], s[6:7], v[28:29], v[28:29], s[10:11]
	v_rcp_f64_e32 v[38:39], v[30:31]
	v_fma_f64 v[40:41], -v[30:31], v[38:39], 1.0
	v_fmac_f64_e32 v[38:39], v[38:39], v[40:41]
	v_fma_f64 v[40:41], -v[30:31], v[38:39], 1.0
	v_fmac_f64_e32 v[38:39], v[38:39], v[40:41]
	v_div_scale_f64 v[40:41], vcc, s[10:11], v[28:29], s[10:11]
	v_mul_f64 v[42:43], v[40:41], v[38:39]
	v_fma_f64 v[30:31], -v[30:31], v[42:43], v[40:41]
	s_nop 1
	v_div_fmas_f64 v[30:31], v[30:31], v[38:39], v[42:43]
	v_div_fixup_f64 v[28:29], v[30:31], v[28:29], s[10:11]
	global_store_dwordx2 v[4:5], v[28:29], off
	s_or_b64 exec, exec, s[8:9]
	s_and_saveexec_b64 s[6:7], s[2:3]
	s_cbranch_execz .LBB252_14
.LBB252_18:                             ;   in Loop: Header=BB252_4 Depth=1
	s_waitcnt vmcnt(0)
	v_mul_f64 v[28:29], v[26:27], s[22:23]
	v_rndne_f64_e32 v[28:29], v[28:29]
	v_fma_f64 v[30:31], v[28:29], s[24:25], -v[26:27]
	v_fmac_f64_e32 v[30:31], s[26:27], v[28:29]
	v_pk_mov_b32 v[38:39], v[6:7], v[6:7] op_sel:[0,1]
	v_fmac_f64_e32 v[38:39], s[28:29], v[30:31]
	v_pk_mov_b32 v[40:41], v[8:9], v[8:9] op_sel:[0,1]
	;; [unrolled: 2-line block ×9, first 2 shown]
	v_fmac_f64_e32 v[38:39], v[30:31], v[40:41]
	v_fma_f64 v[38:39], v[30:31], v[38:39], 1.0
	v_fma_f64 v[30:31], v[30:31], v[38:39], 1.0
	v_cvt_i32_f64_e32 v28, v[28:29]
	v_ldexp_f64 v[28:29], v[30:31], v28
	v_cmp_ngt_f64_e32 vcc, s[30:31], v[26:27]
	v_cmp_nlt_f64_e64 s[2:3], s[34:35], v[26:27]
	v_cndmask_b32_e32 v29, v37, v29, vcc
	s_and_b64 vcc, s[2:3], vcc
	v_cndmask_b32_e64 v27, 0, v29, s[2:3]
	v_cndmask_b32_e32 v26, 0, v28, vcc
	v_add_f64 v[26:27], v[26:27], s[10:11]
	v_div_scale_f64 v[28:29], s[2:3], v[26:27], v[26:27], s[10:11]
	v_rcp_f64_e32 v[30:31], v[28:29]
	v_fma_f64 v[38:39], -v[28:29], v[30:31], 1.0
	v_fmac_f64_e32 v[30:31], v[30:31], v[38:39]
	v_fma_f64 v[38:39], -v[28:29], v[30:31], 1.0
	v_fmac_f64_e32 v[30:31], v[30:31], v[38:39]
	v_div_scale_f64 v[38:39], vcc, s[10:11], v[26:27], s[10:11]
	v_mul_f64 v[40:41], v[38:39], v[30:31]
	v_fma_f64 v[28:29], -v[28:29], v[40:41], v[38:39]
	s_nop 1
	v_div_fmas_f64 v[28:29], v[28:29], v[30:31], v[40:41]
	v_div_fixup_f64 v[26:27], v[28:29], v[26:27], s[10:11]
	v_mov_b32_e32 v29, s43
	v_add_co_u32_e32 v28, vcc, s42, v2
	v_addc_co_u32_e32 v29, vcc, v3, v29, vcc
	global_store_dwordx2 v[28:29], v[26:27], off
	s_or_b64 exec, exec, s[6:7]
	s_and_saveexec_b64 s[2:3], s[0:1]
	s_cbranch_execz .LBB252_3
.LBB252_19:                             ;   in Loop: Header=BB252_4 Depth=1
	s_waitcnt vmcnt(0)
	v_mul_f64 v[26:27], v[24:25], s[22:23]
	v_rndne_f64_e32 v[26:27], v[26:27]
	v_fma_f64 v[28:29], v[26:27], s[24:25], -v[24:25]
	v_fmac_f64_e32 v[28:29], s[26:27], v[26:27]
	v_pk_mov_b32 v[30:31], v[6:7], v[6:7] op_sel:[0,1]
	v_fmac_f64_e32 v[30:31], s[28:29], v[28:29]
	v_pk_mov_b32 v[38:39], v[8:9], v[8:9] op_sel:[0,1]
	;; [unrolled: 2-line block ×9, first 2 shown]
	v_fmac_f64_e32 v[30:31], v[28:29], v[38:39]
	v_fma_f64 v[30:31], v[28:29], v[30:31], 1.0
	v_fma_f64 v[28:29], v[28:29], v[30:31], 1.0
	v_cvt_i32_f64_e32 v26, v[26:27]
	v_ldexp_f64 v[26:27], v[28:29], v26
	v_cmp_ngt_f64_e32 vcc, s[30:31], v[24:25]
	v_cmp_nlt_f64_e64 s[0:1], s[34:35], v[24:25]
	v_cndmask_b32_e32 v27, v37, v27, vcc
	s_and_b64 vcc, s[0:1], vcc
	v_cndmask_b32_e64 v25, 0, v27, s[0:1]
	v_cndmask_b32_e32 v24, 0, v26, vcc
	v_add_f64 v[24:25], v[24:25], s[10:11]
	v_div_scale_f64 v[26:27], s[0:1], v[24:25], v[24:25], s[10:11]
	v_rcp_f64_e32 v[28:29], v[26:27]
	v_fma_f64 v[30:31], -v[26:27], v[28:29], 1.0
	v_fmac_f64_e32 v[28:29], v[28:29], v[30:31]
	v_fma_f64 v[30:31], -v[26:27], v[28:29], 1.0
	v_fmac_f64_e32 v[28:29], v[28:29], v[30:31]
	v_div_scale_f64 v[30:31], vcc, s[10:11], v[24:25], s[10:11]
	v_mul_f64 v[38:39], v[30:31], v[28:29]
	v_fma_f64 v[26:27], -v[26:27], v[38:39], v[30:31]
	s_nop 1
	v_div_fmas_f64 v[26:27], v[26:27], v[28:29], v[38:39]
	v_div_fixup_f64 v[24:25], v[26:27], v[24:25], s[10:11]
	v_mov_b32_e32 v27, s41
	v_add_co_u32_e32 v26, vcc, s40, v2
	v_addc_co_u32_e32 v27, vcc, v3, v27, vcc
	global_store_dwordx2 v[26:27], v[24:25], off
	s_branch .LBB252_3
.LBB252_20:
	s_cbranch_execz .LBB252_22
	s_branch .LBB252_25
.LBB252_21:
.LBB252_22:
	v_mov_b32_e32 v3, 0
	v_lshlrev_b32_e32 v2, 2, v0
	s_mov_b32 s0, 0
	v_cmp_gt_i64_e32 vcc, s[12:13], v[2:3]
	s_and_saveexec_b64 s[2:3], vcc
	s_cbranch_execz .LBB252_25
; %bb.23:
	s_load_dword s1, s[4:5], 0xd44
	v_lshlrev_b32_e32 v1, 5, v0
	s_mov_b32 s8, 0x652b82fe
	s_mov_b32 s18, 0x6a5dcb37
	;; [unrolled: 1-line block ×3, first 2 shown]
	s_waitcnt lgkmcnt(0)
	s_and_b32 s1, s1, 0xffff
	s_lshl_b32 s33, s1, 2
	s_add_u32 s2, s14, s16
	s_addc_u32 s3, s15, s17
	v_add_lshl_u32 v2, v0, s1, 2
	v_mov_b32_e32 v0, s3
	v_add_co_u32_e32 v1, vcc, s2, v1
	v_addc_co_u32_e32 v4, vcc, 0, v0, vcc
	s_mov_b32 s2, 0xfca7ab0c
	v_add_co_u32_e32 v0, vcc, 16, v1
	s_mov_b32 s14, 0xfefa39ef
	s_mov_b32 s16, 0x3b39803f
	s_mov_b32 s3, 0x3e928af3
	s_mov_b32 s22, 0x7c89e6b0
	s_mov_b32 s24, 0x14761f6e
	s_mov_b32 s26, 0x1852b7b0
	s_mov_b32 s28, 0x11122322
	s_mov_b32 s30, 0x555502a1
	s_mov_b32 s34, 0x55555511
	s_mov_b32 s36, 11
	s_mov_b32 s38, 0
	s_mov_b32 s40, 0
	v_addc_co_u32_e32 v1, vcc, 0, v4, vcc
	s_lshl_b32 s44, s1, 5
	s_mov_b64 s[6:7], 0
	s_mov_b32 s9, 0xbff71547
	s_mov_b32 s15, 0xbfe62e42
	s_mov_b32 s17, 0xbc7abc9e
	s_mov_b32 s19, 0x3e5ade15
	v_pk_mov_b32 v[4:5], s[2:3], s[2:3] op_sel:[0,1]
	s_mov_b32 s21, 0x3ec71dee
	s_mov_b32 s23, 0x3efa0199
	;; [unrolled: 1-line block ×9, first 2 shown]
	v_mov_b32_e32 v6, 0x7ff00000
	s_mov_b32 s41, 0x4090cc00
	s_mov_b64 s[42:43], 0xffff
	v_mov_b32_e32 v7, s0
	v_mov_b32_e32 v8, s0
.LBB252_24:                             ; =>This Inner Loop Header: Depth=1
	global_load_dwordx4 v[10:13], v[0:1], off offset:-16
	global_load_dwordx4 v[14:17], v[0:1], off
	s_waitcnt vmcnt(1)
	v_mul_f64 v[18:19], v[10:11], s[8:9]
	v_mul_f64 v[20:21], v[12:13], s[8:9]
	v_rndne_f64_e32 v[18:19], v[18:19]
	v_rndne_f64_e32 v[20:21], v[20:21]
	v_fma_f64 v[24:25], v[18:19], s[14:15], -v[10:11]
	s_waitcnt vmcnt(0)
	v_mul_f64 v[22:23], v[14:15], s[8:9]
	v_fma_f64 v[26:27], v[20:21], s[14:15], -v[12:13]
	v_fmac_f64_e32 v[24:25], s[16:17], v[18:19]
	v_rndne_f64_e32 v[22:23], v[22:23]
	v_cvt_i32_f64_e32 v9, v[18:19]
	v_fmac_f64_e32 v[26:27], s[16:17], v[20:21]
	v_fma_f64 v[18:19], s[18:19], v[24:25], v[4:5]
	v_cvt_i32_f64_e32 v30, v[20:21]
	v_fma_f64 v[28:29], v[22:23], s[14:15], -v[14:15]
	v_fma_f64 v[20:21], s[18:19], v[26:27], v[4:5]
	v_fma_f64 v[18:19], v[24:25], v[18:19], s[20:21]
	v_fmac_f64_e32 v[28:29], s[16:17], v[22:23]
	v_fma_f64 v[20:21], v[26:27], v[20:21], s[20:21]
	v_fma_f64 v[18:19], v[24:25], v[18:19], s[22:23]
	v_cvt_i32_f64_e32 v31, v[22:23]
	v_fma_f64 v[22:23], s[18:19], v[28:29], v[4:5]
	v_fma_f64 v[20:21], v[26:27], v[20:21], s[22:23]
	v_fma_f64 v[18:19], v[24:25], v[18:19], s[24:25]
	v_fma_f64 v[22:23], v[28:29], v[22:23], s[20:21]
	v_fma_f64 v[20:21], v[26:27], v[20:21], s[24:25]
	v_fma_f64 v[18:19], v[24:25], v[18:19], s[26:27]
	v_fma_f64 v[22:23], v[28:29], v[22:23], s[22:23]
	v_fma_f64 v[20:21], v[26:27], v[20:21], s[26:27]
	v_fma_f64 v[18:19], v[24:25], v[18:19], s[28:29]
	v_fma_f64 v[22:23], v[28:29], v[22:23], s[24:25]
	v_fma_f64 v[20:21], v[26:27], v[20:21], s[28:29]
	v_fma_f64 v[18:19], v[24:25], v[18:19], s[30:31]
	v_fma_f64 v[22:23], v[28:29], v[22:23], s[26:27]
	v_fma_f64 v[20:21], v[26:27], v[20:21], s[30:31]
	v_fma_f64 v[18:19], v[24:25], v[18:19], s[34:35]
	v_fma_f64 v[22:23], v[28:29], v[22:23], s[28:29]
	v_fma_f64 v[20:21], v[26:27], v[20:21], s[34:35]
	v_fma_f64 v[18:19], v[24:25], v[18:19], s[36:37]
	v_fma_f64 v[22:23], v[28:29], v[22:23], s[30:31]
	v_fma_f64 v[20:21], v[26:27], v[20:21], s[36:37]
	v_fma_f64 v[18:19], v[24:25], v[18:19], 1.0
	v_fma_f64 v[22:23], v[28:29], v[22:23], s[34:35]
	v_fma_f64 v[20:21], v[26:27], v[20:21], 1.0
	v_fma_f64 v[18:19], v[24:25], v[18:19], 1.0
	v_fma_f64 v[22:23], v[28:29], v[22:23], s[36:37]
	v_fma_f64 v[20:21], v[26:27], v[20:21], 1.0
	v_ldexp_f64 v[18:19], v[18:19], v9
	v_cmp_ngt_f64_e32 vcc, s[38:39], v[10:11]
	v_cmp_nlt_f64_e64 s[4:5], s[40:41], v[10:11]
	v_fma_f64 v[22:23], v[28:29], v[22:23], 1.0
	v_ldexp_f64 v[20:21], v[20:21], v30
	v_cndmask_b32_e32 v9, v6, v19, vcc
	v_cmp_ngt_f64_e64 s[0:1], s[38:39], v[12:13]
	s_and_b64 vcc, s[4:5], vcc
	v_fma_f64 v[22:23], v[28:29], v[22:23], 1.0
	v_cndmask_b32_e64 v19, v6, v21, s[0:1]
	v_cndmask_b32_e32 v10, 0, v18, vcc
	v_cmp_nlt_f64_e32 vcc, s[40:41], v[12:13]
	v_ldexp_f64 v[22:23], v[22:23], v31
	v_cmp_ngt_f64_e64 s[2:3], s[38:39], v[14:15]
	v_cndmask_b32_e64 v11, 0, v9, s[4:5]
	v_cndmask_b32_e32 v13, 0, v19, vcc
	s_and_b64 vcc, vcc, s[0:1]
	v_cndmask_b32_e64 v21, v6, v23, s[2:3]
	v_cndmask_b32_e32 v12, 0, v20, vcc
	v_cmp_nlt_f64_e32 vcc, s[40:41], v[14:15]
	v_add_f64 v[10:11], v[10:11], s[10:11]
	v_cndmask_b32_e32 v15, 0, v21, vcc
	s_and_b64 vcc, vcc, s[2:3]
	v_add_f64 v[12:13], v[12:13], s[10:11]
	v_div_scale_f64 v[18:19], s[0:1], v[10:11], v[10:11], s[10:11]
	v_cndmask_b32_e32 v14, 0, v22, vcc
	v_div_scale_f64 v[22:23], s[0:1], v[12:13], v[12:13], s[10:11]
	v_rcp_f64_e32 v[28:29], v[18:19]
	v_rcp_f64_e32 v[30:31], v[22:23]
	v_div_scale_f64 v[20:21], vcc, s[10:11], v[10:11], s[10:11]
	v_fma_f64 v[36:37], -v[18:19], v[28:29], 1.0
	v_fma_f64 v[38:39], -v[22:23], v[30:31], 1.0
	v_fmac_f64_e32 v[28:29], v[28:29], v[36:37]
	v_fmac_f64_e32 v[30:31], v[30:31], v[38:39]
	v_fma_f64 v[36:37], -v[18:19], v[28:29], 1.0
	v_fma_f64 v[38:39], -v[22:23], v[30:31], 1.0
	v_fmac_f64_e32 v[28:29], v[28:29], v[36:37]
	v_div_scale_f64 v[24:25], s[0:1], s[10:11], v[12:13], s[10:11]
	v_fmac_f64_e32 v[30:31], v[30:31], v[38:39]
	v_mul_f64 v[36:37], v[20:21], v[28:29]
	v_mul_f64 v[38:39], v[24:25], v[30:31]
	v_fma_f64 v[18:19], -v[18:19], v[36:37], v[20:21]
	v_fma_f64 v[20:21], -v[22:23], v[38:39], v[24:25]
	v_div_fmas_f64 v[18:19], v[18:19], v[28:29], v[36:37]
	s_mov_b64 vcc, s[0:1]
	v_div_fixup_f64 v[10:11], v[18:19], v[10:11], s[10:11]
	v_div_fmas_f64 v[18:19], v[20:21], v[30:31], v[38:39]
	v_div_fixup_f64 v[12:13], v[18:19], v[12:13], s[10:11]
	v_mul_f64 v[18:19], v[16:17], s[8:9]
	v_rndne_f64_e32 v[18:19], v[18:19]
	v_fma_f64 v[20:21], v[18:19], s[14:15], -v[16:17]
	v_fmac_f64_e32 v[20:21], s[16:17], v[18:19]
	v_fma_f64 v[24:25], s[18:19], v[20:21], v[4:5]
	v_fma_f64 v[24:25], v[20:21], v[24:25], s[20:21]
	;; [unrolled: 1-line block ×7, first 2 shown]
	v_add_f64 v[14:15], v[14:15], s[10:11]
	v_fma_f64 v[24:25], v[20:21], v[24:25], s[34:35]
	v_div_scale_f64 v[26:27], s[2:3], v[14:15], v[14:15], s[10:11]
	v_fma_f64 v[24:25], v[20:21], v[24:25], s[36:37]
	v_rcp_f64_e32 v[32:33], v[26:27]
	v_fma_f64 v[24:25], v[20:21], v[24:25], 1.0
	v_fma_f64 v[20:21], v[20:21], v[24:25], 1.0
	v_cvt_i32_f64_e32 v9, v[18:19]
	v_ldexp_f64 v[18:19], v[20:21], v9
	v_cmp_ngt_f64_e32 vcc, s[38:39], v[16:17]
	v_cmp_nlt_f64_e64 s[0:1], s[40:41], v[16:17]
	v_cndmask_b32_e32 v9, v6, v19, vcc
	s_and_b64 vcc, s[0:1], vcc
	v_fma_f64 v[40:41], -v[26:27], v[32:33], 1.0
	v_cndmask_b32_e64 v17, 0, v9, s[0:1]
	v_cndmask_b32_e32 v16, 0, v18, vcc
	v_fmac_f64_e32 v[32:33], v[32:33], v[40:41]
	v_add_f64 v[16:17], v[16:17], s[10:11]
	v_fma_f64 v[40:41], -v[26:27], v[32:33], 1.0
	v_div_scale_f64 v[18:19], s[0:1], v[16:17], v[16:17], s[10:11]
	v_div_scale_f64 v[34:35], s[2:3], s[10:11], v[14:15], s[10:11]
	v_fmac_f64_e32 v[32:33], v[32:33], v[40:41]
	v_rcp_f64_e32 v[20:21], v[18:19]
	v_mul_f64 v[40:41], v[34:35], v[32:33]
	v_fma_f64 v[22:23], -v[26:27], v[40:41], v[34:35]
	s_mov_b64 vcc, s[2:3]
	v_div_fmas_f64 v[22:23], v[22:23], v[32:33], v[40:41]
	v_div_fixup_f64 v[14:15], v[22:23], v[14:15], s[10:11]
	v_fma_f64 v[22:23], -v[18:19], v[20:21], 1.0
	v_fmac_f64_e32 v[20:21], v[20:21], v[22:23]
	v_fma_f64 v[22:23], -v[18:19], v[20:21], 1.0
	v_fmac_f64_e32 v[20:21], v[20:21], v[22:23]
	v_div_scale_f64 v[22:23], vcc, s[10:11], v[16:17], s[10:11]
	v_mul_f64 v[24:25], v[22:23], v[20:21]
	v_fma_f64 v[18:19], -v[18:19], v[24:25], v[22:23]
	v_cmp_lt_u64_e64 s[0:1], s[42:43], v[2:3]
	s_nop 0
	v_div_fmas_f64 v[18:19], v[18:19], v[20:21], v[24:25]
	v_cmp_le_i64_e32 vcc, s[12:13], v[2:3]
	s_or_b64 s[0:1], vcc, s[0:1]
	v_add_co_u32_e32 v2, vcc, s33, v2
	v_addc_co_u32_e32 v3, vcc, v3, v7, vcc
	v_div_fixup_f64 v[16:17], v[18:19], v[16:17], s[10:11]
	global_store_dwordx4 v[0:1], v[10:13], off offset:-16
	global_store_dwordx4 v[0:1], v[14:17], off
	s_and_b64 s[0:1], exec, s[0:1]
	v_add_co_u32_e32 v0, vcc, s44, v0
	s_or_b64 s[6:7], s[0:1], s[6:7]
	v_addc_co_u32_e32 v1, vcc, v1, v8, vcc
	s_andn2_b64 exec, exec, s[6:7]
	s_cbranch_execnz .LBB252_24
.LBB252_25:
	s_endpgm
	.section	.rodata,"a",@progbits
	.p2align	6, 0x0
	.amdhsa_kernel _ZN2at6native12_GLOBAL__N_125multi_tensor_apply_kernelINS1_18TensorListMetadataILi1EEENS1_14UnaryOpFunctorIdLi1ELi1ELi0EEEJNS0_7SigmoidIdEEEEEvT_T0_DpT1_
		.amdhsa_group_segment_fixed_size 0
		.amdhsa_private_segment_fixed_size 0
		.amdhsa_kernarg_size 3640
		.amdhsa_user_sgpr_count 6
		.amdhsa_user_sgpr_private_segment_buffer 1
		.amdhsa_user_sgpr_dispatch_ptr 0
		.amdhsa_user_sgpr_queue_ptr 0
		.amdhsa_user_sgpr_kernarg_segment_ptr 1
		.amdhsa_user_sgpr_dispatch_id 0
		.amdhsa_user_sgpr_flat_scratch_init 0
		.amdhsa_user_sgpr_kernarg_preload_length 0
		.amdhsa_user_sgpr_kernarg_preload_offset 0
		.amdhsa_user_sgpr_private_segment_size 0
		.amdhsa_uses_dynamic_stack 0
		.amdhsa_system_sgpr_private_segment_wavefront_offset 0
		.amdhsa_system_sgpr_workgroup_id_x 1
		.amdhsa_system_sgpr_workgroup_id_y 0
		.amdhsa_system_sgpr_workgroup_id_z 0
		.amdhsa_system_sgpr_workgroup_info 0
		.amdhsa_system_vgpr_workitem_id 0
		.amdhsa_next_free_vgpr 46
		.amdhsa_next_free_sgpr 45
		.amdhsa_accum_offset 48
		.amdhsa_reserve_vcc 1
		.amdhsa_reserve_flat_scratch 0
		.amdhsa_float_round_mode_32 0
		.amdhsa_float_round_mode_16_64 0
		.amdhsa_float_denorm_mode_32 3
		.amdhsa_float_denorm_mode_16_64 3
		.amdhsa_dx10_clamp 1
		.amdhsa_ieee_mode 1
		.amdhsa_fp16_overflow 0
		.amdhsa_tg_split 0
		.amdhsa_exception_fp_ieee_invalid_op 0
		.amdhsa_exception_fp_denorm_src 0
		.amdhsa_exception_fp_ieee_div_zero 0
		.amdhsa_exception_fp_ieee_overflow 0
		.amdhsa_exception_fp_ieee_underflow 0
		.amdhsa_exception_fp_ieee_inexact 0
		.amdhsa_exception_int_div_zero 0
	.end_amdhsa_kernel
	.section	.text._ZN2at6native12_GLOBAL__N_125multi_tensor_apply_kernelINS1_18TensorListMetadataILi1EEENS1_14UnaryOpFunctorIdLi1ELi1ELi0EEEJNS0_7SigmoidIdEEEEEvT_T0_DpT1_,"axG",@progbits,_ZN2at6native12_GLOBAL__N_125multi_tensor_apply_kernelINS1_18TensorListMetadataILi1EEENS1_14UnaryOpFunctorIdLi1ELi1ELi0EEEJNS0_7SigmoidIdEEEEEvT_T0_DpT1_,comdat
.Lfunc_end252:
	.size	_ZN2at6native12_GLOBAL__N_125multi_tensor_apply_kernelINS1_18TensorListMetadataILi1EEENS1_14UnaryOpFunctorIdLi1ELi1ELi0EEEJNS0_7SigmoidIdEEEEEvT_T0_DpT1_, .Lfunc_end252-_ZN2at6native12_GLOBAL__N_125multi_tensor_apply_kernelINS1_18TensorListMetadataILi1EEENS1_14UnaryOpFunctorIdLi1ELi1ELi0EEEJNS0_7SigmoidIdEEEEEvT_T0_DpT1_
                                        ; -- End function
	.section	.AMDGPU.csdata,"",@progbits
; Kernel info:
; codeLenInByte = 3608
; NumSgprs: 49
; NumVgprs: 46
; NumAgprs: 0
; TotalNumVgprs: 46
; ScratchSize: 0
; MemoryBound: 0
; FloatMode: 240
; IeeeMode: 1
; LDSByteSize: 0 bytes/workgroup (compile time only)
; SGPRBlocks: 6
; VGPRBlocks: 5
; NumSGPRsForWavesPerEU: 49
; NumVGPRsForWavesPerEU: 46
; AccumOffset: 48
; Occupancy: 8
; WaveLimiterHint : 0
; COMPUTE_PGM_RSRC2:SCRATCH_EN: 0
; COMPUTE_PGM_RSRC2:USER_SGPR: 6
; COMPUTE_PGM_RSRC2:TRAP_HANDLER: 0
; COMPUTE_PGM_RSRC2:TGID_X_EN: 1
; COMPUTE_PGM_RSRC2:TGID_Y_EN: 0
; COMPUTE_PGM_RSRC2:TGID_Z_EN: 0
; COMPUTE_PGM_RSRC2:TIDIG_COMP_CNT: 0
; COMPUTE_PGM_RSRC3_GFX90A:ACCUM_OFFSET: 11
; COMPUTE_PGM_RSRC3_GFX90A:TG_SPLIT: 0
	.section	.text._ZN2at6native12_GLOBAL__N_125multi_tensor_apply_kernelINS1_18TensorListMetadataILi1EEENS1_14UnaryOpFunctorIfLi1ELi1ELi0EEEJNS0_7SigmoidIfEEEEEvT_T0_DpT1_,"axG",@progbits,_ZN2at6native12_GLOBAL__N_125multi_tensor_apply_kernelINS1_18TensorListMetadataILi1EEENS1_14UnaryOpFunctorIfLi1ELi1ELi0EEEJNS0_7SigmoidIfEEEEEvT_T0_DpT1_,comdat
	.globl	_ZN2at6native12_GLOBAL__N_125multi_tensor_apply_kernelINS1_18TensorListMetadataILi1EEENS1_14UnaryOpFunctorIfLi1ELi1ELi0EEEJNS0_7SigmoidIfEEEEEvT_T0_DpT1_ ; -- Begin function _ZN2at6native12_GLOBAL__N_125multi_tensor_apply_kernelINS1_18TensorListMetadataILi1EEENS1_14UnaryOpFunctorIfLi1ELi1ELi0EEEJNS0_7SigmoidIfEEEEEvT_T0_DpT1_
	.p2align	8
	.type	_ZN2at6native12_GLOBAL__N_125multi_tensor_apply_kernelINS1_18TensorListMetadataILi1EEENS1_14UnaryOpFunctorIfLi1ELi1ELi0EEEJNS0_7SigmoidIfEEEEEvT_T0_DpT1_,@function
_ZN2at6native12_GLOBAL__N_125multi_tensor_apply_kernelINS1_18TensorListMetadataILi1EEENS1_14UnaryOpFunctorIfLi1ELi1ELi0EEEJNS0_7SigmoidIfEEEEEvT_T0_DpT1_: ; @_ZN2at6native12_GLOBAL__N_125multi_tensor_apply_kernelINS1_18TensorListMetadataILi1EEENS1_14UnaryOpFunctorIfLi1ELi1ELi0EEEJNS0_7SigmoidIfEEEEEvT_T0_DpT1_
; %bb.0:
	v_mov_b32_e32 v1, s6
	global_load_ubyte v1, v1, s[4:5] offset:1760
	s_add_u32 s0, s4, s6
	s_mul_hi_u32 s1, s6, 3
	s_mul_i32 s6, s6, 3
	s_addc_u32 s2, s5, 0
	s_add_u32 s0, s0, s6
	s_addc_u32 s1, s2, s1
	s_load_dword s0, s[0:1], 0x820
	s_mov_b32 s7, 0
	s_waitcnt vmcnt(0)
	v_readfirstlane_b32 s1, v1
	s_lshl_b32 s1, s1, 3
	s_load_dword s10, s[4:5], 0xd2c
	s_load_dwordx2 s[2:3], s[4:5], s1 offset:0x370
	s_load_dwordx2 s[14:15], s[4:5], s1 offset:0x0
	s_waitcnt lgkmcnt(0)
	s_ashr_i32 s1, s0, 31
	s_lshl_b64 s[16:17], s[0:1], 18
	s_lshl_b64 s[0:1], s[0:1], 16
	s_and_b32 s6, s14, 15
	s_sub_u32 s12, s2, s0
	s_subb_u32 s13, s3, s1
	s_and_b32 s0, s2, 3
	s_mov_b32 s1, s7
	s_or_b64 s[0:1], s[6:7], s[0:1]
	s_cmp_eq_u64 s[0:1], 0
	s_cbranch_scc1 .LBB253_21
; %bb.1:
	v_cmp_lt_i64_e64 s[0:1], s[12:13], 1
	s_and_b64 vcc, exec, s[0:1]
	s_cbranch_vccnz .LBB253_20
; %bb.2:
	s_load_dword s0, s[4:5], 0xd3c
	v_mov_b32_e32 v2, 0x10000
	v_mov_b32_e32 v3, 0
	v_cmp_lt_u64_e32 vcc, s[12:13], v[2:3]
	v_lshlrev_b32_e32 v1, 2, v0
	s_waitcnt lgkmcnt(0)
	s_and_b32 s2, s0, 0xffff
	s_and_b64 s[0:1], vcc, exec
	s_cselect_b32 s19, s13, 0
	s_cselect_b32 s18, s12, 0x10000
	s_lshl_b32 s3, s2, 1
	s_lshl_b32 s24, s2, 2
	s_add_u32 s6, s14, s16
	s_addc_u32 s7, s15, s17
	v_mov_b32_e32 v3, s7
	v_add_co_u32_e32 v2, vcc, s6, v1
	s_mul_i32 s0, s2, 3
	v_addc_co_u32_e32 v3, vcc, 0, v3, vcc
	v_add_co_u32_e32 v1, vcc, s0, v0
	v_addc_co_u32_e64 v6, s[0:1], 0, 0, vcc
	v_add_co_u32_e32 v7, vcc, s3, v0
	v_addc_co_u32_e64 v8, s[0:1], 0, 0, vcc
	v_add_co_u32_e32 v9, vcc, s2, v0
	v_lshlrev_b32_e32 v4, 2, v9
	s_mov_b32 s11, 0
	v_addc_co_u32_e64 v10, s[0:1], 0, 0, vcc
	v_mov_b32_e32 v5, s7
	v_add_co_u32_e32 v4, vcc, s6, v4
	s_lshl_b32 s25, s2, 4
	s_mul_i32 s26, s2, 12
	s_mov_b32 s27, s11
	s_lshl_b32 s28, s2, 3
	s_mov_b32 s29, s11
	v_addc_co_u32_e32 v5, vcc, 0, v5, vcc
	s_mov_b64 s[20:21], 0
	s_mov_b32 s30, 0xbfb8aa3b
	s_mov_b32 s31, 0x42ce8ed0
	s_mov_b32 s33, 0xc2b17218
	v_mov_b32_e32 v11, 0x7f800000
	s_branch .LBB253_4
.LBB253_3:                              ;   in Loop: Header=BB253_4 Depth=1
	s_or_b64 exec, exec, s[2:3]
	s_add_u32 s20, s20, s24
	s_addc_u32 s21, s21, 0
	s_waitcnt vmcnt(0)
	v_pk_mov_b32 v[12:13], s[12:13], s[12:13] op_sel:[0,1]
	v_cmp_lt_i64_e32 vcc, s[20:21], v[12:13]
	v_mov_b32_e32 v12, 0x10000
	v_mov_b32_e32 v13, 0
	v_cmp_lt_u64_e64 s[0:1], s[20:21], v[12:13]
	s_and_b64 s[0:1], vcc, s[0:1]
	v_mov_b32_e32 v12, s11
	v_add_co_u32_e32 v2, vcc, s25, v2
	v_addc_co_u32_e32 v3, vcc, v3, v12, vcc
	v_add_co_u32_e32 v4, vcc, s25, v4
	v_addc_co_u32_e32 v5, vcc, v5, v12, vcc
	s_and_b64 vcc, exec, s[0:1]
	s_cbranch_vccz .LBB253_20
.LBB253_4:                              ; =>This Inner Loop Header: Depth=1
	v_mov_b32_e32 v13, s21
	v_add_co_u32_e32 v12, vcc, s20, v0
	v_addc_co_u32_e32 v13, vcc, 0, v13, vcc
	v_cmp_gt_u64_e32 vcc, s[18:19], v[12:13]
	v_mov_b32_e32 v15, 0
	s_and_saveexec_b64 s[0:1], vcc
	s_cbranch_execz .LBB253_6
; %bb.5:                                ;   in Loop: Header=BB253_4 Depth=1
	global_load_dword v15, v[2:3], off
.LBB253_6:                              ;   in Loop: Header=BB253_4 Depth=1
	s_or_b64 exec, exec, s[0:1]
	v_mov_b32_e32 v13, s21
	v_add_co_u32_e64 v12, s[0:1], s20, v9
	v_addc_co_u32_e64 v13, s[0:1], v10, v13, s[0:1]
	v_cmp_gt_u64_e64 s[6:7], s[18:19], v[12:13]
	v_mov_b32_e32 v14, 0
	s_and_saveexec_b64 s[0:1], s[6:7]
	s_cbranch_execz .LBB253_8
; %bb.7:                                ;   in Loop: Header=BB253_4 Depth=1
	global_load_dword v14, v[4:5], off
.LBB253_8:                              ;   in Loop: Header=BB253_4 Depth=1
	s_or_b64 exec, exec, s[0:1]
	v_mov_b32_e32 v13, s21
	v_add_co_u32_e64 v12, s[0:1], s20, v7
	v_addc_co_u32_e64 v13, s[0:1], v8, v13, s[0:1]
	v_cmp_gt_u64_e64 s[2:3], s[18:19], v[12:13]
	v_mov_b32_e32 v12, 0
	v_mov_b32_e32 v13, 0
	s_and_saveexec_b64 s[8:9], s[2:3]
	s_cbranch_execz .LBB253_10
; %bb.9:                                ;   in Loop: Header=BB253_4 Depth=1
	v_mov_b32_e32 v13, s29
	v_add_co_u32_e64 v16, s[0:1], s28, v2
	v_addc_co_u32_e64 v17, s[0:1], v3, v13, s[0:1]
	global_load_dword v13, v[16:17], off
.LBB253_10:                             ;   in Loop: Header=BB253_4 Depth=1
	s_or_b64 exec, exec, s[8:9]
	v_mov_b32_e32 v17, s21
	v_add_co_u32_e64 v16, s[0:1], s20, v1
	v_addc_co_u32_e64 v17, s[0:1], v6, v17, s[0:1]
	v_cmp_gt_u64_e64 s[0:1], s[18:19], v[16:17]
	s_and_saveexec_b64 s[22:23], s[0:1]
	s_cbranch_execnz .LBB253_15
; %bb.11:                               ;   in Loop: Header=BB253_4 Depth=1
	s_or_b64 exec, exec, s[22:23]
	s_and_saveexec_b64 s[8:9], vcc
	s_cbranch_execnz .LBB253_16
.LBB253_12:                             ;   in Loop: Header=BB253_4 Depth=1
	s_or_b64 exec, exec, s[8:9]
	s_and_saveexec_b64 s[8:9], s[6:7]
	s_cbranch_execnz .LBB253_17
.LBB253_13:                             ;   in Loop: Header=BB253_4 Depth=1
	s_or_b64 exec, exec, s[8:9]
	s_and_saveexec_b64 s[6:7], s[2:3]
	s_cbranch_execnz .LBB253_18
.LBB253_14:                             ;   in Loop: Header=BB253_4 Depth=1
	s_or_b64 exec, exec, s[6:7]
	s_and_saveexec_b64 s[2:3], s[0:1]
	s_cbranch_execz .LBB253_3
	s_branch .LBB253_19
.LBB253_15:                             ;   in Loop: Header=BB253_4 Depth=1
	v_mov_b32_e32 v12, s27
	v_add_co_u32_e64 v16, s[8:9], s26, v2
	v_addc_co_u32_e64 v17, s[8:9], v3, v12, s[8:9]
	global_load_dword v12, v[16:17], off
	s_or_b64 exec, exec, s[22:23]
	s_and_saveexec_b64 s[8:9], vcc
	s_cbranch_execz .LBB253_12
.LBB253_16:                             ;   in Loop: Header=BB253_4 Depth=1
	s_waitcnt vmcnt(0)
	v_mul_f32_e32 v16, 0xbfb8aa3b, v15
	v_rndne_f32_e32 v17, v16
	v_sub_f32_e32 v18, v16, v17
	v_fma_f32 v16, v15, s30, -v16
	v_fmac_f32_e32 v16, 0xb2a5705f, v15
	v_add_f32_e32 v16, v18, v16
	v_cvt_i32_f32_e32 v17, v17
	v_exp_f32_e32 v16, v16
	v_cmp_nlt_f32_e32 vcc, s31, v15
	v_ldexp_f32 v16, v16, v17
	v_cndmask_b32_e32 v16, 0, v16, vcc
	v_cmp_ngt_f32_e32 vcc, s33, v15
	v_cndmask_b32_e32 v15, v11, v16, vcc
	v_add_f32_e32 v15, s10, v15
	v_div_scale_f32 v16, s[22:23], v15, v15, s10
	v_rcp_f32_e32 v17, v16
	v_fma_f32 v18, -v16, v17, 1.0
	v_fmac_f32_e32 v17, v18, v17
	v_div_scale_f32 v18, vcc, s10, v15, s10
	v_mul_f32_e32 v19, v18, v17
	v_fma_f32 v20, -v16, v19, v18
	v_fmac_f32_e32 v19, v20, v17
	v_fma_f32 v16, -v16, v19, v18
	v_div_fmas_f32 v16, v16, v17, v19
	v_div_fixup_f32 v15, v16, v15, s10
	global_store_dword v[2:3], v15, off
	s_or_b64 exec, exec, s[8:9]
	s_and_saveexec_b64 s[8:9], s[6:7]
	s_cbranch_execz .LBB253_13
.LBB253_17:                             ;   in Loop: Header=BB253_4 Depth=1
	s_waitcnt vmcnt(0)
	v_mul_f32_e32 v15, 0xbfb8aa3b, v14
	v_rndne_f32_e32 v16, v15
	v_sub_f32_e32 v17, v15, v16
	v_fma_f32 v15, v14, s30, -v15
	v_fmac_f32_e32 v15, 0xb2a5705f, v14
	v_add_f32_e32 v15, v17, v15
	v_cvt_i32_f32_e32 v16, v16
	v_exp_f32_e32 v15, v15
	v_cmp_nlt_f32_e32 vcc, s31, v14
	v_ldexp_f32 v15, v15, v16
	v_cndmask_b32_e32 v15, 0, v15, vcc
	v_cmp_ngt_f32_e32 vcc, s33, v14
	v_cndmask_b32_e32 v14, v11, v15, vcc
	v_add_f32_e32 v14, s10, v14
	v_div_scale_f32 v15, s[6:7], v14, v14, s10
	v_rcp_f32_e32 v16, v15
	v_fma_f32 v17, -v15, v16, 1.0
	v_fmac_f32_e32 v16, v17, v16
	v_div_scale_f32 v17, vcc, s10, v14, s10
	v_mul_f32_e32 v18, v17, v16
	v_fma_f32 v19, -v15, v18, v17
	v_fmac_f32_e32 v18, v19, v16
	v_fma_f32 v15, -v15, v18, v17
	v_div_fmas_f32 v15, v15, v16, v18
	v_div_fixup_f32 v14, v15, v14, s10
	global_store_dword v[4:5], v14, off
	s_or_b64 exec, exec, s[8:9]
	s_and_saveexec_b64 s[6:7], s[2:3]
	s_cbranch_execz .LBB253_14
.LBB253_18:                             ;   in Loop: Header=BB253_4 Depth=1
	s_waitcnt vmcnt(0)
	v_mul_f32_e32 v14, 0xbfb8aa3b, v13
	v_rndne_f32_e32 v15, v14
	v_sub_f32_e32 v16, v14, v15
	v_fma_f32 v14, v13, s30, -v14
	v_fmac_f32_e32 v14, 0xb2a5705f, v13
	v_add_f32_e32 v14, v16, v14
	v_cvt_i32_f32_e32 v15, v15
	v_exp_f32_e32 v14, v14
	v_cmp_nlt_f32_e32 vcc, s31, v13
	v_ldexp_f32 v14, v14, v15
	v_cndmask_b32_e32 v14, 0, v14, vcc
	v_cmp_ngt_f32_e32 vcc, s33, v13
	v_cndmask_b32_e32 v13, v11, v14, vcc
	v_add_f32_e32 v13, s10, v13
	v_div_scale_f32 v14, s[2:3], v13, v13, s10
	v_rcp_f32_e32 v15, v14
	v_fma_f32 v16, -v14, v15, 1.0
	v_fmac_f32_e32 v15, v16, v15
	v_div_scale_f32 v16, vcc, s10, v13, s10
	v_mul_f32_e32 v17, v16, v15
	v_fma_f32 v18, -v14, v17, v16
	v_fmac_f32_e32 v17, v18, v15
	v_fma_f32 v14, -v14, v17, v16
	v_div_fmas_f32 v14, v14, v15, v17
	v_div_fixup_f32 v13, v14, v13, s10
	v_mov_b32_e32 v15, s29
	v_add_co_u32_e32 v14, vcc, s28, v2
	v_addc_co_u32_e32 v15, vcc, v3, v15, vcc
	global_store_dword v[14:15], v13, off
	s_or_b64 exec, exec, s[6:7]
	s_and_saveexec_b64 s[2:3], s[0:1]
	s_cbranch_execz .LBB253_3
.LBB253_19:                             ;   in Loop: Header=BB253_4 Depth=1
	s_waitcnt vmcnt(0)
	v_mul_f32_e32 v13, 0xbfb8aa3b, v12
	v_rndne_f32_e32 v14, v13
	v_sub_f32_e32 v15, v13, v14
	v_fma_f32 v13, v12, s30, -v13
	v_fmac_f32_e32 v13, 0xb2a5705f, v12
	v_add_f32_e32 v13, v15, v13
	v_cvt_i32_f32_e32 v14, v14
	v_exp_f32_e32 v13, v13
	v_cmp_nlt_f32_e32 vcc, s31, v12
	v_ldexp_f32 v13, v13, v14
	v_cndmask_b32_e32 v13, 0, v13, vcc
	v_cmp_ngt_f32_e32 vcc, s33, v12
	v_cndmask_b32_e32 v12, v11, v13, vcc
	v_add_f32_e32 v12, s10, v12
	v_div_scale_f32 v13, s[0:1], v12, v12, s10
	v_rcp_f32_e32 v14, v13
	v_fma_f32 v15, -v13, v14, 1.0
	v_fmac_f32_e32 v14, v15, v14
	v_div_scale_f32 v15, vcc, s10, v12, s10
	v_mul_f32_e32 v16, v15, v14
	v_fma_f32 v17, -v13, v16, v15
	v_fmac_f32_e32 v16, v17, v14
	v_fma_f32 v13, -v13, v16, v15
	v_div_fmas_f32 v13, v13, v14, v16
	v_div_fixup_f32 v14, v13, v12, s10
	v_mov_b32_e32 v13, s27
	v_add_co_u32_e32 v12, vcc, s26, v2
	v_addc_co_u32_e32 v13, vcc, v3, v13, vcc
	global_store_dword v[12:13], v14, off
	s_branch .LBB253_3
.LBB253_20:
	s_cbranch_execz .LBB253_22
	s_branch .LBB253_25
.LBB253_21:
.LBB253_22:
	v_mov_b32_e32 v3, 0
	v_lshlrev_b32_e32 v2, 2, v0
	s_mov_b32 s0, 0
	v_cmp_gt_i64_e32 vcc, s[12:13], v[2:3]
	s_and_saveexec_b64 s[2:3], vcc
	s_cbranch_execz .LBB253_25
; %bb.23:
	s_load_dword s1, s[4:5], 0xd3c
	v_lshlrev_b32_e32 v1, 4, v0
	s_mov_b32 s11, s10
	s_mov_b64 s[6:7], 0
	s_mov_b32 s18, 0xc2b17218
	s_waitcnt lgkmcnt(0)
	s_and_b32 s1, s1, 0xffff
	s_add_u32 s2, s14, s16
	s_addc_u32 s3, s15, s17
	v_mov_b32_e32 v2, s3
	v_add_co_u32_e32 v1, vcc, s2, v1
	v_addc_co_u32_e32 v2, vcc, 0, v2, vcc
	v_add_co_u32_e32 v4, vcc, 8, v1
	v_addc_co_u32_e32 v5, vcc, 0, v2, vcc
	s_lshl_b32 s14, s1, 4
	v_add_lshl_u32 v2, v0, s1, 2
	s_lshl_b32 s15, s1, 2
	s_mov_b32 s16, 0xbfb8aa3b
	s_mov_b32 s17, 0x42ce8ed0
	v_mov_b32_e32 v0, 0x7f800000
	s_mov_b64 s[8:9], 0xffff
	v_mov_b32_e32 v1, s0
	v_mov_b32_e32 v6, s0
.LBB253_24:                             ; =>This Inner Loop Header: Depth=1
	global_load_dwordx4 v[8:11], v[4:5], off offset:-8
	s_waitcnt vmcnt(0)
	v_mul_f32_e32 v7, 0xbfb8aa3b, v9
	v_mul_f32_e32 v12, 0xbfb8aa3b, v8
	v_rndne_f32_e32 v15, v7
	v_fma_f32 v16, v9, s16, -v7
	v_mul_f32_e32 v13, 0xbfb8aa3b, v11
	v_rndne_f32_e32 v17, v12
	v_fma_f32 v18, v8, s16, -v12
	v_sub_f32_e32 v7, v7, v15
	v_fmac_f32_e32 v16, 0xb2a5705f, v9
	v_mul_f32_e32 v14, 0xbfb8aa3b, v10
	v_rndne_f32_e32 v19, v13
	v_fma_f32 v20, v11, s16, -v13
	v_sub_f32_e32 v12, v12, v17
	v_fmac_f32_e32 v18, 0xb2a5705f, v8
	v_add_f32_e32 v7, v7, v16
	v_rndne_f32_e32 v21, v14
	v_fma_f32 v22, v10, s16, -v14
	v_cvt_i32_f32_e32 v15, v15
	v_sub_f32_e32 v13, v13, v19
	v_fmac_f32_e32 v20, 0xb2a5705f, v11
	v_add_f32_e32 v12, v12, v18
	v_exp_f32_e32 v7, v7
	v_cvt_i32_f32_e32 v17, v17
	v_sub_f32_e32 v14, v14, v21
	v_fmac_f32_e32 v22, 0xb2a5705f, v10
	v_add_f32_e32 v13, v13, v20
	v_exp_f32_e32 v12, v12
	v_cvt_i32_f32_e32 v19, v19
	v_add_f32_e32 v14, v14, v22
	v_exp_f32_e32 v13, v13
	v_cvt_i32_f32_e32 v21, v21
	v_exp_f32_e32 v14, v14
	v_ldexp_f32 v7, v7, v15
	v_cmp_nlt_f32_e32 vcc, s17, v9
	v_ldexp_f32 v12, v12, v17
	v_cndmask_b32_e32 v7, 0, v7, vcc
	v_cmp_nlt_f32_e32 vcc, s17, v8
	v_ldexp_f32 v13, v13, v19
	v_cndmask_b32_e32 v12, 0, v12, vcc
	;; [unrolled: 3-line block ×3, first 2 shown]
	v_cmp_nlt_f32_e32 vcc, s17, v10
	v_cndmask_b32_e32 v14, 0, v14, vcc
	v_cmp_ngt_f32_e32 vcc, s18, v9
	v_cndmask_b32_e32 v9, v0, v7, vcc
	v_cmp_ngt_f32_e32 vcc, s18, v8
	;; [unrolled: 2-line block ×4, first 2 shown]
	v_pk_add_f32 v[8:9], v[8:9], s[10:11]
	v_cndmask_b32_e32 v10, v0, v14, vcc
	v_div_scale_f32 v7, s[0:1], v9, v9, s11
	v_pk_add_f32 v[10:11], v[10:11], s[10:11]
	v_div_scale_f32 v13, s[0:1], v8, v8, s10
	v_rcp_f32_e32 v19, v7
	v_div_scale_f32 v15, s[2:3], v11, v11, s11
	v_rcp_f32_e32 v20, v13
	v_rcp_f32_e32 v21, v15
	v_div_scale_f32 v17, s[4:5], v10, v10, s10
	v_rcp_f32_e32 v22, v17
	v_fma_f32 v23, -v7, v19, 1.0
	v_div_scale_f32 v12, vcc, s11, v9, s11
	v_fma_f32 v24, -v13, v20, 1.0
	v_fmac_f32_e32 v19, v23, v19
	v_div_scale_f32 v14, s[0:1], s10, v8, s10
	v_fma_f32 v25, -v15, v21, 1.0
	v_fmac_f32_e32 v20, v24, v20
	v_mul_f32_e32 v23, v12, v19
	v_div_scale_f32 v16, s[2:3], s11, v11, s11
	v_fmac_f32_e32 v21, v25, v21
	v_mul_f32_e32 v24, v14, v20
	v_fma_f32 v27, -v7, v23, v12
	v_fma_f32 v26, -v17, v22, 1.0
	v_mul_f32_e32 v25, v16, v21
	v_fma_f32 v28, -v13, v24, v14
	v_fmac_f32_e32 v23, v27, v19
	v_div_scale_f32 v18, s[4:5], s10, v10, s10
	v_fmac_f32_e32 v22, v26, v22
	v_fma_f32 v29, -v15, v25, v16
	v_fmac_f32_e32 v24, v28, v20
	v_fma_f32 v7, -v7, v23, v12
	v_mul_f32_e32 v26, v18, v22
	v_fmac_f32_e32 v25, v29, v21
	v_fma_f32 v12, -v13, v24, v14
	v_div_fmas_f32 v7, v7, v19, v23
	s_mov_b64 vcc, s[0:1]
	v_fma_f32 v30, -v17, v26, v18
	v_fma_f32 v13, -v15, v25, v16
	v_div_fixup_f32 v9, v7, v9, s11
	v_div_fmas_f32 v7, v12, v20, v24
	s_mov_b64 vcc, s[2:3]
	v_fmac_f32_e32 v26, v30, v22
	v_div_fixup_f32 v8, v7, v8, s10
	v_div_fmas_f32 v7, v13, v21, v25
	v_div_fixup_f32 v11, v7, v11, s11
	v_fma_f32 v7, -v17, v26, v18
	s_mov_b64 vcc, s[4:5]
	v_div_fmas_f32 v7, v7, v22, v26
	v_div_fixup_f32 v10, v7, v10, s10
	v_cmp_le_i64_e32 vcc, s[12:13], v[2:3]
	v_cmp_lt_u64_e64 s[0:1], s[8:9], v[2:3]
	global_store_dwordx4 v[4:5], v[8:11], off offset:-8
	s_or_b64 s[0:1], vcc, s[0:1]
	v_add_co_u32_e32 v4, vcc, s14, v4
	v_addc_co_u32_e32 v5, vcc, v5, v1, vcc
	s_and_b64 s[0:1], exec, s[0:1]
	v_add_co_u32_e32 v2, vcc, s15, v2
	s_or_b64 s[6:7], s[0:1], s[6:7]
	v_addc_co_u32_e32 v3, vcc, v3, v6, vcc
	s_andn2_b64 exec, exec, s[6:7]
	s_cbranch_execnz .LBB253_24
.LBB253_25:
	s_endpgm
	.section	.rodata,"a",@progbits
	.p2align	6, 0x0
	.amdhsa_kernel _ZN2at6native12_GLOBAL__N_125multi_tensor_apply_kernelINS1_18TensorListMetadataILi1EEENS1_14UnaryOpFunctorIfLi1ELi1ELi0EEEJNS0_7SigmoidIfEEEEEvT_T0_DpT1_
		.amdhsa_group_segment_fixed_size 0
		.amdhsa_private_segment_fixed_size 0
		.amdhsa_kernarg_size 3632
		.amdhsa_user_sgpr_count 6
		.amdhsa_user_sgpr_private_segment_buffer 1
		.amdhsa_user_sgpr_dispatch_ptr 0
		.amdhsa_user_sgpr_queue_ptr 0
		.amdhsa_user_sgpr_kernarg_segment_ptr 1
		.amdhsa_user_sgpr_dispatch_id 0
		.amdhsa_user_sgpr_flat_scratch_init 0
		.amdhsa_user_sgpr_kernarg_preload_length 0
		.amdhsa_user_sgpr_kernarg_preload_offset 0
		.amdhsa_user_sgpr_private_segment_size 0
		.amdhsa_uses_dynamic_stack 0
		.amdhsa_system_sgpr_private_segment_wavefront_offset 0
		.amdhsa_system_sgpr_workgroup_id_x 1
		.amdhsa_system_sgpr_workgroup_id_y 0
		.amdhsa_system_sgpr_workgroup_id_z 0
		.amdhsa_system_sgpr_workgroup_info 0
		.amdhsa_system_vgpr_workitem_id 0
		.amdhsa_next_free_vgpr 31
		.amdhsa_next_free_sgpr 34
		.amdhsa_accum_offset 32
		.amdhsa_reserve_vcc 1
		.amdhsa_reserve_flat_scratch 0
		.amdhsa_float_round_mode_32 0
		.amdhsa_float_round_mode_16_64 0
		.amdhsa_float_denorm_mode_32 3
		.amdhsa_float_denorm_mode_16_64 3
		.amdhsa_dx10_clamp 1
		.amdhsa_ieee_mode 1
		.amdhsa_fp16_overflow 0
		.amdhsa_tg_split 0
		.amdhsa_exception_fp_ieee_invalid_op 0
		.amdhsa_exception_fp_denorm_src 0
		.amdhsa_exception_fp_ieee_div_zero 0
		.amdhsa_exception_fp_ieee_overflow 0
		.amdhsa_exception_fp_ieee_underflow 0
		.amdhsa_exception_fp_ieee_inexact 0
		.amdhsa_exception_int_div_zero 0
	.end_amdhsa_kernel
	.section	.text._ZN2at6native12_GLOBAL__N_125multi_tensor_apply_kernelINS1_18TensorListMetadataILi1EEENS1_14UnaryOpFunctorIfLi1ELi1ELi0EEEJNS0_7SigmoidIfEEEEEvT_T0_DpT1_,"axG",@progbits,_ZN2at6native12_GLOBAL__N_125multi_tensor_apply_kernelINS1_18TensorListMetadataILi1EEENS1_14UnaryOpFunctorIfLi1ELi1ELi0EEEJNS0_7SigmoidIfEEEEEvT_T0_DpT1_,comdat
.Lfunc_end253:
	.size	_ZN2at6native12_GLOBAL__N_125multi_tensor_apply_kernelINS1_18TensorListMetadataILi1EEENS1_14UnaryOpFunctorIfLi1ELi1ELi0EEEJNS0_7SigmoidIfEEEEEvT_T0_DpT1_, .Lfunc_end253-_ZN2at6native12_GLOBAL__N_125multi_tensor_apply_kernelINS1_18TensorListMetadataILi1EEENS1_14UnaryOpFunctorIfLi1ELi1ELi0EEEJNS0_7SigmoidIfEEEEEvT_T0_DpT1_
                                        ; -- End function
	.section	.AMDGPU.csdata,"",@progbits
; Kernel info:
; codeLenInByte = 2232
; NumSgprs: 38
; NumVgprs: 31
; NumAgprs: 0
; TotalNumVgprs: 31
; ScratchSize: 0
; MemoryBound: 0
; FloatMode: 240
; IeeeMode: 1
; LDSByteSize: 0 bytes/workgroup (compile time only)
; SGPRBlocks: 4
; VGPRBlocks: 3
; NumSGPRsForWavesPerEU: 38
; NumVGPRsForWavesPerEU: 31
; AccumOffset: 32
; Occupancy: 8
; WaveLimiterHint : 0
; COMPUTE_PGM_RSRC2:SCRATCH_EN: 0
; COMPUTE_PGM_RSRC2:USER_SGPR: 6
; COMPUTE_PGM_RSRC2:TRAP_HANDLER: 0
; COMPUTE_PGM_RSRC2:TGID_X_EN: 1
; COMPUTE_PGM_RSRC2:TGID_Y_EN: 0
; COMPUTE_PGM_RSRC2:TGID_Z_EN: 0
; COMPUTE_PGM_RSRC2:TIDIG_COMP_CNT: 0
; COMPUTE_PGM_RSRC3_GFX90A:ACCUM_OFFSET: 7
; COMPUTE_PGM_RSRC3_GFX90A:TG_SPLIT: 0
	.section	.text._ZN2at6native12_GLOBAL__N_125multi_tensor_apply_kernelINS1_18TensorListMetadataILi1EEENS1_14UnaryOpFunctorIN3c107complexIdEELi1ELi1ELi0EEEJNS0_7SigmoidIS8_EEEEEvT_T0_DpT1_,"axG",@progbits,_ZN2at6native12_GLOBAL__N_125multi_tensor_apply_kernelINS1_18TensorListMetadataILi1EEENS1_14UnaryOpFunctorIN3c107complexIdEELi1ELi1ELi0EEEJNS0_7SigmoidIS8_EEEEEvT_T0_DpT1_,comdat
	.globl	_ZN2at6native12_GLOBAL__N_125multi_tensor_apply_kernelINS1_18TensorListMetadataILi1EEENS1_14UnaryOpFunctorIN3c107complexIdEELi1ELi1ELi0EEEJNS0_7SigmoidIS8_EEEEEvT_T0_DpT1_ ; -- Begin function _ZN2at6native12_GLOBAL__N_125multi_tensor_apply_kernelINS1_18TensorListMetadataILi1EEENS1_14UnaryOpFunctorIN3c107complexIdEELi1ELi1ELi0EEEJNS0_7SigmoidIS8_EEEEEvT_T0_DpT1_
	.p2align	8
	.type	_ZN2at6native12_GLOBAL__N_125multi_tensor_apply_kernelINS1_18TensorListMetadataILi1EEENS1_14UnaryOpFunctorIN3c107complexIdEELi1ELi1ELi0EEEJNS0_7SigmoidIS8_EEEEEvT_T0_DpT1_,@function
_ZN2at6native12_GLOBAL__N_125multi_tensor_apply_kernelINS1_18TensorListMetadataILi1EEENS1_14UnaryOpFunctorIN3c107complexIdEELi1ELi1ELi0EEEJNS0_7SigmoidIS8_EEEEEvT_T0_DpT1_: ; @_ZN2at6native12_GLOBAL__N_125multi_tensor_apply_kernelINS1_18TensorListMetadataILi1EEENS1_14UnaryOpFunctorIN3c107complexIdEELi1ELi1ELi0EEEJNS0_7SigmoidIS8_EEEEEvT_T0_DpT1_
; %bb.0:
	v_mov_b32_e32 v1, s6
	global_load_ubyte v1, v1, s[4:5] offset:1760
	s_add_u32 s0, s4, s6
	s_mul_hi_u32 s1, s6, 3
	s_mul_i32 s6, s6, 3
	s_addc_u32 s2, s5, 0
	s_add_u32 s0, s0, s6
	s_addc_u32 s1, s2, s1
	s_load_dword s0, s[0:1], 0x820
                                        ; implicit-def: $vgpr82 : SGPR spill to VGPR lane
	s_waitcnt vmcnt(0)
	v_readfirstlane_b32 s1, v1
	s_load_dwordx4 s[16:19], s[4:5], 0xd30
	s_lshl_b32 s1, s1, 3
	s_load_dwordx2 s[6:7], s[4:5], s1 offset:0x0
	v_writelane_b32 v82, s4, 0
	s_load_dwordx2 s[2:3], s[4:5], s1 offset:0x370
                                        ; kill: killed $sgpr1
	s_waitcnt lgkmcnt(0)
	s_ashr_i32 s1, s0, 31
	v_writelane_b32 v82, s5, 1
	s_lshl_b64 s[8:9], s[0:1], 20
	s_add_u32 s33, s6, s8
	v_writelane_b32 v82, s6, 2
	v_writelane_b32 v82, s7, 3
	;; [unrolled: 1-line block ×3, first 2 shown]
	s_addc_u32 s22, s7, s9
	s_lshl_b64 s[0:1], s[0:1], 16
	s_and_b32 s4, s33, 63
	s_mov_b32 s5, 0
	s_sub_u32 s14, s2, s0
	s_subb_u32 s15, s3, s1
	s_and_b32 s0, s2, 3
	s_mov_b32 s1, s5
	s_or_b64 s[0:1], s[4:5], s[0:1]
	s_cmp_eq_u64 s[0:1], 0
	v_writelane_b32 v82, s9, 5
	s_cbranch_scc1 .LBB254_229
; %bb.1:
	v_cmp_lt_i64_e64 s[0:1], s[14:15], 1
	s_and_b64 vcc, exec, s[0:1]
	s_cbranch_vccnz .LBB254_228
; %bb.2:
	v_readlane_b32 s0, v82, 0
	v_readlane_b32 s1, v82, 1
	s_load_dword s0, s[0:1], 0xd4c
	v_mov_b32_e32 v2, 0x10000
	v_mov_b32_e32 v3, 0
	;; [unrolled: 1-line block ×3, first 2 shown]
	v_cmp_lt_u64_e32 vcc, s[14:15], v[2:3]
	s_waitcnt lgkmcnt(0)
	s_and_b32 s2, s0, 0xffff
	s_and_b64 s[0:1], vcc, exec
	s_mul_i32 s4, s2, 3
	v_lshlrev_b32_e32 v20, 4, v0
	v_mov_b32_e32 v21, v18
	v_add_co_u32_e32 v25, vcc, s2, v0
	v_addc_co_u32_e64 v27, s[0:1], 0, 0, vcc
	v_mad_u64_u32 v[22:23], s[0:1], s2, 48, v[20:21]
	v_add_co_u32_e32 v21, vcc, s4, v0
	v_addc_co_u32_e64 v62, s[0:1], 0, 0, vcc
	s_cselect_b32 s25, s15, 0
	s_cselect_b32 s24, s14, 0x10000
	s_lshl_b32 s0, s2, 5
	s_lshl_b32 s3, s2, 1
	v_add_co_u32_e32 v2, vcc, s0, v20
	v_addc_co_u32_e64 v1, s[0:1], 0, 0, vcc
	v_add_co_u32_e32 v63, vcc, s3, v0
	s_mov_b32 s30, 0
	s_mov_b32 s34, 0
	;; [unrolled: 1-line block ×23, first 2 shown]
	s_lshl_b32 s23, s2, 2
	s_lshl_b32 s28, s2, 6
	v_or_b32_e32 v22, 8, v22
	v_lshlrev_b32_e32 v24, 4, v25
	v_or_b32_e32 v26, 8, v2
	v_addc_co_u32_e64 v64, s[0:1], 0, 0, vcc
	s_mov_b64 s[26:27], 0
	s_mov_b32 s5, 0x7ff00000
	s_mov_b32 s31, 0x7b000000
	s_movk_i32 s29, 0xff80
	s_mov_b32 s35, 0x7ff00000
	s_mov_b32 s37, 0x3ff921fb
	;; [unrolled: 1-line block ×27, first 2 shown]
	s_movk_i32 s4, 0x1f8
	v_mov_b32_e32 v65, 0x40100000
	v_mov_b32_e32 v66, 0x3ff00000
	;; [unrolled: 1-line block ×22, first 2 shown]
	s_branch .LBB254_4
.LBB254_3:                              ;   in Loop: Header=BB254_4 Depth=1
	s_or_b64 exec, exec, s[0:1]
	s_add_u32 s26, s26, s23
	s_addc_u32 s27, s27, 0
	v_pk_mov_b32 v[2:3], s[14:15], s[14:15] op_sel:[0,1]
	v_cmp_ge_i64_e32 vcc, s[26:27], v[2:3]
	v_mov_b32_e32 v2, 0xffff
	v_mov_b32_e32 v3, 0
	v_cmp_gt_u64_e64 s[0:1], s[26:27], v[2:3]
	s_or_b64 s[0:1], vcc, s[0:1]
	s_add_u32 s33, s33, s28
	s_addc_u32 s22, s22, 0
	s_and_b64 vcc, exec, s[0:1]
	s_cbranch_vccnz .LBB254_228
.LBB254_4:                              ; =>This Inner Loop Header: Depth=1
	v_mov_b32_e32 v3, s27
	v_add_co_u32_e32 v2, vcc, s26, v0
	v_addc_co_u32_e32 v3, vcc, 0, v3, vcc
	v_pk_mov_b32 v[16:17], 0, 0
	v_cmp_gt_u64_e64 s[0:1], s[24:25], v[2:3]
	v_pk_mov_b32 v[8:9], v[16:17], v[16:17] op_sel:[0,1]
	v_pk_mov_b32 v[6:7], v[16:17], v[16:17] op_sel:[0,1]
	s_and_saveexec_b64 s[2:3], s[0:1]
	s_cbranch_execz .LBB254_6
; %bb.5:                                ;   in Loop: Header=BB254_4 Depth=1
	v_mov_b32_e32 v3, s22
	v_add_co_u32_e32 v2, vcc, s33, v20
	v_addc_co_u32_e32 v3, vcc, 0, v3, vcc
	global_load_dwordx4 v[6:9], v[2:3], off
.LBB254_6:                              ;   in Loop: Header=BB254_4 Depth=1
	s_or_b64 exec, exec, s[2:3]
	v_mov_b32_e32 v3, s27
	v_add_co_u32_e32 v2, vcc, s26, v25
	v_addc_co_u32_e32 v3, vcc, v27, v3, vcc
	v_cmp_gt_u64_e64 s[2:3], s[24:25], v[2:3]
	v_pk_mov_b32 v[14:15], v[16:17], v[16:17] op_sel:[0,1]
	s_and_saveexec_b64 s[6:7], s[2:3]
	s_cbranch_execz .LBB254_8
; %bb.7:                                ;   in Loop: Header=BB254_4 Depth=1
	v_mov_b32_e32 v3, s22
	v_add_co_u32_e32 v2, vcc, s33, v24
	v_addc_co_u32_e32 v3, vcc, 0, v3, vcc
	global_load_dwordx4 v[14:17], v[2:3], off
.LBB254_8:                              ;   in Loop: Header=BB254_4 Depth=1
	s_or_b64 exec, exec, s[6:7]
	v_mov_b32_e32 v3, s27
	v_add_co_u32_e32 v2, vcc, s26, v63
	v_addc_co_u32_e32 v3, vcc, v64, v3, vcc
	v_pk_mov_b32 v[4:5], 0, 0
	v_cmp_gt_u64_e64 s[6:7], s[24:25], v[2:3]
	v_pk_mov_b32 v[12:13], v[4:5], v[4:5] op_sel:[0,1]
	v_pk_mov_b32 v[10:11], v[4:5], v[4:5] op_sel:[0,1]
	s_and_saveexec_b64 s[8:9], s[6:7]
	s_cbranch_execz .LBB254_10
; %bb.9:                                ;   in Loop: Header=BB254_4 Depth=1
	v_mov_b32_e32 v3, s22
	v_add_co_u32_e32 v2, vcc, s33, v26
	v_addc_co_u32_e32 v3, vcc, v3, v1, vcc
	global_load_dwordx4 v[10:13], v[2:3], off offset:-8
.LBB254_10:                             ;   in Loop: Header=BB254_4 Depth=1
	s_or_b64 exec, exec, s[8:9]
	v_mov_b32_e32 v3, s27
	v_add_co_u32_e32 v2, vcc, s26, v21
	v_addc_co_u32_e32 v3, vcc, v62, v3, vcc
	v_cmp_gt_u64_e64 s[8:9], s[24:25], v[2:3]
	v_pk_mov_b32 v[2:3], v[4:5], v[4:5] op_sel:[0,1]
	s_and_saveexec_b64 s[10:11], s[8:9]
	s_cbranch_execz .LBB254_12
; %bb.11:                               ;   in Loop: Header=BB254_4 Depth=1
	v_mov_b32_e32 v3, s22
	v_add_co_u32_e32 v2, vcc, s33, v22
	v_addc_co_u32_e32 v3, vcc, v3, v23, vcc
	global_load_dwordx4 v[2:5], v[2:3], off offset:-8
.LBB254_12:                             ;   in Loop: Header=BB254_4 Depth=1
	s_or_b64 exec, exec, s[10:11]
	s_waitcnt vmcnt(0)
	v_xor_b32_e32 v47, 0x80000000, v9
	v_mov_b32_e32 v46, v8
	v_and_b32_e32 v52, 0x7fffffff, v47
	v_or_b32_e32 v19, v52, v46
	v_cmp_ne_u32_e32 vcc, 0, v19
                                        ; implicit-def: $vgpr48_vgpr49
	s_and_saveexec_b64 s[10:11], vcc
	s_xor_b64 s[94:95], exec, s[10:11]
	s_cbranch_execz .LBB254_54
; %bb.13:                               ;   in Loop: Header=BB254_4 Depth=1
	v_xor_b32_e32 v51, 0x80000000, v7
	v_mov_b32_e32 v50, v6
	v_and_b32_e32 v19, 0x7fffffff, v51
	v_or_b32_e32 v46, v19, v50
	v_cmp_ne_u32_e32 vcc, 0, v46
                                        ; implicit-def: $vgpr48_vgpr49
	s_and_saveexec_b64 s[10:11], vcc
	s_xor_b64 s[20:21], exec, s[10:11]
	s_cbranch_execz .LBB254_43
; %bb.14:                               ;   in Loop: Header=BB254_4 Depth=1
	v_cmp_gt_u32_e32 vcc, s5, v52
                                        ; implicit-def: $vgpr48_vgpr49
	s_and_saveexec_b64 s[10:11], vcc
	s_xor_b64 s[88:89], exec, s[10:11]
	s_cbranch_execz .LBB254_36
; %bb.15:                               ;   in Loop: Header=BB254_4 Depth=1
	v_add_u32_e32 v19, 0xbf79d1be, v51
	s_mov_b32 s10, 0x108aa2
	v_cmp_lt_u32_e32 vcc, s10, v19
                                        ; implicit-def: $vgpr48_vgpr49
	s_and_saveexec_b64 s[10:11], vcc
	s_xor_b64 s[12:13], exec, s[10:11]
	s_cbranch_execz .LBB254_25
; %bb.16:                               ;   in Loop: Header=BB254_4 Depth=1
	s_mov_b32 s10, 0
	s_mov_b32 s11, 0x41d00000
	v_cmp_nlt_f64_e64 s[90:91], |v[8:9]|, s[10:11]
                                        ; implicit-def: $vgpr46
                                        ; implicit-def: $vgpr48_vgpr49
                                        ; implicit-def: $vgpr50_vgpr51
	s_and_saveexec_b64 s[10:11], s[90:91]
	s_xor_b64 s[92:93], exec, s[10:11]
	s_cbranch_execz .LBB254_18
; %bb.17:                               ;   in Loop: Header=BB254_4 Depth=1
	v_and_b32_e32 v19, 0x7fffffff, v9
	v_ldexp_f64 v[52:53], |v[8:9]|, s29
	v_cmp_ge_f64_e64 vcc, |v[8:9]|, s[30:31]
	v_trig_preop_f64 v[48:49], |v[8:9]|, 0
	v_cndmask_b32_e32 v53, v19, v53, vcc
	v_cndmask_b32_e32 v52, v8, v52, vcc
	v_trig_preop_f64 v[50:51], |v[8:9]|, 1
	v_mul_f64 v[56:57], v[48:49], v[52:53]
	v_mul_f64 v[54:55], v[50:51], v[52:53]
	v_fma_f64 v[48:49], v[48:49], v[52:53], -v[56:57]
	v_add_f64 v[58:59], v[54:55], v[48:49]
	v_add_f64 v[60:61], v[56:57], v[58:59]
	v_ldexp_f64 v[70:71], v[60:61], -2
	v_fract_f64_e32 v[72:73], v[70:71]
	v_cmp_neq_f64_e64 vcc, |v[70:71]|, s[34:35]
	v_cndmask_b32_e32 v71, 0, v73, vcc
	v_cndmask_b32_e32 v70, 0, v72, vcc
	v_add_f64 v[72:73], v[58:59], -v[54:55]
	v_add_f64 v[48:49], v[48:49], -v[72:73]
	;; [unrolled: 1-line block ×4, first 2 shown]
	v_fma_f64 v[50:51], v[50:51], v[52:53], -v[54:55]
	v_trig_preop_f64 v[54:55], |v[8:9]|, 2
	v_add_f64 v[48:49], v[48:49], v[72:73]
	v_mul_f64 v[72:73], v[54:55], v[52:53]
	v_add_f64 v[74:75], v[72:73], v[50:51]
	v_add_f64 v[76:77], v[74:75], v[48:49]
	v_add_f64 v[56:57], v[60:61], -v[56:57]
	v_add_f64 v[60:61], v[76:77], -v[74:75]
	;; [unrolled: 1-line block ×5, first 2 shown]
	v_add_f64 v[48:49], v[48:49], v[60:61]
	v_add_f64 v[60:61], v[74:75], -v[72:73]
	v_add_f64 v[50:51], v[50:51], -v[60:61]
	;; [unrolled: 1-line block ×4, first 2 shown]
	v_add_f64 v[50:51], v[50:51], v[60:61]
	v_add_f64 v[56:57], v[58:59], -v[56:57]
	v_add_f64 v[48:49], v[50:51], v[48:49]
	v_fma_f64 v[50:51], v[54:55], v[52:53], -v[72:73]
	v_add_f64 v[58:59], v[56:57], v[76:77]
	v_add_f64 v[48:49], v[50:51], v[48:49]
	v_ldexp_f64 v[50:51], v[70:71], 2
	v_add_f64 v[52:53], v[58:59], v[50:51]
	v_cmp_gt_f64_e32 vcc, 0, v[52:53]
	v_cndmask_b32_e32 v19, 0, v65, vcc
	v_add_f64 v[50:51], v[50:51], v[18:19]
	v_add_f64 v[52:53], v[58:59], v[50:51]
	v_cvt_i32_f64_e32 v19, v[52:53]
	v_cvt_f64_i32_e32 v[52:53], v19
	v_add_f64 v[50:51], v[50:51], -v[52:53]
	v_add_f64 v[56:57], v[58:59], -v[56:57]
	v_add_f64 v[52:53], v[58:59], v[50:51]
	v_add_f64 v[56:57], v[76:77], -v[56:57]
	v_add_f64 v[50:51], v[52:53], -v[50:51]
	v_cmp_le_f64_e32 vcc, 0.5, v[52:53]
	v_add_f64 v[48:49], v[56:57], v[48:49]
	v_add_f64 v[50:51], v[58:59], -v[50:51]
	v_addc_co_u32_e64 v46, s[10:11], 0, v19, vcc
	v_cndmask_b32_e32 v19, 0, v66, vcc
	v_add_f64 v[48:49], v[48:49], v[50:51]
	v_add_f64 v[50:51], v[52:53], -v[18:19]
	v_add_f64 v[52:53], v[50:51], v[48:49]
	v_add_f64 v[50:51], v[52:53], -v[50:51]
	s_mov_b32 s36, s38
	v_add_f64 v[48:49], v[48:49], -v[50:51]
	v_mul_f64 v[50:51], v[52:53], s[36:37]
	v_fma_f64 v[54:55], v[52:53], s[36:37], -v[50:51]
	s_mov_b32 s43, s41
	v_fmac_f64_e32 v[54:55], s[42:43], v[52:53]
	v_fmac_f64_e32 v[54:55], s[36:37], v[48:49]
	v_add_f64 v[48:49], v[50:51], v[54:55]
	v_add_f64 v[50:51], v[48:49], -v[50:51]
	v_add_f64 v[50:51], v[54:55], -v[50:51]
	s_andn2_saveexec_b64 s[10:11], s[92:93]
	s_cbranch_execz .LBB254_20
	s_branch .LBB254_19
.LBB254_18:                             ;   in Loop: Header=BB254_4 Depth=1
	s_andn2_saveexec_b64 s[10:11], s[92:93]
	s_cbranch_execz .LBB254_20
.LBB254_19:                             ;   in Loop: Header=BB254_4 Depth=1
	v_mul_f64 v[48:49], |v[8:9]|, s[44:45]
	v_rndne_f64_e32 v[52:53], v[48:49]
	v_fma_f64 v[48:49], v[52:53], s[38:39], |v[8:9]|
	v_mul_f64 v[54:55], v[52:53], s[46:47]
	v_add_f64 v[58:59], v[48:49], v[54:55]
	v_fma_f64 v[50:51], s[46:47], v[52:53], v[48:49]
	s_mov_b32 s40, s46
	v_add_f64 v[48:49], v[48:49], -v[58:59]
	v_fma_f64 v[56:57], s[40:41], v[52:53], v[54:55]
	v_add_f64 v[48:49], v[48:49], v[54:55]
	v_add_f64 v[54:55], v[58:59], -v[50:51]
	v_add_f64 v[48:49], v[54:55], v[48:49]
	v_add_f64 v[54:55], v[48:49], -v[56:57]
	v_fmac_f64_e32 v[54:55], s[48:49], v[52:53]
	v_add_f64 v[48:49], v[50:51], v[54:55]
	v_add_f64 v[50:51], v[48:49], -v[50:51]
	v_add_f64 v[50:51], v[54:55], -v[50:51]
	v_cvt_i32_f64_e32 v46, v[52:53]
.LBB254_20:                             ;   in Loop: Header=BB254_4 Depth=1
	s_or_b64 exec, exec, s[10:11]
                                        ; implicit-def: $vgpr56
                                        ; implicit-def: $vgpr52_vgpr53
                                        ; implicit-def: $vgpr54_vgpr55
	s_and_saveexec_b64 s[10:11], s[90:91]
	s_xor_b64 s[90:91], exec, s[10:11]
	s_cbranch_execz .LBB254_22
; %bb.21:                               ;   in Loop: Header=BB254_4 Depth=1
	v_and_b32_e32 v19, 0x7fffffff, v9
	v_ldexp_f64 v[56:57], |v[8:9]|, s29
	v_cmp_ge_f64_e64 vcc, |v[8:9]|, s[30:31]
	v_trig_preop_f64 v[52:53], |v[8:9]|, 0
	v_cndmask_b32_e32 v57, v19, v57, vcc
	v_cndmask_b32_e32 v56, v8, v56, vcc
	v_trig_preop_f64 v[54:55], |v[8:9]|, 1
	v_mul_f64 v[60:61], v[52:53], v[56:57]
	v_mul_f64 v[58:59], v[54:55], v[56:57]
	v_fma_f64 v[52:53], v[52:53], v[56:57], -v[60:61]
	v_add_f64 v[70:71], v[58:59], v[52:53]
	v_add_f64 v[72:73], v[60:61], v[70:71]
	v_ldexp_f64 v[74:75], v[72:73], -2
	v_fract_f64_e32 v[76:77], v[74:75]
	v_cmp_neq_f64_e64 vcc, |v[74:75]|, s[34:35]
	v_cndmask_b32_e32 v75, 0, v77, vcc
	v_cndmask_b32_e32 v74, 0, v76, vcc
	v_add_f64 v[76:77], v[70:71], -v[58:59]
	v_add_f64 v[52:53], v[52:53], -v[76:77]
	;; [unrolled: 1-line block ×4, first 2 shown]
	v_fma_f64 v[54:55], v[54:55], v[56:57], -v[58:59]
	v_trig_preop_f64 v[58:59], |v[8:9]|, 2
	v_add_f64 v[52:53], v[52:53], v[76:77]
	v_mul_f64 v[76:77], v[58:59], v[56:57]
	v_add_f64 v[78:79], v[76:77], v[54:55]
	v_add_f64 v[80:81], v[78:79], v[52:53]
	v_add_f64 v[60:61], v[72:73], -v[60:61]
	v_add_f64 v[72:73], v[80:81], -v[78:79]
	;; [unrolled: 1-line block ×5, first 2 shown]
	v_add_f64 v[52:53], v[52:53], v[72:73]
	v_add_f64 v[72:73], v[78:79], -v[76:77]
	v_add_f64 v[54:55], v[54:55], -v[72:73]
	;; [unrolled: 1-line block ×4, first 2 shown]
	v_add_f64 v[54:55], v[54:55], v[72:73]
	v_add_f64 v[60:61], v[70:71], -v[60:61]
	v_add_f64 v[52:53], v[54:55], v[52:53]
	v_fma_f64 v[54:55], v[58:59], v[56:57], -v[76:77]
	v_add_f64 v[70:71], v[60:61], v[80:81]
	v_add_f64 v[52:53], v[54:55], v[52:53]
	v_ldexp_f64 v[54:55], v[74:75], 2
	v_add_f64 v[56:57], v[70:71], v[54:55]
	v_cmp_gt_f64_e32 vcc, 0, v[56:57]
	v_cndmask_b32_e32 v19, 0, v65, vcc
	v_add_f64 v[54:55], v[54:55], v[18:19]
	v_add_f64 v[56:57], v[70:71], v[54:55]
	v_cvt_i32_f64_e32 v19, v[56:57]
	v_cvt_f64_i32_e32 v[56:57], v19
	v_add_f64 v[54:55], v[54:55], -v[56:57]
	v_add_f64 v[60:61], v[70:71], -v[60:61]
	v_add_f64 v[58:59], v[70:71], v[54:55]
	v_add_f64 v[60:61], v[80:81], -v[60:61]
	v_add_f64 v[54:55], v[58:59], -v[54:55]
	v_cmp_le_f64_e32 vcc, 0.5, v[58:59]
	v_add_f64 v[52:53], v[60:61], v[52:53]
	v_add_f64 v[54:55], v[70:71], -v[54:55]
	v_addc_co_u32_e64 v56, s[10:11], 0, v19, vcc
	v_cndmask_b32_e32 v19, 0, v66, vcc
	v_add_f64 v[52:53], v[52:53], v[54:55]
	v_add_f64 v[54:55], v[58:59], -v[18:19]
	v_add_f64 v[58:59], v[54:55], v[52:53]
	v_add_f64 v[54:55], v[58:59], -v[54:55]
	s_mov_b32 s36, s38
	v_add_f64 v[52:53], v[52:53], -v[54:55]
	v_mul_f64 v[54:55], v[58:59], s[36:37]
	v_fma_f64 v[60:61], v[58:59], s[36:37], -v[54:55]
	s_mov_b32 s43, s41
	v_fmac_f64_e32 v[60:61], s[42:43], v[58:59]
	v_fmac_f64_e32 v[60:61], s[36:37], v[52:53]
	v_add_f64 v[52:53], v[54:55], v[60:61]
	v_add_f64 v[54:55], v[52:53], -v[54:55]
	v_add_f64 v[54:55], v[60:61], -v[54:55]
	s_andn2_saveexec_b64 s[10:11], s[90:91]
	s_cbranch_execnz .LBB254_23
	s_branch .LBB254_24
.LBB254_22:                             ;   in Loop: Header=BB254_4 Depth=1
	s_andn2_saveexec_b64 s[10:11], s[90:91]
	s_cbranch_execz .LBB254_24
.LBB254_23:                             ;   in Loop: Header=BB254_4 Depth=1
	v_mul_f64 v[52:53], |v[8:9]|, s[44:45]
	v_rndne_f64_e32 v[56:57], v[52:53]
	v_fma_f64 v[52:53], v[56:57], s[38:39], |v[8:9]|
	v_mul_f64 v[58:59], v[56:57], s[46:47]
	v_add_f64 v[70:71], v[52:53], v[58:59]
	v_fma_f64 v[54:55], s[46:47], v[56:57], v[52:53]
	s_mov_b32 s40, s46
	v_add_f64 v[52:53], v[52:53], -v[70:71]
	v_fma_f64 v[60:61], s[40:41], v[56:57], v[58:59]
	v_add_f64 v[52:53], v[52:53], v[58:59]
	v_add_f64 v[58:59], v[70:71], -v[54:55]
	v_add_f64 v[52:53], v[58:59], v[52:53]
	v_add_f64 v[58:59], v[52:53], -v[60:61]
	v_fmac_f64_e32 v[58:59], s[48:49], v[56:57]
	v_add_f64 v[52:53], v[54:55], v[58:59]
	v_add_f64 v[54:55], v[52:53], -v[54:55]
	v_add_f64 v[54:55], v[58:59], -v[54:55]
	v_cvt_i32_f64_e32 v56, v[56:57]
.LBB254_24:                             ;   in Loop: Header=BB254_4 Depth=1
	s_or_b64 exec, exec, s[10:11]
	s_mov_b32 s50, s52
	v_mul_f64 v[58:59], v[6:7], s[50:51]
	v_rndne_f64_e32 v[58:59], v[58:59]
	v_fma_f64 v[60:61], v[58:59], s[54:55], -v[6:7]
	v_fmac_f64_e32 v[60:61], s[56:57], v[58:59]
	v_pk_mov_b32 v[70:71], v[28:29], v[28:29] op_sel:[0,1]
	v_fmac_f64_e32 v[70:71], s[58:59], v[60:61]
	v_pk_mov_b32 v[72:73], v[30:31], v[30:31] op_sel:[0,1]
	;; [unrolled: 2-line block ×9, first 2 shown]
	v_fmac_f64_e32 v[70:71], v[60:61], v[72:73]
	v_fma_f64 v[70:71], v[60:61], v[70:71], 1.0
	v_fma_f64 v[60:61], v[60:61], v[70:71], 1.0
	v_cvt_i32_f64_e32 v19, v[58:59]
	v_ldexp_f64 v[58:59], v[60:61], v19
	v_cmp_ngt_f64_e32 vcc, s[64:65], v[6:7]
	v_cmp_nlt_f64_e64 s[10:11], s[66:67], v[6:7]
	v_cndmask_b32_e32 v19, v67, v59, vcc
	s_and_b64 vcc, s[10:11], vcc
	v_cndmask_b32_e32 v6, 0, v58, vcc
	v_mul_f64 v[58:59], v[48:49], v[48:49]
	v_pk_mov_b32 v[74:75], s[68:69], s[68:69] op_sel:[0,1]
	v_mul_f64 v[60:61], v[58:59], 0.5
	v_fma_f64 v[76:77], s[70:71], v[58:59], v[74:75]
	v_add_f64 v[70:71], -v[60:61], 1.0
	v_fma_f64 v[76:77], v[58:59], v[76:77], s[72:73]
	v_add_f64 v[72:73], -v[70:71], 1.0
	v_fma_f64 v[76:77], v[58:59], v[76:77], s[74:75]
	v_add_f64 v[60:61], v[72:73], -v[60:61]
	v_fma_f64 v[76:77], v[58:59], v[76:77], s[76:77]
	v_mul_f64 v[72:73], v[58:59], v[58:59]
	v_fma_f64 v[76:77], v[58:59], v[76:77], s[62:63]
	v_fma_f64 v[60:61], v[48:49], -v[50:51], v[60:61]
	v_fmac_f64_e32 v[60:61], v[72:73], v[76:77]
	v_add_f64 v[60:61], v[70:71], v[60:61]
	v_pk_mov_b32 v[70:71], s[78:79], s[78:79] op_sel:[0,1]
	v_fma_f64 v[72:73], s[80:81], v[58:59], v[70:71]
	v_fma_f64 v[72:73], v[58:59], v[72:73], s[82:83]
	;; [unrolled: 1-line block ×4, first 2 shown]
	v_mul_f64 v[76:77], v[48:49], -v[58:59]
	v_mul_f64 v[78:79], v[50:51], 0.5
	v_fmac_f64_e32 v[78:79], v[76:77], v[72:73]
	v_fma_f64 v[50:51], v[58:59], v[78:79], -v[50:51]
	s_mov_b32 s86, s62
	v_fmac_f64_e32 v[50:51], s[86:87], v[76:77]
	v_add_f64 v[48:49], v[48:49], -v[50:51]
	v_cndmask_b32_e64 v7, 0, v19, s[10:11]
	v_xor_b32_e32 v19, 0x80000000, v49
	v_and_b32_e32 v49, 1, v46
	v_cmp_eq_u32_e32 vcc, 0, v49
	v_lshlrev_b32_e32 v46, 30, v46
	v_cndmask_b32_e32 v19, v19, v61, vcc
	v_and_b32_e32 v46, 0x80000000, v46
	v_cndmask_b32_e32 v48, v48, v60, vcc
	v_xor_b32_e32 v19, v19, v46
	v_cmp_class_f64_e64 vcc, v[8:9], s4
	v_cndmask_b32_e32 v8, 0, v48, vcc
	v_cndmask_b32_e32 v9, v68, v19, vcc
	v_mul_f64 v[48:49], v[6:7], v[8:9]
	v_mul_f64 v[8:9], v[52:53], v[52:53]
	v_mul_f64 v[50:51], v[8:9], 0.5
	v_fmac_f64_e32 v[74:75], s[70:71], v[8:9]
	v_add_f64 v[58:59], -v[50:51], 1.0
	v_fma_f64 v[72:73], v[8:9], v[74:75], s[72:73]
	v_add_f64 v[60:61], -v[58:59], 1.0
	v_fma_f64 v[72:73], v[8:9], v[72:73], s[74:75]
	v_add_f64 v[50:51], v[60:61], -v[50:51]
	v_fma_f64 v[72:73], v[8:9], v[72:73], s[76:77]
	v_mul_f64 v[60:61], v[8:9], v[8:9]
	v_fma_f64 v[72:73], v[8:9], v[72:73], s[62:63]
	v_fma_f64 v[50:51], v[52:53], -v[54:55], v[50:51]
	v_fmac_f64_e32 v[50:51], v[60:61], v[72:73]
	v_fmac_f64_e32 v[70:71], s[80:81], v[8:9]
	v_add_f64 v[50:51], v[58:59], v[50:51]
	v_fma_f64 v[58:59], v[8:9], v[70:71], s[82:83]
	v_fma_f64 v[58:59], v[8:9], v[58:59], s[84:85]
	;; [unrolled: 1-line block ×3, first 2 shown]
	v_mul_f64 v[60:61], v[52:53], -v[8:9]
	v_mul_f64 v[70:71], v[54:55], 0.5
	v_fmac_f64_e32 v[70:71], v[60:61], v[58:59]
	v_fma_f64 v[8:9], v[8:9], v[70:71], -v[54:55]
	v_and_b32_e32 v19, 1, v56
	v_fmac_f64_e32 v[8:9], s[86:87], v[60:61]
	v_cmp_eq_u32_e64 s[10:11], 0, v19
	v_lshlrev_b32_e32 v19, 30, v56
	v_add_f64 v[8:9], v[52:53], -v[8:9]
	v_xor_b32_e32 v19, v19, v47
	v_cndmask_b32_e64 v9, v51, v9, s[10:11]
	v_and_b32_e32 v19, 0x80000000, v19
	v_cndmask_b32_e64 v8, v50, v8, s[10:11]
	v_xor_b32_e32 v9, v9, v19
	v_cndmask_b32_e32 v8, 0, v8, vcc
	v_cndmask_b32_e32 v9, v68, v9, vcc
	v_mul_f64 v[46:47], v[6:7], v[8:9]
                                        ; implicit-def: $vgpr8_vgpr9
.LBB254_25:                             ;   in Loop: Header=BB254_4 Depth=1
	s_andn2_saveexec_b64 s[90:91], s[12:13]
	s_cbranch_execz .LBB254_28
; %bb.26:                               ;   in Loop: Header=BB254_4 Depth=1
	s_mov_b32 s10, 0
	s_mov_b32 s11, 0x41d00000
	v_cmp_nlt_f64_e64 s[12:13], |v[8:9]|, s[10:11]
                                        ; implicit-def: $vgpr46
                                        ; implicit-def: $vgpr48_vgpr49
                                        ; implicit-def: $vgpr50_vgpr51
	s_and_saveexec_b64 s[10:11], s[12:13]
	s_xor_b64 s[92:93], exec, s[10:11]
	s_cbranch_execz .LBB254_29
; %bb.27:                               ;   in Loop: Header=BB254_4 Depth=1
	v_and_b32_e32 v19, 0x7fffffff, v9
	v_ldexp_f64 v[52:53], |v[8:9]|, s29
	v_cmp_ge_f64_e64 vcc, |v[8:9]|, s[30:31]
	v_trig_preop_f64 v[48:49], |v[8:9]|, 0
	v_cndmask_b32_e32 v53, v19, v53, vcc
	v_cndmask_b32_e32 v52, v8, v52, vcc
	v_trig_preop_f64 v[50:51], |v[8:9]|, 1
	v_mul_f64 v[56:57], v[48:49], v[52:53]
	v_mul_f64 v[54:55], v[50:51], v[52:53]
	v_fma_f64 v[48:49], v[48:49], v[52:53], -v[56:57]
	v_add_f64 v[58:59], v[54:55], v[48:49]
	v_add_f64 v[60:61], v[56:57], v[58:59]
	v_ldexp_f64 v[70:71], v[60:61], -2
	v_fract_f64_e32 v[72:73], v[70:71]
	v_cmp_neq_f64_e64 vcc, |v[70:71]|, s[34:35]
	v_cndmask_b32_e32 v71, 0, v73, vcc
	v_cndmask_b32_e32 v70, 0, v72, vcc
	v_add_f64 v[72:73], v[58:59], -v[54:55]
	v_add_f64 v[48:49], v[48:49], -v[72:73]
	;; [unrolled: 1-line block ×4, first 2 shown]
	v_fma_f64 v[50:51], v[50:51], v[52:53], -v[54:55]
	v_trig_preop_f64 v[54:55], |v[8:9]|, 2
	v_add_f64 v[48:49], v[48:49], v[72:73]
	v_mul_f64 v[72:73], v[54:55], v[52:53]
	v_add_f64 v[74:75], v[72:73], v[50:51]
	v_add_f64 v[76:77], v[74:75], v[48:49]
	v_add_f64 v[56:57], v[60:61], -v[56:57]
	v_add_f64 v[60:61], v[76:77], -v[74:75]
	;; [unrolled: 1-line block ×5, first 2 shown]
	v_add_f64 v[48:49], v[48:49], v[60:61]
	v_add_f64 v[60:61], v[74:75], -v[72:73]
	v_add_f64 v[50:51], v[50:51], -v[60:61]
	;; [unrolled: 1-line block ×4, first 2 shown]
	v_add_f64 v[50:51], v[50:51], v[60:61]
	v_add_f64 v[56:57], v[58:59], -v[56:57]
	v_add_f64 v[48:49], v[50:51], v[48:49]
	v_fma_f64 v[50:51], v[54:55], v[52:53], -v[72:73]
	v_add_f64 v[58:59], v[56:57], v[76:77]
	v_add_f64 v[48:49], v[50:51], v[48:49]
	v_ldexp_f64 v[50:51], v[70:71], 2
	v_add_f64 v[52:53], v[58:59], v[50:51]
	v_cmp_gt_f64_e32 vcc, 0, v[52:53]
	v_cndmask_b32_e32 v19, 0, v65, vcc
	v_add_f64 v[50:51], v[50:51], v[18:19]
	v_add_f64 v[52:53], v[58:59], v[50:51]
	v_cvt_i32_f64_e32 v19, v[52:53]
	v_cvt_f64_i32_e32 v[52:53], v19
	v_add_f64 v[50:51], v[50:51], -v[52:53]
	v_add_f64 v[56:57], v[58:59], -v[56:57]
	v_add_f64 v[52:53], v[58:59], v[50:51]
	v_add_f64 v[56:57], v[76:77], -v[56:57]
	v_add_f64 v[50:51], v[52:53], -v[50:51]
	v_cmp_le_f64_e32 vcc, 0.5, v[52:53]
	v_add_f64 v[48:49], v[56:57], v[48:49]
	v_add_f64 v[50:51], v[58:59], -v[50:51]
	v_addc_co_u32_e64 v46, s[10:11], 0, v19, vcc
	v_cndmask_b32_e32 v19, 0, v66, vcc
	v_add_f64 v[48:49], v[48:49], v[50:51]
	v_add_f64 v[50:51], v[52:53], -v[18:19]
	v_add_f64 v[52:53], v[50:51], v[48:49]
	v_add_f64 v[50:51], v[52:53], -v[50:51]
	s_mov_b32 s36, s38
	v_add_f64 v[48:49], v[48:49], -v[50:51]
	v_mul_f64 v[50:51], v[52:53], s[36:37]
	v_fma_f64 v[54:55], v[52:53], s[36:37], -v[50:51]
	s_mov_b32 s43, s41
	v_fmac_f64_e32 v[54:55], s[42:43], v[52:53]
	v_fmac_f64_e32 v[54:55], s[36:37], v[48:49]
	v_add_f64 v[48:49], v[50:51], v[54:55]
	v_add_f64 v[50:51], v[48:49], -v[50:51]
	v_add_f64 v[50:51], v[54:55], -v[50:51]
	s_andn2_saveexec_b64 s[10:11], s[92:93]
	s_cbranch_execz .LBB254_31
	s_branch .LBB254_30
.LBB254_28:                             ;   in Loop: Header=BB254_4 Depth=1
	s_or_b64 exec, exec, s[90:91]
                                        ; implicit-def: $vgpr50_vgpr51
                                        ; implicit-def: $vgpr6_vgpr7
                                        ; implicit-def: $vgpr19
	s_andn2_saveexec_b64 s[12:13], s[88:89]
	s_cbranch_execnz .LBB254_37
	s_branch .LBB254_42
.LBB254_29:                             ;   in Loop: Header=BB254_4 Depth=1
	s_andn2_saveexec_b64 s[10:11], s[92:93]
	s_cbranch_execz .LBB254_31
.LBB254_30:                             ;   in Loop: Header=BB254_4 Depth=1
	v_mul_f64 v[48:49], |v[8:9]|, s[44:45]
	v_rndne_f64_e32 v[52:53], v[48:49]
	v_fma_f64 v[48:49], v[52:53], s[38:39], |v[8:9]|
	v_mul_f64 v[54:55], v[52:53], s[46:47]
	v_add_f64 v[58:59], v[48:49], v[54:55]
	v_fma_f64 v[50:51], s[46:47], v[52:53], v[48:49]
	s_mov_b32 s40, s46
	v_add_f64 v[48:49], v[48:49], -v[58:59]
	v_fma_f64 v[56:57], s[40:41], v[52:53], v[54:55]
	v_add_f64 v[48:49], v[48:49], v[54:55]
	v_add_f64 v[54:55], v[58:59], -v[50:51]
	v_add_f64 v[48:49], v[54:55], v[48:49]
	v_add_f64 v[54:55], v[48:49], -v[56:57]
	v_fmac_f64_e32 v[54:55], s[48:49], v[52:53]
	v_add_f64 v[48:49], v[50:51], v[54:55]
	v_add_f64 v[50:51], v[48:49], -v[50:51]
	v_add_f64 v[50:51], v[54:55], -v[50:51]
	v_cvt_i32_f64_e32 v46, v[52:53]
.LBB254_31:                             ;   in Loop: Header=BB254_4 Depth=1
	s_or_b64 exec, exec, s[10:11]
                                        ; implicit-def: $vgpr56
                                        ; implicit-def: $vgpr52_vgpr53
                                        ; implicit-def: $vgpr54_vgpr55
	s_and_saveexec_b64 s[10:11], s[12:13]
	s_xor_b64 s[12:13], exec, s[10:11]
	s_cbranch_execz .LBB254_33
; %bb.32:                               ;   in Loop: Header=BB254_4 Depth=1
	v_and_b32_e32 v19, 0x7fffffff, v9
	v_ldexp_f64 v[56:57], |v[8:9]|, s29
	v_cmp_ge_f64_e64 vcc, |v[8:9]|, s[30:31]
	v_trig_preop_f64 v[52:53], |v[8:9]|, 0
	v_cndmask_b32_e32 v57, v19, v57, vcc
	v_cndmask_b32_e32 v56, v8, v56, vcc
	v_trig_preop_f64 v[54:55], |v[8:9]|, 1
	v_mul_f64 v[60:61], v[52:53], v[56:57]
	v_mul_f64 v[58:59], v[54:55], v[56:57]
	v_fma_f64 v[52:53], v[52:53], v[56:57], -v[60:61]
	v_add_f64 v[70:71], v[58:59], v[52:53]
	v_add_f64 v[72:73], v[60:61], v[70:71]
	v_ldexp_f64 v[74:75], v[72:73], -2
	v_fract_f64_e32 v[76:77], v[74:75]
	v_cmp_neq_f64_e64 vcc, |v[74:75]|, s[34:35]
	v_cndmask_b32_e32 v75, 0, v77, vcc
	v_cndmask_b32_e32 v74, 0, v76, vcc
	v_add_f64 v[76:77], v[70:71], -v[58:59]
	v_add_f64 v[52:53], v[52:53], -v[76:77]
	;; [unrolled: 1-line block ×4, first 2 shown]
	v_fma_f64 v[54:55], v[54:55], v[56:57], -v[58:59]
	v_trig_preop_f64 v[58:59], |v[8:9]|, 2
	v_add_f64 v[52:53], v[52:53], v[76:77]
	v_mul_f64 v[76:77], v[58:59], v[56:57]
	v_add_f64 v[78:79], v[76:77], v[54:55]
	v_add_f64 v[80:81], v[78:79], v[52:53]
	v_add_f64 v[60:61], v[72:73], -v[60:61]
	v_add_f64 v[72:73], v[80:81], -v[78:79]
	;; [unrolled: 1-line block ×5, first 2 shown]
	v_add_f64 v[52:53], v[52:53], v[72:73]
	v_add_f64 v[72:73], v[78:79], -v[76:77]
	v_add_f64 v[54:55], v[54:55], -v[72:73]
	v_add_f64 v[72:73], v[78:79], -v[72:73]
	v_add_f64 v[72:73], v[76:77], -v[72:73]
	v_add_f64 v[54:55], v[54:55], v[72:73]
	v_add_f64 v[60:61], v[70:71], -v[60:61]
	v_add_f64 v[52:53], v[54:55], v[52:53]
	v_fma_f64 v[54:55], v[58:59], v[56:57], -v[76:77]
	v_add_f64 v[70:71], v[60:61], v[80:81]
	v_add_f64 v[52:53], v[54:55], v[52:53]
	v_ldexp_f64 v[54:55], v[74:75], 2
	v_add_f64 v[56:57], v[70:71], v[54:55]
	v_cmp_gt_f64_e32 vcc, 0, v[56:57]
	v_cndmask_b32_e32 v19, 0, v65, vcc
	v_add_f64 v[54:55], v[54:55], v[18:19]
	v_add_f64 v[56:57], v[70:71], v[54:55]
	v_cvt_i32_f64_e32 v19, v[56:57]
	v_cvt_f64_i32_e32 v[56:57], v19
	v_add_f64 v[54:55], v[54:55], -v[56:57]
	v_add_f64 v[60:61], v[70:71], -v[60:61]
	v_add_f64 v[58:59], v[70:71], v[54:55]
	v_add_f64 v[60:61], v[80:81], -v[60:61]
	v_add_f64 v[54:55], v[58:59], -v[54:55]
	v_cmp_le_f64_e32 vcc, 0.5, v[58:59]
	v_add_f64 v[52:53], v[60:61], v[52:53]
	v_add_f64 v[54:55], v[70:71], -v[54:55]
	v_addc_co_u32_e64 v56, s[10:11], 0, v19, vcc
	v_cndmask_b32_e32 v19, 0, v66, vcc
	v_add_f64 v[52:53], v[52:53], v[54:55]
	v_add_f64 v[54:55], v[58:59], -v[18:19]
	v_add_f64 v[58:59], v[54:55], v[52:53]
	v_add_f64 v[54:55], v[58:59], -v[54:55]
	s_mov_b32 s36, s38
	v_add_f64 v[52:53], v[52:53], -v[54:55]
	v_mul_f64 v[54:55], v[58:59], s[36:37]
	v_fma_f64 v[60:61], v[58:59], s[36:37], -v[54:55]
	s_mov_b32 s43, s41
	v_fmac_f64_e32 v[60:61], s[42:43], v[58:59]
	v_fmac_f64_e32 v[60:61], s[36:37], v[52:53]
	v_add_f64 v[52:53], v[54:55], v[60:61]
	v_add_f64 v[54:55], v[52:53], -v[54:55]
	v_add_f64 v[54:55], v[60:61], -v[54:55]
	s_andn2_saveexec_b64 s[10:11], s[12:13]
	s_cbranch_execnz .LBB254_34
	s_branch .LBB254_35
.LBB254_33:                             ;   in Loop: Header=BB254_4 Depth=1
	s_andn2_saveexec_b64 s[10:11], s[12:13]
	s_cbranch_execz .LBB254_35
.LBB254_34:                             ;   in Loop: Header=BB254_4 Depth=1
	v_mul_f64 v[52:53], |v[8:9]|, s[44:45]
	v_rndne_f64_e32 v[56:57], v[52:53]
	v_fma_f64 v[52:53], v[56:57], s[38:39], |v[8:9]|
	v_mul_f64 v[58:59], v[56:57], s[46:47]
	v_add_f64 v[70:71], v[52:53], v[58:59]
	v_fma_f64 v[54:55], s[46:47], v[56:57], v[52:53]
	s_mov_b32 s40, s46
	v_add_f64 v[52:53], v[52:53], -v[70:71]
	v_fma_f64 v[60:61], s[40:41], v[56:57], v[58:59]
	v_add_f64 v[52:53], v[52:53], v[58:59]
	v_add_f64 v[58:59], v[70:71], -v[54:55]
	v_add_f64 v[52:53], v[58:59], v[52:53]
	v_add_f64 v[58:59], v[52:53], -v[60:61]
	v_fmac_f64_e32 v[58:59], s[48:49], v[56:57]
	v_add_f64 v[52:53], v[54:55], v[58:59]
	v_add_f64 v[54:55], v[52:53], -v[54:55]
	v_add_f64 v[54:55], v[58:59], -v[54:55]
	v_cvt_i32_f64_e32 v56, v[56:57]
.LBB254_35:                             ;   in Loop: Header=BB254_4 Depth=1
	s_or_b64 exec, exec, s[10:11]
	v_mul_f64 v[58:59], v[48:49], v[48:49]
	v_pk_mov_b32 v[74:75], s[68:69], s[68:69] op_sel:[0,1]
	v_mul_f64 v[60:61], v[58:59], 0.5
	v_fma_f64 v[76:77], s[70:71], v[58:59], v[74:75]
	v_add_f64 v[70:71], -v[60:61], 1.0
	v_fma_f64 v[76:77], v[58:59], v[76:77], s[72:73]
	v_fma_f64 v[76:77], v[58:59], v[76:77], s[74:75]
	v_add_f64 v[78:79], -v[70:71], 1.0
	v_fma_f64 v[76:77], v[58:59], v[76:77], s[76:77]
	v_add_f64 v[60:61], v[78:79], -v[60:61]
	v_mul_f64 v[72:73], v[58:59], v[58:59]
	v_fma_f64 v[76:77], v[58:59], v[76:77], s[62:63]
	v_fma_f64 v[60:61], v[48:49], -v[50:51], v[60:61]
	v_fmac_f64_e32 v[60:61], v[72:73], v[76:77]
	v_pk_mov_b32 v[72:73], s[78:79], s[78:79] op_sel:[0,1]
	v_fma_f64 v[76:77], s[80:81], v[58:59], v[72:73]
	v_fma_f64 v[76:77], v[58:59], v[76:77], s[82:83]
	;; [unrolled: 1-line block ×3, first 2 shown]
	v_add_f64 v[60:61], v[70:71], v[60:61]
	v_mul_f64 v[70:71], v[48:49], -v[58:59]
	v_fma_f64 v[76:77], v[58:59], v[76:77], s[60:61]
	v_mul_f64 v[78:79], v[50:51], 0.5
	v_fmac_f64_e32 v[78:79], v[70:71], v[76:77]
	v_fma_f64 v[50:51], v[58:59], v[78:79], -v[50:51]
	s_mov_b32 s86, s62
	v_fmac_f64_e32 v[50:51], s[86:87], v[70:71]
	v_and_b32_e32 v19, 1, v46
	v_add_f64 v[48:49], v[48:49], -v[50:51]
	s_mov_b32 s10, 0x19ba0da4
	v_xor_b32_e32 v49, 0x80000000, v49
	v_cmp_eq_u32_e32 vcc, 0, v19
	v_lshlrev_b32_e32 v46, 30, v46
	s_mov_b32 s11, 0xc0937be3
	v_cndmask_b32_e32 v19, v48, v60, vcc
	v_cndmask_b32_e32 v48, v49, v61, vcc
	v_and_b32_e32 v46, 0x80000000, v46
	v_add_f64 v[6:7], -v[6:7], s[10:11]
	v_xor_b32_e32 v46, v48, v46
	v_mul_f64 v[48:49], v[6:7], s[52:53]
	v_rndne_f64_e32 v[48:49], v[48:49]
	v_fma_f64 v[50:51], s[54:55], v[48:49], v[6:7]
	v_fmac_f64_e32 v[50:51], s[56:57], v[48:49]
	v_pk_mov_b32 v[58:59], v[28:29], v[28:29] op_sel:[0,1]
	v_fmac_f64_e32 v[58:59], s[58:59], v[50:51]
	v_pk_mov_b32 v[60:61], v[30:31], v[30:31] op_sel:[0,1]
	;; [unrolled: 2-line block ×9, first 2 shown]
	v_fmac_f64_e32 v[58:59], v[50:51], v[60:61]
	v_cmp_class_f64_e64 vcc, v[8:9], s4
	v_fma_f64 v[58:59], v[50:51], v[58:59], 1.0
	s_mov_b32 s10, 0
	v_cndmask_b32_e32 v8, 0, v19, vcc
	v_fma_f64 v[50:51], v[50:51], v[58:59], 1.0
	v_cvt_i32_f64_e32 v19, v[48:49]
	s_mov_b32 s11, 0x40900000
	s_mov_b32 s12, 0
	v_ldexp_f64 v[48:49], v[50:51], v19
	v_cmp_nlt_f64_e64 s[10:11], s[10:11], v[6:7]
	s_mov_b32 s13, 0xc090cc00
	v_cndmask_b32_e64 v19, v67, v49, s[10:11]
	v_cmp_ngt_f64_e64 s[12:13], s[12:13], v[6:7]
	v_cndmask_b32_e64 v19, 0, v19, s[12:13]
	v_and_b32_e32 v7, 0xfffff, v19
	v_lshrrev_b32_e32 v19, 20, v19
	v_cndmask_b32_e32 v9, v68, v46, vcc
	v_add_u32_e32 v46, 0xffffff09, v19
	v_lshrrev_b16_e32 v19, 15, v46
	v_add_u16_e32 v19, v46, v19
	s_and_b64 s[10:11], s[12:13], s[10:11]
	v_ashrrev_i16_e32 v19, 1, v19
	v_cndmask_b32_e64 v6, 0, v48, s[10:11]
	v_or_b32_e32 v7, 0x7fe00000, v7
	v_bfe_i32 v48, v19, 0, 16
	v_mul_f64 v[8:9], v[6:7], v[8:9]
	v_lshl_add_u32 v19, v48, 20, v66
	v_sub_u32_e32 v46, v46, v48
	v_mul_f64 v[8:9], v[8:9], v[18:19]
	v_lshl_add_u32 v51, v46, 20, v66
	v_mov_b32_e32 v50, v18
	v_mul_f64 v[48:49], v[8:9], v[50:51]
	v_mul_f64 v[8:9], v[52:53], v[52:53]
	v_mul_f64 v[58:59], v[8:9], 0.5
	v_fmac_f64_e32 v[74:75], s[70:71], v[8:9]
	v_add_f64 v[60:61], -v[58:59], 1.0
	v_fma_f64 v[74:75], v[8:9], v[74:75], s[72:73]
	v_add_f64 v[70:71], -v[60:61], 1.0
	v_fma_f64 v[74:75], v[8:9], v[74:75], s[74:75]
	v_add_f64 v[58:59], v[70:71], -v[58:59]
	v_fma_f64 v[74:75], v[8:9], v[74:75], s[76:77]
	v_mul_f64 v[70:71], v[8:9], v[8:9]
	v_fma_f64 v[74:75], v[8:9], v[74:75], s[62:63]
	v_fma_f64 v[58:59], v[52:53], -v[54:55], v[58:59]
	v_fmac_f64_e32 v[58:59], v[70:71], v[74:75]
	v_fmac_f64_e32 v[72:73], s[80:81], v[8:9]
	v_add_f64 v[58:59], v[60:61], v[58:59]
	v_fma_f64 v[60:61], v[8:9], v[72:73], s[82:83]
	v_fma_f64 v[60:61], v[8:9], v[60:61], s[84:85]
	v_fma_f64 v[60:61], v[8:9], v[60:61], s[60:61]
	v_mul_f64 v[70:71], v[52:53], -v[8:9]
	v_mul_f64 v[72:73], v[54:55], 0.5
	v_fmac_f64_e32 v[72:73], v[70:71], v[60:61]
	v_fma_f64 v[8:9], v[8:9], v[72:73], -v[54:55]
	v_and_b32_e32 v46, 1, v56
	v_fmac_f64_e32 v[8:9], s[86:87], v[70:71]
	v_cmp_eq_u32_e64 s[10:11], 0, v46
	v_lshlrev_b32_e32 v46, 30, v56
	v_add_f64 v[8:9], v[52:53], -v[8:9]
	v_xor_b32_e32 v46, v46, v47
	v_cndmask_b32_e64 v9, v59, v9, s[10:11]
	v_and_b32_e32 v46, 0x80000000, v46
	v_cndmask_b32_e64 v8, v58, v8, s[10:11]
	v_xor_b32_e32 v9, v9, v46
	v_cndmask_b32_e32 v8, 0, v8, vcc
	v_cndmask_b32_e32 v9, v68, v9, vcc
	v_mul_f64 v[6:7], v[6:7], v[8:9]
	v_mul_f64 v[6:7], v[6:7], v[18:19]
	;; [unrolled: 1-line block ×3, first 2 shown]
	s_or_b64 exec, exec, s[90:91]
                                        ; implicit-def: $vgpr50_vgpr51
                                        ; implicit-def: $vgpr6_vgpr7
                                        ; implicit-def: $vgpr19
.LBB254_36:                             ;   in Loop: Header=BB254_4 Depth=1
	s_andn2_saveexec_b64 s[12:13], s[88:89]
	s_cbranch_execz .LBB254_42
.LBB254_37:                             ;   in Loop: Header=BB254_4 Depth=1
	v_cmp_ne_u32_e32 vcc, 0, v50
	v_cmp_ne_u32_e64 s[10:11], s5, v19
	s_or_b64 s[10:11], vcc, s[10:11]
	v_add_f64 v[46:47], v[8:9], -v[8:9]
	s_and_saveexec_b64 s[88:89], s[10:11]
	s_xor_b64 s[10:11], exec, s[88:89]
; %bb.38:                               ;   in Loop: Header=BB254_4 Depth=1
                                        ; implicit-def: $vgpr50_vgpr51
                                        ; implicit-def: $vgpr6_vgpr7
; %bb.39:                               ;   in Loop: Header=BB254_4 Depth=1
	s_or_saveexec_b64 s[10:11], s[10:11]
	v_pk_mov_b32 v[48:49], v[46:47], v[46:47] op_sel:[0,1]
	s_xor_b64 exec, exec, s[10:11]
; %bb.40:                               ;   in Loop: Header=BB254_4 Depth=1
	v_cmp_lt_i64_e32 vcc, -1, v[50:51]
	v_cndmask_b32_e32 v49, 0, v51, vcc
	v_cndmask_b32_e32 v48, 0, v6, vcc
	;; [unrolled: 1-line block ×4, first 2 shown]
; %bb.41:                               ;   in Loop: Header=BB254_4 Depth=1
	s_or_b64 exec, exec, s[10:11]
.LBB254_42:                             ;   in Loop: Header=BB254_4 Depth=1
	s_or_b64 exec, exec, s[12:13]
                                        ; implicit-def: $vgpr8_vgpr9
.LBB254_43:                             ;   in Loop: Header=BB254_4 Depth=1
	s_andn2_saveexec_b64 s[12:13], s[20:21]
	s_cbranch_execz .LBB254_53
; %bb.44:                               ;   in Loop: Header=BB254_4 Depth=1
	s_mov_b32 s10, 0
	s_mov_b32 s11, 0x41d00000
	v_cmp_nlt_f64_e64 s[20:21], |v[8:9]|, s[10:11]
	v_trig_preop_f64 v[54:55], |v[8:9]|, 0
	v_trig_preop_f64 v[52:53], |v[8:9]|, 1
	v_ldexp_f64 v[56:57], |v[8:9]|, s29
	v_trig_preop_f64 v[50:51], |v[8:9]|, 2
	v_and_b32_e32 v69, 0x7fffffff, v9
                                        ; implicit-def: $vgpr46
                                        ; implicit-def: $vgpr6_vgpr7
                                        ; implicit-def: $vgpr48_vgpr49
	s_and_saveexec_b64 s[10:11], s[20:21]
	s_xor_b64 s[88:89], exec, s[10:11]
	s_cbranch_execz .LBB254_46
; %bb.45:                               ;   in Loop: Header=BB254_4 Depth=1
	v_cmp_ge_f64_e64 vcc, |v[8:9]|, s[30:31]
	v_cndmask_b32_e32 v7, v69, v57, vcc
	v_cndmask_b32_e32 v6, v8, v56, vcc
	v_mul_f64 v[58:59], v[54:55], v[6:7]
	v_mul_f64 v[48:49], v[52:53], v[6:7]
	v_fma_f64 v[60:61], v[54:55], v[6:7], -v[58:59]
	v_add_f64 v[70:71], v[48:49], v[60:61]
	v_add_f64 v[72:73], v[58:59], v[70:71]
	v_ldexp_f64 v[74:75], v[72:73], -2
	v_fract_f64_e32 v[76:77], v[74:75]
	v_cmp_neq_f64_e64 vcc, |v[74:75]|, s[34:35]
	v_cndmask_b32_e32 v75, 0, v77, vcc
	v_cndmask_b32_e32 v74, 0, v76, vcc
	v_add_f64 v[76:77], v[70:71], -v[48:49]
	v_add_f64 v[60:61], v[60:61], -v[76:77]
	;; [unrolled: 1-line block ×4, first 2 shown]
	v_add_f64 v[60:61], v[60:61], v[76:77]
	v_fma_f64 v[48:49], v[52:53], v[6:7], -v[48:49]
	v_mul_f64 v[76:77], v[50:51], v[6:7]
	v_add_f64 v[78:79], v[76:77], v[48:49]
	v_add_f64 v[80:81], v[78:79], v[60:61]
	v_add_f64 v[58:59], v[72:73], -v[58:59]
	v_add_f64 v[72:73], v[80:81], -v[78:79]
	;; [unrolled: 1-line block ×5, first 2 shown]
	v_add_f64 v[60:61], v[60:61], v[72:73]
	v_add_f64 v[72:73], v[78:79], -v[76:77]
	v_add_f64 v[48:49], v[48:49], -v[72:73]
	;; [unrolled: 1-line block ×5, first 2 shown]
	v_add_f64 v[70:71], v[58:59], v[80:81]
	v_add_f64 v[48:49], v[48:49], v[72:73]
	v_add_f64 v[58:59], v[70:71], -v[58:59]
	v_add_f64 v[48:49], v[48:49], v[60:61]
	v_fma_f64 v[6:7], v[50:51], v[6:7], -v[76:77]
	v_add_f64 v[58:59], v[80:81], -v[58:59]
	v_add_f64 v[6:7], v[6:7], v[48:49]
	v_ldexp_f64 v[48:49], v[74:75], 2
	v_add_f64 v[6:7], v[58:59], v[6:7]
	v_add_f64 v[58:59], v[70:71], v[48:49]
	v_cmp_gt_f64_e32 vcc, 0, v[58:59]
	v_cndmask_b32_e32 v19, 0, v65, vcc
	v_add_f64 v[48:49], v[48:49], v[18:19]
	v_add_f64 v[58:59], v[70:71], v[48:49]
	v_cvt_i32_f64_e32 v19, v[58:59]
	v_cvt_f64_i32_e32 v[58:59], v19
	v_add_f64 v[48:49], v[48:49], -v[58:59]
	v_add_f64 v[58:59], v[70:71], v[48:49]
	v_add_f64 v[48:49], v[58:59], -v[48:49]
	v_cmp_le_f64_e32 vcc, 0.5, v[58:59]
	v_add_f64 v[48:49], v[70:71], -v[48:49]
	v_addc_co_u32_e64 v46, s[10:11], 0, v19, vcc
	v_cndmask_b32_e32 v19, 0, v66, vcc
	v_add_f64 v[6:7], v[6:7], v[48:49]
	v_add_f64 v[48:49], v[58:59], -v[18:19]
	v_add_f64 v[58:59], v[48:49], v[6:7]
	v_add_f64 v[48:49], v[58:59], -v[48:49]
	s_mov_b32 s36, s38
	v_add_f64 v[6:7], v[6:7], -v[48:49]
	v_mul_f64 v[48:49], v[58:59], s[36:37]
	v_fma_f64 v[60:61], v[58:59], s[36:37], -v[48:49]
	s_mov_b32 s43, s41
	v_fmac_f64_e32 v[60:61], s[42:43], v[58:59]
	v_fmac_f64_e32 v[60:61], s[36:37], v[6:7]
	v_add_f64 v[6:7], v[48:49], v[60:61]
	v_add_f64 v[48:49], v[6:7], -v[48:49]
	v_add_f64 v[48:49], v[60:61], -v[48:49]
	s_andn2_saveexec_b64 s[10:11], s[88:89]
	s_cbranch_execz .LBB254_48
	s_branch .LBB254_47
.LBB254_46:                             ;   in Loop: Header=BB254_4 Depth=1
	s_andn2_saveexec_b64 s[10:11], s[88:89]
	s_cbranch_execz .LBB254_48
.LBB254_47:                             ;   in Loop: Header=BB254_4 Depth=1
	v_mul_f64 v[6:7], |v[8:9]|, s[44:45]
	v_rndne_f64_e32 v[58:59], v[6:7]
	v_fma_f64 v[6:7], v[58:59], s[38:39], |v[8:9]|
	v_mul_f64 v[60:61], v[58:59], s[46:47]
	v_add_f64 v[72:73], v[6:7], v[60:61]
	v_fma_f64 v[48:49], s[46:47], v[58:59], v[6:7]
	s_mov_b32 s40, s46
	v_add_f64 v[6:7], v[6:7], -v[72:73]
	v_fma_f64 v[70:71], s[40:41], v[58:59], v[60:61]
	v_add_f64 v[6:7], v[6:7], v[60:61]
	v_add_f64 v[60:61], v[72:73], -v[48:49]
	v_add_f64 v[6:7], v[60:61], v[6:7]
	v_add_f64 v[60:61], v[6:7], -v[70:71]
	v_fmac_f64_e32 v[60:61], s[48:49], v[58:59]
	v_add_f64 v[6:7], v[48:49], v[60:61]
	v_add_f64 v[48:49], v[6:7], -v[48:49]
	v_add_f64 v[48:49], v[60:61], -v[48:49]
	v_cvt_i32_f64_e32 v46, v[58:59]
.LBB254_48:                             ;   in Loop: Header=BB254_4 Depth=1
	s_or_b64 exec, exec, s[10:11]
                                        ; implicit-def: $vgpr70
                                        ; implicit-def: $vgpr58_vgpr59
                                        ; implicit-def: $vgpr60_vgpr61
	s_and_saveexec_b64 s[10:11], s[20:21]
	s_xor_b64 s[20:21], exec, s[10:11]
	s_cbranch_execz .LBB254_50
; %bb.49:                               ;   in Loop: Header=BB254_4 Depth=1
	v_cmp_ge_f64_e64 vcc, |v[8:9]|, s[30:31]
	v_cndmask_b32_e32 v57, v69, v57, vcc
	v_cndmask_b32_e32 v56, v8, v56, vcc
	v_mul_f64 v[60:61], v[54:55], v[56:57]
	v_mul_f64 v[58:59], v[52:53], v[56:57]
	v_fma_f64 v[54:55], v[54:55], v[56:57], -v[60:61]
	v_add_f64 v[70:71], v[58:59], v[54:55]
	v_add_f64 v[72:73], v[60:61], v[70:71]
	v_ldexp_f64 v[74:75], v[72:73], -2
	v_fract_f64_e32 v[76:77], v[74:75]
	v_cmp_neq_f64_e64 vcc, |v[74:75]|, s[34:35]
	v_cndmask_b32_e32 v75, 0, v77, vcc
	v_cndmask_b32_e32 v74, 0, v76, vcc
	v_add_f64 v[76:77], v[70:71], -v[58:59]
	v_add_f64 v[54:55], v[54:55], -v[76:77]
	;; [unrolled: 1-line block ×4, first 2 shown]
	v_fma_f64 v[52:53], v[52:53], v[56:57], -v[58:59]
	v_mul_f64 v[58:59], v[50:51], v[56:57]
	v_add_f64 v[54:55], v[54:55], v[76:77]
	v_add_f64 v[76:77], v[58:59], v[52:53]
	;; [unrolled: 1-line block ×3, first 2 shown]
	v_add_f64 v[60:61], v[72:73], -v[60:61]
	v_add_f64 v[72:73], v[78:79], -v[76:77]
	;; [unrolled: 1-line block ×5, first 2 shown]
	v_add_f64 v[54:55], v[54:55], v[72:73]
	v_add_f64 v[72:73], v[76:77], -v[58:59]
	v_add_f64 v[52:53], v[52:53], -v[72:73]
	;; [unrolled: 1-line block ×4, first 2 shown]
	v_add_f64 v[52:53], v[52:53], v[72:73]
	v_add_f64 v[60:61], v[70:71], -v[60:61]
	v_add_f64 v[52:53], v[52:53], v[54:55]
	v_fma_f64 v[50:51], v[50:51], v[56:57], -v[58:59]
	v_add_f64 v[70:71], v[60:61], v[78:79]
	v_add_f64 v[50:51], v[50:51], v[52:53]
	v_ldexp_f64 v[52:53], v[74:75], 2
	v_add_f64 v[54:55], v[70:71], v[52:53]
	v_cmp_gt_f64_e32 vcc, 0, v[54:55]
	v_cndmask_b32_e32 v19, 0, v65, vcc
	v_add_f64 v[52:53], v[52:53], v[18:19]
	v_add_f64 v[54:55], v[70:71], v[52:53]
	v_cvt_i32_f64_e32 v19, v[54:55]
	v_cvt_f64_i32_e32 v[54:55], v19
	v_add_f64 v[52:53], v[52:53], -v[54:55]
	v_add_f64 v[60:61], v[70:71], -v[60:61]
	v_add_f64 v[54:55], v[70:71], v[52:53]
	v_add_f64 v[60:61], v[78:79], -v[60:61]
	v_add_f64 v[52:53], v[54:55], -v[52:53]
	v_cmp_le_f64_e32 vcc, 0.5, v[54:55]
	v_add_f64 v[50:51], v[60:61], v[50:51]
	v_add_f64 v[52:53], v[70:71], -v[52:53]
	v_addc_co_u32_e64 v70, s[10:11], 0, v19, vcc
	v_cndmask_b32_e32 v19, 0, v66, vcc
	v_add_f64 v[50:51], v[50:51], v[52:53]
	v_add_f64 v[52:53], v[54:55], -v[18:19]
	v_add_f64 v[54:55], v[52:53], v[50:51]
	v_add_f64 v[52:53], v[54:55], -v[52:53]
	s_mov_b32 s36, s38
	v_add_f64 v[50:51], v[50:51], -v[52:53]
	v_mul_f64 v[52:53], v[54:55], s[36:37]
	v_fma_f64 v[56:57], v[54:55], s[36:37], -v[52:53]
	s_mov_b32 s43, s41
	v_fmac_f64_e32 v[56:57], s[42:43], v[54:55]
	v_fmac_f64_e32 v[56:57], s[36:37], v[50:51]
	v_add_f64 v[58:59], v[52:53], v[56:57]
	v_add_f64 v[50:51], v[58:59], -v[52:53]
	v_add_f64 v[60:61], v[56:57], -v[50:51]
	s_andn2_saveexec_b64 s[10:11], s[20:21]
	s_cbranch_execnz .LBB254_51
	s_branch .LBB254_52
.LBB254_50:                             ;   in Loop: Header=BB254_4 Depth=1
	s_andn2_saveexec_b64 s[10:11], s[20:21]
	s_cbranch_execz .LBB254_52
.LBB254_51:                             ;   in Loop: Header=BB254_4 Depth=1
	v_mul_f64 v[50:51], |v[8:9]|, s[44:45]
	v_rndne_f64_e32 v[50:51], v[50:51]
	v_fma_f64 v[52:53], v[50:51], s[38:39], |v[8:9]|
	v_mul_f64 v[56:57], v[50:51], s[46:47]
	v_add_f64 v[60:61], v[52:53], v[56:57]
	v_fma_f64 v[54:55], s[46:47], v[50:51], v[52:53]
	s_mov_b32 s40, s46
	v_add_f64 v[52:53], v[52:53], -v[60:61]
	v_fma_f64 v[58:59], s[40:41], v[50:51], v[56:57]
	v_add_f64 v[52:53], v[52:53], v[56:57]
	v_add_f64 v[56:57], v[60:61], -v[54:55]
	v_add_f64 v[52:53], v[56:57], v[52:53]
	v_add_f64 v[52:53], v[52:53], -v[58:59]
	v_fmac_f64_e32 v[52:53], s[48:49], v[50:51]
	v_add_f64 v[58:59], v[54:55], v[52:53]
	v_add_f64 v[54:55], v[58:59], -v[54:55]
	v_add_f64 v[60:61], v[52:53], -v[54:55]
	v_cvt_i32_f64_e32 v70, v[50:51]
.LBB254_52:                             ;   in Loop: Header=BB254_4 Depth=1
	s_or_b64 exec, exec, s[10:11]
	v_mul_f64 v[50:51], v[6:7], v[6:7]
	v_pk_mov_b32 v[72:73], s[68:69], s[68:69] op_sel:[0,1]
	v_mul_f64 v[52:53], v[50:51], 0.5
	v_fma_f64 v[74:75], s[70:71], v[50:51], v[72:73]
	v_add_f64 v[54:55], -v[52:53], 1.0
	v_fma_f64 v[74:75], v[50:51], v[74:75], s[72:73]
	v_add_f64 v[56:57], -v[54:55], 1.0
	v_fma_f64 v[74:75], v[50:51], v[74:75], s[74:75]
	v_add_f64 v[52:53], v[56:57], -v[52:53]
	v_fma_f64 v[74:75], v[50:51], v[74:75], s[76:77]
	v_mul_f64 v[56:57], v[50:51], v[50:51]
	v_fma_f64 v[74:75], v[50:51], v[74:75], s[62:63]
	v_fma_f64 v[52:53], v[6:7], -v[48:49], v[52:53]
	v_fmac_f64_e32 v[52:53], v[56:57], v[74:75]
	v_add_f64 v[52:53], v[54:55], v[52:53]
	v_pk_mov_b32 v[54:55], s[78:79], s[78:79] op_sel:[0,1]
	v_fma_f64 v[56:57], s[80:81], v[50:51], v[54:55]
	v_fma_f64 v[56:57], v[50:51], v[56:57], s[82:83]
	;; [unrolled: 1-line block ×4, first 2 shown]
	v_mul_f64 v[74:75], v[6:7], -v[50:51]
	v_mul_f64 v[76:77], v[48:49], 0.5
	v_fmac_f64_e32 v[76:77], v[74:75], v[56:57]
	v_fma_f64 v[48:49], v[50:51], v[76:77], -v[48:49]
	s_mov_b32 s86, s62
	v_fmac_f64_e32 v[48:49], s[86:87], v[74:75]
	v_add_f64 v[6:7], v[6:7], -v[48:49]
	v_and_b32_e32 v19, 1, v46
	v_xor_b32_e32 v7, 0x80000000, v7
	v_cmp_eq_u32_e32 vcc, 0, v19
	v_lshlrev_b32_e32 v19, 30, v46
	v_cndmask_b32_e32 v7, v7, v53, vcc
	v_and_b32_e32 v19, 0x80000000, v19
	v_cndmask_b32_e32 v6, v6, v52, vcc
	v_xor_b32_e32 v7, v7, v19
	v_cmp_class_f64_e64 vcc, v[8:9], s4
	v_cndmask_b32_e32 v48, 0, v6, vcc
	v_cndmask_b32_e32 v49, v68, v7, vcc
	v_mul_f64 v[6:7], v[58:59], v[58:59]
	v_mul_f64 v[8:9], v[6:7], 0.5
	v_fmac_f64_e32 v[72:73], s[70:71], v[6:7]
	v_add_f64 v[50:51], -v[8:9], 1.0
	v_fma_f64 v[56:57], v[6:7], v[72:73], s[72:73]
	v_add_f64 v[52:53], -v[50:51], 1.0
	v_fma_f64 v[56:57], v[6:7], v[56:57], s[74:75]
	v_add_f64 v[8:9], v[52:53], -v[8:9]
	v_fma_f64 v[56:57], v[6:7], v[56:57], s[76:77]
	v_mul_f64 v[52:53], v[6:7], v[6:7]
	v_fma_f64 v[56:57], v[6:7], v[56:57], s[62:63]
	v_fma_f64 v[8:9], v[58:59], -v[60:61], v[8:9]
	v_fmac_f64_e32 v[8:9], v[52:53], v[56:57]
	v_fmac_f64_e32 v[54:55], s[80:81], v[6:7]
	v_add_f64 v[8:9], v[50:51], v[8:9]
	v_fma_f64 v[50:51], v[6:7], v[54:55], s[82:83]
	v_fma_f64 v[50:51], v[6:7], v[50:51], s[84:85]
	;; [unrolled: 1-line block ×3, first 2 shown]
	v_mul_f64 v[52:53], v[58:59], -v[6:7]
	v_mul_f64 v[54:55], v[60:61], 0.5
	v_fmac_f64_e32 v[54:55], v[52:53], v[50:51]
	v_fma_f64 v[6:7], v[6:7], v[54:55], -v[60:61]
	v_fmac_f64_e32 v[6:7], s[86:87], v[52:53]
	v_and_b32_e32 v19, 1, v70
	v_add_f64 v[6:7], v[58:59], -v[6:7]
	v_cmp_eq_u32_e64 s[10:11], 0, v19
	v_cndmask_b32_e64 v6, v8, v6, s[10:11]
	v_lshlrev_b32_e32 v8, 30, v70
	v_xor_b32_e32 v8, v8, v47
	v_cndmask_b32_e64 v7, v9, v7, s[10:11]
	v_and_b32_e32 v8, 0x80000000, v8
	v_xor_b32_e32 v7, v7, v8
	v_cndmask_b32_e32 v46, 0, v6, vcc
	v_cndmask_b32_e32 v47, v68, v7, vcc
.LBB254_53:                             ;   in Loop: Header=BB254_4 Depth=1
	s_or_b64 exec, exec, s[12:13]
                                        ; implicit-def: $vgpr6_vgpr7
.LBB254_54:                             ;   in Loop: Header=BB254_4 Depth=1
	s_andn2_saveexec_b64 s[12:13], s[94:95]
	s_cbranch_execz .LBB254_56
; %bb.55:                               ;   in Loop: Header=BB254_4 Depth=1
	s_mov_b32 s50, s52
	v_mul_f64 v[8:9], v[6:7], s[50:51]
	v_rndne_f64_e32 v[8:9], v[8:9]
	v_fma_f64 v[48:49], v[8:9], s[54:55], -v[6:7]
	v_fmac_f64_e32 v[48:49], s[56:57], v[8:9]
	v_pk_mov_b32 v[50:51], v[28:29], v[28:29] op_sel:[0,1]
	v_fmac_f64_e32 v[50:51], s[58:59], v[48:49]
	v_pk_mov_b32 v[52:53], v[30:31], v[30:31] op_sel:[0,1]
	;; [unrolled: 2-line block ×9, first 2 shown]
	v_fmac_f64_e32 v[50:51], v[48:49], v[52:53]
	v_fma_f64 v[50:51], v[48:49], v[50:51], 1.0
	v_fma_f64 v[48:49], v[48:49], v[50:51], 1.0
	v_cvt_i32_f64_e32 v8, v[8:9]
	v_ldexp_f64 v[8:9], v[48:49], v8
	v_cmp_ngt_f64_e32 vcc, s[64:65], v[6:7]
	v_cmp_nlt_f64_e64 s[10:11], s[66:67], v[6:7]
	v_cndmask_b32_e32 v9, v67, v9, vcc
	s_and_b64 vcc, s[10:11], vcc
	v_cndmask_b32_e64 v49, 0, v9, s[10:11]
	v_cndmask_b32_e32 v48, 0, v8, vcc
.LBB254_56:                             ;   in Loop: Header=BB254_4 Depth=1
	s_or_b64 exec, exec, s[12:13]
	v_add_f64 v[48:49], s[16:17], v[48:49]
	v_add_f64 v[46:47], s[18:19], v[46:47]
	v_xor_b32_e32 v6, 0x80000000, v49
	v_cmp_gt_f64_e32 vcc, 0, v[48:49]
	v_cndmask_b32_e32 v53, v49, v6, vcc
	v_cndmask_b32_e32 v52, v48, v48, vcc
	v_xor_b32_e32 v6, 0x80000000, v47
	v_cmp_gt_f64_e32 vcc, 0, v[46:47]
	v_cndmask_b32_e32 v51, v47, v6, vcc
	v_cndmask_b32_e32 v50, v46, v46, vcc
	v_cmp_ge_f64_e32 vcc, v[52:53], v[50:51]
                                        ; implicit-def: $vgpr8_vgpr9
	s_and_saveexec_b64 s[10:11], vcc
	s_xor_b64 s[12:13], exec, s[10:11]
	s_cbranch_execz .LBB254_62
; %bb.57:                               ;   in Loop: Header=BB254_4 Depth=1
	v_cmp_neq_f64_e32 vcc, 0, v[48:49]
	v_cmp_neq_f64_e64 s[10:11], 0, v[46:47]
	s_or_b64 s[10:11], vcc, s[10:11]
                                        ; implicit-def: $vgpr8_vgpr9
	s_and_saveexec_b64 s[20:21], s[10:11]
	s_xor_b64 s[10:11], exec, s[20:21]
	s_cbranch_execz .LBB254_59
; %bb.58:                               ;   in Loop: Header=BB254_4 Depth=1
	v_div_scale_f64 v[6:7], s[20:21], v[48:49], v[48:49], v[46:47]
	v_rcp_f64_e32 v[8:9], v[6:7]
	v_div_scale_f64 v[50:51], vcc, v[46:47], v[48:49], v[46:47]
	v_fma_f64 v[52:53], -v[6:7], v[8:9], 1.0
	v_fmac_f64_e32 v[8:9], v[8:9], v[52:53]
	v_fma_f64 v[52:53], -v[6:7], v[8:9], 1.0
	v_fmac_f64_e32 v[8:9], v[8:9], v[52:53]
	v_mul_f64 v[52:53], v[50:51], v[8:9]
	v_fma_f64 v[6:7], -v[6:7], v[52:53], v[50:51]
	v_div_fmas_f64 v[6:7], v[6:7], v[8:9], v[52:53]
	v_div_fixup_f64 v[8:9], v[6:7], v[48:49], v[46:47]
	v_fmac_f64_e32 v[48:49], v[46:47], v[8:9]
	v_div_scale_f64 v[6:7], s[20:21], v[48:49], v[48:49], 1.0
	v_rcp_f64_e32 v[46:47], v[6:7]
	v_fma_f64 v[50:51], -v[6:7], v[46:47], 1.0
	v_fmac_f64_e32 v[46:47], v[46:47], v[50:51]
	v_fma_f64 v[50:51], -v[6:7], v[46:47], 1.0
	v_fmac_f64_e32 v[46:47], v[46:47], v[50:51]
	v_div_scale_f64 v[50:51], vcc, 1.0, v[48:49], 1.0
	v_mul_f64 v[52:53], v[50:51], v[46:47]
	v_fma_f64 v[6:7], -v[6:7], v[52:53], v[50:51]
                                        ; implicit-def: $vgpr50_vgpr51
	s_nop 1
	v_div_fmas_f64 v[6:7], v[6:7], v[46:47], v[52:53]
	v_div_fixup_f64 v[46:47], v[6:7], v[48:49], 1.0
	v_pk_mov_b32 v[6:7], s[16:17], s[16:17] op_sel:[0,1]
	v_pk_mov_b32 v[48:49], s[18:19], s[18:19] op_sel:[0,1]
	v_fma_f64 v[6:7], s[18:19], v[8:9], v[6:7]
	v_fma_f64 v[8:9], -s[16:17], v[8:9], v[48:49]
	v_mul_f64 v[6:7], v[6:7], v[46:47]
	v_mul_f64 v[8:9], v[8:9], v[46:47]
                                        ; implicit-def: $vgpr52_vgpr53
.LBB254_59:                             ;   in Loop: Header=BB254_4 Depth=1
	s_andn2_saveexec_b64 s[10:11], s[10:11]
	s_cbranch_execz .LBB254_61
; %bb.60:                               ;   in Loop: Header=BB254_4 Depth=1
	v_div_scale_f64 v[6:7], s[20:21], v[52:53], v[52:53], s[16:17]
	v_rcp_f64_e32 v[8:9], v[6:7]
	v_div_scale_f64 v[46:47], vcc, s[16:17], v[52:53], s[16:17]
	v_fma_f64 v[48:49], -v[6:7], v[8:9], 1.0
	v_fmac_f64_e32 v[8:9], v[8:9], v[48:49]
	v_fma_f64 v[48:49], -v[6:7], v[8:9], 1.0
	v_fmac_f64_e32 v[8:9], v[8:9], v[48:49]
	v_mul_f64 v[48:49], v[46:47], v[8:9]
	v_fma_f64 v[6:7], -v[6:7], v[48:49], v[46:47]
	v_div_scale_f64 v[46:47], s[20:21], v[50:51], v[50:51], s[18:19]
	v_rcp_f64_e32 v[54:55], v[46:47]
	v_div_fmas_f64 v[6:7], v[6:7], v[8:9], v[48:49]
	v_div_fixup_f64 v[6:7], v[6:7], v[52:53], s[16:17]
	v_fma_f64 v[8:9], -v[46:47], v[54:55], 1.0
	v_fmac_f64_e32 v[54:55], v[54:55], v[8:9]
	v_fma_f64 v[8:9], -v[46:47], v[54:55], 1.0
	v_fmac_f64_e32 v[54:55], v[54:55], v[8:9]
	v_div_scale_f64 v[8:9], vcc, s[18:19], v[50:51], s[18:19]
	v_mul_f64 v[48:49], v[8:9], v[54:55]
	v_fma_f64 v[8:9], -v[46:47], v[48:49], v[8:9]
	s_nop 1
	v_div_fmas_f64 v[8:9], v[8:9], v[54:55], v[48:49]
	v_div_fixup_f64 v[8:9], v[8:9], v[50:51], s[18:19]
.LBB254_61:                             ;   in Loop: Header=BB254_4 Depth=1
	s_or_b64 exec, exec, s[10:11]
                                        ; implicit-def: $vgpr46_vgpr47
                                        ; implicit-def: $vgpr48_vgpr49
.LBB254_62:                             ;   in Loop: Header=BB254_4 Depth=1
	s_andn2_saveexec_b64 s[10:11], s[12:13]
	s_cbranch_execz .LBB254_64
; %bb.63:                               ;   in Loop: Header=BB254_4 Depth=1
	v_div_scale_f64 v[6:7], s[12:13], v[46:47], v[46:47], v[48:49]
	v_rcp_f64_e32 v[8:9], v[6:7]
	v_div_scale_f64 v[50:51], vcc, v[48:49], v[46:47], v[48:49]
	v_fma_f64 v[52:53], -v[6:7], v[8:9], 1.0
	v_fmac_f64_e32 v[8:9], v[8:9], v[52:53]
	v_fma_f64 v[52:53], -v[6:7], v[8:9], 1.0
	v_fmac_f64_e32 v[8:9], v[8:9], v[52:53]
	v_mul_f64 v[52:53], v[50:51], v[8:9]
	v_fma_f64 v[6:7], -v[6:7], v[52:53], v[50:51]
	v_div_fmas_f64 v[6:7], v[6:7], v[8:9], v[52:53]
	v_div_fixup_f64 v[8:9], v[6:7], v[46:47], v[48:49]
	v_fmac_f64_e32 v[46:47], v[48:49], v[8:9]
	v_div_scale_f64 v[6:7], s[12:13], v[46:47], v[46:47], 1.0
	v_rcp_f64_e32 v[48:49], v[6:7]
	v_fma_f64 v[50:51], -v[6:7], v[48:49], 1.0
	v_fmac_f64_e32 v[48:49], v[48:49], v[50:51]
	v_fma_f64 v[50:51], -v[6:7], v[48:49], 1.0
	v_fmac_f64_e32 v[48:49], v[48:49], v[50:51]
	v_div_scale_f64 v[50:51], vcc, 1.0, v[46:47], 1.0
	v_mul_f64 v[52:53], v[50:51], v[48:49]
	v_fma_f64 v[6:7], -v[6:7], v[52:53], v[50:51]
	s_nop 1
	v_div_fmas_f64 v[6:7], v[6:7], v[48:49], v[52:53]
	v_div_fixup_f64 v[46:47], v[6:7], v[46:47], 1.0
	v_pk_mov_b32 v[6:7], s[18:19], s[18:19] op_sel:[0,1]
	v_pk_mov_b32 v[48:49], s[16:17], s[16:17] op_sel:[0,1]
	v_fma_f64 v[6:7], s[16:17], v[8:9], v[6:7]
	v_fma_f64 v[8:9], s[18:19], v[8:9], -v[48:49]
	v_mul_f64 v[6:7], v[6:7], v[46:47]
	v_mul_f64 v[8:9], v[8:9], v[46:47]
.LBB254_64:                             ;   in Loop: Header=BB254_4 Depth=1
	s_or_b64 exec, exec, s[10:11]
	v_xor_b32_e32 v47, 0x80000000, v17
	v_mov_b32_e32 v46, v16
	v_and_b32_e32 v52, 0x7fffffff, v47
	v_or_b32_e32 v19, v52, v46
	v_cmp_ne_u32_e32 vcc, 0, v19
                                        ; implicit-def: $vgpr48_vgpr49
	s_and_saveexec_b64 s[10:11], vcc
	s_xor_b64 s[94:95], exec, s[10:11]
	s_cbranch_execz .LBB254_106
; %bb.65:                               ;   in Loop: Header=BB254_4 Depth=1
	v_xor_b32_e32 v51, 0x80000000, v15
	v_mov_b32_e32 v50, v14
	v_and_b32_e32 v19, 0x7fffffff, v51
	v_or_b32_e32 v46, v19, v50
	v_cmp_ne_u32_e32 vcc, 0, v46
                                        ; implicit-def: $vgpr48_vgpr49
	s_and_saveexec_b64 s[10:11], vcc
	s_xor_b64 s[20:21], exec, s[10:11]
	s_cbranch_execz .LBB254_95
; %bb.66:                               ;   in Loop: Header=BB254_4 Depth=1
	v_cmp_gt_u32_e32 vcc, s5, v52
                                        ; implicit-def: $vgpr48_vgpr49
	s_and_saveexec_b64 s[10:11], vcc
	s_xor_b64 s[88:89], exec, s[10:11]
	s_cbranch_execz .LBB254_88
; %bb.67:                               ;   in Loop: Header=BB254_4 Depth=1
	v_add_u32_e32 v19, 0xbf79d1be, v51
	s_mov_b32 s10, 0x108aa2
	v_cmp_lt_u32_e32 vcc, s10, v19
                                        ; implicit-def: $vgpr48_vgpr49
	s_and_saveexec_b64 s[10:11], vcc
	s_xor_b64 s[12:13], exec, s[10:11]
	s_cbranch_execz .LBB254_77
; %bb.68:                               ;   in Loop: Header=BB254_4 Depth=1
	s_mov_b32 s10, 0
	s_mov_b32 s11, 0x41d00000
	v_cmp_nlt_f64_e64 s[90:91], |v[16:17]|, s[10:11]
                                        ; implicit-def: $vgpr46
                                        ; implicit-def: $vgpr48_vgpr49
                                        ; implicit-def: $vgpr50_vgpr51
	s_and_saveexec_b64 s[10:11], s[90:91]
	s_xor_b64 s[92:93], exec, s[10:11]
	s_cbranch_execz .LBB254_70
; %bb.69:                               ;   in Loop: Header=BB254_4 Depth=1
	v_and_b32_e32 v19, 0x7fffffff, v17
	v_ldexp_f64 v[52:53], |v[16:17]|, s29
	v_cmp_ge_f64_e64 vcc, |v[16:17]|, s[30:31]
	v_trig_preop_f64 v[48:49], |v[16:17]|, 0
	v_cndmask_b32_e32 v53, v19, v53, vcc
	v_cndmask_b32_e32 v52, v16, v52, vcc
	v_trig_preop_f64 v[50:51], |v[16:17]|, 1
	v_mul_f64 v[56:57], v[48:49], v[52:53]
	v_mul_f64 v[54:55], v[50:51], v[52:53]
	v_fma_f64 v[48:49], v[48:49], v[52:53], -v[56:57]
	v_add_f64 v[58:59], v[54:55], v[48:49]
	v_add_f64 v[60:61], v[56:57], v[58:59]
	v_ldexp_f64 v[70:71], v[60:61], -2
	v_fract_f64_e32 v[72:73], v[70:71]
	v_cmp_neq_f64_e64 vcc, |v[70:71]|, s[34:35]
	v_cndmask_b32_e32 v71, 0, v73, vcc
	v_cndmask_b32_e32 v70, 0, v72, vcc
	v_add_f64 v[72:73], v[58:59], -v[54:55]
	v_add_f64 v[48:49], v[48:49], -v[72:73]
	;; [unrolled: 1-line block ×4, first 2 shown]
	v_fma_f64 v[50:51], v[50:51], v[52:53], -v[54:55]
	v_trig_preop_f64 v[54:55], |v[16:17]|, 2
	v_add_f64 v[48:49], v[48:49], v[72:73]
	v_mul_f64 v[72:73], v[54:55], v[52:53]
	v_add_f64 v[74:75], v[72:73], v[50:51]
	v_add_f64 v[76:77], v[74:75], v[48:49]
	v_add_f64 v[56:57], v[60:61], -v[56:57]
	v_add_f64 v[60:61], v[76:77], -v[74:75]
	;; [unrolled: 1-line block ×5, first 2 shown]
	v_add_f64 v[48:49], v[48:49], v[60:61]
	v_add_f64 v[60:61], v[74:75], -v[72:73]
	v_add_f64 v[50:51], v[50:51], -v[60:61]
	;; [unrolled: 1-line block ×4, first 2 shown]
	v_add_f64 v[50:51], v[50:51], v[60:61]
	v_add_f64 v[56:57], v[58:59], -v[56:57]
	v_add_f64 v[48:49], v[50:51], v[48:49]
	v_fma_f64 v[50:51], v[54:55], v[52:53], -v[72:73]
	v_add_f64 v[58:59], v[56:57], v[76:77]
	v_add_f64 v[48:49], v[50:51], v[48:49]
	v_ldexp_f64 v[50:51], v[70:71], 2
	v_add_f64 v[52:53], v[58:59], v[50:51]
	v_cmp_gt_f64_e32 vcc, 0, v[52:53]
	v_cndmask_b32_e32 v19, 0, v65, vcc
	v_add_f64 v[50:51], v[50:51], v[18:19]
	v_add_f64 v[52:53], v[58:59], v[50:51]
	v_cvt_i32_f64_e32 v19, v[52:53]
	v_cvt_f64_i32_e32 v[52:53], v19
	v_add_f64 v[50:51], v[50:51], -v[52:53]
	v_add_f64 v[56:57], v[58:59], -v[56:57]
	v_add_f64 v[52:53], v[58:59], v[50:51]
	v_add_f64 v[56:57], v[76:77], -v[56:57]
	v_add_f64 v[50:51], v[52:53], -v[50:51]
	v_cmp_le_f64_e32 vcc, 0.5, v[52:53]
	v_add_f64 v[48:49], v[56:57], v[48:49]
	v_add_f64 v[50:51], v[58:59], -v[50:51]
	v_addc_co_u32_e64 v46, s[10:11], 0, v19, vcc
	v_cndmask_b32_e32 v19, 0, v66, vcc
	v_add_f64 v[48:49], v[48:49], v[50:51]
	v_add_f64 v[50:51], v[52:53], -v[18:19]
	v_add_f64 v[52:53], v[50:51], v[48:49]
	v_add_f64 v[50:51], v[52:53], -v[50:51]
	s_mov_b32 s36, s38
	v_add_f64 v[48:49], v[48:49], -v[50:51]
	v_mul_f64 v[50:51], v[52:53], s[36:37]
	v_fma_f64 v[54:55], v[52:53], s[36:37], -v[50:51]
	s_mov_b32 s43, s41
	v_fmac_f64_e32 v[54:55], s[42:43], v[52:53]
	v_fmac_f64_e32 v[54:55], s[36:37], v[48:49]
	v_add_f64 v[48:49], v[50:51], v[54:55]
	v_add_f64 v[50:51], v[48:49], -v[50:51]
	v_add_f64 v[50:51], v[54:55], -v[50:51]
	s_andn2_saveexec_b64 s[10:11], s[92:93]
	s_cbranch_execz .LBB254_72
	s_branch .LBB254_71
.LBB254_70:                             ;   in Loop: Header=BB254_4 Depth=1
	s_andn2_saveexec_b64 s[10:11], s[92:93]
	s_cbranch_execz .LBB254_72
.LBB254_71:                             ;   in Loop: Header=BB254_4 Depth=1
	v_mul_f64 v[48:49], |v[16:17]|, s[44:45]
	v_rndne_f64_e32 v[52:53], v[48:49]
	v_fma_f64 v[48:49], v[52:53], s[38:39], |v[16:17]|
	v_mul_f64 v[54:55], v[52:53], s[46:47]
	v_add_f64 v[58:59], v[48:49], v[54:55]
	v_fma_f64 v[50:51], s[46:47], v[52:53], v[48:49]
	s_mov_b32 s40, s46
	v_add_f64 v[48:49], v[48:49], -v[58:59]
	v_fma_f64 v[56:57], s[40:41], v[52:53], v[54:55]
	v_add_f64 v[48:49], v[48:49], v[54:55]
	v_add_f64 v[54:55], v[58:59], -v[50:51]
	v_add_f64 v[48:49], v[54:55], v[48:49]
	v_add_f64 v[54:55], v[48:49], -v[56:57]
	v_fmac_f64_e32 v[54:55], s[48:49], v[52:53]
	v_add_f64 v[48:49], v[50:51], v[54:55]
	v_add_f64 v[50:51], v[48:49], -v[50:51]
	v_add_f64 v[50:51], v[54:55], -v[50:51]
	v_cvt_i32_f64_e32 v46, v[52:53]
.LBB254_72:                             ;   in Loop: Header=BB254_4 Depth=1
	s_or_b64 exec, exec, s[10:11]
                                        ; implicit-def: $vgpr56
                                        ; implicit-def: $vgpr52_vgpr53
                                        ; implicit-def: $vgpr54_vgpr55
	s_and_saveexec_b64 s[10:11], s[90:91]
	s_xor_b64 s[90:91], exec, s[10:11]
	s_cbranch_execz .LBB254_74
; %bb.73:                               ;   in Loop: Header=BB254_4 Depth=1
	v_and_b32_e32 v19, 0x7fffffff, v17
	v_ldexp_f64 v[56:57], |v[16:17]|, s29
	v_cmp_ge_f64_e64 vcc, |v[16:17]|, s[30:31]
	v_trig_preop_f64 v[52:53], |v[16:17]|, 0
	v_cndmask_b32_e32 v57, v19, v57, vcc
	v_cndmask_b32_e32 v56, v16, v56, vcc
	v_trig_preop_f64 v[54:55], |v[16:17]|, 1
	v_mul_f64 v[60:61], v[52:53], v[56:57]
	v_mul_f64 v[58:59], v[54:55], v[56:57]
	v_fma_f64 v[52:53], v[52:53], v[56:57], -v[60:61]
	v_add_f64 v[70:71], v[58:59], v[52:53]
	v_add_f64 v[72:73], v[60:61], v[70:71]
	v_ldexp_f64 v[74:75], v[72:73], -2
	v_fract_f64_e32 v[76:77], v[74:75]
	v_cmp_neq_f64_e64 vcc, |v[74:75]|, s[34:35]
	v_cndmask_b32_e32 v75, 0, v77, vcc
	v_cndmask_b32_e32 v74, 0, v76, vcc
	v_add_f64 v[76:77], v[70:71], -v[58:59]
	v_add_f64 v[52:53], v[52:53], -v[76:77]
	;; [unrolled: 1-line block ×4, first 2 shown]
	v_fma_f64 v[54:55], v[54:55], v[56:57], -v[58:59]
	v_trig_preop_f64 v[58:59], |v[16:17]|, 2
	v_add_f64 v[52:53], v[52:53], v[76:77]
	v_mul_f64 v[76:77], v[58:59], v[56:57]
	v_add_f64 v[78:79], v[76:77], v[54:55]
	v_add_f64 v[80:81], v[78:79], v[52:53]
	v_add_f64 v[60:61], v[72:73], -v[60:61]
	v_add_f64 v[72:73], v[80:81], -v[78:79]
	;; [unrolled: 1-line block ×5, first 2 shown]
	v_add_f64 v[52:53], v[52:53], v[72:73]
	v_add_f64 v[72:73], v[78:79], -v[76:77]
	v_add_f64 v[54:55], v[54:55], -v[72:73]
	;; [unrolled: 1-line block ×4, first 2 shown]
	v_add_f64 v[54:55], v[54:55], v[72:73]
	v_add_f64 v[60:61], v[70:71], -v[60:61]
	v_add_f64 v[52:53], v[54:55], v[52:53]
	v_fma_f64 v[54:55], v[58:59], v[56:57], -v[76:77]
	v_add_f64 v[70:71], v[60:61], v[80:81]
	v_add_f64 v[52:53], v[54:55], v[52:53]
	v_ldexp_f64 v[54:55], v[74:75], 2
	v_add_f64 v[56:57], v[70:71], v[54:55]
	v_cmp_gt_f64_e32 vcc, 0, v[56:57]
	v_cndmask_b32_e32 v19, 0, v65, vcc
	v_add_f64 v[54:55], v[54:55], v[18:19]
	v_add_f64 v[56:57], v[70:71], v[54:55]
	v_cvt_i32_f64_e32 v19, v[56:57]
	v_cvt_f64_i32_e32 v[56:57], v19
	v_add_f64 v[54:55], v[54:55], -v[56:57]
	v_add_f64 v[60:61], v[70:71], -v[60:61]
	v_add_f64 v[58:59], v[70:71], v[54:55]
	v_add_f64 v[60:61], v[80:81], -v[60:61]
	v_add_f64 v[54:55], v[58:59], -v[54:55]
	v_cmp_le_f64_e32 vcc, 0.5, v[58:59]
	v_add_f64 v[52:53], v[60:61], v[52:53]
	v_add_f64 v[54:55], v[70:71], -v[54:55]
	v_addc_co_u32_e64 v56, s[10:11], 0, v19, vcc
	v_cndmask_b32_e32 v19, 0, v66, vcc
	v_add_f64 v[52:53], v[52:53], v[54:55]
	v_add_f64 v[54:55], v[58:59], -v[18:19]
	v_add_f64 v[58:59], v[54:55], v[52:53]
	v_add_f64 v[54:55], v[58:59], -v[54:55]
	s_mov_b32 s36, s38
	v_add_f64 v[52:53], v[52:53], -v[54:55]
	v_mul_f64 v[54:55], v[58:59], s[36:37]
	v_fma_f64 v[60:61], v[58:59], s[36:37], -v[54:55]
	s_mov_b32 s43, s41
	v_fmac_f64_e32 v[60:61], s[42:43], v[58:59]
	v_fmac_f64_e32 v[60:61], s[36:37], v[52:53]
	v_add_f64 v[52:53], v[54:55], v[60:61]
	v_add_f64 v[54:55], v[52:53], -v[54:55]
	v_add_f64 v[54:55], v[60:61], -v[54:55]
	s_andn2_saveexec_b64 s[10:11], s[90:91]
	s_cbranch_execnz .LBB254_75
	s_branch .LBB254_76
.LBB254_74:                             ;   in Loop: Header=BB254_4 Depth=1
	s_andn2_saveexec_b64 s[10:11], s[90:91]
	s_cbranch_execz .LBB254_76
.LBB254_75:                             ;   in Loop: Header=BB254_4 Depth=1
	v_mul_f64 v[52:53], |v[16:17]|, s[44:45]
	v_rndne_f64_e32 v[56:57], v[52:53]
	v_fma_f64 v[52:53], v[56:57], s[38:39], |v[16:17]|
	v_mul_f64 v[58:59], v[56:57], s[46:47]
	v_add_f64 v[70:71], v[52:53], v[58:59]
	v_fma_f64 v[54:55], s[46:47], v[56:57], v[52:53]
	s_mov_b32 s40, s46
	v_add_f64 v[52:53], v[52:53], -v[70:71]
	v_fma_f64 v[60:61], s[40:41], v[56:57], v[58:59]
	v_add_f64 v[52:53], v[52:53], v[58:59]
	v_add_f64 v[58:59], v[70:71], -v[54:55]
	v_add_f64 v[52:53], v[58:59], v[52:53]
	v_add_f64 v[58:59], v[52:53], -v[60:61]
	v_fmac_f64_e32 v[58:59], s[48:49], v[56:57]
	v_add_f64 v[52:53], v[54:55], v[58:59]
	v_add_f64 v[54:55], v[52:53], -v[54:55]
	v_add_f64 v[54:55], v[58:59], -v[54:55]
	v_cvt_i32_f64_e32 v56, v[56:57]
.LBB254_76:                             ;   in Loop: Header=BB254_4 Depth=1
	s_or_b64 exec, exec, s[10:11]
	s_mov_b32 s50, s52
	v_mul_f64 v[58:59], v[14:15], s[50:51]
	v_rndne_f64_e32 v[58:59], v[58:59]
	v_fma_f64 v[60:61], v[58:59], s[54:55], -v[14:15]
	v_fmac_f64_e32 v[60:61], s[56:57], v[58:59]
	v_pk_mov_b32 v[70:71], v[28:29], v[28:29] op_sel:[0,1]
	v_fmac_f64_e32 v[70:71], s[58:59], v[60:61]
	v_pk_mov_b32 v[72:73], v[30:31], v[30:31] op_sel:[0,1]
	;; [unrolled: 2-line block ×9, first 2 shown]
	v_fmac_f64_e32 v[70:71], v[60:61], v[72:73]
	v_fma_f64 v[70:71], v[60:61], v[70:71], 1.0
	v_fma_f64 v[60:61], v[60:61], v[70:71], 1.0
	v_cvt_i32_f64_e32 v19, v[58:59]
	v_ldexp_f64 v[58:59], v[60:61], v19
	v_cmp_ngt_f64_e32 vcc, s[64:65], v[14:15]
	v_cmp_nlt_f64_e64 s[10:11], s[66:67], v[14:15]
	v_cndmask_b32_e32 v19, v67, v59, vcc
	s_and_b64 vcc, s[10:11], vcc
	v_cndmask_b32_e32 v14, 0, v58, vcc
	v_mul_f64 v[58:59], v[48:49], v[48:49]
	v_pk_mov_b32 v[74:75], s[68:69], s[68:69] op_sel:[0,1]
	v_mul_f64 v[60:61], v[58:59], 0.5
	v_fma_f64 v[76:77], s[70:71], v[58:59], v[74:75]
	v_add_f64 v[70:71], -v[60:61], 1.0
	v_fma_f64 v[76:77], v[58:59], v[76:77], s[72:73]
	v_add_f64 v[72:73], -v[70:71], 1.0
	v_fma_f64 v[76:77], v[58:59], v[76:77], s[74:75]
	v_add_f64 v[60:61], v[72:73], -v[60:61]
	v_fma_f64 v[76:77], v[58:59], v[76:77], s[76:77]
	v_mul_f64 v[72:73], v[58:59], v[58:59]
	v_fma_f64 v[76:77], v[58:59], v[76:77], s[62:63]
	v_fma_f64 v[60:61], v[48:49], -v[50:51], v[60:61]
	v_fmac_f64_e32 v[60:61], v[72:73], v[76:77]
	v_add_f64 v[60:61], v[70:71], v[60:61]
	v_pk_mov_b32 v[70:71], s[78:79], s[78:79] op_sel:[0,1]
	v_fma_f64 v[72:73], s[80:81], v[58:59], v[70:71]
	v_fma_f64 v[72:73], v[58:59], v[72:73], s[82:83]
	;; [unrolled: 1-line block ×4, first 2 shown]
	v_mul_f64 v[76:77], v[48:49], -v[58:59]
	v_mul_f64 v[78:79], v[50:51], 0.5
	v_fmac_f64_e32 v[78:79], v[76:77], v[72:73]
	v_fma_f64 v[50:51], v[58:59], v[78:79], -v[50:51]
	s_mov_b32 s86, s62
	v_fmac_f64_e32 v[50:51], s[86:87], v[76:77]
	v_add_f64 v[48:49], v[48:49], -v[50:51]
	v_cndmask_b32_e64 v15, 0, v19, s[10:11]
	v_xor_b32_e32 v19, 0x80000000, v49
	v_and_b32_e32 v49, 1, v46
	v_cmp_eq_u32_e32 vcc, 0, v49
	v_lshlrev_b32_e32 v46, 30, v46
	v_cndmask_b32_e32 v19, v19, v61, vcc
	v_and_b32_e32 v46, 0x80000000, v46
	v_cndmask_b32_e32 v48, v48, v60, vcc
	v_xor_b32_e32 v19, v19, v46
	v_cmp_class_f64_e64 vcc, v[16:17], s4
	v_cndmask_b32_e32 v16, 0, v48, vcc
	v_cndmask_b32_e32 v17, v68, v19, vcc
	v_mul_f64 v[48:49], v[14:15], v[16:17]
	v_mul_f64 v[16:17], v[52:53], v[52:53]
	v_mul_f64 v[50:51], v[16:17], 0.5
	v_fmac_f64_e32 v[74:75], s[70:71], v[16:17]
	v_add_f64 v[58:59], -v[50:51], 1.0
	v_fma_f64 v[72:73], v[16:17], v[74:75], s[72:73]
	v_add_f64 v[60:61], -v[58:59], 1.0
	v_fma_f64 v[72:73], v[16:17], v[72:73], s[74:75]
	v_add_f64 v[50:51], v[60:61], -v[50:51]
	v_fma_f64 v[72:73], v[16:17], v[72:73], s[76:77]
	v_mul_f64 v[60:61], v[16:17], v[16:17]
	v_fma_f64 v[72:73], v[16:17], v[72:73], s[62:63]
	v_fma_f64 v[50:51], v[52:53], -v[54:55], v[50:51]
	v_fmac_f64_e32 v[50:51], v[60:61], v[72:73]
	v_fmac_f64_e32 v[70:71], s[80:81], v[16:17]
	v_add_f64 v[50:51], v[58:59], v[50:51]
	v_fma_f64 v[58:59], v[16:17], v[70:71], s[82:83]
	v_fma_f64 v[58:59], v[16:17], v[58:59], s[84:85]
	;; [unrolled: 1-line block ×3, first 2 shown]
	v_mul_f64 v[60:61], v[52:53], -v[16:17]
	v_mul_f64 v[70:71], v[54:55], 0.5
	v_fmac_f64_e32 v[70:71], v[60:61], v[58:59]
	v_fma_f64 v[16:17], v[16:17], v[70:71], -v[54:55]
	v_and_b32_e32 v19, 1, v56
	v_fmac_f64_e32 v[16:17], s[86:87], v[60:61]
	v_cmp_eq_u32_e64 s[10:11], 0, v19
	v_lshlrev_b32_e32 v19, 30, v56
	v_add_f64 v[16:17], v[52:53], -v[16:17]
	v_xor_b32_e32 v19, v19, v47
	v_cndmask_b32_e64 v17, v51, v17, s[10:11]
	v_and_b32_e32 v19, 0x80000000, v19
	v_cndmask_b32_e64 v16, v50, v16, s[10:11]
	v_xor_b32_e32 v17, v17, v19
	v_cndmask_b32_e32 v16, 0, v16, vcc
	v_cndmask_b32_e32 v17, v68, v17, vcc
	v_mul_f64 v[46:47], v[14:15], v[16:17]
                                        ; implicit-def: $vgpr16_vgpr17
.LBB254_77:                             ;   in Loop: Header=BB254_4 Depth=1
	s_andn2_saveexec_b64 s[90:91], s[12:13]
	s_cbranch_execz .LBB254_87
; %bb.78:                               ;   in Loop: Header=BB254_4 Depth=1
	s_mov_b32 s10, 0
	s_mov_b32 s11, 0x41d00000
	v_cmp_nlt_f64_e64 s[12:13], |v[16:17]|, s[10:11]
                                        ; implicit-def: $vgpr46
                                        ; implicit-def: $vgpr48_vgpr49
                                        ; implicit-def: $vgpr50_vgpr51
	s_and_saveexec_b64 s[10:11], s[12:13]
	s_xor_b64 s[92:93], exec, s[10:11]
	s_cbranch_execz .LBB254_80
; %bb.79:                               ;   in Loop: Header=BB254_4 Depth=1
	v_and_b32_e32 v19, 0x7fffffff, v17
	v_ldexp_f64 v[52:53], |v[16:17]|, s29
	v_cmp_ge_f64_e64 vcc, |v[16:17]|, s[30:31]
	v_trig_preop_f64 v[48:49], |v[16:17]|, 0
	v_cndmask_b32_e32 v53, v19, v53, vcc
	v_cndmask_b32_e32 v52, v16, v52, vcc
	v_trig_preop_f64 v[50:51], |v[16:17]|, 1
	v_mul_f64 v[56:57], v[48:49], v[52:53]
	v_mul_f64 v[54:55], v[50:51], v[52:53]
	v_fma_f64 v[48:49], v[48:49], v[52:53], -v[56:57]
	v_add_f64 v[58:59], v[54:55], v[48:49]
	v_add_f64 v[60:61], v[56:57], v[58:59]
	v_ldexp_f64 v[70:71], v[60:61], -2
	v_fract_f64_e32 v[72:73], v[70:71]
	v_cmp_neq_f64_e64 vcc, |v[70:71]|, s[34:35]
	v_cndmask_b32_e32 v71, 0, v73, vcc
	v_cndmask_b32_e32 v70, 0, v72, vcc
	v_add_f64 v[72:73], v[58:59], -v[54:55]
	v_add_f64 v[48:49], v[48:49], -v[72:73]
	;; [unrolled: 1-line block ×4, first 2 shown]
	v_fma_f64 v[50:51], v[50:51], v[52:53], -v[54:55]
	v_trig_preop_f64 v[54:55], |v[16:17]|, 2
	v_add_f64 v[48:49], v[48:49], v[72:73]
	v_mul_f64 v[72:73], v[54:55], v[52:53]
	v_add_f64 v[74:75], v[72:73], v[50:51]
	v_add_f64 v[76:77], v[74:75], v[48:49]
	v_add_f64 v[56:57], v[60:61], -v[56:57]
	v_add_f64 v[60:61], v[76:77], -v[74:75]
	;; [unrolled: 1-line block ×5, first 2 shown]
	v_add_f64 v[48:49], v[48:49], v[60:61]
	v_add_f64 v[60:61], v[74:75], -v[72:73]
	v_add_f64 v[50:51], v[50:51], -v[60:61]
	;; [unrolled: 1-line block ×4, first 2 shown]
	v_add_f64 v[50:51], v[50:51], v[60:61]
	v_add_f64 v[56:57], v[58:59], -v[56:57]
	v_add_f64 v[48:49], v[50:51], v[48:49]
	v_fma_f64 v[50:51], v[54:55], v[52:53], -v[72:73]
	v_add_f64 v[58:59], v[56:57], v[76:77]
	v_add_f64 v[48:49], v[50:51], v[48:49]
	v_ldexp_f64 v[50:51], v[70:71], 2
	v_add_f64 v[52:53], v[58:59], v[50:51]
	v_cmp_gt_f64_e32 vcc, 0, v[52:53]
	v_cndmask_b32_e32 v19, 0, v65, vcc
	v_add_f64 v[50:51], v[50:51], v[18:19]
	v_add_f64 v[52:53], v[58:59], v[50:51]
	v_cvt_i32_f64_e32 v19, v[52:53]
	v_cvt_f64_i32_e32 v[52:53], v19
	v_add_f64 v[50:51], v[50:51], -v[52:53]
	v_add_f64 v[56:57], v[58:59], -v[56:57]
	v_add_f64 v[52:53], v[58:59], v[50:51]
	v_add_f64 v[56:57], v[76:77], -v[56:57]
	v_add_f64 v[50:51], v[52:53], -v[50:51]
	v_cmp_le_f64_e32 vcc, 0.5, v[52:53]
	v_add_f64 v[48:49], v[56:57], v[48:49]
	v_add_f64 v[50:51], v[58:59], -v[50:51]
	v_addc_co_u32_e64 v46, s[10:11], 0, v19, vcc
	v_cndmask_b32_e32 v19, 0, v66, vcc
	v_add_f64 v[48:49], v[48:49], v[50:51]
	v_add_f64 v[50:51], v[52:53], -v[18:19]
	v_add_f64 v[52:53], v[50:51], v[48:49]
	v_add_f64 v[50:51], v[52:53], -v[50:51]
	s_mov_b32 s36, s38
	v_add_f64 v[48:49], v[48:49], -v[50:51]
	v_mul_f64 v[50:51], v[52:53], s[36:37]
	v_fma_f64 v[54:55], v[52:53], s[36:37], -v[50:51]
	s_mov_b32 s43, s41
	v_fmac_f64_e32 v[54:55], s[42:43], v[52:53]
	v_fmac_f64_e32 v[54:55], s[36:37], v[48:49]
	v_add_f64 v[48:49], v[50:51], v[54:55]
	v_add_f64 v[50:51], v[48:49], -v[50:51]
	v_add_f64 v[50:51], v[54:55], -v[50:51]
	s_andn2_saveexec_b64 s[10:11], s[92:93]
	s_cbranch_execz .LBB254_82
	s_branch .LBB254_81
.LBB254_80:                             ;   in Loop: Header=BB254_4 Depth=1
	s_andn2_saveexec_b64 s[10:11], s[92:93]
	s_cbranch_execz .LBB254_82
.LBB254_81:                             ;   in Loop: Header=BB254_4 Depth=1
	v_mul_f64 v[48:49], |v[16:17]|, s[44:45]
	v_rndne_f64_e32 v[52:53], v[48:49]
	v_fma_f64 v[48:49], v[52:53], s[38:39], |v[16:17]|
	v_mul_f64 v[54:55], v[52:53], s[46:47]
	v_add_f64 v[58:59], v[48:49], v[54:55]
	v_fma_f64 v[50:51], s[46:47], v[52:53], v[48:49]
	s_mov_b32 s40, s46
	v_add_f64 v[48:49], v[48:49], -v[58:59]
	v_fma_f64 v[56:57], s[40:41], v[52:53], v[54:55]
	v_add_f64 v[48:49], v[48:49], v[54:55]
	v_add_f64 v[54:55], v[58:59], -v[50:51]
	v_add_f64 v[48:49], v[54:55], v[48:49]
	v_add_f64 v[54:55], v[48:49], -v[56:57]
	v_fmac_f64_e32 v[54:55], s[48:49], v[52:53]
	v_add_f64 v[48:49], v[50:51], v[54:55]
	v_add_f64 v[50:51], v[48:49], -v[50:51]
	v_add_f64 v[50:51], v[54:55], -v[50:51]
	v_cvt_i32_f64_e32 v46, v[52:53]
.LBB254_82:                             ;   in Loop: Header=BB254_4 Depth=1
	s_or_b64 exec, exec, s[10:11]
                                        ; implicit-def: $vgpr56
                                        ; implicit-def: $vgpr52_vgpr53
                                        ; implicit-def: $vgpr54_vgpr55
	s_and_saveexec_b64 s[10:11], s[12:13]
	s_xor_b64 s[12:13], exec, s[10:11]
	s_cbranch_execz .LBB254_84
; %bb.83:                               ;   in Loop: Header=BB254_4 Depth=1
	v_and_b32_e32 v19, 0x7fffffff, v17
	v_ldexp_f64 v[56:57], |v[16:17]|, s29
	v_cmp_ge_f64_e64 vcc, |v[16:17]|, s[30:31]
	v_trig_preop_f64 v[52:53], |v[16:17]|, 0
	v_cndmask_b32_e32 v57, v19, v57, vcc
	v_cndmask_b32_e32 v56, v16, v56, vcc
	v_trig_preop_f64 v[54:55], |v[16:17]|, 1
	v_mul_f64 v[60:61], v[52:53], v[56:57]
	v_mul_f64 v[58:59], v[54:55], v[56:57]
	v_fma_f64 v[52:53], v[52:53], v[56:57], -v[60:61]
	v_add_f64 v[70:71], v[58:59], v[52:53]
	v_add_f64 v[72:73], v[60:61], v[70:71]
	v_ldexp_f64 v[74:75], v[72:73], -2
	v_fract_f64_e32 v[76:77], v[74:75]
	v_cmp_neq_f64_e64 vcc, |v[74:75]|, s[34:35]
	v_cndmask_b32_e32 v75, 0, v77, vcc
	v_cndmask_b32_e32 v74, 0, v76, vcc
	v_add_f64 v[76:77], v[70:71], -v[58:59]
	v_add_f64 v[52:53], v[52:53], -v[76:77]
	v_add_f64 v[76:77], v[70:71], -v[76:77]
	v_add_f64 v[76:77], v[58:59], -v[76:77]
	v_fma_f64 v[54:55], v[54:55], v[56:57], -v[58:59]
	v_trig_preop_f64 v[58:59], |v[16:17]|, 2
	v_add_f64 v[52:53], v[52:53], v[76:77]
	v_mul_f64 v[76:77], v[58:59], v[56:57]
	v_add_f64 v[78:79], v[76:77], v[54:55]
	v_add_f64 v[80:81], v[78:79], v[52:53]
	v_add_f64 v[60:61], v[72:73], -v[60:61]
	v_add_f64 v[72:73], v[80:81], -v[78:79]
	v_add_f64 v[52:53], v[52:53], -v[72:73]
	v_add_f64 v[72:73], v[80:81], -v[72:73]
	v_add_f64 v[72:73], v[78:79], -v[72:73]
	v_add_f64 v[52:53], v[52:53], v[72:73]
	v_add_f64 v[72:73], v[78:79], -v[76:77]
	v_add_f64 v[54:55], v[54:55], -v[72:73]
	;; [unrolled: 1-line block ×4, first 2 shown]
	v_add_f64 v[54:55], v[54:55], v[72:73]
	v_add_f64 v[60:61], v[70:71], -v[60:61]
	v_add_f64 v[52:53], v[54:55], v[52:53]
	v_fma_f64 v[54:55], v[58:59], v[56:57], -v[76:77]
	v_add_f64 v[70:71], v[60:61], v[80:81]
	v_add_f64 v[52:53], v[54:55], v[52:53]
	v_ldexp_f64 v[54:55], v[74:75], 2
	v_add_f64 v[56:57], v[70:71], v[54:55]
	v_cmp_gt_f64_e32 vcc, 0, v[56:57]
	v_cndmask_b32_e32 v19, 0, v65, vcc
	v_add_f64 v[54:55], v[54:55], v[18:19]
	v_add_f64 v[56:57], v[70:71], v[54:55]
	v_cvt_i32_f64_e32 v19, v[56:57]
	v_cvt_f64_i32_e32 v[56:57], v19
	v_add_f64 v[54:55], v[54:55], -v[56:57]
	v_add_f64 v[60:61], v[70:71], -v[60:61]
	v_add_f64 v[58:59], v[70:71], v[54:55]
	v_add_f64 v[60:61], v[80:81], -v[60:61]
	v_add_f64 v[54:55], v[58:59], -v[54:55]
	v_cmp_le_f64_e32 vcc, 0.5, v[58:59]
	v_add_f64 v[52:53], v[60:61], v[52:53]
	v_add_f64 v[54:55], v[70:71], -v[54:55]
	v_addc_co_u32_e64 v56, s[10:11], 0, v19, vcc
	v_cndmask_b32_e32 v19, 0, v66, vcc
	v_add_f64 v[52:53], v[52:53], v[54:55]
	v_add_f64 v[54:55], v[58:59], -v[18:19]
	v_add_f64 v[58:59], v[54:55], v[52:53]
	v_add_f64 v[54:55], v[58:59], -v[54:55]
	s_mov_b32 s36, s38
	v_add_f64 v[52:53], v[52:53], -v[54:55]
	v_mul_f64 v[54:55], v[58:59], s[36:37]
	v_fma_f64 v[60:61], v[58:59], s[36:37], -v[54:55]
	s_mov_b32 s43, s41
	v_fmac_f64_e32 v[60:61], s[42:43], v[58:59]
	v_fmac_f64_e32 v[60:61], s[36:37], v[52:53]
	v_add_f64 v[52:53], v[54:55], v[60:61]
	v_add_f64 v[54:55], v[52:53], -v[54:55]
	v_add_f64 v[54:55], v[60:61], -v[54:55]
	s_andn2_saveexec_b64 s[10:11], s[12:13]
	s_cbranch_execnz .LBB254_85
	s_branch .LBB254_86
.LBB254_84:                             ;   in Loop: Header=BB254_4 Depth=1
	s_andn2_saveexec_b64 s[10:11], s[12:13]
	s_cbranch_execz .LBB254_86
.LBB254_85:                             ;   in Loop: Header=BB254_4 Depth=1
	v_mul_f64 v[52:53], |v[16:17]|, s[44:45]
	v_rndne_f64_e32 v[56:57], v[52:53]
	v_fma_f64 v[52:53], v[56:57], s[38:39], |v[16:17]|
	v_mul_f64 v[58:59], v[56:57], s[46:47]
	v_add_f64 v[70:71], v[52:53], v[58:59]
	v_fma_f64 v[54:55], s[46:47], v[56:57], v[52:53]
	s_mov_b32 s40, s46
	v_add_f64 v[52:53], v[52:53], -v[70:71]
	v_fma_f64 v[60:61], s[40:41], v[56:57], v[58:59]
	v_add_f64 v[52:53], v[52:53], v[58:59]
	v_add_f64 v[58:59], v[70:71], -v[54:55]
	v_add_f64 v[52:53], v[58:59], v[52:53]
	v_add_f64 v[58:59], v[52:53], -v[60:61]
	v_fmac_f64_e32 v[58:59], s[48:49], v[56:57]
	v_add_f64 v[52:53], v[54:55], v[58:59]
	v_add_f64 v[54:55], v[52:53], -v[54:55]
	v_add_f64 v[54:55], v[58:59], -v[54:55]
	v_cvt_i32_f64_e32 v56, v[56:57]
.LBB254_86:                             ;   in Loop: Header=BB254_4 Depth=1
	s_or_b64 exec, exec, s[10:11]
	v_mul_f64 v[58:59], v[48:49], v[48:49]
	v_pk_mov_b32 v[74:75], s[68:69], s[68:69] op_sel:[0,1]
	v_mul_f64 v[60:61], v[58:59], 0.5
	v_fma_f64 v[76:77], s[70:71], v[58:59], v[74:75]
	v_add_f64 v[70:71], -v[60:61], 1.0
	v_fma_f64 v[76:77], v[58:59], v[76:77], s[72:73]
	v_fma_f64 v[76:77], v[58:59], v[76:77], s[74:75]
	v_add_f64 v[78:79], -v[70:71], 1.0
	v_fma_f64 v[76:77], v[58:59], v[76:77], s[76:77]
	v_add_f64 v[60:61], v[78:79], -v[60:61]
	v_mul_f64 v[72:73], v[58:59], v[58:59]
	v_fma_f64 v[76:77], v[58:59], v[76:77], s[62:63]
	v_fma_f64 v[60:61], v[48:49], -v[50:51], v[60:61]
	v_fmac_f64_e32 v[60:61], v[72:73], v[76:77]
	v_pk_mov_b32 v[72:73], s[78:79], s[78:79] op_sel:[0,1]
	v_fma_f64 v[76:77], s[80:81], v[58:59], v[72:73]
	v_fma_f64 v[76:77], v[58:59], v[76:77], s[82:83]
	;; [unrolled: 1-line block ×3, first 2 shown]
	v_add_f64 v[60:61], v[70:71], v[60:61]
	v_mul_f64 v[70:71], v[48:49], -v[58:59]
	v_fma_f64 v[76:77], v[58:59], v[76:77], s[60:61]
	v_mul_f64 v[78:79], v[50:51], 0.5
	v_fmac_f64_e32 v[78:79], v[70:71], v[76:77]
	v_fma_f64 v[50:51], v[58:59], v[78:79], -v[50:51]
	s_mov_b32 s86, s62
	v_fmac_f64_e32 v[50:51], s[86:87], v[70:71]
	v_and_b32_e32 v19, 1, v46
	v_add_f64 v[48:49], v[48:49], -v[50:51]
	s_mov_b32 s10, 0x19ba0da4
	v_xor_b32_e32 v49, 0x80000000, v49
	v_cmp_eq_u32_e32 vcc, 0, v19
	v_lshlrev_b32_e32 v46, 30, v46
	s_mov_b32 s11, 0xc0937be3
	v_cndmask_b32_e32 v19, v48, v60, vcc
	v_cndmask_b32_e32 v48, v49, v61, vcc
	v_and_b32_e32 v46, 0x80000000, v46
	v_add_f64 v[14:15], -v[14:15], s[10:11]
	v_xor_b32_e32 v46, v48, v46
	v_mul_f64 v[48:49], v[14:15], s[52:53]
	v_rndne_f64_e32 v[48:49], v[48:49]
	v_fma_f64 v[50:51], s[54:55], v[48:49], v[14:15]
	v_fmac_f64_e32 v[50:51], s[56:57], v[48:49]
	v_pk_mov_b32 v[58:59], v[28:29], v[28:29] op_sel:[0,1]
	v_fmac_f64_e32 v[58:59], s[58:59], v[50:51]
	v_pk_mov_b32 v[60:61], v[30:31], v[30:31] op_sel:[0,1]
	;; [unrolled: 2-line block ×9, first 2 shown]
	v_fmac_f64_e32 v[58:59], v[50:51], v[60:61]
	v_cmp_class_f64_e64 vcc, v[16:17], s4
	v_fma_f64 v[58:59], v[50:51], v[58:59], 1.0
	s_mov_b32 s10, 0
	v_cndmask_b32_e32 v16, 0, v19, vcc
	v_fma_f64 v[50:51], v[50:51], v[58:59], 1.0
	v_cvt_i32_f64_e32 v19, v[48:49]
	s_mov_b32 s11, 0x40900000
	s_mov_b32 s12, 0
	v_ldexp_f64 v[48:49], v[50:51], v19
	v_cmp_nlt_f64_e64 s[10:11], s[10:11], v[14:15]
	s_mov_b32 s13, 0xc090cc00
	v_cndmask_b32_e64 v19, v67, v49, s[10:11]
	v_cmp_ngt_f64_e64 s[12:13], s[12:13], v[14:15]
	v_cndmask_b32_e64 v19, 0, v19, s[12:13]
	v_and_b32_e32 v15, 0xfffff, v19
	v_lshrrev_b32_e32 v19, 20, v19
	v_cndmask_b32_e32 v17, v68, v46, vcc
	v_add_u32_e32 v46, 0xffffff09, v19
	v_lshrrev_b16_e32 v19, 15, v46
	v_add_u16_e32 v19, v46, v19
	s_and_b64 s[10:11], s[12:13], s[10:11]
	v_ashrrev_i16_e32 v19, 1, v19
	v_cndmask_b32_e64 v14, 0, v48, s[10:11]
	v_or_b32_e32 v15, 0x7fe00000, v15
	v_bfe_i32 v48, v19, 0, 16
	v_mul_f64 v[16:17], v[14:15], v[16:17]
	v_lshl_add_u32 v19, v48, 20, v66
	v_sub_u32_e32 v46, v46, v48
	v_mul_f64 v[16:17], v[16:17], v[18:19]
	v_lshl_add_u32 v51, v46, 20, v66
	v_mov_b32_e32 v50, v18
	v_mul_f64 v[48:49], v[16:17], v[50:51]
	v_mul_f64 v[16:17], v[52:53], v[52:53]
	v_mul_f64 v[58:59], v[16:17], 0.5
	v_fmac_f64_e32 v[74:75], s[70:71], v[16:17]
	v_add_f64 v[60:61], -v[58:59], 1.0
	v_fma_f64 v[74:75], v[16:17], v[74:75], s[72:73]
	v_add_f64 v[70:71], -v[60:61], 1.0
	v_fma_f64 v[74:75], v[16:17], v[74:75], s[74:75]
	v_add_f64 v[58:59], v[70:71], -v[58:59]
	v_fma_f64 v[74:75], v[16:17], v[74:75], s[76:77]
	v_mul_f64 v[70:71], v[16:17], v[16:17]
	v_fma_f64 v[74:75], v[16:17], v[74:75], s[62:63]
	v_fma_f64 v[58:59], v[52:53], -v[54:55], v[58:59]
	v_fmac_f64_e32 v[58:59], v[70:71], v[74:75]
	v_fmac_f64_e32 v[72:73], s[80:81], v[16:17]
	v_add_f64 v[58:59], v[60:61], v[58:59]
	v_fma_f64 v[60:61], v[16:17], v[72:73], s[82:83]
	v_fma_f64 v[60:61], v[16:17], v[60:61], s[84:85]
	v_fma_f64 v[60:61], v[16:17], v[60:61], s[60:61]
	v_mul_f64 v[70:71], v[52:53], -v[16:17]
	v_mul_f64 v[72:73], v[54:55], 0.5
	v_fmac_f64_e32 v[72:73], v[70:71], v[60:61]
	v_fma_f64 v[16:17], v[16:17], v[72:73], -v[54:55]
	v_and_b32_e32 v46, 1, v56
	v_fmac_f64_e32 v[16:17], s[86:87], v[70:71]
	v_cmp_eq_u32_e64 s[10:11], 0, v46
	v_lshlrev_b32_e32 v46, 30, v56
	v_add_f64 v[16:17], v[52:53], -v[16:17]
	v_xor_b32_e32 v46, v46, v47
	v_cndmask_b32_e64 v17, v59, v17, s[10:11]
	v_and_b32_e32 v46, 0x80000000, v46
	v_cndmask_b32_e64 v16, v58, v16, s[10:11]
	v_xor_b32_e32 v17, v17, v46
	v_cndmask_b32_e32 v16, 0, v16, vcc
	v_cndmask_b32_e32 v17, v68, v17, vcc
	v_mul_f64 v[14:15], v[14:15], v[16:17]
	v_mul_f64 v[14:15], v[14:15], v[18:19]
	;; [unrolled: 1-line block ×3, first 2 shown]
.LBB254_87:                             ;   in Loop: Header=BB254_4 Depth=1
	s_or_b64 exec, exec, s[90:91]
                                        ; implicit-def: $vgpr50_vgpr51
                                        ; implicit-def: $vgpr14_vgpr15
                                        ; implicit-def: $vgpr19
.LBB254_88:                             ;   in Loop: Header=BB254_4 Depth=1
	s_andn2_saveexec_b64 s[12:13], s[88:89]
	s_cbranch_execz .LBB254_94
; %bb.89:                               ;   in Loop: Header=BB254_4 Depth=1
	v_cmp_ne_u32_e32 vcc, 0, v50
	v_cmp_ne_u32_e64 s[10:11], s5, v19
	s_or_b64 s[10:11], vcc, s[10:11]
	v_add_f64 v[46:47], v[16:17], -v[16:17]
	s_and_saveexec_b64 s[88:89], s[10:11]
	s_xor_b64 s[10:11], exec, s[88:89]
; %bb.90:                               ;   in Loop: Header=BB254_4 Depth=1
                                        ; implicit-def: $vgpr50_vgpr51
                                        ; implicit-def: $vgpr14_vgpr15
; %bb.91:                               ;   in Loop: Header=BB254_4 Depth=1
	s_or_saveexec_b64 s[10:11], s[10:11]
	v_pk_mov_b32 v[48:49], v[46:47], v[46:47] op_sel:[0,1]
	s_xor_b64 exec, exec, s[10:11]
; %bb.92:                               ;   in Loop: Header=BB254_4 Depth=1
	v_cmp_lt_i64_e32 vcc, -1, v[50:51]
	v_cndmask_b32_e32 v49, 0, v51, vcc
	v_cndmask_b32_e32 v48, 0, v14, vcc
	;; [unrolled: 1-line block ×4, first 2 shown]
; %bb.93:                               ;   in Loop: Header=BB254_4 Depth=1
	s_or_b64 exec, exec, s[10:11]
.LBB254_94:                             ;   in Loop: Header=BB254_4 Depth=1
	s_or_b64 exec, exec, s[12:13]
                                        ; implicit-def: $vgpr16_vgpr17
.LBB254_95:                             ;   in Loop: Header=BB254_4 Depth=1
	s_andn2_saveexec_b64 s[12:13], s[20:21]
	s_cbranch_execz .LBB254_105
; %bb.96:                               ;   in Loop: Header=BB254_4 Depth=1
	s_mov_b32 s10, 0
	s_mov_b32 s11, 0x41d00000
	v_cmp_nlt_f64_e64 s[20:21], |v[16:17]|, s[10:11]
	v_trig_preop_f64 v[54:55], |v[16:17]|, 0
	v_trig_preop_f64 v[52:53], |v[16:17]|, 1
	v_ldexp_f64 v[56:57], |v[16:17]|, s29
	v_trig_preop_f64 v[50:51], |v[16:17]|, 2
	v_and_b32_e32 v69, 0x7fffffff, v17
                                        ; implicit-def: $vgpr46
                                        ; implicit-def: $vgpr14_vgpr15
                                        ; implicit-def: $vgpr48_vgpr49
	s_and_saveexec_b64 s[10:11], s[20:21]
	s_xor_b64 s[88:89], exec, s[10:11]
	s_cbranch_execz .LBB254_98
; %bb.97:                               ;   in Loop: Header=BB254_4 Depth=1
	v_cmp_ge_f64_e64 vcc, |v[16:17]|, s[30:31]
	v_cndmask_b32_e32 v15, v69, v57, vcc
	v_cndmask_b32_e32 v14, v16, v56, vcc
	v_mul_f64 v[58:59], v[54:55], v[14:15]
	v_mul_f64 v[48:49], v[52:53], v[14:15]
	v_fma_f64 v[60:61], v[54:55], v[14:15], -v[58:59]
	v_add_f64 v[70:71], v[48:49], v[60:61]
	v_add_f64 v[72:73], v[58:59], v[70:71]
	v_ldexp_f64 v[74:75], v[72:73], -2
	v_fract_f64_e32 v[76:77], v[74:75]
	v_cmp_neq_f64_e64 vcc, |v[74:75]|, s[34:35]
	v_cndmask_b32_e32 v75, 0, v77, vcc
	v_cndmask_b32_e32 v74, 0, v76, vcc
	v_add_f64 v[76:77], v[70:71], -v[48:49]
	v_add_f64 v[60:61], v[60:61], -v[76:77]
	;; [unrolled: 1-line block ×4, first 2 shown]
	v_add_f64 v[60:61], v[60:61], v[76:77]
	v_fma_f64 v[48:49], v[52:53], v[14:15], -v[48:49]
	v_mul_f64 v[76:77], v[50:51], v[14:15]
	v_add_f64 v[78:79], v[76:77], v[48:49]
	v_add_f64 v[80:81], v[78:79], v[60:61]
	v_add_f64 v[58:59], v[72:73], -v[58:59]
	v_add_f64 v[72:73], v[80:81], -v[78:79]
	;; [unrolled: 1-line block ×5, first 2 shown]
	v_add_f64 v[60:61], v[60:61], v[72:73]
	v_add_f64 v[72:73], v[78:79], -v[76:77]
	v_add_f64 v[48:49], v[48:49], -v[72:73]
	;; [unrolled: 1-line block ×5, first 2 shown]
	v_add_f64 v[70:71], v[58:59], v[80:81]
	v_add_f64 v[48:49], v[48:49], v[72:73]
	v_add_f64 v[58:59], v[70:71], -v[58:59]
	v_add_f64 v[48:49], v[48:49], v[60:61]
	v_fma_f64 v[14:15], v[50:51], v[14:15], -v[76:77]
	v_add_f64 v[58:59], v[80:81], -v[58:59]
	v_add_f64 v[14:15], v[14:15], v[48:49]
	v_ldexp_f64 v[48:49], v[74:75], 2
	v_add_f64 v[14:15], v[58:59], v[14:15]
	v_add_f64 v[58:59], v[70:71], v[48:49]
	v_cmp_gt_f64_e32 vcc, 0, v[58:59]
	v_cndmask_b32_e32 v19, 0, v65, vcc
	v_add_f64 v[48:49], v[48:49], v[18:19]
	v_add_f64 v[58:59], v[70:71], v[48:49]
	v_cvt_i32_f64_e32 v19, v[58:59]
	v_cvt_f64_i32_e32 v[58:59], v19
	v_add_f64 v[48:49], v[48:49], -v[58:59]
	v_add_f64 v[58:59], v[70:71], v[48:49]
	v_add_f64 v[48:49], v[58:59], -v[48:49]
	v_cmp_le_f64_e32 vcc, 0.5, v[58:59]
	v_add_f64 v[48:49], v[70:71], -v[48:49]
	v_addc_co_u32_e64 v46, s[10:11], 0, v19, vcc
	v_cndmask_b32_e32 v19, 0, v66, vcc
	v_add_f64 v[14:15], v[14:15], v[48:49]
	v_add_f64 v[48:49], v[58:59], -v[18:19]
	v_add_f64 v[58:59], v[48:49], v[14:15]
	v_add_f64 v[48:49], v[58:59], -v[48:49]
	s_mov_b32 s36, s38
	v_add_f64 v[14:15], v[14:15], -v[48:49]
	v_mul_f64 v[48:49], v[58:59], s[36:37]
	v_fma_f64 v[60:61], v[58:59], s[36:37], -v[48:49]
	s_mov_b32 s43, s41
	v_fmac_f64_e32 v[60:61], s[42:43], v[58:59]
	v_fmac_f64_e32 v[60:61], s[36:37], v[14:15]
	v_add_f64 v[14:15], v[48:49], v[60:61]
	v_add_f64 v[48:49], v[14:15], -v[48:49]
	v_add_f64 v[48:49], v[60:61], -v[48:49]
	s_andn2_saveexec_b64 s[10:11], s[88:89]
	s_cbranch_execz .LBB254_100
	s_branch .LBB254_99
.LBB254_98:                             ;   in Loop: Header=BB254_4 Depth=1
	s_andn2_saveexec_b64 s[10:11], s[88:89]
	s_cbranch_execz .LBB254_100
.LBB254_99:                             ;   in Loop: Header=BB254_4 Depth=1
	v_mul_f64 v[14:15], |v[16:17]|, s[44:45]
	v_rndne_f64_e32 v[58:59], v[14:15]
	v_fma_f64 v[14:15], v[58:59], s[38:39], |v[16:17]|
	v_mul_f64 v[60:61], v[58:59], s[46:47]
	v_add_f64 v[72:73], v[14:15], v[60:61]
	v_fma_f64 v[48:49], s[46:47], v[58:59], v[14:15]
	s_mov_b32 s40, s46
	v_add_f64 v[14:15], v[14:15], -v[72:73]
	v_fma_f64 v[70:71], s[40:41], v[58:59], v[60:61]
	v_add_f64 v[14:15], v[14:15], v[60:61]
	v_add_f64 v[60:61], v[72:73], -v[48:49]
	v_add_f64 v[14:15], v[60:61], v[14:15]
	v_add_f64 v[60:61], v[14:15], -v[70:71]
	v_fmac_f64_e32 v[60:61], s[48:49], v[58:59]
	v_add_f64 v[14:15], v[48:49], v[60:61]
	v_add_f64 v[48:49], v[14:15], -v[48:49]
	v_add_f64 v[48:49], v[60:61], -v[48:49]
	v_cvt_i32_f64_e32 v46, v[58:59]
.LBB254_100:                            ;   in Loop: Header=BB254_4 Depth=1
	s_or_b64 exec, exec, s[10:11]
                                        ; implicit-def: $vgpr70
                                        ; implicit-def: $vgpr58_vgpr59
                                        ; implicit-def: $vgpr60_vgpr61
	s_and_saveexec_b64 s[10:11], s[20:21]
	s_xor_b64 s[20:21], exec, s[10:11]
	s_cbranch_execz .LBB254_102
; %bb.101:                              ;   in Loop: Header=BB254_4 Depth=1
	v_cmp_ge_f64_e64 vcc, |v[16:17]|, s[30:31]
	v_cndmask_b32_e32 v57, v69, v57, vcc
	v_cndmask_b32_e32 v56, v16, v56, vcc
	v_mul_f64 v[60:61], v[54:55], v[56:57]
	v_mul_f64 v[58:59], v[52:53], v[56:57]
	v_fma_f64 v[54:55], v[54:55], v[56:57], -v[60:61]
	v_add_f64 v[70:71], v[58:59], v[54:55]
	v_add_f64 v[72:73], v[60:61], v[70:71]
	v_ldexp_f64 v[74:75], v[72:73], -2
	v_fract_f64_e32 v[76:77], v[74:75]
	v_cmp_neq_f64_e64 vcc, |v[74:75]|, s[34:35]
	v_cndmask_b32_e32 v75, 0, v77, vcc
	v_cndmask_b32_e32 v74, 0, v76, vcc
	v_add_f64 v[76:77], v[70:71], -v[58:59]
	v_add_f64 v[54:55], v[54:55], -v[76:77]
	;; [unrolled: 1-line block ×4, first 2 shown]
	v_fma_f64 v[52:53], v[52:53], v[56:57], -v[58:59]
	v_mul_f64 v[58:59], v[50:51], v[56:57]
	v_add_f64 v[54:55], v[54:55], v[76:77]
	v_add_f64 v[76:77], v[58:59], v[52:53]
	;; [unrolled: 1-line block ×3, first 2 shown]
	v_add_f64 v[60:61], v[72:73], -v[60:61]
	v_add_f64 v[72:73], v[78:79], -v[76:77]
	;; [unrolled: 1-line block ×5, first 2 shown]
	v_add_f64 v[54:55], v[54:55], v[72:73]
	v_add_f64 v[72:73], v[76:77], -v[58:59]
	v_add_f64 v[52:53], v[52:53], -v[72:73]
	;; [unrolled: 1-line block ×4, first 2 shown]
	v_add_f64 v[52:53], v[52:53], v[72:73]
	v_add_f64 v[60:61], v[70:71], -v[60:61]
	v_add_f64 v[52:53], v[52:53], v[54:55]
	v_fma_f64 v[50:51], v[50:51], v[56:57], -v[58:59]
	v_add_f64 v[70:71], v[60:61], v[78:79]
	v_add_f64 v[50:51], v[50:51], v[52:53]
	v_ldexp_f64 v[52:53], v[74:75], 2
	v_add_f64 v[54:55], v[70:71], v[52:53]
	v_cmp_gt_f64_e32 vcc, 0, v[54:55]
	v_cndmask_b32_e32 v19, 0, v65, vcc
	v_add_f64 v[52:53], v[52:53], v[18:19]
	v_add_f64 v[54:55], v[70:71], v[52:53]
	v_cvt_i32_f64_e32 v19, v[54:55]
	v_cvt_f64_i32_e32 v[54:55], v19
	v_add_f64 v[52:53], v[52:53], -v[54:55]
	v_add_f64 v[60:61], v[70:71], -v[60:61]
	v_add_f64 v[54:55], v[70:71], v[52:53]
	v_add_f64 v[60:61], v[78:79], -v[60:61]
	v_add_f64 v[52:53], v[54:55], -v[52:53]
	v_cmp_le_f64_e32 vcc, 0.5, v[54:55]
	v_add_f64 v[50:51], v[60:61], v[50:51]
	v_add_f64 v[52:53], v[70:71], -v[52:53]
	v_addc_co_u32_e64 v70, s[10:11], 0, v19, vcc
	v_cndmask_b32_e32 v19, 0, v66, vcc
	v_add_f64 v[50:51], v[50:51], v[52:53]
	v_add_f64 v[52:53], v[54:55], -v[18:19]
	v_add_f64 v[54:55], v[52:53], v[50:51]
	v_add_f64 v[52:53], v[54:55], -v[52:53]
	s_mov_b32 s36, s38
	v_add_f64 v[50:51], v[50:51], -v[52:53]
	v_mul_f64 v[52:53], v[54:55], s[36:37]
	v_fma_f64 v[56:57], v[54:55], s[36:37], -v[52:53]
	s_mov_b32 s43, s41
	v_fmac_f64_e32 v[56:57], s[42:43], v[54:55]
	v_fmac_f64_e32 v[56:57], s[36:37], v[50:51]
	v_add_f64 v[58:59], v[52:53], v[56:57]
	v_add_f64 v[50:51], v[58:59], -v[52:53]
	v_add_f64 v[60:61], v[56:57], -v[50:51]
	s_andn2_saveexec_b64 s[10:11], s[20:21]
	s_cbranch_execnz .LBB254_103
	s_branch .LBB254_104
.LBB254_102:                            ;   in Loop: Header=BB254_4 Depth=1
	s_andn2_saveexec_b64 s[10:11], s[20:21]
	s_cbranch_execz .LBB254_104
.LBB254_103:                            ;   in Loop: Header=BB254_4 Depth=1
	v_mul_f64 v[50:51], |v[16:17]|, s[44:45]
	v_rndne_f64_e32 v[50:51], v[50:51]
	v_fma_f64 v[52:53], v[50:51], s[38:39], |v[16:17]|
	v_mul_f64 v[56:57], v[50:51], s[46:47]
	v_add_f64 v[60:61], v[52:53], v[56:57]
	v_fma_f64 v[54:55], s[46:47], v[50:51], v[52:53]
	s_mov_b32 s40, s46
	v_add_f64 v[52:53], v[52:53], -v[60:61]
	v_fma_f64 v[58:59], s[40:41], v[50:51], v[56:57]
	v_add_f64 v[52:53], v[52:53], v[56:57]
	v_add_f64 v[56:57], v[60:61], -v[54:55]
	v_add_f64 v[52:53], v[56:57], v[52:53]
	v_add_f64 v[52:53], v[52:53], -v[58:59]
	v_fmac_f64_e32 v[52:53], s[48:49], v[50:51]
	v_add_f64 v[58:59], v[54:55], v[52:53]
	v_add_f64 v[54:55], v[58:59], -v[54:55]
	v_add_f64 v[60:61], v[52:53], -v[54:55]
	v_cvt_i32_f64_e32 v70, v[50:51]
.LBB254_104:                            ;   in Loop: Header=BB254_4 Depth=1
	s_or_b64 exec, exec, s[10:11]
	v_mul_f64 v[50:51], v[14:15], v[14:15]
	v_pk_mov_b32 v[72:73], s[68:69], s[68:69] op_sel:[0,1]
	v_mul_f64 v[52:53], v[50:51], 0.5
	v_fma_f64 v[74:75], s[70:71], v[50:51], v[72:73]
	v_add_f64 v[54:55], -v[52:53], 1.0
	v_fma_f64 v[74:75], v[50:51], v[74:75], s[72:73]
	v_add_f64 v[56:57], -v[54:55], 1.0
	v_fma_f64 v[74:75], v[50:51], v[74:75], s[74:75]
	v_add_f64 v[52:53], v[56:57], -v[52:53]
	v_fma_f64 v[74:75], v[50:51], v[74:75], s[76:77]
	v_mul_f64 v[56:57], v[50:51], v[50:51]
	v_fma_f64 v[74:75], v[50:51], v[74:75], s[62:63]
	v_fma_f64 v[52:53], v[14:15], -v[48:49], v[52:53]
	v_fmac_f64_e32 v[52:53], v[56:57], v[74:75]
	v_add_f64 v[52:53], v[54:55], v[52:53]
	v_pk_mov_b32 v[54:55], s[78:79], s[78:79] op_sel:[0,1]
	v_fma_f64 v[56:57], s[80:81], v[50:51], v[54:55]
	v_fma_f64 v[56:57], v[50:51], v[56:57], s[82:83]
	;; [unrolled: 1-line block ×4, first 2 shown]
	v_mul_f64 v[74:75], v[14:15], -v[50:51]
	v_mul_f64 v[76:77], v[48:49], 0.5
	v_fmac_f64_e32 v[76:77], v[74:75], v[56:57]
	v_fma_f64 v[48:49], v[50:51], v[76:77], -v[48:49]
	s_mov_b32 s86, s62
	v_fmac_f64_e32 v[48:49], s[86:87], v[74:75]
	v_add_f64 v[14:15], v[14:15], -v[48:49]
	v_and_b32_e32 v19, 1, v46
	v_xor_b32_e32 v15, 0x80000000, v15
	v_cmp_eq_u32_e32 vcc, 0, v19
	v_lshlrev_b32_e32 v19, 30, v46
	v_cndmask_b32_e32 v15, v15, v53, vcc
	v_and_b32_e32 v19, 0x80000000, v19
	v_cndmask_b32_e32 v14, v14, v52, vcc
	v_xor_b32_e32 v15, v15, v19
	v_cmp_class_f64_e64 vcc, v[16:17], s4
	v_cndmask_b32_e32 v48, 0, v14, vcc
	v_cndmask_b32_e32 v49, v68, v15, vcc
	v_mul_f64 v[14:15], v[58:59], v[58:59]
	v_mul_f64 v[16:17], v[14:15], 0.5
	v_fmac_f64_e32 v[72:73], s[70:71], v[14:15]
	v_add_f64 v[50:51], -v[16:17], 1.0
	v_fma_f64 v[56:57], v[14:15], v[72:73], s[72:73]
	v_add_f64 v[52:53], -v[50:51], 1.0
	v_fma_f64 v[56:57], v[14:15], v[56:57], s[74:75]
	v_add_f64 v[16:17], v[52:53], -v[16:17]
	v_fma_f64 v[56:57], v[14:15], v[56:57], s[76:77]
	v_mul_f64 v[52:53], v[14:15], v[14:15]
	v_fma_f64 v[56:57], v[14:15], v[56:57], s[62:63]
	v_fma_f64 v[16:17], v[58:59], -v[60:61], v[16:17]
	v_fmac_f64_e32 v[16:17], v[52:53], v[56:57]
	v_fmac_f64_e32 v[54:55], s[80:81], v[14:15]
	v_add_f64 v[16:17], v[50:51], v[16:17]
	v_fma_f64 v[50:51], v[14:15], v[54:55], s[82:83]
	v_fma_f64 v[50:51], v[14:15], v[50:51], s[84:85]
	v_fma_f64 v[50:51], v[14:15], v[50:51], s[60:61]
	v_mul_f64 v[52:53], v[58:59], -v[14:15]
	v_mul_f64 v[54:55], v[60:61], 0.5
	v_fmac_f64_e32 v[54:55], v[52:53], v[50:51]
	v_fma_f64 v[14:15], v[14:15], v[54:55], -v[60:61]
	v_fmac_f64_e32 v[14:15], s[86:87], v[52:53]
	v_and_b32_e32 v19, 1, v70
	v_add_f64 v[14:15], v[58:59], -v[14:15]
	v_cmp_eq_u32_e64 s[10:11], 0, v19
	v_cndmask_b32_e64 v14, v16, v14, s[10:11]
	v_lshlrev_b32_e32 v16, 30, v70
	v_xor_b32_e32 v16, v16, v47
	v_cndmask_b32_e64 v15, v17, v15, s[10:11]
	v_and_b32_e32 v16, 0x80000000, v16
	v_xor_b32_e32 v15, v15, v16
	v_cndmask_b32_e32 v46, 0, v14, vcc
	v_cndmask_b32_e32 v47, v68, v15, vcc
.LBB254_105:                            ;   in Loop: Header=BB254_4 Depth=1
	s_or_b64 exec, exec, s[12:13]
                                        ; implicit-def: $vgpr14_vgpr15
.LBB254_106:                            ;   in Loop: Header=BB254_4 Depth=1
	s_andn2_saveexec_b64 s[12:13], s[94:95]
	s_cbranch_execz .LBB254_108
; %bb.107:                              ;   in Loop: Header=BB254_4 Depth=1
	s_mov_b32 s50, s52
	v_mul_f64 v[16:17], v[14:15], s[50:51]
	v_rndne_f64_e32 v[16:17], v[16:17]
	v_fma_f64 v[48:49], v[16:17], s[54:55], -v[14:15]
	v_fmac_f64_e32 v[48:49], s[56:57], v[16:17]
	v_pk_mov_b32 v[50:51], v[28:29], v[28:29] op_sel:[0,1]
	v_fmac_f64_e32 v[50:51], s[58:59], v[48:49]
	v_pk_mov_b32 v[52:53], v[30:31], v[30:31] op_sel:[0,1]
	;; [unrolled: 2-line block ×9, first 2 shown]
	v_fmac_f64_e32 v[50:51], v[48:49], v[52:53]
	v_fma_f64 v[50:51], v[48:49], v[50:51], 1.0
	v_fma_f64 v[48:49], v[48:49], v[50:51], 1.0
	v_cvt_i32_f64_e32 v16, v[16:17]
	v_ldexp_f64 v[16:17], v[48:49], v16
	v_cmp_ngt_f64_e32 vcc, s[64:65], v[14:15]
	v_cmp_nlt_f64_e64 s[10:11], s[66:67], v[14:15]
	v_cndmask_b32_e32 v17, v67, v17, vcc
	s_and_b64 vcc, s[10:11], vcc
	v_cndmask_b32_e64 v49, 0, v17, s[10:11]
	v_cndmask_b32_e32 v48, 0, v16, vcc
.LBB254_108:                            ;   in Loop: Header=BB254_4 Depth=1
	s_or_b64 exec, exec, s[12:13]
	v_add_f64 v[48:49], s[16:17], v[48:49]
	v_add_f64 v[46:47], s[18:19], v[46:47]
	v_xor_b32_e32 v14, 0x80000000, v49
	v_cmp_gt_f64_e32 vcc, 0, v[48:49]
	v_cndmask_b32_e32 v53, v49, v14, vcc
	v_cndmask_b32_e32 v52, v48, v48, vcc
	v_xor_b32_e32 v14, 0x80000000, v47
	v_cmp_gt_f64_e32 vcc, 0, v[46:47]
	v_cndmask_b32_e32 v51, v47, v14, vcc
	v_cndmask_b32_e32 v50, v46, v46, vcc
	v_cmp_ge_f64_e32 vcc, v[52:53], v[50:51]
                                        ; implicit-def: $vgpr16_vgpr17
	s_and_saveexec_b64 s[10:11], vcc
	s_xor_b64 s[12:13], exec, s[10:11]
	s_cbranch_execz .LBB254_114
; %bb.109:                              ;   in Loop: Header=BB254_4 Depth=1
	v_cmp_neq_f64_e32 vcc, 0, v[48:49]
	v_cmp_neq_f64_e64 s[10:11], 0, v[46:47]
	s_or_b64 s[10:11], vcc, s[10:11]
                                        ; implicit-def: $vgpr16_vgpr17
	s_and_saveexec_b64 s[20:21], s[10:11]
	s_xor_b64 s[10:11], exec, s[20:21]
	s_cbranch_execz .LBB254_111
; %bb.110:                              ;   in Loop: Header=BB254_4 Depth=1
	v_div_scale_f64 v[14:15], s[20:21], v[48:49], v[48:49], v[46:47]
	v_rcp_f64_e32 v[16:17], v[14:15]
	v_div_scale_f64 v[50:51], vcc, v[46:47], v[48:49], v[46:47]
	v_fma_f64 v[52:53], -v[14:15], v[16:17], 1.0
	v_fmac_f64_e32 v[16:17], v[16:17], v[52:53]
	v_fma_f64 v[52:53], -v[14:15], v[16:17], 1.0
	v_fmac_f64_e32 v[16:17], v[16:17], v[52:53]
	v_mul_f64 v[52:53], v[50:51], v[16:17]
	v_fma_f64 v[14:15], -v[14:15], v[52:53], v[50:51]
	v_div_fmas_f64 v[14:15], v[14:15], v[16:17], v[52:53]
	v_div_fixup_f64 v[16:17], v[14:15], v[48:49], v[46:47]
	v_fmac_f64_e32 v[48:49], v[46:47], v[16:17]
	v_div_scale_f64 v[14:15], s[20:21], v[48:49], v[48:49], 1.0
	v_rcp_f64_e32 v[46:47], v[14:15]
	v_fma_f64 v[50:51], -v[14:15], v[46:47], 1.0
	v_fmac_f64_e32 v[46:47], v[46:47], v[50:51]
	v_fma_f64 v[50:51], -v[14:15], v[46:47], 1.0
	v_fmac_f64_e32 v[46:47], v[46:47], v[50:51]
	v_div_scale_f64 v[50:51], vcc, 1.0, v[48:49], 1.0
	v_mul_f64 v[52:53], v[50:51], v[46:47]
	v_fma_f64 v[14:15], -v[14:15], v[52:53], v[50:51]
                                        ; implicit-def: $vgpr50_vgpr51
	s_nop 1
	v_div_fmas_f64 v[14:15], v[14:15], v[46:47], v[52:53]
	v_div_fixup_f64 v[46:47], v[14:15], v[48:49], 1.0
	v_pk_mov_b32 v[14:15], s[16:17], s[16:17] op_sel:[0,1]
	v_pk_mov_b32 v[48:49], s[18:19], s[18:19] op_sel:[0,1]
	v_fma_f64 v[14:15], s[18:19], v[16:17], v[14:15]
	v_fma_f64 v[16:17], -s[16:17], v[16:17], v[48:49]
	v_mul_f64 v[14:15], v[14:15], v[46:47]
	v_mul_f64 v[16:17], v[16:17], v[46:47]
                                        ; implicit-def: $vgpr52_vgpr53
.LBB254_111:                            ;   in Loop: Header=BB254_4 Depth=1
	s_andn2_saveexec_b64 s[10:11], s[10:11]
	s_cbranch_execz .LBB254_113
; %bb.112:                              ;   in Loop: Header=BB254_4 Depth=1
	v_div_scale_f64 v[14:15], s[20:21], v[52:53], v[52:53], s[16:17]
	v_rcp_f64_e32 v[16:17], v[14:15]
	v_div_scale_f64 v[46:47], vcc, s[16:17], v[52:53], s[16:17]
	v_fma_f64 v[48:49], -v[14:15], v[16:17], 1.0
	v_fmac_f64_e32 v[16:17], v[16:17], v[48:49]
	v_fma_f64 v[48:49], -v[14:15], v[16:17], 1.0
	v_fmac_f64_e32 v[16:17], v[16:17], v[48:49]
	v_mul_f64 v[48:49], v[46:47], v[16:17]
	v_fma_f64 v[14:15], -v[14:15], v[48:49], v[46:47]
	v_div_scale_f64 v[46:47], s[20:21], v[50:51], v[50:51], s[18:19]
	v_rcp_f64_e32 v[54:55], v[46:47]
	v_div_fmas_f64 v[14:15], v[14:15], v[16:17], v[48:49]
	v_div_fixup_f64 v[14:15], v[14:15], v[52:53], s[16:17]
	v_fma_f64 v[16:17], -v[46:47], v[54:55], 1.0
	v_fmac_f64_e32 v[54:55], v[54:55], v[16:17]
	v_fma_f64 v[16:17], -v[46:47], v[54:55], 1.0
	v_fmac_f64_e32 v[54:55], v[54:55], v[16:17]
	v_div_scale_f64 v[16:17], vcc, s[18:19], v[50:51], s[18:19]
	v_mul_f64 v[48:49], v[16:17], v[54:55]
	v_fma_f64 v[16:17], -v[46:47], v[48:49], v[16:17]
	s_nop 1
	v_div_fmas_f64 v[16:17], v[16:17], v[54:55], v[48:49]
	v_div_fixup_f64 v[16:17], v[16:17], v[50:51], s[18:19]
.LBB254_113:                            ;   in Loop: Header=BB254_4 Depth=1
	s_or_b64 exec, exec, s[10:11]
                                        ; implicit-def: $vgpr46_vgpr47
                                        ; implicit-def: $vgpr48_vgpr49
.LBB254_114:                            ;   in Loop: Header=BB254_4 Depth=1
	s_andn2_saveexec_b64 s[10:11], s[12:13]
	s_cbranch_execz .LBB254_116
; %bb.115:                              ;   in Loop: Header=BB254_4 Depth=1
	v_div_scale_f64 v[14:15], s[12:13], v[46:47], v[46:47], v[48:49]
	v_rcp_f64_e32 v[16:17], v[14:15]
	v_div_scale_f64 v[50:51], vcc, v[48:49], v[46:47], v[48:49]
	v_fma_f64 v[52:53], -v[14:15], v[16:17], 1.0
	v_fmac_f64_e32 v[16:17], v[16:17], v[52:53]
	v_fma_f64 v[52:53], -v[14:15], v[16:17], 1.0
	v_fmac_f64_e32 v[16:17], v[16:17], v[52:53]
	v_mul_f64 v[52:53], v[50:51], v[16:17]
	v_fma_f64 v[14:15], -v[14:15], v[52:53], v[50:51]
	v_div_fmas_f64 v[14:15], v[14:15], v[16:17], v[52:53]
	v_div_fixup_f64 v[16:17], v[14:15], v[46:47], v[48:49]
	v_fmac_f64_e32 v[46:47], v[48:49], v[16:17]
	v_div_scale_f64 v[14:15], s[12:13], v[46:47], v[46:47], 1.0
	v_rcp_f64_e32 v[48:49], v[14:15]
	v_fma_f64 v[50:51], -v[14:15], v[48:49], 1.0
	v_fmac_f64_e32 v[48:49], v[48:49], v[50:51]
	v_fma_f64 v[50:51], -v[14:15], v[48:49], 1.0
	v_fmac_f64_e32 v[48:49], v[48:49], v[50:51]
	v_div_scale_f64 v[50:51], vcc, 1.0, v[46:47], 1.0
	v_mul_f64 v[52:53], v[50:51], v[48:49]
	v_fma_f64 v[14:15], -v[14:15], v[52:53], v[50:51]
	s_nop 1
	v_div_fmas_f64 v[14:15], v[14:15], v[48:49], v[52:53]
	v_div_fixup_f64 v[46:47], v[14:15], v[46:47], 1.0
	v_pk_mov_b32 v[14:15], s[18:19], s[18:19] op_sel:[0,1]
	v_pk_mov_b32 v[48:49], s[16:17], s[16:17] op_sel:[0,1]
	v_fma_f64 v[14:15], s[16:17], v[16:17], v[14:15]
	v_fma_f64 v[16:17], s[18:19], v[16:17], -v[48:49]
	v_mul_f64 v[14:15], v[14:15], v[46:47]
	v_mul_f64 v[16:17], v[16:17], v[46:47]
.LBB254_116:                            ;   in Loop: Header=BB254_4 Depth=1
	s_or_b64 exec, exec, s[10:11]
	v_xor_b32_e32 v47, 0x80000000, v13
	v_mov_b32_e32 v46, v12
	v_and_b32_e32 v52, 0x7fffffff, v47
	v_or_b32_e32 v19, v52, v46
	v_cmp_ne_u32_e32 vcc, 0, v19
                                        ; implicit-def: $vgpr48_vgpr49
	s_and_saveexec_b64 s[10:11], vcc
	s_xor_b64 s[94:95], exec, s[10:11]
	s_cbranch_execz .LBB254_158
; %bb.117:                              ;   in Loop: Header=BB254_4 Depth=1
	v_xor_b32_e32 v51, 0x80000000, v11
	v_mov_b32_e32 v50, v10
	v_and_b32_e32 v19, 0x7fffffff, v51
	v_or_b32_e32 v46, v19, v50
	v_cmp_ne_u32_e32 vcc, 0, v46
                                        ; implicit-def: $vgpr48_vgpr49
	s_and_saveexec_b64 s[10:11], vcc
	s_xor_b64 s[20:21], exec, s[10:11]
	s_cbranch_execz .LBB254_147
; %bb.118:                              ;   in Loop: Header=BB254_4 Depth=1
	v_cmp_gt_u32_e32 vcc, s5, v52
                                        ; implicit-def: $vgpr48_vgpr49
	s_and_saveexec_b64 s[10:11], vcc
	s_xor_b64 s[88:89], exec, s[10:11]
	s_cbranch_execz .LBB254_140
; %bb.119:                              ;   in Loop: Header=BB254_4 Depth=1
	v_add_u32_e32 v19, 0xbf79d1be, v51
	s_mov_b32 s10, 0x108aa2
	v_cmp_lt_u32_e32 vcc, s10, v19
                                        ; implicit-def: $vgpr48_vgpr49
	s_and_saveexec_b64 s[10:11], vcc
	s_xor_b64 s[12:13], exec, s[10:11]
	s_cbranch_execz .LBB254_129
; %bb.120:                              ;   in Loop: Header=BB254_4 Depth=1
	s_mov_b32 s10, 0
	s_mov_b32 s11, 0x41d00000
	v_cmp_nlt_f64_e64 s[90:91], |v[12:13]|, s[10:11]
                                        ; implicit-def: $vgpr46
                                        ; implicit-def: $vgpr48_vgpr49
                                        ; implicit-def: $vgpr50_vgpr51
	s_and_saveexec_b64 s[10:11], s[90:91]
	s_xor_b64 s[92:93], exec, s[10:11]
	s_cbranch_execz .LBB254_122
; %bb.121:                              ;   in Loop: Header=BB254_4 Depth=1
	v_and_b32_e32 v19, 0x7fffffff, v13
	v_ldexp_f64 v[52:53], |v[12:13]|, s29
	v_cmp_ge_f64_e64 vcc, |v[12:13]|, s[30:31]
	v_trig_preop_f64 v[48:49], |v[12:13]|, 0
	v_cndmask_b32_e32 v53, v19, v53, vcc
	v_cndmask_b32_e32 v52, v12, v52, vcc
	v_trig_preop_f64 v[50:51], |v[12:13]|, 1
	v_mul_f64 v[56:57], v[48:49], v[52:53]
	v_mul_f64 v[54:55], v[50:51], v[52:53]
	v_fma_f64 v[48:49], v[48:49], v[52:53], -v[56:57]
	v_add_f64 v[58:59], v[54:55], v[48:49]
	v_add_f64 v[60:61], v[56:57], v[58:59]
	v_ldexp_f64 v[70:71], v[60:61], -2
	v_fract_f64_e32 v[72:73], v[70:71]
	v_cmp_neq_f64_e64 vcc, |v[70:71]|, s[34:35]
	v_cndmask_b32_e32 v71, 0, v73, vcc
	v_cndmask_b32_e32 v70, 0, v72, vcc
	v_add_f64 v[72:73], v[58:59], -v[54:55]
	v_add_f64 v[48:49], v[48:49], -v[72:73]
	v_add_f64 v[72:73], v[58:59], -v[72:73]
	v_add_f64 v[72:73], v[54:55], -v[72:73]
	v_fma_f64 v[50:51], v[50:51], v[52:53], -v[54:55]
	v_trig_preop_f64 v[54:55], |v[12:13]|, 2
	v_add_f64 v[48:49], v[48:49], v[72:73]
	v_mul_f64 v[72:73], v[54:55], v[52:53]
	v_add_f64 v[74:75], v[72:73], v[50:51]
	v_add_f64 v[76:77], v[74:75], v[48:49]
	v_add_f64 v[56:57], v[60:61], -v[56:57]
	v_add_f64 v[60:61], v[76:77], -v[74:75]
	;; [unrolled: 1-line block ×5, first 2 shown]
	v_add_f64 v[48:49], v[48:49], v[60:61]
	v_add_f64 v[60:61], v[74:75], -v[72:73]
	v_add_f64 v[50:51], v[50:51], -v[60:61]
	v_add_f64 v[60:61], v[74:75], -v[60:61]
	v_add_f64 v[60:61], v[72:73], -v[60:61]
	v_add_f64 v[50:51], v[50:51], v[60:61]
	v_add_f64 v[56:57], v[58:59], -v[56:57]
	v_add_f64 v[48:49], v[50:51], v[48:49]
	v_fma_f64 v[50:51], v[54:55], v[52:53], -v[72:73]
	v_add_f64 v[58:59], v[56:57], v[76:77]
	v_add_f64 v[48:49], v[50:51], v[48:49]
	v_ldexp_f64 v[50:51], v[70:71], 2
	v_add_f64 v[52:53], v[58:59], v[50:51]
	v_cmp_gt_f64_e32 vcc, 0, v[52:53]
	v_cndmask_b32_e32 v19, 0, v65, vcc
	v_add_f64 v[50:51], v[50:51], v[18:19]
	v_add_f64 v[52:53], v[58:59], v[50:51]
	v_cvt_i32_f64_e32 v19, v[52:53]
	v_cvt_f64_i32_e32 v[52:53], v19
	v_add_f64 v[50:51], v[50:51], -v[52:53]
	v_add_f64 v[56:57], v[58:59], -v[56:57]
	v_add_f64 v[52:53], v[58:59], v[50:51]
	v_add_f64 v[56:57], v[76:77], -v[56:57]
	v_add_f64 v[50:51], v[52:53], -v[50:51]
	v_cmp_le_f64_e32 vcc, 0.5, v[52:53]
	v_add_f64 v[48:49], v[56:57], v[48:49]
	v_add_f64 v[50:51], v[58:59], -v[50:51]
	v_addc_co_u32_e64 v46, s[10:11], 0, v19, vcc
	v_cndmask_b32_e32 v19, 0, v66, vcc
	v_add_f64 v[48:49], v[48:49], v[50:51]
	v_add_f64 v[50:51], v[52:53], -v[18:19]
	v_add_f64 v[52:53], v[50:51], v[48:49]
	v_add_f64 v[50:51], v[52:53], -v[50:51]
	s_mov_b32 s36, s38
	v_add_f64 v[48:49], v[48:49], -v[50:51]
	v_mul_f64 v[50:51], v[52:53], s[36:37]
	v_fma_f64 v[54:55], v[52:53], s[36:37], -v[50:51]
	s_mov_b32 s43, s41
	v_fmac_f64_e32 v[54:55], s[42:43], v[52:53]
	v_fmac_f64_e32 v[54:55], s[36:37], v[48:49]
	v_add_f64 v[48:49], v[50:51], v[54:55]
	v_add_f64 v[50:51], v[48:49], -v[50:51]
	v_add_f64 v[50:51], v[54:55], -v[50:51]
	s_andn2_saveexec_b64 s[10:11], s[92:93]
	s_cbranch_execz .LBB254_124
	s_branch .LBB254_123
.LBB254_122:                            ;   in Loop: Header=BB254_4 Depth=1
	s_andn2_saveexec_b64 s[10:11], s[92:93]
	s_cbranch_execz .LBB254_124
.LBB254_123:                            ;   in Loop: Header=BB254_4 Depth=1
	v_mul_f64 v[48:49], |v[12:13]|, s[44:45]
	v_rndne_f64_e32 v[52:53], v[48:49]
	v_fma_f64 v[48:49], v[52:53], s[38:39], |v[12:13]|
	v_mul_f64 v[54:55], v[52:53], s[46:47]
	v_add_f64 v[58:59], v[48:49], v[54:55]
	v_fma_f64 v[50:51], s[46:47], v[52:53], v[48:49]
	s_mov_b32 s40, s46
	v_add_f64 v[48:49], v[48:49], -v[58:59]
	v_fma_f64 v[56:57], s[40:41], v[52:53], v[54:55]
	v_add_f64 v[48:49], v[48:49], v[54:55]
	v_add_f64 v[54:55], v[58:59], -v[50:51]
	v_add_f64 v[48:49], v[54:55], v[48:49]
	v_add_f64 v[54:55], v[48:49], -v[56:57]
	v_fmac_f64_e32 v[54:55], s[48:49], v[52:53]
	v_add_f64 v[48:49], v[50:51], v[54:55]
	v_add_f64 v[50:51], v[48:49], -v[50:51]
	v_add_f64 v[50:51], v[54:55], -v[50:51]
	v_cvt_i32_f64_e32 v46, v[52:53]
.LBB254_124:                            ;   in Loop: Header=BB254_4 Depth=1
	s_or_b64 exec, exec, s[10:11]
                                        ; implicit-def: $vgpr56
                                        ; implicit-def: $vgpr52_vgpr53
                                        ; implicit-def: $vgpr54_vgpr55
	s_and_saveexec_b64 s[10:11], s[90:91]
	s_xor_b64 s[90:91], exec, s[10:11]
	s_cbranch_execz .LBB254_126
; %bb.125:                              ;   in Loop: Header=BB254_4 Depth=1
	v_and_b32_e32 v19, 0x7fffffff, v13
	v_ldexp_f64 v[56:57], |v[12:13]|, s29
	v_cmp_ge_f64_e64 vcc, |v[12:13]|, s[30:31]
	v_trig_preop_f64 v[52:53], |v[12:13]|, 0
	v_cndmask_b32_e32 v57, v19, v57, vcc
	v_cndmask_b32_e32 v56, v12, v56, vcc
	v_trig_preop_f64 v[54:55], |v[12:13]|, 1
	v_mul_f64 v[60:61], v[52:53], v[56:57]
	v_mul_f64 v[58:59], v[54:55], v[56:57]
	v_fma_f64 v[52:53], v[52:53], v[56:57], -v[60:61]
	v_add_f64 v[70:71], v[58:59], v[52:53]
	v_add_f64 v[72:73], v[60:61], v[70:71]
	v_ldexp_f64 v[74:75], v[72:73], -2
	v_fract_f64_e32 v[76:77], v[74:75]
	v_cmp_neq_f64_e64 vcc, |v[74:75]|, s[34:35]
	v_cndmask_b32_e32 v75, 0, v77, vcc
	v_cndmask_b32_e32 v74, 0, v76, vcc
	v_add_f64 v[76:77], v[70:71], -v[58:59]
	v_add_f64 v[52:53], v[52:53], -v[76:77]
	;; [unrolled: 1-line block ×4, first 2 shown]
	v_fma_f64 v[54:55], v[54:55], v[56:57], -v[58:59]
	v_trig_preop_f64 v[58:59], |v[12:13]|, 2
	v_add_f64 v[52:53], v[52:53], v[76:77]
	v_mul_f64 v[76:77], v[58:59], v[56:57]
	v_add_f64 v[78:79], v[76:77], v[54:55]
	v_add_f64 v[80:81], v[78:79], v[52:53]
	v_add_f64 v[60:61], v[72:73], -v[60:61]
	v_add_f64 v[72:73], v[80:81], -v[78:79]
	v_add_f64 v[52:53], v[52:53], -v[72:73]
	v_add_f64 v[72:73], v[80:81], -v[72:73]
	v_add_f64 v[72:73], v[78:79], -v[72:73]
	v_add_f64 v[52:53], v[52:53], v[72:73]
	v_add_f64 v[72:73], v[78:79], -v[76:77]
	v_add_f64 v[54:55], v[54:55], -v[72:73]
	;; [unrolled: 1-line block ×4, first 2 shown]
	v_add_f64 v[54:55], v[54:55], v[72:73]
	v_add_f64 v[60:61], v[70:71], -v[60:61]
	v_add_f64 v[52:53], v[54:55], v[52:53]
	v_fma_f64 v[54:55], v[58:59], v[56:57], -v[76:77]
	v_add_f64 v[70:71], v[60:61], v[80:81]
	v_add_f64 v[52:53], v[54:55], v[52:53]
	v_ldexp_f64 v[54:55], v[74:75], 2
	v_add_f64 v[56:57], v[70:71], v[54:55]
	v_cmp_gt_f64_e32 vcc, 0, v[56:57]
	v_cndmask_b32_e32 v19, 0, v65, vcc
	v_add_f64 v[54:55], v[54:55], v[18:19]
	v_add_f64 v[56:57], v[70:71], v[54:55]
	v_cvt_i32_f64_e32 v19, v[56:57]
	v_cvt_f64_i32_e32 v[56:57], v19
	v_add_f64 v[54:55], v[54:55], -v[56:57]
	v_add_f64 v[60:61], v[70:71], -v[60:61]
	v_add_f64 v[58:59], v[70:71], v[54:55]
	v_add_f64 v[60:61], v[80:81], -v[60:61]
	v_add_f64 v[54:55], v[58:59], -v[54:55]
	v_cmp_le_f64_e32 vcc, 0.5, v[58:59]
	v_add_f64 v[52:53], v[60:61], v[52:53]
	v_add_f64 v[54:55], v[70:71], -v[54:55]
	v_addc_co_u32_e64 v56, s[10:11], 0, v19, vcc
	v_cndmask_b32_e32 v19, 0, v66, vcc
	v_add_f64 v[52:53], v[52:53], v[54:55]
	v_add_f64 v[54:55], v[58:59], -v[18:19]
	v_add_f64 v[58:59], v[54:55], v[52:53]
	v_add_f64 v[54:55], v[58:59], -v[54:55]
	s_mov_b32 s36, s38
	v_add_f64 v[52:53], v[52:53], -v[54:55]
	v_mul_f64 v[54:55], v[58:59], s[36:37]
	v_fma_f64 v[60:61], v[58:59], s[36:37], -v[54:55]
	s_mov_b32 s43, s41
	v_fmac_f64_e32 v[60:61], s[42:43], v[58:59]
	v_fmac_f64_e32 v[60:61], s[36:37], v[52:53]
	v_add_f64 v[52:53], v[54:55], v[60:61]
	v_add_f64 v[54:55], v[52:53], -v[54:55]
	v_add_f64 v[54:55], v[60:61], -v[54:55]
	s_andn2_saveexec_b64 s[10:11], s[90:91]
	s_cbranch_execnz .LBB254_127
	s_branch .LBB254_128
.LBB254_126:                            ;   in Loop: Header=BB254_4 Depth=1
	s_andn2_saveexec_b64 s[10:11], s[90:91]
	s_cbranch_execz .LBB254_128
.LBB254_127:                            ;   in Loop: Header=BB254_4 Depth=1
	v_mul_f64 v[52:53], |v[12:13]|, s[44:45]
	v_rndne_f64_e32 v[56:57], v[52:53]
	v_fma_f64 v[52:53], v[56:57], s[38:39], |v[12:13]|
	v_mul_f64 v[58:59], v[56:57], s[46:47]
	v_add_f64 v[70:71], v[52:53], v[58:59]
	v_fma_f64 v[54:55], s[46:47], v[56:57], v[52:53]
	s_mov_b32 s40, s46
	v_add_f64 v[52:53], v[52:53], -v[70:71]
	v_fma_f64 v[60:61], s[40:41], v[56:57], v[58:59]
	v_add_f64 v[52:53], v[52:53], v[58:59]
	v_add_f64 v[58:59], v[70:71], -v[54:55]
	v_add_f64 v[52:53], v[58:59], v[52:53]
	v_add_f64 v[58:59], v[52:53], -v[60:61]
	v_fmac_f64_e32 v[58:59], s[48:49], v[56:57]
	v_add_f64 v[52:53], v[54:55], v[58:59]
	v_add_f64 v[54:55], v[52:53], -v[54:55]
	v_add_f64 v[54:55], v[58:59], -v[54:55]
	v_cvt_i32_f64_e32 v56, v[56:57]
.LBB254_128:                            ;   in Loop: Header=BB254_4 Depth=1
	s_or_b64 exec, exec, s[10:11]
	s_mov_b32 s50, s52
	v_mul_f64 v[58:59], v[10:11], s[50:51]
	v_rndne_f64_e32 v[58:59], v[58:59]
	v_fma_f64 v[60:61], v[58:59], s[54:55], -v[10:11]
	v_fmac_f64_e32 v[60:61], s[56:57], v[58:59]
	v_pk_mov_b32 v[70:71], v[28:29], v[28:29] op_sel:[0,1]
	v_fmac_f64_e32 v[70:71], s[58:59], v[60:61]
	v_pk_mov_b32 v[72:73], v[30:31], v[30:31] op_sel:[0,1]
	;; [unrolled: 2-line block ×9, first 2 shown]
	v_fmac_f64_e32 v[70:71], v[60:61], v[72:73]
	v_fma_f64 v[70:71], v[60:61], v[70:71], 1.0
	v_fma_f64 v[60:61], v[60:61], v[70:71], 1.0
	v_cvt_i32_f64_e32 v19, v[58:59]
	v_ldexp_f64 v[58:59], v[60:61], v19
	v_cmp_ngt_f64_e32 vcc, s[64:65], v[10:11]
	v_cmp_nlt_f64_e64 s[10:11], s[66:67], v[10:11]
	v_cndmask_b32_e32 v19, v67, v59, vcc
	s_and_b64 vcc, s[10:11], vcc
	v_cndmask_b32_e32 v10, 0, v58, vcc
	v_mul_f64 v[58:59], v[48:49], v[48:49]
	v_pk_mov_b32 v[74:75], s[68:69], s[68:69] op_sel:[0,1]
	v_mul_f64 v[60:61], v[58:59], 0.5
	v_fma_f64 v[76:77], s[70:71], v[58:59], v[74:75]
	v_add_f64 v[70:71], -v[60:61], 1.0
	v_fma_f64 v[76:77], v[58:59], v[76:77], s[72:73]
	v_add_f64 v[72:73], -v[70:71], 1.0
	v_fma_f64 v[76:77], v[58:59], v[76:77], s[74:75]
	v_add_f64 v[60:61], v[72:73], -v[60:61]
	v_fma_f64 v[76:77], v[58:59], v[76:77], s[76:77]
	v_mul_f64 v[72:73], v[58:59], v[58:59]
	v_fma_f64 v[76:77], v[58:59], v[76:77], s[62:63]
	v_fma_f64 v[60:61], v[48:49], -v[50:51], v[60:61]
	v_fmac_f64_e32 v[60:61], v[72:73], v[76:77]
	v_add_f64 v[60:61], v[70:71], v[60:61]
	v_pk_mov_b32 v[70:71], s[78:79], s[78:79] op_sel:[0,1]
	v_fma_f64 v[72:73], s[80:81], v[58:59], v[70:71]
	v_fma_f64 v[72:73], v[58:59], v[72:73], s[82:83]
	;; [unrolled: 1-line block ×4, first 2 shown]
	v_mul_f64 v[76:77], v[48:49], -v[58:59]
	v_mul_f64 v[78:79], v[50:51], 0.5
	v_fmac_f64_e32 v[78:79], v[76:77], v[72:73]
	v_fma_f64 v[50:51], v[58:59], v[78:79], -v[50:51]
	s_mov_b32 s86, s62
	v_fmac_f64_e32 v[50:51], s[86:87], v[76:77]
	v_add_f64 v[48:49], v[48:49], -v[50:51]
	v_cndmask_b32_e64 v11, 0, v19, s[10:11]
	v_xor_b32_e32 v19, 0x80000000, v49
	v_and_b32_e32 v49, 1, v46
	v_cmp_eq_u32_e32 vcc, 0, v49
	v_lshlrev_b32_e32 v46, 30, v46
	v_cndmask_b32_e32 v19, v19, v61, vcc
	v_and_b32_e32 v46, 0x80000000, v46
	v_cndmask_b32_e32 v48, v48, v60, vcc
	v_xor_b32_e32 v19, v19, v46
	v_cmp_class_f64_e64 vcc, v[12:13], s4
	v_cndmask_b32_e32 v12, 0, v48, vcc
	v_cndmask_b32_e32 v13, v68, v19, vcc
	v_mul_f64 v[48:49], v[10:11], v[12:13]
	v_mul_f64 v[12:13], v[52:53], v[52:53]
	v_mul_f64 v[50:51], v[12:13], 0.5
	v_fmac_f64_e32 v[74:75], s[70:71], v[12:13]
	v_add_f64 v[58:59], -v[50:51], 1.0
	v_fma_f64 v[72:73], v[12:13], v[74:75], s[72:73]
	v_add_f64 v[60:61], -v[58:59], 1.0
	v_fma_f64 v[72:73], v[12:13], v[72:73], s[74:75]
	v_add_f64 v[50:51], v[60:61], -v[50:51]
	v_fma_f64 v[72:73], v[12:13], v[72:73], s[76:77]
	v_mul_f64 v[60:61], v[12:13], v[12:13]
	v_fma_f64 v[72:73], v[12:13], v[72:73], s[62:63]
	v_fma_f64 v[50:51], v[52:53], -v[54:55], v[50:51]
	v_fmac_f64_e32 v[50:51], v[60:61], v[72:73]
	v_fmac_f64_e32 v[70:71], s[80:81], v[12:13]
	v_add_f64 v[50:51], v[58:59], v[50:51]
	v_fma_f64 v[58:59], v[12:13], v[70:71], s[82:83]
	v_fma_f64 v[58:59], v[12:13], v[58:59], s[84:85]
	;; [unrolled: 1-line block ×3, first 2 shown]
	v_mul_f64 v[60:61], v[52:53], -v[12:13]
	v_mul_f64 v[70:71], v[54:55], 0.5
	v_fmac_f64_e32 v[70:71], v[60:61], v[58:59]
	v_fma_f64 v[12:13], v[12:13], v[70:71], -v[54:55]
	v_and_b32_e32 v19, 1, v56
	v_fmac_f64_e32 v[12:13], s[86:87], v[60:61]
	v_cmp_eq_u32_e64 s[10:11], 0, v19
	v_lshlrev_b32_e32 v19, 30, v56
	v_add_f64 v[12:13], v[52:53], -v[12:13]
	v_xor_b32_e32 v19, v19, v47
	v_cndmask_b32_e64 v13, v51, v13, s[10:11]
	v_and_b32_e32 v19, 0x80000000, v19
	v_cndmask_b32_e64 v12, v50, v12, s[10:11]
	v_xor_b32_e32 v13, v13, v19
	v_cndmask_b32_e32 v12, 0, v12, vcc
	v_cndmask_b32_e32 v13, v68, v13, vcc
	v_mul_f64 v[46:47], v[10:11], v[12:13]
                                        ; implicit-def: $vgpr12_vgpr13
.LBB254_129:                            ;   in Loop: Header=BB254_4 Depth=1
	s_andn2_saveexec_b64 s[90:91], s[12:13]
	s_cbranch_execz .LBB254_139
; %bb.130:                              ;   in Loop: Header=BB254_4 Depth=1
	s_mov_b32 s10, 0
	s_mov_b32 s11, 0x41d00000
	v_cmp_nlt_f64_e64 s[12:13], |v[12:13]|, s[10:11]
                                        ; implicit-def: $vgpr46
                                        ; implicit-def: $vgpr48_vgpr49
                                        ; implicit-def: $vgpr50_vgpr51
	s_and_saveexec_b64 s[10:11], s[12:13]
	s_xor_b64 s[92:93], exec, s[10:11]
	s_cbranch_execz .LBB254_132
; %bb.131:                              ;   in Loop: Header=BB254_4 Depth=1
	v_and_b32_e32 v19, 0x7fffffff, v13
	v_ldexp_f64 v[52:53], |v[12:13]|, s29
	v_cmp_ge_f64_e64 vcc, |v[12:13]|, s[30:31]
	v_trig_preop_f64 v[48:49], |v[12:13]|, 0
	v_cndmask_b32_e32 v53, v19, v53, vcc
	v_cndmask_b32_e32 v52, v12, v52, vcc
	v_trig_preop_f64 v[50:51], |v[12:13]|, 1
	v_mul_f64 v[56:57], v[48:49], v[52:53]
	v_mul_f64 v[54:55], v[50:51], v[52:53]
	v_fma_f64 v[48:49], v[48:49], v[52:53], -v[56:57]
	v_add_f64 v[58:59], v[54:55], v[48:49]
	v_add_f64 v[60:61], v[56:57], v[58:59]
	v_ldexp_f64 v[70:71], v[60:61], -2
	v_fract_f64_e32 v[72:73], v[70:71]
	v_cmp_neq_f64_e64 vcc, |v[70:71]|, s[34:35]
	v_cndmask_b32_e32 v71, 0, v73, vcc
	v_cndmask_b32_e32 v70, 0, v72, vcc
	v_add_f64 v[72:73], v[58:59], -v[54:55]
	v_add_f64 v[48:49], v[48:49], -v[72:73]
	;; [unrolled: 1-line block ×4, first 2 shown]
	v_fma_f64 v[50:51], v[50:51], v[52:53], -v[54:55]
	v_trig_preop_f64 v[54:55], |v[12:13]|, 2
	v_add_f64 v[48:49], v[48:49], v[72:73]
	v_mul_f64 v[72:73], v[54:55], v[52:53]
	v_add_f64 v[74:75], v[72:73], v[50:51]
	v_add_f64 v[76:77], v[74:75], v[48:49]
	v_add_f64 v[56:57], v[60:61], -v[56:57]
	v_add_f64 v[60:61], v[76:77], -v[74:75]
	;; [unrolled: 1-line block ×5, first 2 shown]
	v_add_f64 v[48:49], v[48:49], v[60:61]
	v_add_f64 v[60:61], v[74:75], -v[72:73]
	v_add_f64 v[50:51], v[50:51], -v[60:61]
	v_add_f64 v[60:61], v[74:75], -v[60:61]
	v_add_f64 v[60:61], v[72:73], -v[60:61]
	v_add_f64 v[50:51], v[50:51], v[60:61]
	v_add_f64 v[56:57], v[58:59], -v[56:57]
	v_add_f64 v[48:49], v[50:51], v[48:49]
	v_fma_f64 v[50:51], v[54:55], v[52:53], -v[72:73]
	v_add_f64 v[58:59], v[56:57], v[76:77]
	v_add_f64 v[48:49], v[50:51], v[48:49]
	v_ldexp_f64 v[50:51], v[70:71], 2
	v_add_f64 v[52:53], v[58:59], v[50:51]
	v_cmp_gt_f64_e32 vcc, 0, v[52:53]
	v_cndmask_b32_e32 v19, 0, v65, vcc
	v_add_f64 v[50:51], v[50:51], v[18:19]
	v_add_f64 v[52:53], v[58:59], v[50:51]
	v_cvt_i32_f64_e32 v19, v[52:53]
	v_cvt_f64_i32_e32 v[52:53], v19
	v_add_f64 v[50:51], v[50:51], -v[52:53]
	v_add_f64 v[56:57], v[58:59], -v[56:57]
	v_add_f64 v[52:53], v[58:59], v[50:51]
	v_add_f64 v[56:57], v[76:77], -v[56:57]
	v_add_f64 v[50:51], v[52:53], -v[50:51]
	v_cmp_le_f64_e32 vcc, 0.5, v[52:53]
	v_add_f64 v[48:49], v[56:57], v[48:49]
	v_add_f64 v[50:51], v[58:59], -v[50:51]
	v_addc_co_u32_e64 v46, s[10:11], 0, v19, vcc
	v_cndmask_b32_e32 v19, 0, v66, vcc
	v_add_f64 v[48:49], v[48:49], v[50:51]
	v_add_f64 v[50:51], v[52:53], -v[18:19]
	v_add_f64 v[52:53], v[50:51], v[48:49]
	v_add_f64 v[50:51], v[52:53], -v[50:51]
	s_mov_b32 s36, s38
	v_add_f64 v[48:49], v[48:49], -v[50:51]
	v_mul_f64 v[50:51], v[52:53], s[36:37]
	v_fma_f64 v[54:55], v[52:53], s[36:37], -v[50:51]
	s_mov_b32 s43, s41
	v_fmac_f64_e32 v[54:55], s[42:43], v[52:53]
	v_fmac_f64_e32 v[54:55], s[36:37], v[48:49]
	v_add_f64 v[48:49], v[50:51], v[54:55]
	v_add_f64 v[50:51], v[48:49], -v[50:51]
	v_add_f64 v[50:51], v[54:55], -v[50:51]
	s_andn2_saveexec_b64 s[10:11], s[92:93]
	s_cbranch_execz .LBB254_134
	s_branch .LBB254_133
.LBB254_132:                            ;   in Loop: Header=BB254_4 Depth=1
	s_andn2_saveexec_b64 s[10:11], s[92:93]
	s_cbranch_execz .LBB254_134
.LBB254_133:                            ;   in Loop: Header=BB254_4 Depth=1
	v_mul_f64 v[48:49], |v[12:13]|, s[44:45]
	v_rndne_f64_e32 v[52:53], v[48:49]
	v_fma_f64 v[48:49], v[52:53], s[38:39], |v[12:13]|
	v_mul_f64 v[54:55], v[52:53], s[46:47]
	v_add_f64 v[58:59], v[48:49], v[54:55]
	v_fma_f64 v[50:51], s[46:47], v[52:53], v[48:49]
	s_mov_b32 s40, s46
	v_add_f64 v[48:49], v[48:49], -v[58:59]
	v_fma_f64 v[56:57], s[40:41], v[52:53], v[54:55]
	v_add_f64 v[48:49], v[48:49], v[54:55]
	v_add_f64 v[54:55], v[58:59], -v[50:51]
	v_add_f64 v[48:49], v[54:55], v[48:49]
	v_add_f64 v[54:55], v[48:49], -v[56:57]
	v_fmac_f64_e32 v[54:55], s[48:49], v[52:53]
	v_add_f64 v[48:49], v[50:51], v[54:55]
	v_add_f64 v[50:51], v[48:49], -v[50:51]
	v_add_f64 v[50:51], v[54:55], -v[50:51]
	v_cvt_i32_f64_e32 v46, v[52:53]
.LBB254_134:                            ;   in Loop: Header=BB254_4 Depth=1
	s_or_b64 exec, exec, s[10:11]
                                        ; implicit-def: $vgpr56
                                        ; implicit-def: $vgpr52_vgpr53
                                        ; implicit-def: $vgpr54_vgpr55
	s_and_saveexec_b64 s[10:11], s[12:13]
	s_xor_b64 s[12:13], exec, s[10:11]
	s_cbranch_execz .LBB254_136
; %bb.135:                              ;   in Loop: Header=BB254_4 Depth=1
	v_and_b32_e32 v19, 0x7fffffff, v13
	v_ldexp_f64 v[56:57], |v[12:13]|, s29
	v_cmp_ge_f64_e64 vcc, |v[12:13]|, s[30:31]
	v_trig_preop_f64 v[52:53], |v[12:13]|, 0
	v_cndmask_b32_e32 v57, v19, v57, vcc
	v_cndmask_b32_e32 v56, v12, v56, vcc
	v_trig_preop_f64 v[54:55], |v[12:13]|, 1
	v_mul_f64 v[60:61], v[52:53], v[56:57]
	v_mul_f64 v[58:59], v[54:55], v[56:57]
	v_fma_f64 v[52:53], v[52:53], v[56:57], -v[60:61]
	v_add_f64 v[70:71], v[58:59], v[52:53]
	v_add_f64 v[72:73], v[60:61], v[70:71]
	v_ldexp_f64 v[74:75], v[72:73], -2
	v_fract_f64_e32 v[76:77], v[74:75]
	v_cmp_neq_f64_e64 vcc, |v[74:75]|, s[34:35]
	v_cndmask_b32_e32 v75, 0, v77, vcc
	v_cndmask_b32_e32 v74, 0, v76, vcc
	v_add_f64 v[76:77], v[70:71], -v[58:59]
	v_add_f64 v[52:53], v[52:53], -v[76:77]
	;; [unrolled: 1-line block ×4, first 2 shown]
	v_fma_f64 v[54:55], v[54:55], v[56:57], -v[58:59]
	v_trig_preop_f64 v[58:59], |v[12:13]|, 2
	v_add_f64 v[52:53], v[52:53], v[76:77]
	v_mul_f64 v[76:77], v[58:59], v[56:57]
	v_add_f64 v[78:79], v[76:77], v[54:55]
	v_add_f64 v[80:81], v[78:79], v[52:53]
	v_add_f64 v[60:61], v[72:73], -v[60:61]
	v_add_f64 v[72:73], v[80:81], -v[78:79]
	;; [unrolled: 1-line block ×5, first 2 shown]
	v_add_f64 v[52:53], v[52:53], v[72:73]
	v_add_f64 v[72:73], v[78:79], -v[76:77]
	v_add_f64 v[54:55], v[54:55], -v[72:73]
	v_add_f64 v[72:73], v[78:79], -v[72:73]
	v_add_f64 v[72:73], v[76:77], -v[72:73]
	v_add_f64 v[54:55], v[54:55], v[72:73]
	v_add_f64 v[60:61], v[70:71], -v[60:61]
	v_add_f64 v[52:53], v[54:55], v[52:53]
	v_fma_f64 v[54:55], v[58:59], v[56:57], -v[76:77]
	v_add_f64 v[70:71], v[60:61], v[80:81]
	v_add_f64 v[52:53], v[54:55], v[52:53]
	v_ldexp_f64 v[54:55], v[74:75], 2
	v_add_f64 v[56:57], v[70:71], v[54:55]
	v_cmp_gt_f64_e32 vcc, 0, v[56:57]
	v_cndmask_b32_e32 v19, 0, v65, vcc
	v_add_f64 v[54:55], v[54:55], v[18:19]
	v_add_f64 v[56:57], v[70:71], v[54:55]
	v_cvt_i32_f64_e32 v19, v[56:57]
	v_cvt_f64_i32_e32 v[56:57], v19
	v_add_f64 v[54:55], v[54:55], -v[56:57]
	v_add_f64 v[60:61], v[70:71], -v[60:61]
	v_add_f64 v[58:59], v[70:71], v[54:55]
	v_add_f64 v[60:61], v[80:81], -v[60:61]
	v_add_f64 v[54:55], v[58:59], -v[54:55]
	v_cmp_le_f64_e32 vcc, 0.5, v[58:59]
	v_add_f64 v[52:53], v[60:61], v[52:53]
	v_add_f64 v[54:55], v[70:71], -v[54:55]
	v_addc_co_u32_e64 v56, s[10:11], 0, v19, vcc
	v_cndmask_b32_e32 v19, 0, v66, vcc
	v_add_f64 v[52:53], v[52:53], v[54:55]
	v_add_f64 v[54:55], v[58:59], -v[18:19]
	v_add_f64 v[58:59], v[54:55], v[52:53]
	v_add_f64 v[54:55], v[58:59], -v[54:55]
	s_mov_b32 s36, s38
	v_add_f64 v[52:53], v[52:53], -v[54:55]
	v_mul_f64 v[54:55], v[58:59], s[36:37]
	v_fma_f64 v[60:61], v[58:59], s[36:37], -v[54:55]
	s_mov_b32 s43, s41
	v_fmac_f64_e32 v[60:61], s[42:43], v[58:59]
	v_fmac_f64_e32 v[60:61], s[36:37], v[52:53]
	v_add_f64 v[52:53], v[54:55], v[60:61]
	v_add_f64 v[54:55], v[52:53], -v[54:55]
	v_add_f64 v[54:55], v[60:61], -v[54:55]
	s_andn2_saveexec_b64 s[10:11], s[12:13]
	s_cbranch_execnz .LBB254_137
	s_branch .LBB254_138
.LBB254_136:                            ;   in Loop: Header=BB254_4 Depth=1
	s_andn2_saveexec_b64 s[10:11], s[12:13]
	s_cbranch_execz .LBB254_138
.LBB254_137:                            ;   in Loop: Header=BB254_4 Depth=1
	v_mul_f64 v[52:53], |v[12:13]|, s[44:45]
	v_rndne_f64_e32 v[56:57], v[52:53]
	v_fma_f64 v[52:53], v[56:57], s[38:39], |v[12:13]|
	v_mul_f64 v[58:59], v[56:57], s[46:47]
	v_add_f64 v[70:71], v[52:53], v[58:59]
	v_fma_f64 v[54:55], s[46:47], v[56:57], v[52:53]
	s_mov_b32 s40, s46
	v_add_f64 v[52:53], v[52:53], -v[70:71]
	v_fma_f64 v[60:61], s[40:41], v[56:57], v[58:59]
	v_add_f64 v[52:53], v[52:53], v[58:59]
	v_add_f64 v[58:59], v[70:71], -v[54:55]
	v_add_f64 v[52:53], v[58:59], v[52:53]
	v_add_f64 v[58:59], v[52:53], -v[60:61]
	v_fmac_f64_e32 v[58:59], s[48:49], v[56:57]
	v_add_f64 v[52:53], v[54:55], v[58:59]
	v_add_f64 v[54:55], v[52:53], -v[54:55]
	v_add_f64 v[54:55], v[58:59], -v[54:55]
	v_cvt_i32_f64_e32 v56, v[56:57]
.LBB254_138:                            ;   in Loop: Header=BB254_4 Depth=1
	s_or_b64 exec, exec, s[10:11]
	v_mul_f64 v[58:59], v[48:49], v[48:49]
	v_pk_mov_b32 v[74:75], s[68:69], s[68:69] op_sel:[0,1]
	v_mul_f64 v[60:61], v[58:59], 0.5
	v_fma_f64 v[76:77], s[70:71], v[58:59], v[74:75]
	v_add_f64 v[70:71], -v[60:61], 1.0
	v_fma_f64 v[76:77], v[58:59], v[76:77], s[72:73]
	v_fma_f64 v[76:77], v[58:59], v[76:77], s[74:75]
	v_add_f64 v[78:79], -v[70:71], 1.0
	v_fma_f64 v[76:77], v[58:59], v[76:77], s[76:77]
	v_add_f64 v[60:61], v[78:79], -v[60:61]
	v_mul_f64 v[72:73], v[58:59], v[58:59]
	v_fma_f64 v[76:77], v[58:59], v[76:77], s[62:63]
	v_fma_f64 v[60:61], v[48:49], -v[50:51], v[60:61]
	v_fmac_f64_e32 v[60:61], v[72:73], v[76:77]
	v_pk_mov_b32 v[72:73], s[78:79], s[78:79] op_sel:[0,1]
	v_fma_f64 v[76:77], s[80:81], v[58:59], v[72:73]
	v_fma_f64 v[76:77], v[58:59], v[76:77], s[82:83]
	;; [unrolled: 1-line block ×3, first 2 shown]
	v_add_f64 v[60:61], v[70:71], v[60:61]
	v_mul_f64 v[70:71], v[48:49], -v[58:59]
	v_fma_f64 v[76:77], v[58:59], v[76:77], s[60:61]
	v_mul_f64 v[78:79], v[50:51], 0.5
	v_fmac_f64_e32 v[78:79], v[70:71], v[76:77]
	v_fma_f64 v[50:51], v[58:59], v[78:79], -v[50:51]
	s_mov_b32 s86, s62
	v_fmac_f64_e32 v[50:51], s[86:87], v[70:71]
	v_and_b32_e32 v19, 1, v46
	v_add_f64 v[48:49], v[48:49], -v[50:51]
	s_mov_b32 s10, 0x19ba0da4
	v_xor_b32_e32 v49, 0x80000000, v49
	v_cmp_eq_u32_e32 vcc, 0, v19
	v_lshlrev_b32_e32 v46, 30, v46
	s_mov_b32 s11, 0xc0937be3
	v_cndmask_b32_e32 v19, v48, v60, vcc
	v_cndmask_b32_e32 v48, v49, v61, vcc
	v_and_b32_e32 v46, 0x80000000, v46
	v_add_f64 v[10:11], -v[10:11], s[10:11]
	v_xor_b32_e32 v46, v48, v46
	v_mul_f64 v[48:49], v[10:11], s[52:53]
	v_rndne_f64_e32 v[48:49], v[48:49]
	v_fma_f64 v[50:51], s[54:55], v[48:49], v[10:11]
	v_fmac_f64_e32 v[50:51], s[56:57], v[48:49]
	v_pk_mov_b32 v[58:59], v[28:29], v[28:29] op_sel:[0,1]
	v_fmac_f64_e32 v[58:59], s[58:59], v[50:51]
	v_pk_mov_b32 v[60:61], v[30:31], v[30:31] op_sel:[0,1]
	;; [unrolled: 2-line block ×9, first 2 shown]
	v_fmac_f64_e32 v[58:59], v[50:51], v[60:61]
	v_cmp_class_f64_e64 vcc, v[12:13], s4
	v_fma_f64 v[58:59], v[50:51], v[58:59], 1.0
	s_mov_b32 s10, 0
	v_cndmask_b32_e32 v12, 0, v19, vcc
	v_fma_f64 v[50:51], v[50:51], v[58:59], 1.0
	v_cvt_i32_f64_e32 v19, v[48:49]
	s_mov_b32 s11, 0x40900000
	s_mov_b32 s12, 0
	v_ldexp_f64 v[48:49], v[50:51], v19
	v_cmp_nlt_f64_e64 s[10:11], s[10:11], v[10:11]
	s_mov_b32 s13, 0xc090cc00
	v_cndmask_b32_e64 v19, v67, v49, s[10:11]
	v_cmp_ngt_f64_e64 s[12:13], s[12:13], v[10:11]
	v_cndmask_b32_e64 v19, 0, v19, s[12:13]
	v_and_b32_e32 v11, 0xfffff, v19
	v_lshrrev_b32_e32 v19, 20, v19
	v_cndmask_b32_e32 v13, v68, v46, vcc
	v_add_u32_e32 v46, 0xffffff09, v19
	v_lshrrev_b16_e32 v19, 15, v46
	v_add_u16_e32 v19, v46, v19
	s_and_b64 s[10:11], s[12:13], s[10:11]
	v_ashrrev_i16_e32 v19, 1, v19
	v_cndmask_b32_e64 v10, 0, v48, s[10:11]
	v_or_b32_e32 v11, 0x7fe00000, v11
	v_bfe_i32 v48, v19, 0, 16
	v_mul_f64 v[12:13], v[10:11], v[12:13]
	v_lshl_add_u32 v19, v48, 20, v66
	v_sub_u32_e32 v46, v46, v48
	v_mul_f64 v[12:13], v[12:13], v[18:19]
	v_lshl_add_u32 v51, v46, 20, v66
	v_mov_b32_e32 v50, v18
	v_mul_f64 v[48:49], v[12:13], v[50:51]
	v_mul_f64 v[12:13], v[52:53], v[52:53]
	v_mul_f64 v[58:59], v[12:13], 0.5
	v_fmac_f64_e32 v[74:75], s[70:71], v[12:13]
	v_add_f64 v[60:61], -v[58:59], 1.0
	v_fma_f64 v[74:75], v[12:13], v[74:75], s[72:73]
	v_add_f64 v[70:71], -v[60:61], 1.0
	v_fma_f64 v[74:75], v[12:13], v[74:75], s[74:75]
	v_add_f64 v[58:59], v[70:71], -v[58:59]
	v_fma_f64 v[74:75], v[12:13], v[74:75], s[76:77]
	v_mul_f64 v[70:71], v[12:13], v[12:13]
	v_fma_f64 v[74:75], v[12:13], v[74:75], s[62:63]
	v_fma_f64 v[58:59], v[52:53], -v[54:55], v[58:59]
	v_fmac_f64_e32 v[58:59], v[70:71], v[74:75]
	v_fmac_f64_e32 v[72:73], s[80:81], v[12:13]
	v_add_f64 v[58:59], v[60:61], v[58:59]
	v_fma_f64 v[60:61], v[12:13], v[72:73], s[82:83]
	v_fma_f64 v[60:61], v[12:13], v[60:61], s[84:85]
	;; [unrolled: 1-line block ×3, first 2 shown]
	v_mul_f64 v[70:71], v[52:53], -v[12:13]
	v_mul_f64 v[72:73], v[54:55], 0.5
	v_fmac_f64_e32 v[72:73], v[70:71], v[60:61]
	v_fma_f64 v[12:13], v[12:13], v[72:73], -v[54:55]
	v_and_b32_e32 v46, 1, v56
	v_fmac_f64_e32 v[12:13], s[86:87], v[70:71]
	v_cmp_eq_u32_e64 s[10:11], 0, v46
	v_lshlrev_b32_e32 v46, 30, v56
	v_add_f64 v[12:13], v[52:53], -v[12:13]
	v_xor_b32_e32 v46, v46, v47
	v_cndmask_b32_e64 v13, v59, v13, s[10:11]
	v_and_b32_e32 v46, 0x80000000, v46
	v_cndmask_b32_e64 v12, v58, v12, s[10:11]
	v_xor_b32_e32 v13, v13, v46
	v_cndmask_b32_e32 v12, 0, v12, vcc
	v_cndmask_b32_e32 v13, v68, v13, vcc
	v_mul_f64 v[10:11], v[10:11], v[12:13]
	v_mul_f64 v[10:11], v[10:11], v[18:19]
	;; [unrolled: 1-line block ×3, first 2 shown]
.LBB254_139:                            ;   in Loop: Header=BB254_4 Depth=1
	s_or_b64 exec, exec, s[90:91]
                                        ; implicit-def: $vgpr50_vgpr51
                                        ; implicit-def: $vgpr10_vgpr11
                                        ; implicit-def: $vgpr19
.LBB254_140:                            ;   in Loop: Header=BB254_4 Depth=1
	s_andn2_saveexec_b64 s[12:13], s[88:89]
	s_cbranch_execz .LBB254_146
; %bb.141:                              ;   in Loop: Header=BB254_4 Depth=1
	v_cmp_ne_u32_e32 vcc, 0, v50
	v_cmp_ne_u32_e64 s[10:11], s5, v19
	s_or_b64 s[10:11], vcc, s[10:11]
	v_add_f64 v[46:47], v[12:13], -v[12:13]
	s_and_saveexec_b64 s[88:89], s[10:11]
	s_xor_b64 s[10:11], exec, s[88:89]
; %bb.142:                              ;   in Loop: Header=BB254_4 Depth=1
                                        ; implicit-def: $vgpr50_vgpr51
                                        ; implicit-def: $vgpr10_vgpr11
; %bb.143:                              ;   in Loop: Header=BB254_4 Depth=1
	s_or_saveexec_b64 s[10:11], s[10:11]
	v_pk_mov_b32 v[48:49], v[46:47], v[46:47] op_sel:[0,1]
	s_xor_b64 exec, exec, s[10:11]
; %bb.144:                              ;   in Loop: Header=BB254_4 Depth=1
	v_cmp_lt_i64_e32 vcc, -1, v[50:51]
	v_cndmask_b32_e32 v49, 0, v51, vcc
	v_cndmask_b32_e32 v48, 0, v10, vcc
	;; [unrolled: 1-line block ×4, first 2 shown]
; %bb.145:                              ;   in Loop: Header=BB254_4 Depth=1
	s_or_b64 exec, exec, s[10:11]
.LBB254_146:                            ;   in Loop: Header=BB254_4 Depth=1
	s_or_b64 exec, exec, s[12:13]
                                        ; implicit-def: $vgpr12_vgpr13
.LBB254_147:                            ;   in Loop: Header=BB254_4 Depth=1
	s_andn2_saveexec_b64 s[12:13], s[20:21]
	s_cbranch_execz .LBB254_157
; %bb.148:                              ;   in Loop: Header=BB254_4 Depth=1
	s_mov_b32 s10, 0
	s_mov_b32 s11, 0x41d00000
	v_cmp_nlt_f64_e64 s[20:21], |v[12:13]|, s[10:11]
	v_trig_preop_f64 v[54:55], |v[12:13]|, 0
	v_trig_preop_f64 v[52:53], |v[12:13]|, 1
	v_ldexp_f64 v[56:57], |v[12:13]|, s29
	v_trig_preop_f64 v[50:51], |v[12:13]|, 2
	v_and_b32_e32 v69, 0x7fffffff, v13
                                        ; implicit-def: $vgpr46
                                        ; implicit-def: $vgpr10_vgpr11
                                        ; implicit-def: $vgpr48_vgpr49
	s_and_saveexec_b64 s[10:11], s[20:21]
	s_xor_b64 s[88:89], exec, s[10:11]
	s_cbranch_execz .LBB254_150
; %bb.149:                              ;   in Loop: Header=BB254_4 Depth=1
	v_cmp_ge_f64_e64 vcc, |v[12:13]|, s[30:31]
	v_cndmask_b32_e32 v11, v69, v57, vcc
	v_cndmask_b32_e32 v10, v12, v56, vcc
	v_mul_f64 v[58:59], v[54:55], v[10:11]
	v_mul_f64 v[48:49], v[52:53], v[10:11]
	v_fma_f64 v[60:61], v[54:55], v[10:11], -v[58:59]
	v_add_f64 v[70:71], v[48:49], v[60:61]
	v_add_f64 v[72:73], v[58:59], v[70:71]
	v_ldexp_f64 v[74:75], v[72:73], -2
	v_fract_f64_e32 v[76:77], v[74:75]
	v_cmp_neq_f64_e64 vcc, |v[74:75]|, s[34:35]
	v_cndmask_b32_e32 v75, 0, v77, vcc
	v_cndmask_b32_e32 v74, 0, v76, vcc
	v_add_f64 v[76:77], v[70:71], -v[48:49]
	v_add_f64 v[60:61], v[60:61], -v[76:77]
	;; [unrolled: 1-line block ×4, first 2 shown]
	v_add_f64 v[60:61], v[60:61], v[76:77]
	v_fma_f64 v[48:49], v[52:53], v[10:11], -v[48:49]
	v_mul_f64 v[76:77], v[50:51], v[10:11]
	v_add_f64 v[78:79], v[76:77], v[48:49]
	v_add_f64 v[80:81], v[78:79], v[60:61]
	v_add_f64 v[58:59], v[72:73], -v[58:59]
	v_add_f64 v[72:73], v[80:81], -v[78:79]
	;; [unrolled: 1-line block ×5, first 2 shown]
	v_add_f64 v[60:61], v[60:61], v[72:73]
	v_add_f64 v[72:73], v[78:79], -v[76:77]
	v_add_f64 v[48:49], v[48:49], -v[72:73]
	;; [unrolled: 1-line block ×5, first 2 shown]
	v_add_f64 v[70:71], v[58:59], v[80:81]
	v_add_f64 v[48:49], v[48:49], v[72:73]
	v_add_f64 v[58:59], v[70:71], -v[58:59]
	v_add_f64 v[48:49], v[48:49], v[60:61]
	v_fma_f64 v[10:11], v[50:51], v[10:11], -v[76:77]
	v_add_f64 v[58:59], v[80:81], -v[58:59]
	v_add_f64 v[10:11], v[10:11], v[48:49]
	v_ldexp_f64 v[48:49], v[74:75], 2
	v_add_f64 v[10:11], v[58:59], v[10:11]
	v_add_f64 v[58:59], v[70:71], v[48:49]
	v_cmp_gt_f64_e32 vcc, 0, v[58:59]
	v_cndmask_b32_e32 v19, 0, v65, vcc
	v_add_f64 v[48:49], v[48:49], v[18:19]
	v_add_f64 v[58:59], v[70:71], v[48:49]
	v_cvt_i32_f64_e32 v19, v[58:59]
	v_cvt_f64_i32_e32 v[58:59], v19
	v_add_f64 v[48:49], v[48:49], -v[58:59]
	v_add_f64 v[58:59], v[70:71], v[48:49]
	v_add_f64 v[48:49], v[58:59], -v[48:49]
	v_cmp_le_f64_e32 vcc, 0.5, v[58:59]
	v_add_f64 v[48:49], v[70:71], -v[48:49]
	v_addc_co_u32_e64 v46, s[10:11], 0, v19, vcc
	v_cndmask_b32_e32 v19, 0, v66, vcc
	v_add_f64 v[10:11], v[10:11], v[48:49]
	v_add_f64 v[48:49], v[58:59], -v[18:19]
	v_add_f64 v[58:59], v[48:49], v[10:11]
	v_add_f64 v[48:49], v[58:59], -v[48:49]
	s_mov_b32 s36, s38
	v_add_f64 v[10:11], v[10:11], -v[48:49]
	v_mul_f64 v[48:49], v[58:59], s[36:37]
	v_fma_f64 v[60:61], v[58:59], s[36:37], -v[48:49]
	s_mov_b32 s43, s41
	v_fmac_f64_e32 v[60:61], s[42:43], v[58:59]
	v_fmac_f64_e32 v[60:61], s[36:37], v[10:11]
	v_add_f64 v[10:11], v[48:49], v[60:61]
	v_add_f64 v[48:49], v[10:11], -v[48:49]
	v_add_f64 v[48:49], v[60:61], -v[48:49]
	s_andn2_saveexec_b64 s[10:11], s[88:89]
	s_cbranch_execz .LBB254_152
	s_branch .LBB254_151
.LBB254_150:                            ;   in Loop: Header=BB254_4 Depth=1
	s_andn2_saveexec_b64 s[10:11], s[88:89]
	s_cbranch_execz .LBB254_152
.LBB254_151:                            ;   in Loop: Header=BB254_4 Depth=1
	v_mul_f64 v[10:11], |v[12:13]|, s[44:45]
	v_rndne_f64_e32 v[58:59], v[10:11]
	v_fma_f64 v[10:11], v[58:59], s[38:39], |v[12:13]|
	v_mul_f64 v[60:61], v[58:59], s[46:47]
	v_add_f64 v[72:73], v[10:11], v[60:61]
	v_fma_f64 v[48:49], s[46:47], v[58:59], v[10:11]
	s_mov_b32 s40, s46
	v_add_f64 v[10:11], v[10:11], -v[72:73]
	v_fma_f64 v[70:71], s[40:41], v[58:59], v[60:61]
	v_add_f64 v[10:11], v[10:11], v[60:61]
	v_add_f64 v[60:61], v[72:73], -v[48:49]
	v_add_f64 v[10:11], v[60:61], v[10:11]
	v_add_f64 v[60:61], v[10:11], -v[70:71]
	v_fmac_f64_e32 v[60:61], s[48:49], v[58:59]
	v_add_f64 v[10:11], v[48:49], v[60:61]
	v_add_f64 v[48:49], v[10:11], -v[48:49]
	v_add_f64 v[48:49], v[60:61], -v[48:49]
	v_cvt_i32_f64_e32 v46, v[58:59]
.LBB254_152:                            ;   in Loop: Header=BB254_4 Depth=1
	s_or_b64 exec, exec, s[10:11]
                                        ; implicit-def: $vgpr70
                                        ; implicit-def: $vgpr58_vgpr59
                                        ; implicit-def: $vgpr60_vgpr61
	s_and_saveexec_b64 s[10:11], s[20:21]
	s_xor_b64 s[20:21], exec, s[10:11]
	s_cbranch_execz .LBB254_154
; %bb.153:                              ;   in Loop: Header=BB254_4 Depth=1
	v_cmp_ge_f64_e64 vcc, |v[12:13]|, s[30:31]
	v_cndmask_b32_e32 v57, v69, v57, vcc
	v_cndmask_b32_e32 v56, v12, v56, vcc
	v_mul_f64 v[60:61], v[54:55], v[56:57]
	v_mul_f64 v[58:59], v[52:53], v[56:57]
	v_fma_f64 v[54:55], v[54:55], v[56:57], -v[60:61]
	v_add_f64 v[70:71], v[58:59], v[54:55]
	v_add_f64 v[72:73], v[60:61], v[70:71]
	v_ldexp_f64 v[74:75], v[72:73], -2
	v_fract_f64_e32 v[76:77], v[74:75]
	v_cmp_neq_f64_e64 vcc, |v[74:75]|, s[34:35]
	v_cndmask_b32_e32 v75, 0, v77, vcc
	v_cndmask_b32_e32 v74, 0, v76, vcc
	v_add_f64 v[76:77], v[70:71], -v[58:59]
	v_add_f64 v[54:55], v[54:55], -v[76:77]
	v_add_f64 v[76:77], v[70:71], -v[76:77]
	v_add_f64 v[76:77], v[58:59], -v[76:77]
	v_fma_f64 v[52:53], v[52:53], v[56:57], -v[58:59]
	v_mul_f64 v[58:59], v[50:51], v[56:57]
	v_add_f64 v[54:55], v[54:55], v[76:77]
	v_add_f64 v[76:77], v[58:59], v[52:53]
	;; [unrolled: 1-line block ×3, first 2 shown]
	v_add_f64 v[60:61], v[72:73], -v[60:61]
	v_add_f64 v[72:73], v[78:79], -v[76:77]
	;; [unrolled: 1-line block ×5, first 2 shown]
	v_add_f64 v[54:55], v[54:55], v[72:73]
	v_add_f64 v[72:73], v[76:77], -v[58:59]
	v_add_f64 v[52:53], v[52:53], -v[72:73]
	;; [unrolled: 1-line block ×4, first 2 shown]
	v_add_f64 v[52:53], v[52:53], v[72:73]
	v_add_f64 v[60:61], v[70:71], -v[60:61]
	v_add_f64 v[52:53], v[52:53], v[54:55]
	v_fma_f64 v[50:51], v[50:51], v[56:57], -v[58:59]
	v_add_f64 v[70:71], v[60:61], v[78:79]
	v_add_f64 v[50:51], v[50:51], v[52:53]
	v_ldexp_f64 v[52:53], v[74:75], 2
	v_add_f64 v[54:55], v[70:71], v[52:53]
	v_cmp_gt_f64_e32 vcc, 0, v[54:55]
	v_cndmask_b32_e32 v19, 0, v65, vcc
	v_add_f64 v[52:53], v[52:53], v[18:19]
	v_add_f64 v[54:55], v[70:71], v[52:53]
	v_cvt_i32_f64_e32 v19, v[54:55]
	v_cvt_f64_i32_e32 v[54:55], v19
	v_add_f64 v[52:53], v[52:53], -v[54:55]
	v_add_f64 v[60:61], v[70:71], -v[60:61]
	v_add_f64 v[54:55], v[70:71], v[52:53]
	v_add_f64 v[60:61], v[78:79], -v[60:61]
	v_add_f64 v[52:53], v[54:55], -v[52:53]
	v_cmp_le_f64_e32 vcc, 0.5, v[54:55]
	v_add_f64 v[50:51], v[60:61], v[50:51]
	v_add_f64 v[52:53], v[70:71], -v[52:53]
	v_addc_co_u32_e64 v70, s[10:11], 0, v19, vcc
	v_cndmask_b32_e32 v19, 0, v66, vcc
	v_add_f64 v[50:51], v[50:51], v[52:53]
	v_add_f64 v[52:53], v[54:55], -v[18:19]
	v_add_f64 v[54:55], v[52:53], v[50:51]
	v_add_f64 v[52:53], v[54:55], -v[52:53]
	s_mov_b32 s36, s38
	v_add_f64 v[50:51], v[50:51], -v[52:53]
	v_mul_f64 v[52:53], v[54:55], s[36:37]
	v_fma_f64 v[56:57], v[54:55], s[36:37], -v[52:53]
	s_mov_b32 s43, s41
	v_fmac_f64_e32 v[56:57], s[42:43], v[54:55]
	v_fmac_f64_e32 v[56:57], s[36:37], v[50:51]
	v_add_f64 v[58:59], v[52:53], v[56:57]
	v_add_f64 v[50:51], v[58:59], -v[52:53]
	v_add_f64 v[60:61], v[56:57], -v[50:51]
	s_andn2_saveexec_b64 s[10:11], s[20:21]
	s_cbranch_execnz .LBB254_155
	s_branch .LBB254_156
.LBB254_154:                            ;   in Loop: Header=BB254_4 Depth=1
	s_andn2_saveexec_b64 s[10:11], s[20:21]
	s_cbranch_execz .LBB254_156
.LBB254_155:                            ;   in Loop: Header=BB254_4 Depth=1
	v_mul_f64 v[50:51], |v[12:13]|, s[44:45]
	v_rndne_f64_e32 v[50:51], v[50:51]
	v_fma_f64 v[52:53], v[50:51], s[38:39], |v[12:13]|
	v_mul_f64 v[56:57], v[50:51], s[46:47]
	v_add_f64 v[60:61], v[52:53], v[56:57]
	v_fma_f64 v[54:55], s[46:47], v[50:51], v[52:53]
	s_mov_b32 s40, s46
	v_add_f64 v[52:53], v[52:53], -v[60:61]
	v_fma_f64 v[58:59], s[40:41], v[50:51], v[56:57]
	v_add_f64 v[52:53], v[52:53], v[56:57]
	v_add_f64 v[56:57], v[60:61], -v[54:55]
	v_add_f64 v[52:53], v[56:57], v[52:53]
	v_add_f64 v[52:53], v[52:53], -v[58:59]
	v_fmac_f64_e32 v[52:53], s[48:49], v[50:51]
	v_add_f64 v[58:59], v[54:55], v[52:53]
	v_add_f64 v[54:55], v[58:59], -v[54:55]
	v_add_f64 v[60:61], v[52:53], -v[54:55]
	v_cvt_i32_f64_e32 v70, v[50:51]
.LBB254_156:                            ;   in Loop: Header=BB254_4 Depth=1
	s_or_b64 exec, exec, s[10:11]
	v_mul_f64 v[50:51], v[10:11], v[10:11]
	v_pk_mov_b32 v[72:73], s[68:69], s[68:69] op_sel:[0,1]
	v_mul_f64 v[52:53], v[50:51], 0.5
	v_fma_f64 v[74:75], s[70:71], v[50:51], v[72:73]
	v_add_f64 v[54:55], -v[52:53], 1.0
	v_fma_f64 v[74:75], v[50:51], v[74:75], s[72:73]
	v_add_f64 v[56:57], -v[54:55], 1.0
	v_fma_f64 v[74:75], v[50:51], v[74:75], s[74:75]
	v_add_f64 v[52:53], v[56:57], -v[52:53]
	v_fma_f64 v[74:75], v[50:51], v[74:75], s[76:77]
	v_mul_f64 v[56:57], v[50:51], v[50:51]
	v_fma_f64 v[74:75], v[50:51], v[74:75], s[62:63]
	v_fma_f64 v[52:53], v[10:11], -v[48:49], v[52:53]
	v_fmac_f64_e32 v[52:53], v[56:57], v[74:75]
	v_add_f64 v[52:53], v[54:55], v[52:53]
	v_pk_mov_b32 v[54:55], s[78:79], s[78:79] op_sel:[0,1]
	v_fma_f64 v[56:57], s[80:81], v[50:51], v[54:55]
	v_fma_f64 v[56:57], v[50:51], v[56:57], s[82:83]
	;; [unrolled: 1-line block ×4, first 2 shown]
	v_mul_f64 v[74:75], v[10:11], -v[50:51]
	v_mul_f64 v[76:77], v[48:49], 0.5
	v_fmac_f64_e32 v[76:77], v[74:75], v[56:57]
	v_fma_f64 v[48:49], v[50:51], v[76:77], -v[48:49]
	s_mov_b32 s86, s62
	v_fmac_f64_e32 v[48:49], s[86:87], v[74:75]
	v_add_f64 v[10:11], v[10:11], -v[48:49]
	v_and_b32_e32 v19, 1, v46
	v_xor_b32_e32 v11, 0x80000000, v11
	v_cmp_eq_u32_e32 vcc, 0, v19
	v_lshlrev_b32_e32 v19, 30, v46
	v_cndmask_b32_e32 v11, v11, v53, vcc
	v_and_b32_e32 v19, 0x80000000, v19
	v_cndmask_b32_e32 v10, v10, v52, vcc
	v_xor_b32_e32 v11, v11, v19
	v_cmp_class_f64_e64 vcc, v[12:13], s4
	v_cndmask_b32_e32 v48, 0, v10, vcc
	v_cndmask_b32_e32 v49, v68, v11, vcc
	v_mul_f64 v[10:11], v[58:59], v[58:59]
	v_mul_f64 v[12:13], v[10:11], 0.5
	v_fmac_f64_e32 v[72:73], s[70:71], v[10:11]
	v_add_f64 v[50:51], -v[12:13], 1.0
	v_fma_f64 v[56:57], v[10:11], v[72:73], s[72:73]
	v_add_f64 v[52:53], -v[50:51], 1.0
	v_fma_f64 v[56:57], v[10:11], v[56:57], s[74:75]
	v_add_f64 v[12:13], v[52:53], -v[12:13]
	v_fma_f64 v[56:57], v[10:11], v[56:57], s[76:77]
	v_mul_f64 v[52:53], v[10:11], v[10:11]
	v_fma_f64 v[56:57], v[10:11], v[56:57], s[62:63]
	v_fma_f64 v[12:13], v[58:59], -v[60:61], v[12:13]
	v_fmac_f64_e32 v[12:13], v[52:53], v[56:57]
	v_fmac_f64_e32 v[54:55], s[80:81], v[10:11]
	v_add_f64 v[12:13], v[50:51], v[12:13]
	v_fma_f64 v[50:51], v[10:11], v[54:55], s[82:83]
	v_fma_f64 v[50:51], v[10:11], v[50:51], s[84:85]
	;; [unrolled: 1-line block ×3, first 2 shown]
	v_mul_f64 v[52:53], v[58:59], -v[10:11]
	v_mul_f64 v[54:55], v[60:61], 0.5
	v_fmac_f64_e32 v[54:55], v[52:53], v[50:51]
	v_fma_f64 v[10:11], v[10:11], v[54:55], -v[60:61]
	v_fmac_f64_e32 v[10:11], s[86:87], v[52:53]
	v_and_b32_e32 v19, 1, v70
	v_add_f64 v[10:11], v[58:59], -v[10:11]
	v_cmp_eq_u32_e64 s[10:11], 0, v19
	v_cndmask_b32_e64 v10, v12, v10, s[10:11]
	v_lshlrev_b32_e32 v12, 30, v70
	v_xor_b32_e32 v12, v12, v47
	v_cndmask_b32_e64 v11, v13, v11, s[10:11]
	v_and_b32_e32 v12, 0x80000000, v12
	v_xor_b32_e32 v11, v11, v12
	v_cndmask_b32_e32 v46, 0, v10, vcc
	v_cndmask_b32_e32 v47, v68, v11, vcc
.LBB254_157:                            ;   in Loop: Header=BB254_4 Depth=1
	s_or_b64 exec, exec, s[12:13]
                                        ; implicit-def: $vgpr10_vgpr11
.LBB254_158:                            ;   in Loop: Header=BB254_4 Depth=1
	s_andn2_saveexec_b64 s[12:13], s[94:95]
	s_cbranch_execz .LBB254_160
; %bb.159:                              ;   in Loop: Header=BB254_4 Depth=1
	s_mov_b32 s50, s52
	v_mul_f64 v[12:13], v[10:11], s[50:51]
	v_rndne_f64_e32 v[12:13], v[12:13]
	v_fma_f64 v[48:49], v[12:13], s[54:55], -v[10:11]
	v_fmac_f64_e32 v[48:49], s[56:57], v[12:13]
	v_pk_mov_b32 v[50:51], v[28:29], v[28:29] op_sel:[0,1]
	v_fmac_f64_e32 v[50:51], s[58:59], v[48:49]
	v_pk_mov_b32 v[52:53], v[30:31], v[30:31] op_sel:[0,1]
	;; [unrolled: 2-line block ×9, first 2 shown]
	v_fmac_f64_e32 v[50:51], v[48:49], v[52:53]
	v_fma_f64 v[50:51], v[48:49], v[50:51], 1.0
	v_fma_f64 v[48:49], v[48:49], v[50:51], 1.0
	v_cvt_i32_f64_e32 v12, v[12:13]
	v_ldexp_f64 v[12:13], v[48:49], v12
	v_cmp_ngt_f64_e32 vcc, s[64:65], v[10:11]
	v_cmp_nlt_f64_e64 s[10:11], s[66:67], v[10:11]
	v_cndmask_b32_e32 v13, v67, v13, vcc
	s_and_b64 vcc, s[10:11], vcc
	v_cndmask_b32_e64 v49, 0, v13, s[10:11]
	v_cndmask_b32_e32 v48, 0, v12, vcc
.LBB254_160:                            ;   in Loop: Header=BB254_4 Depth=1
	s_or_b64 exec, exec, s[12:13]
	v_add_f64 v[48:49], s[16:17], v[48:49]
	v_add_f64 v[46:47], s[18:19], v[46:47]
	v_xor_b32_e32 v10, 0x80000000, v49
	v_cmp_gt_f64_e32 vcc, 0, v[48:49]
	v_cndmask_b32_e32 v53, v49, v10, vcc
	v_cndmask_b32_e32 v52, v48, v48, vcc
	v_xor_b32_e32 v10, 0x80000000, v47
	v_cmp_gt_f64_e32 vcc, 0, v[46:47]
	v_cndmask_b32_e32 v51, v47, v10, vcc
	v_cndmask_b32_e32 v50, v46, v46, vcc
	v_cmp_ge_f64_e32 vcc, v[52:53], v[50:51]
                                        ; implicit-def: $vgpr12_vgpr13
	s_and_saveexec_b64 s[10:11], vcc
	s_xor_b64 s[12:13], exec, s[10:11]
	s_cbranch_execz .LBB254_166
; %bb.161:                              ;   in Loop: Header=BB254_4 Depth=1
	v_cmp_neq_f64_e32 vcc, 0, v[48:49]
	v_cmp_neq_f64_e64 s[10:11], 0, v[46:47]
	s_or_b64 s[10:11], vcc, s[10:11]
                                        ; implicit-def: $vgpr12_vgpr13
	s_and_saveexec_b64 s[20:21], s[10:11]
	s_xor_b64 s[10:11], exec, s[20:21]
	s_cbranch_execz .LBB254_163
; %bb.162:                              ;   in Loop: Header=BB254_4 Depth=1
	v_div_scale_f64 v[10:11], s[20:21], v[48:49], v[48:49], v[46:47]
	v_rcp_f64_e32 v[12:13], v[10:11]
	v_div_scale_f64 v[50:51], vcc, v[46:47], v[48:49], v[46:47]
	v_fma_f64 v[52:53], -v[10:11], v[12:13], 1.0
	v_fmac_f64_e32 v[12:13], v[12:13], v[52:53]
	v_fma_f64 v[52:53], -v[10:11], v[12:13], 1.0
	v_fmac_f64_e32 v[12:13], v[12:13], v[52:53]
	v_mul_f64 v[52:53], v[50:51], v[12:13]
	v_fma_f64 v[10:11], -v[10:11], v[52:53], v[50:51]
	v_div_fmas_f64 v[10:11], v[10:11], v[12:13], v[52:53]
	v_div_fixup_f64 v[12:13], v[10:11], v[48:49], v[46:47]
	v_fmac_f64_e32 v[48:49], v[46:47], v[12:13]
	v_div_scale_f64 v[10:11], s[20:21], v[48:49], v[48:49], 1.0
	v_rcp_f64_e32 v[46:47], v[10:11]
	v_fma_f64 v[50:51], -v[10:11], v[46:47], 1.0
	v_fmac_f64_e32 v[46:47], v[46:47], v[50:51]
	v_fma_f64 v[50:51], -v[10:11], v[46:47], 1.0
	v_fmac_f64_e32 v[46:47], v[46:47], v[50:51]
	v_div_scale_f64 v[50:51], vcc, 1.0, v[48:49], 1.0
	v_mul_f64 v[52:53], v[50:51], v[46:47]
	v_fma_f64 v[10:11], -v[10:11], v[52:53], v[50:51]
                                        ; implicit-def: $vgpr50_vgpr51
	s_nop 1
	v_div_fmas_f64 v[10:11], v[10:11], v[46:47], v[52:53]
	v_div_fixup_f64 v[46:47], v[10:11], v[48:49], 1.0
	v_pk_mov_b32 v[10:11], s[16:17], s[16:17] op_sel:[0,1]
	v_pk_mov_b32 v[48:49], s[18:19], s[18:19] op_sel:[0,1]
	v_fma_f64 v[10:11], s[18:19], v[12:13], v[10:11]
	v_fma_f64 v[12:13], -s[16:17], v[12:13], v[48:49]
	v_mul_f64 v[10:11], v[10:11], v[46:47]
	v_mul_f64 v[12:13], v[12:13], v[46:47]
                                        ; implicit-def: $vgpr52_vgpr53
.LBB254_163:                            ;   in Loop: Header=BB254_4 Depth=1
	s_andn2_saveexec_b64 s[10:11], s[10:11]
	s_cbranch_execz .LBB254_165
; %bb.164:                              ;   in Loop: Header=BB254_4 Depth=1
	v_div_scale_f64 v[10:11], s[20:21], v[52:53], v[52:53], s[16:17]
	v_rcp_f64_e32 v[12:13], v[10:11]
	v_div_scale_f64 v[46:47], vcc, s[16:17], v[52:53], s[16:17]
	v_fma_f64 v[48:49], -v[10:11], v[12:13], 1.0
	v_fmac_f64_e32 v[12:13], v[12:13], v[48:49]
	v_fma_f64 v[48:49], -v[10:11], v[12:13], 1.0
	v_fmac_f64_e32 v[12:13], v[12:13], v[48:49]
	v_mul_f64 v[48:49], v[46:47], v[12:13]
	v_fma_f64 v[10:11], -v[10:11], v[48:49], v[46:47]
	v_div_scale_f64 v[46:47], s[20:21], v[50:51], v[50:51], s[18:19]
	v_rcp_f64_e32 v[54:55], v[46:47]
	v_div_fmas_f64 v[10:11], v[10:11], v[12:13], v[48:49]
	v_div_fixup_f64 v[10:11], v[10:11], v[52:53], s[16:17]
	v_fma_f64 v[12:13], -v[46:47], v[54:55], 1.0
	v_fmac_f64_e32 v[54:55], v[54:55], v[12:13]
	v_fma_f64 v[12:13], -v[46:47], v[54:55], 1.0
	v_fmac_f64_e32 v[54:55], v[54:55], v[12:13]
	v_div_scale_f64 v[12:13], vcc, s[18:19], v[50:51], s[18:19]
	v_mul_f64 v[48:49], v[12:13], v[54:55]
	v_fma_f64 v[12:13], -v[46:47], v[48:49], v[12:13]
	s_nop 1
	v_div_fmas_f64 v[12:13], v[12:13], v[54:55], v[48:49]
	v_div_fixup_f64 v[12:13], v[12:13], v[50:51], s[18:19]
.LBB254_165:                            ;   in Loop: Header=BB254_4 Depth=1
	s_or_b64 exec, exec, s[10:11]
                                        ; implicit-def: $vgpr46_vgpr47
                                        ; implicit-def: $vgpr48_vgpr49
.LBB254_166:                            ;   in Loop: Header=BB254_4 Depth=1
	s_andn2_saveexec_b64 s[10:11], s[12:13]
	s_cbranch_execz .LBB254_168
; %bb.167:                              ;   in Loop: Header=BB254_4 Depth=1
	v_div_scale_f64 v[10:11], s[12:13], v[46:47], v[46:47], v[48:49]
	v_rcp_f64_e32 v[12:13], v[10:11]
	v_div_scale_f64 v[50:51], vcc, v[48:49], v[46:47], v[48:49]
	v_fma_f64 v[52:53], -v[10:11], v[12:13], 1.0
	v_fmac_f64_e32 v[12:13], v[12:13], v[52:53]
	v_fma_f64 v[52:53], -v[10:11], v[12:13], 1.0
	v_fmac_f64_e32 v[12:13], v[12:13], v[52:53]
	v_mul_f64 v[52:53], v[50:51], v[12:13]
	v_fma_f64 v[10:11], -v[10:11], v[52:53], v[50:51]
	v_div_fmas_f64 v[10:11], v[10:11], v[12:13], v[52:53]
	v_div_fixup_f64 v[12:13], v[10:11], v[46:47], v[48:49]
	v_fmac_f64_e32 v[46:47], v[48:49], v[12:13]
	v_div_scale_f64 v[10:11], s[12:13], v[46:47], v[46:47], 1.0
	v_rcp_f64_e32 v[48:49], v[10:11]
	v_fma_f64 v[50:51], -v[10:11], v[48:49], 1.0
	v_fmac_f64_e32 v[48:49], v[48:49], v[50:51]
	v_fma_f64 v[50:51], -v[10:11], v[48:49], 1.0
	v_fmac_f64_e32 v[48:49], v[48:49], v[50:51]
	v_div_scale_f64 v[50:51], vcc, 1.0, v[46:47], 1.0
	v_mul_f64 v[52:53], v[50:51], v[48:49]
	v_fma_f64 v[10:11], -v[10:11], v[52:53], v[50:51]
	s_nop 1
	v_div_fmas_f64 v[10:11], v[10:11], v[48:49], v[52:53]
	v_div_fixup_f64 v[46:47], v[10:11], v[46:47], 1.0
	v_pk_mov_b32 v[10:11], s[18:19], s[18:19] op_sel:[0,1]
	v_pk_mov_b32 v[48:49], s[16:17], s[16:17] op_sel:[0,1]
	v_fma_f64 v[10:11], s[16:17], v[12:13], v[10:11]
	v_fma_f64 v[12:13], s[18:19], v[12:13], -v[48:49]
	v_mul_f64 v[10:11], v[10:11], v[46:47]
	v_mul_f64 v[12:13], v[12:13], v[46:47]
.LBB254_168:                            ;   in Loop: Header=BB254_4 Depth=1
	s_or_b64 exec, exec, s[10:11]
	v_xor_b32_e32 v47, 0x80000000, v5
	v_mov_b32_e32 v46, v4
	v_and_b32_e32 v52, 0x7fffffff, v47
	v_or_b32_e32 v19, v52, v46
	v_cmp_ne_u32_e32 vcc, 0, v19
                                        ; implicit-def: $vgpr48_vgpr49
	s_and_saveexec_b64 s[10:11], vcc
	s_xor_b64 s[94:95], exec, s[10:11]
	s_cbranch_execz .LBB254_210
; %bb.169:                              ;   in Loop: Header=BB254_4 Depth=1
	v_xor_b32_e32 v51, 0x80000000, v3
	v_mov_b32_e32 v50, v2
	v_and_b32_e32 v19, 0x7fffffff, v51
	v_or_b32_e32 v46, v19, v50
	v_cmp_ne_u32_e32 vcc, 0, v46
                                        ; implicit-def: $vgpr48_vgpr49
	s_and_saveexec_b64 s[10:11], vcc
	s_xor_b64 s[20:21], exec, s[10:11]
	s_cbranch_execz .LBB254_199
; %bb.170:                              ;   in Loop: Header=BB254_4 Depth=1
	v_cmp_gt_u32_e32 vcc, s5, v52
                                        ; implicit-def: $vgpr48_vgpr49
	s_and_saveexec_b64 s[10:11], vcc
	s_xor_b64 s[88:89], exec, s[10:11]
	s_cbranch_execz .LBB254_192
; %bb.171:                              ;   in Loop: Header=BB254_4 Depth=1
	v_add_u32_e32 v19, 0xbf79d1be, v51
	s_mov_b32 s10, 0x108aa2
	v_cmp_lt_u32_e32 vcc, s10, v19
                                        ; implicit-def: $vgpr48_vgpr49
	s_and_saveexec_b64 s[10:11], vcc
	s_xor_b64 s[12:13], exec, s[10:11]
	s_cbranch_execz .LBB254_181
; %bb.172:                              ;   in Loop: Header=BB254_4 Depth=1
	s_mov_b32 s10, 0
	s_mov_b32 s11, 0x41d00000
	v_cmp_nlt_f64_e64 s[90:91], |v[4:5]|, s[10:11]
                                        ; implicit-def: $vgpr46
                                        ; implicit-def: $vgpr48_vgpr49
                                        ; implicit-def: $vgpr50_vgpr51
	s_and_saveexec_b64 s[10:11], s[90:91]
	s_xor_b64 s[92:93], exec, s[10:11]
	s_cbranch_execz .LBB254_174
; %bb.173:                              ;   in Loop: Header=BB254_4 Depth=1
	v_and_b32_e32 v19, 0x7fffffff, v5
	v_ldexp_f64 v[52:53], |v[4:5]|, s29
	v_cmp_ge_f64_e64 vcc, |v[4:5]|, s[30:31]
	v_trig_preop_f64 v[48:49], |v[4:5]|, 0
	v_cndmask_b32_e32 v53, v19, v53, vcc
	v_cndmask_b32_e32 v52, v4, v52, vcc
	v_trig_preop_f64 v[50:51], |v[4:5]|, 1
	v_mul_f64 v[56:57], v[48:49], v[52:53]
	v_mul_f64 v[54:55], v[50:51], v[52:53]
	v_fma_f64 v[48:49], v[48:49], v[52:53], -v[56:57]
	v_add_f64 v[58:59], v[54:55], v[48:49]
	v_add_f64 v[60:61], v[56:57], v[58:59]
	v_ldexp_f64 v[70:71], v[60:61], -2
	v_fract_f64_e32 v[72:73], v[70:71]
	v_cmp_neq_f64_e64 vcc, |v[70:71]|, s[34:35]
	v_cndmask_b32_e32 v71, 0, v73, vcc
	v_cndmask_b32_e32 v70, 0, v72, vcc
	v_add_f64 v[72:73], v[58:59], -v[54:55]
	v_add_f64 v[48:49], v[48:49], -v[72:73]
	v_add_f64 v[72:73], v[58:59], -v[72:73]
	v_add_f64 v[72:73], v[54:55], -v[72:73]
	v_fma_f64 v[50:51], v[50:51], v[52:53], -v[54:55]
	v_trig_preop_f64 v[54:55], |v[4:5]|, 2
	v_add_f64 v[48:49], v[48:49], v[72:73]
	v_mul_f64 v[72:73], v[54:55], v[52:53]
	v_add_f64 v[74:75], v[72:73], v[50:51]
	v_add_f64 v[76:77], v[74:75], v[48:49]
	v_add_f64 v[56:57], v[60:61], -v[56:57]
	v_add_f64 v[60:61], v[76:77], -v[74:75]
	;; [unrolled: 1-line block ×5, first 2 shown]
	v_add_f64 v[48:49], v[48:49], v[60:61]
	v_add_f64 v[60:61], v[74:75], -v[72:73]
	v_add_f64 v[50:51], v[50:51], -v[60:61]
	;; [unrolled: 1-line block ×4, first 2 shown]
	v_add_f64 v[50:51], v[50:51], v[60:61]
	v_add_f64 v[56:57], v[58:59], -v[56:57]
	v_add_f64 v[48:49], v[50:51], v[48:49]
	v_fma_f64 v[50:51], v[54:55], v[52:53], -v[72:73]
	v_add_f64 v[58:59], v[56:57], v[76:77]
	v_add_f64 v[48:49], v[50:51], v[48:49]
	v_ldexp_f64 v[50:51], v[70:71], 2
	v_add_f64 v[52:53], v[58:59], v[50:51]
	v_cmp_gt_f64_e32 vcc, 0, v[52:53]
	v_cndmask_b32_e32 v19, 0, v65, vcc
	v_add_f64 v[50:51], v[50:51], v[18:19]
	v_add_f64 v[52:53], v[58:59], v[50:51]
	v_cvt_i32_f64_e32 v19, v[52:53]
	v_cvt_f64_i32_e32 v[52:53], v19
	v_add_f64 v[50:51], v[50:51], -v[52:53]
	v_add_f64 v[56:57], v[58:59], -v[56:57]
	v_add_f64 v[52:53], v[58:59], v[50:51]
	v_add_f64 v[56:57], v[76:77], -v[56:57]
	v_add_f64 v[50:51], v[52:53], -v[50:51]
	v_cmp_le_f64_e32 vcc, 0.5, v[52:53]
	v_add_f64 v[48:49], v[56:57], v[48:49]
	v_add_f64 v[50:51], v[58:59], -v[50:51]
	v_addc_co_u32_e64 v46, s[10:11], 0, v19, vcc
	v_cndmask_b32_e32 v19, 0, v66, vcc
	v_add_f64 v[48:49], v[48:49], v[50:51]
	v_add_f64 v[50:51], v[52:53], -v[18:19]
	v_add_f64 v[52:53], v[50:51], v[48:49]
	v_add_f64 v[50:51], v[52:53], -v[50:51]
	s_mov_b32 s36, s38
	v_add_f64 v[48:49], v[48:49], -v[50:51]
	v_mul_f64 v[50:51], v[52:53], s[36:37]
	v_fma_f64 v[54:55], v[52:53], s[36:37], -v[50:51]
	s_mov_b32 s43, s41
	v_fmac_f64_e32 v[54:55], s[42:43], v[52:53]
	v_fmac_f64_e32 v[54:55], s[36:37], v[48:49]
	v_add_f64 v[48:49], v[50:51], v[54:55]
	v_add_f64 v[50:51], v[48:49], -v[50:51]
	v_add_f64 v[50:51], v[54:55], -v[50:51]
	s_andn2_saveexec_b64 s[10:11], s[92:93]
	s_cbranch_execz .LBB254_176
	s_branch .LBB254_175
.LBB254_174:                            ;   in Loop: Header=BB254_4 Depth=1
	s_andn2_saveexec_b64 s[10:11], s[92:93]
	s_cbranch_execz .LBB254_176
.LBB254_175:                            ;   in Loop: Header=BB254_4 Depth=1
	v_mul_f64 v[48:49], |v[4:5]|, s[44:45]
	v_rndne_f64_e32 v[52:53], v[48:49]
	v_fma_f64 v[48:49], v[52:53], s[38:39], |v[4:5]|
	v_mul_f64 v[54:55], v[52:53], s[46:47]
	v_add_f64 v[58:59], v[48:49], v[54:55]
	v_fma_f64 v[50:51], s[46:47], v[52:53], v[48:49]
	s_mov_b32 s40, s46
	v_add_f64 v[48:49], v[48:49], -v[58:59]
	v_fma_f64 v[56:57], s[40:41], v[52:53], v[54:55]
	v_add_f64 v[48:49], v[48:49], v[54:55]
	v_add_f64 v[54:55], v[58:59], -v[50:51]
	v_add_f64 v[48:49], v[54:55], v[48:49]
	v_add_f64 v[54:55], v[48:49], -v[56:57]
	v_fmac_f64_e32 v[54:55], s[48:49], v[52:53]
	v_add_f64 v[48:49], v[50:51], v[54:55]
	v_add_f64 v[50:51], v[48:49], -v[50:51]
	v_add_f64 v[50:51], v[54:55], -v[50:51]
	v_cvt_i32_f64_e32 v46, v[52:53]
.LBB254_176:                            ;   in Loop: Header=BB254_4 Depth=1
	s_or_b64 exec, exec, s[10:11]
                                        ; implicit-def: $vgpr56
                                        ; implicit-def: $vgpr52_vgpr53
                                        ; implicit-def: $vgpr54_vgpr55
	s_and_saveexec_b64 s[10:11], s[90:91]
	s_xor_b64 s[90:91], exec, s[10:11]
	s_cbranch_execz .LBB254_178
; %bb.177:                              ;   in Loop: Header=BB254_4 Depth=1
	v_and_b32_e32 v19, 0x7fffffff, v5
	v_ldexp_f64 v[56:57], |v[4:5]|, s29
	v_cmp_ge_f64_e64 vcc, |v[4:5]|, s[30:31]
	v_trig_preop_f64 v[52:53], |v[4:5]|, 0
	v_cndmask_b32_e32 v57, v19, v57, vcc
	v_cndmask_b32_e32 v56, v4, v56, vcc
	v_trig_preop_f64 v[54:55], |v[4:5]|, 1
	v_mul_f64 v[60:61], v[52:53], v[56:57]
	v_mul_f64 v[58:59], v[54:55], v[56:57]
	v_fma_f64 v[52:53], v[52:53], v[56:57], -v[60:61]
	v_add_f64 v[70:71], v[58:59], v[52:53]
	v_add_f64 v[72:73], v[60:61], v[70:71]
	v_ldexp_f64 v[74:75], v[72:73], -2
	v_fract_f64_e32 v[76:77], v[74:75]
	v_cmp_neq_f64_e64 vcc, |v[74:75]|, s[34:35]
	v_cndmask_b32_e32 v75, 0, v77, vcc
	v_cndmask_b32_e32 v74, 0, v76, vcc
	v_add_f64 v[76:77], v[70:71], -v[58:59]
	v_add_f64 v[52:53], v[52:53], -v[76:77]
	;; [unrolled: 1-line block ×4, first 2 shown]
	v_fma_f64 v[54:55], v[54:55], v[56:57], -v[58:59]
	v_trig_preop_f64 v[58:59], |v[4:5]|, 2
	v_add_f64 v[52:53], v[52:53], v[76:77]
	v_mul_f64 v[76:77], v[58:59], v[56:57]
	v_add_f64 v[78:79], v[76:77], v[54:55]
	v_add_f64 v[80:81], v[78:79], v[52:53]
	v_add_f64 v[60:61], v[72:73], -v[60:61]
	v_add_f64 v[72:73], v[80:81], -v[78:79]
	;; [unrolled: 1-line block ×5, first 2 shown]
	v_add_f64 v[52:53], v[52:53], v[72:73]
	v_add_f64 v[72:73], v[78:79], -v[76:77]
	v_add_f64 v[54:55], v[54:55], -v[72:73]
	;; [unrolled: 1-line block ×4, first 2 shown]
	v_add_f64 v[54:55], v[54:55], v[72:73]
	v_add_f64 v[60:61], v[70:71], -v[60:61]
	v_add_f64 v[52:53], v[54:55], v[52:53]
	v_fma_f64 v[54:55], v[58:59], v[56:57], -v[76:77]
	v_add_f64 v[70:71], v[60:61], v[80:81]
	v_add_f64 v[52:53], v[54:55], v[52:53]
	v_ldexp_f64 v[54:55], v[74:75], 2
	v_add_f64 v[56:57], v[70:71], v[54:55]
	v_cmp_gt_f64_e32 vcc, 0, v[56:57]
	v_cndmask_b32_e32 v19, 0, v65, vcc
	v_add_f64 v[54:55], v[54:55], v[18:19]
	v_add_f64 v[56:57], v[70:71], v[54:55]
	v_cvt_i32_f64_e32 v19, v[56:57]
	v_cvt_f64_i32_e32 v[56:57], v19
	v_add_f64 v[54:55], v[54:55], -v[56:57]
	v_add_f64 v[60:61], v[70:71], -v[60:61]
	v_add_f64 v[58:59], v[70:71], v[54:55]
	v_add_f64 v[60:61], v[80:81], -v[60:61]
	v_add_f64 v[54:55], v[58:59], -v[54:55]
	v_cmp_le_f64_e32 vcc, 0.5, v[58:59]
	v_add_f64 v[52:53], v[60:61], v[52:53]
	v_add_f64 v[54:55], v[70:71], -v[54:55]
	v_addc_co_u32_e64 v56, s[10:11], 0, v19, vcc
	v_cndmask_b32_e32 v19, 0, v66, vcc
	v_add_f64 v[52:53], v[52:53], v[54:55]
	v_add_f64 v[54:55], v[58:59], -v[18:19]
	v_add_f64 v[58:59], v[54:55], v[52:53]
	v_add_f64 v[54:55], v[58:59], -v[54:55]
	s_mov_b32 s36, s38
	v_add_f64 v[52:53], v[52:53], -v[54:55]
	v_mul_f64 v[54:55], v[58:59], s[36:37]
	v_fma_f64 v[60:61], v[58:59], s[36:37], -v[54:55]
	s_mov_b32 s43, s41
	v_fmac_f64_e32 v[60:61], s[42:43], v[58:59]
	v_fmac_f64_e32 v[60:61], s[36:37], v[52:53]
	v_add_f64 v[52:53], v[54:55], v[60:61]
	v_add_f64 v[54:55], v[52:53], -v[54:55]
	v_add_f64 v[54:55], v[60:61], -v[54:55]
	s_andn2_saveexec_b64 s[10:11], s[90:91]
	s_cbranch_execnz .LBB254_179
	s_branch .LBB254_180
.LBB254_178:                            ;   in Loop: Header=BB254_4 Depth=1
	s_andn2_saveexec_b64 s[10:11], s[90:91]
	s_cbranch_execz .LBB254_180
.LBB254_179:                            ;   in Loop: Header=BB254_4 Depth=1
	v_mul_f64 v[52:53], |v[4:5]|, s[44:45]
	v_rndne_f64_e32 v[56:57], v[52:53]
	v_fma_f64 v[52:53], v[56:57], s[38:39], |v[4:5]|
	v_mul_f64 v[58:59], v[56:57], s[46:47]
	v_add_f64 v[70:71], v[52:53], v[58:59]
	v_fma_f64 v[54:55], s[46:47], v[56:57], v[52:53]
	s_mov_b32 s40, s46
	v_add_f64 v[52:53], v[52:53], -v[70:71]
	v_fma_f64 v[60:61], s[40:41], v[56:57], v[58:59]
	v_add_f64 v[52:53], v[52:53], v[58:59]
	v_add_f64 v[58:59], v[70:71], -v[54:55]
	v_add_f64 v[52:53], v[58:59], v[52:53]
	v_add_f64 v[58:59], v[52:53], -v[60:61]
	v_fmac_f64_e32 v[58:59], s[48:49], v[56:57]
	v_add_f64 v[52:53], v[54:55], v[58:59]
	v_add_f64 v[54:55], v[52:53], -v[54:55]
	v_add_f64 v[54:55], v[58:59], -v[54:55]
	v_cvt_i32_f64_e32 v56, v[56:57]
.LBB254_180:                            ;   in Loop: Header=BB254_4 Depth=1
	s_or_b64 exec, exec, s[10:11]
	s_mov_b32 s50, s52
	v_mul_f64 v[58:59], v[2:3], s[50:51]
	v_rndne_f64_e32 v[58:59], v[58:59]
	v_fma_f64 v[60:61], v[58:59], s[54:55], -v[2:3]
	v_fmac_f64_e32 v[60:61], s[56:57], v[58:59]
	v_pk_mov_b32 v[70:71], v[28:29], v[28:29] op_sel:[0,1]
	v_fmac_f64_e32 v[70:71], s[58:59], v[60:61]
	v_pk_mov_b32 v[72:73], v[30:31], v[30:31] op_sel:[0,1]
	;; [unrolled: 2-line block ×9, first 2 shown]
	v_fmac_f64_e32 v[70:71], v[60:61], v[72:73]
	v_fma_f64 v[70:71], v[60:61], v[70:71], 1.0
	v_fma_f64 v[60:61], v[60:61], v[70:71], 1.0
	v_cvt_i32_f64_e32 v19, v[58:59]
	v_ldexp_f64 v[58:59], v[60:61], v19
	v_cmp_ngt_f64_e32 vcc, s[64:65], v[2:3]
	v_cmp_nlt_f64_e64 s[10:11], s[66:67], v[2:3]
	v_cndmask_b32_e32 v19, v67, v59, vcc
	s_and_b64 vcc, s[10:11], vcc
	v_cndmask_b32_e32 v2, 0, v58, vcc
	v_mul_f64 v[58:59], v[48:49], v[48:49]
	v_pk_mov_b32 v[74:75], s[68:69], s[68:69] op_sel:[0,1]
	v_mul_f64 v[60:61], v[58:59], 0.5
	v_fma_f64 v[76:77], s[70:71], v[58:59], v[74:75]
	v_add_f64 v[70:71], -v[60:61], 1.0
	v_fma_f64 v[76:77], v[58:59], v[76:77], s[72:73]
	v_add_f64 v[72:73], -v[70:71], 1.0
	v_fma_f64 v[76:77], v[58:59], v[76:77], s[74:75]
	v_add_f64 v[60:61], v[72:73], -v[60:61]
	v_fma_f64 v[76:77], v[58:59], v[76:77], s[76:77]
	v_mul_f64 v[72:73], v[58:59], v[58:59]
	v_fma_f64 v[76:77], v[58:59], v[76:77], s[62:63]
	v_fma_f64 v[60:61], v[48:49], -v[50:51], v[60:61]
	v_fmac_f64_e32 v[60:61], v[72:73], v[76:77]
	v_add_f64 v[60:61], v[70:71], v[60:61]
	v_pk_mov_b32 v[70:71], s[78:79], s[78:79] op_sel:[0,1]
	v_fma_f64 v[72:73], s[80:81], v[58:59], v[70:71]
	v_fma_f64 v[72:73], v[58:59], v[72:73], s[82:83]
	;; [unrolled: 1-line block ×4, first 2 shown]
	v_mul_f64 v[76:77], v[48:49], -v[58:59]
	v_mul_f64 v[78:79], v[50:51], 0.5
	v_fmac_f64_e32 v[78:79], v[76:77], v[72:73]
	v_fma_f64 v[50:51], v[58:59], v[78:79], -v[50:51]
	s_mov_b32 s86, s62
	v_fmac_f64_e32 v[50:51], s[86:87], v[76:77]
	v_add_f64 v[48:49], v[48:49], -v[50:51]
	v_cndmask_b32_e64 v3, 0, v19, s[10:11]
	v_xor_b32_e32 v19, 0x80000000, v49
	v_and_b32_e32 v49, 1, v46
	v_cmp_eq_u32_e32 vcc, 0, v49
	v_lshlrev_b32_e32 v46, 30, v46
	v_cndmask_b32_e32 v19, v19, v61, vcc
	v_and_b32_e32 v46, 0x80000000, v46
	v_cndmask_b32_e32 v48, v48, v60, vcc
	v_xor_b32_e32 v19, v19, v46
	v_cmp_class_f64_e64 vcc, v[4:5], s4
	v_cndmask_b32_e32 v4, 0, v48, vcc
	v_cndmask_b32_e32 v5, v68, v19, vcc
	v_mul_f64 v[48:49], v[2:3], v[4:5]
	v_mul_f64 v[4:5], v[52:53], v[52:53]
	v_mul_f64 v[50:51], v[4:5], 0.5
	v_fmac_f64_e32 v[74:75], s[70:71], v[4:5]
	v_add_f64 v[58:59], -v[50:51], 1.0
	v_fma_f64 v[72:73], v[4:5], v[74:75], s[72:73]
	v_add_f64 v[60:61], -v[58:59], 1.0
	v_fma_f64 v[72:73], v[4:5], v[72:73], s[74:75]
	v_add_f64 v[50:51], v[60:61], -v[50:51]
	v_fma_f64 v[72:73], v[4:5], v[72:73], s[76:77]
	v_mul_f64 v[60:61], v[4:5], v[4:5]
	v_fma_f64 v[72:73], v[4:5], v[72:73], s[62:63]
	v_fma_f64 v[50:51], v[52:53], -v[54:55], v[50:51]
	v_fmac_f64_e32 v[50:51], v[60:61], v[72:73]
	v_fmac_f64_e32 v[70:71], s[80:81], v[4:5]
	v_add_f64 v[50:51], v[58:59], v[50:51]
	v_fma_f64 v[58:59], v[4:5], v[70:71], s[82:83]
	v_fma_f64 v[58:59], v[4:5], v[58:59], s[84:85]
	;; [unrolled: 1-line block ×3, first 2 shown]
	v_mul_f64 v[60:61], v[52:53], -v[4:5]
	v_mul_f64 v[70:71], v[54:55], 0.5
	v_fmac_f64_e32 v[70:71], v[60:61], v[58:59]
	v_fma_f64 v[4:5], v[4:5], v[70:71], -v[54:55]
	v_and_b32_e32 v19, 1, v56
	v_fmac_f64_e32 v[4:5], s[86:87], v[60:61]
	v_cmp_eq_u32_e64 s[10:11], 0, v19
	v_lshlrev_b32_e32 v19, 30, v56
	v_add_f64 v[4:5], v[52:53], -v[4:5]
	v_xor_b32_e32 v19, v19, v47
	v_cndmask_b32_e64 v5, v51, v5, s[10:11]
	v_and_b32_e32 v19, 0x80000000, v19
	v_cndmask_b32_e64 v4, v50, v4, s[10:11]
	v_xor_b32_e32 v5, v5, v19
	v_cndmask_b32_e32 v4, 0, v4, vcc
	v_cndmask_b32_e32 v5, v68, v5, vcc
	v_mul_f64 v[46:47], v[2:3], v[4:5]
                                        ; implicit-def: $vgpr4_vgpr5
.LBB254_181:                            ;   in Loop: Header=BB254_4 Depth=1
	s_andn2_saveexec_b64 s[90:91], s[12:13]
	s_cbranch_execz .LBB254_191
; %bb.182:                              ;   in Loop: Header=BB254_4 Depth=1
	s_mov_b32 s10, 0
	s_mov_b32 s11, 0x41d00000
	v_cmp_nlt_f64_e64 s[12:13], |v[4:5]|, s[10:11]
                                        ; implicit-def: $vgpr46
                                        ; implicit-def: $vgpr48_vgpr49
                                        ; implicit-def: $vgpr50_vgpr51
	s_and_saveexec_b64 s[10:11], s[12:13]
	s_xor_b64 s[92:93], exec, s[10:11]
	s_cbranch_execz .LBB254_184
; %bb.183:                              ;   in Loop: Header=BB254_4 Depth=1
	v_and_b32_e32 v19, 0x7fffffff, v5
	v_ldexp_f64 v[52:53], |v[4:5]|, s29
	v_cmp_ge_f64_e64 vcc, |v[4:5]|, s[30:31]
	v_trig_preop_f64 v[48:49], |v[4:5]|, 0
	v_cndmask_b32_e32 v53, v19, v53, vcc
	v_cndmask_b32_e32 v52, v4, v52, vcc
	v_trig_preop_f64 v[50:51], |v[4:5]|, 1
	v_mul_f64 v[56:57], v[48:49], v[52:53]
	v_mul_f64 v[54:55], v[50:51], v[52:53]
	v_fma_f64 v[48:49], v[48:49], v[52:53], -v[56:57]
	v_add_f64 v[58:59], v[54:55], v[48:49]
	v_add_f64 v[60:61], v[56:57], v[58:59]
	v_ldexp_f64 v[70:71], v[60:61], -2
	v_fract_f64_e32 v[72:73], v[70:71]
	v_cmp_neq_f64_e64 vcc, |v[70:71]|, s[34:35]
	v_cndmask_b32_e32 v71, 0, v73, vcc
	v_cndmask_b32_e32 v70, 0, v72, vcc
	v_add_f64 v[72:73], v[58:59], -v[54:55]
	v_add_f64 v[48:49], v[48:49], -v[72:73]
	;; [unrolled: 1-line block ×4, first 2 shown]
	v_fma_f64 v[50:51], v[50:51], v[52:53], -v[54:55]
	v_trig_preop_f64 v[54:55], |v[4:5]|, 2
	v_add_f64 v[48:49], v[48:49], v[72:73]
	v_mul_f64 v[72:73], v[54:55], v[52:53]
	v_add_f64 v[74:75], v[72:73], v[50:51]
	v_add_f64 v[76:77], v[74:75], v[48:49]
	v_add_f64 v[56:57], v[60:61], -v[56:57]
	v_add_f64 v[60:61], v[76:77], -v[74:75]
	;; [unrolled: 1-line block ×5, first 2 shown]
	v_add_f64 v[48:49], v[48:49], v[60:61]
	v_add_f64 v[60:61], v[74:75], -v[72:73]
	v_add_f64 v[50:51], v[50:51], -v[60:61]
	;; [unrolled: 1-line block ×4, first 2 shown]
	v_add_f64 v[50:51], v[50:51], v[60:61]
	v_add_f64 v[56:57], v[58:59], -v[56:57]
	v_add_f64 v[48:49], v[50:51], v[48:49]
	v_fma_f64 v[50:51], v[54:55], v[52:53], -v[72:73]
	v_add_f64 v[58:59], v[56:57], v[76:77]
	v_add_f64 v[48:49], v[50:51], v[48:49]
	v_ldexp_f64 v[50:51], v[70:71], 2
	v_add_f64 v[52:53], v[58:59], v[50:51]
	v_cmp_gt_f64_e32 vcc, 0, v[52:53]
	v_cndmask_b32_e32 v19, 0, v65, vcc
	v_add_f64 v[50:51], v[50:51], v[18:19]
	v_add_f64 v[52:53], v[58:59], v[50:51]
	v_cvt_i32_f64_e32 v19, v[52:53]
	v_cvt_f64_i32_e32 v[52:53], v19
	v_add_f64 v[50:51], v[50:51], -v[52:53]
	v_add_f64 v[56:57], v[58:59], -v[56:57]
	v_add_f64 v[52:53], v[58:59], v[50:51]
	v_add_f64 v[56:57], v[76:77], -v[56:57]
	v_add_f64 v[50:51], v[52:53], -v[50:51]
	v_cmp_le_f64_e32 vcc, 0.5, v[52:53]
	v_add_f64 v[48:49], v[56:57], v[48:49]
	v_add_f64 v[50:51], v[58:59], -v[50:51]
	v_addc_co_u32_e64 v46, s[10:11], 0, v19, vcc
	v_cndmask_b32_e32 v19, 0, v66, vcc
	v_add_f64 v[48:49], v[48:49], v[50:51]
	v_add_f64 v[50:51], v[52:53], -v[18:19]
	v_add_f64 v[52:53], v[50:51], v[48:49]
	v_add_f64 v[50:51], v[52:53], -v[50:51]
	s_mov_b32 s36, s38
	v_add_f64 v[48:49], v[48:49], -v[50:51]
	v_mul_f64 v[50:51], v[52:53], s[36:37]
	v_fma_f64 v[54:55], v[52:53], s[36:37], -v[50:51]
	s_mov_b32 s43, s41
	v_fmac_f64_e32 v[54:55], s[42:43], v[52:53]
	v_fmac_f64_e32 v[54:55], s[36:37], v[48:49]
	v_add_f64 v[48:49], v[50:51], v[54:55]
	v_add_f64 v[50:51], v[48:49], -v[50:51]
	v_add_f64 v[50:51], v[54:55], -v[50:51]
	s_andn2_saveexec_b64 s[10:11], s[92:93]
	s_cbranch_execz .LBB254_186
	s_branch .LBB254_185
.LBB254_184:                            ;   in Loop: Header=BB254_4 Depth=1
	s_andn2_saveexec_b64 s[10:11], s[92:93]
	s_cbranch_execz .LBB254_186
.LBB254_185:                            ;   in Loop: Header=BB254_4 Depth=1
	v_mul_f64 v[48:49], |v[4:5]|, s[44:45]
	v_rndne_f64_e32 v[52:53], v[48:49]
	v_fma_f64 v[48:49], v[52:53], s[38:39], |v[4:5]|
	v_mul_f64 v[54:55], v[52:53], s[46:47]
	v_add_f64 v[58:59], v[48:49], v[54:55]
	v_fma_f64 v[50:51], s[46:47], v[52:53], v[48:49]
	s_mov_b32 s40, s46
	v_add_f64 v[48:49], v[48:49], -v[58:59]
	v_fma_f64 v[56:57], s[40:41], v[52:53], v[54:55]
	v_add_f64 v[48:49], v[48:49], v[54:55]
	v_add_f64 v[54:55], v[58:59], -v[50:51]
	v_add_f64 v[48:49], v[54:55], v[48:49]
	v_add_f64 v[54:55], v[48:49], -v[56:57]
	v_fmac_f64_e32 v[54:55], s[48:49], v[52:53]
	v_add_f64 v[48:49], v[50:51], v[54:55]
	v_add_f64 v[50:51], v[48:49], -v[50:51]
	v_add_f64 v[50:51], v[54:55], -v[50:51]
	v_cvt_i32_f64_e32 v46, v[52:53]
.LBB254_186:                            ;   in Loop: Header=BB254_4 Depth=1
	s_or_b64 exec, exec, s[10:11]
                                        ; implicit-def: $vgpr56
                                        ; implicit-def: $vgpr52_vgpr53
                                        ; implicit-def: $vgpr54_vgpr55
	s_and_saveexec_b64 s[10:11], s[12:13]
	s_xor_b64 s[12:13], exec, s[10:11]
	s_cbranch_execz .LBB254_188
; %bb.187:                              ;   in Loop: Header=BB254_4 Depth=1
	v_and_b32_e32 v19, 0x7fffffff, v5
	v_ldexp_f64 v[56:57], |v[4:5]|, s29
	v_cmp_ge_f64_e64 vcc, |v[4:5]|, s[30:31]
	v_trig_preop_f64 v[52:53], |v[4:5]|, 0
	v_cndmask_b32_e32 v57, v19, v57, vcc
	v_cndmask_b32_e32 v56, v4, v56, vcc
	v_trig_preop_f64 v[54:55], |v[4:5]|, 1
	v_mul_f64 v[60:61], v[52:53], v[56:57]
	v_mul_f64 v[58:59], v[54:55], v[56:57]
	v_fma_f64 v[52:53], v[52:53], v[56:57], -v[60:61]
	v_add_f64 v[70:71], v[58:59], v[52:53]
	v_add_f64 v[72:73], v[60:61], v[70:71]
	v_ldexp_f64 v[74:75], v[72:73], -2
	v_fract_f64_e32 v[76:77], v[74:75]
	v_cmp_neq_f64_e64 vcc, |v[74:75]|, s[34:35]
	v_cndmask_b32_e32 v75, 0, v77, vcc
	v_cndmask_b32_e32 v74, 0, v76, vcc
	v_add_f64 v[76:77], v[70:71], -v[58:59]
	v_add_f64 v[52:53], v[52:53], -v[76:77]
	;; [unrolled: 1-line block ×4, first 2 shown]
	v_fma_f64 v[54:55], v[54:55], v[56:57], -v[58:59]
	v_trig_preop_f64 v[58:59], |v[4:5]|, 2
	v_add_f64 v[52:53], v[52:53], v[76:77]
	v_mul_f64 v[76:77], v[58:59], v[56:57]
	v_add_f64 v[78:79], v[76:77], v[54:55]
	v_add_f64 v[80:81], v[78:79], v[52:53]
	v_add_f64 v[60:61], v[72:73], -v[60:61]
	v_add_f64 v[72:73], v[80:81], -v[78:79]
	;; [unrolled: 1-line block ×5, first 2 shown]
	v_add_f64 v[52:53], v[52:53], v[72:73]
	v_add_f64 v[72:73], v[78:79], -v[76:77]
	v_add_f64 v[54:55], v[54:55], -v[72:73]
	;; [unrolled: 1-line block ×4, first 2 shown]
	v_add_f64 v[54:55], v[54:55], v[72:73]
	v_add_f64 v[60:61], v[70:71], -v[60:61]
	v_add_f64 v[52:53], v[54:55], v[52:53]
	v_fma_f64 v[54:55], v[58:59], v[56:57], -v[76:77]
	v_add_f64 v[70:71], v[60:61], v[80:81]
	v_add_f64 v[52:53], v[54:55], v[52:53]
	v_ldexp_f64 v[54:55], v[74:75], 2
	v_add_f64 v[56:57], v[70:71], v[54:55]
	v_cmp_gt_f64_e32 vcc, 0, v[56:57]
	v_cndmask_b32_e32 v19, 0, v65, vcc
	v_add_f64 v[54:55], v[54:55], v[18:19]
	v_add_f64 v[56:57], v[70:71], v[54:55]
	v_cvt_i32_f64_e32 v19, v[56:57]
	v_cvt_f64_i32_e32 v[56:57], v19
	v_add_f64 v[54:55], v[54:55], -v[56:57]
	v_add_f64 v[60:61], v[70:71], -v[60:61]
	v_add_f64 v[58:59], v[70:71], v[54:55]
	v_add_f64 v[60:61], v[80:81], -v[60:61]
	v_add_f64 v[54:55], v[58:59], -v[54:55]
	v_cmp_le_f64_e32 vcc, 0.5, v[58:59]
	v_add_f64 v[52:53], v[60:61], v[52:53]
	v_add_f64 v[54:55], v[70:71], -v[54:55]
	v_addc_co_u32_e64 v56, s[10:11], 0, v19, vcc
	v_cndmask_b32_e32 v19, 0, v66, vcc
	v_add_f64 v[52:53], v[52:53], v[54:55]
	v_add_f64 v[54:55], v[58:59], -v[18:19]
	v_add_f64 v[58:59], v[54:55], v[52:53]
	v_add_f64 v[54:55], v[58:59], -v[54:55]
	s_mov_b32 s36, s38
	v_add_f64 v[52:53], v[52:53], -v[54:55]
	v_mul_f64 v[54:55], v[58:59], s[36:37]
	v_fma_f64 v[60:61], v[58:59], s[36:37], -v[54:55]
	s_mov_b32 s43, s41
	v_fmac_f64_e32 v[60:61], s[42:43], v[58:59]
	v_fmac_f64_e32 v[60:61], s[36:37], v[52:53]
	v_add_f64 v[52:53], v[54:55], v[60:61]
	v_add_f64 v[54:55], v[52:53], -v[54:55]
	v_add_f64 v[54:55], v[60:61], -v[54:55]
	s_andn2_saveexec_b64 s[10:11], s[12:13]
	s_cbranch_execnz .LBB254_189
	s_branch .LBB254_190
.LBB254_188:                            ;   in Loop: Header=BB254_4 Depth=1
	s_andn2_saveexec_b64 s[10:11], s[12:13]
	s_cbranch_execz .LBB254_190
.LBB254_189:                            ;   in Loop: Header=BB254_4 Depth=1
	v_mul_f64 v[52:53], |v[4:5]|, s[44:45]
	v_rndne_f64_e32 v[56:57], v[52:53]
	v_fma_f64 v[52:53], v[56:57], s[38:39], |v[4:5]|
	v_mul_f64 v[58:59], v[56:57], s[46:47]
	v_add_f64 v[70:71], v[52:53], v[58:59]
	v_fma_f64 v[54:55], s[46:47], v[56:57], v[52:53]
	s_mov_b32 s40, s46
	v_add_f64 v[52:53], v[52:53], -v[70:71]
	v_fma_f64 v[60:61], s[40:41], v[56:57], v[58:59]
	v_add_f64 v[52:53], v[52:53], v[58:59]
	v_add_f64 v[58:59], v[70:71], -v[54:55]
	v_add_f64 v[52:53], v[58:59], v[52:53]
	v_add_f64 v[58:59], v[52:53], -v[60:61]
	v_fmac_f64_e32 v[58:59], s[48:49], v[56:57]
	v_add_f64 v[52:53], v[54:55], v[58:59]
	v_add_f64 v[54:55], v[52:53], -v[54:55]
	v_add_f64 v[54:55], v[58:59], -v[54:55]
	v_cvt_i32_f64_e32 v56, v[56:57]
.LBB254_190:                            ;   in Loop: Header=BB254_4 Depth=1
	s_or_b64 exec, exec, s[10:11]
	v_mul_f64 v[58:59], v[48:49], v[48:49]
	v_pk_mov_b32 v[74:75], s[68:69], s[68:69] op_sel:[0,1]
	v_mul_f64 v[60:61], v[58:59], 0.5
	v_fma_f64 v[76:77], s[70:71], v[58:59], v[74:75]
	v_add_f64 v[70:71], -v[60:61], 1.0
	v_fma_f64 v[76:77], v[58:59], v[76:77], s[72:73]
	v_fma_f64 v[76:77], v[58:59], v[76:77], s[74:75]
	v_add_f64 v[78:79], -v[70:71], 1.0
	v_fma_f64 v[76:77], v[58:59], v[76:77], s[76:77]
	v_add_f64 v[60:61], v[78:79], -v[60:61]
	v_mul_f64 v[72:73], v[58:59], v[58:59]
	v_fma_f64 v[76:77], v[58:59], v[76:77], s[62:63]
	v_fma_f64 v[60:61], v[48:49], -v[50:51], v[60:61]
	v_fmac_f64_e32 v[60:61], v[72:73], v[76:77]
	v_pk_mov_b32 v[72:73], s[78:79], s[78:79] op_sel:[0,1]
	v_fma_f64 v[76:77], s[80:81], v[58:59], v[72:73]
	v_fma_f64 v[76:77], v[58:59], v[76:77], s[82:83]
	;; [unrolled: 1-line block ×3, first 2 shown]
	v_add_f64 v[60:61], v[70:71], v[60:61]
	v_mul_f64 v[70:71], v[48:49], -v[58:59]
	v_fma_f64 v[76:77], v[58:59], v[76:77], s[60:61]
	v_mul_f64 v[78:79], v[50:51], 0.5
	v_fmac_f64_e32 v[78:79], v[70:71], v[76:77]
	v_fma_f64 v[50:51], v[58:59], v[78:79], -v[50:51]
	s_mov_b32 s86, s62
	v_fmac_f64_e32 v[50:51], s[86:87], v[70:71]
	v_and_b32_e32 v19, 1, v46
	v_add_f64 v[48:49], v[48:49], -v[50:51]
	s_mov_b32 s10, 0x19ba0da4
	v_xor_b32_e32 v49, 0x80000000, v49
	v_cmp_eq_u32_e32 vcc, 0, v19
	v_lshlrev_b32_e32 v46, 30, v46
	s_mov_b32 s11, 0xc0937be3
	v_cndmask_b32_e32 v19, v48, v60, vcc
	v_cndmask_b32_e32 v48, v49, v61, vcc
	v_and_b32_e32 v46, 0x80000000, v46
	v_add_f64 v[2:3], -v[2:3], s[10:11]
	v_xor_b32_e32 v46, v48, v46
	v_mul_f64 v[48:49], v[2:3], s[52:53]
	v_rndne_f64_e32 v[48:49], v[48:49]
	v_fma_f64 v[50:51], s[54:55], v[48:49], v[2:3]
	v_fmac_f64_e32 v[50:51], s[56:57], v[48:49]
	v_pk_mov_b32 v[58:59], v[28:29], v[28:29] op_sel:[0,1]
	v_fmac_f64_e32 v[58:59], s[58:59], v[50:51]
	v_pk_mov_b32 v[60:61], v[30:31], v[30:31] op_sel:[0,1]
	;; [unrolled: 2-line block ×9, first 2 shown]
	v_fmac_f64_e32 v[58:59], v[50:51], v[60:61]
	v_cmp_class_f64_e64 vcc, v[4:5], s4
	v_fma_f64 v[58:59], v[50:51], v[58:59], 1.0
	s_mov_b32 s10, 0
	v_cndmask_b32_e32 v4, 0, v19, vcc
	v_fma_f64 v[50:51], v[50:51], v[58:59], 1.0
	v_cvt_i32_f64_e32 v19, v[48:49]
	s_mov_b32 s11, 0x40900000
	s_mov_b32 s12, 0
	v_ldexp_f64 v[48:49], v[50:51], v19
	v_cmp_nlt_f64_e64 s[10:11], s[10:11], v[2:3]
	s_mov_b32 s13, 0xc090cc00
	v_cndmask_b32_e64 v19, v67, v49, s[10:11]
	v_cmp_ngt_f64_e64 s[12:13], s[12:13], v[2:3]
	v_cndmask_b32_e64 v19, 0, v19, s[12:13]
	v_and_b32_e32 v3, 0xfffff, v19
	v_lshrrev_b32_e32 v19, 20, v19
	v_cndmask_b32_e32 v5, v68, v46, vcc
	v_add_u32_e32 v46, 0xffffff09, v19
	v_lshrrev_b16_e32 v19, 15, v46
	v_add_u16_e32 v19, v46, v19
	s_and_b64 s[10:11], s[12:13], s[10:11]
	v_ashrrev_i16_e32 v19, 1, v19
	v_cndmask_b32_e64 v2, 0, v48, s[10:11]
	v_or_b32_e32 v3, 0x7fe00000, v3
	v_bfe_i32 v48, v19, 0, 16
	v_mul_f64 v[4:5], v[2:3], v[4:5]
	v_lshl_add_u32 v19, v48, 20, v66
	v_sub_u32_e32 v46, v46, v48
	v_mul_f64 v[4:5], v[4:5], v[18:19]
	v_lshl_add_u32 v51, v46, 20, v66
	v_mov_b32_e32 v50, v18
	v_mul_f64 v[48:49], v[4:5], v[50:51]
	v_mul_f64 v[4:5], v[52:53], v[52:53]
	v_mul_f64 v[58:59], v[4:5], 0.5
	v_fmac_f64_e32 v[74:75], s[70:71], v[4:5]
	v_add_f64 v[60:61], -v[58:59], 1.0
	v_fma_f64 v[74:75], v[4:5], v[74:75], s[72:73]
	v_add_f64 v[70:71], -v[60:61], 1.0
	v_fma_f64 v[74:75], v[4:5], v[74:75], s[74:75]
	v_add_f64 v[58:59], v[70:71], -v[58:59]
	v_fma_f64 v[74:75], v[4:5], v[74:75], s[76:77]
	v_mul_f64 v[70:71], v[4:5], v[4:5]
	v_fma_f64 v[74:75], v[4:5], v[74:75], s[62:63]
	v_fma_f64 v[58:59], v[52:53], -v[54:55], v[58:59]
	v_fmac_f64_e32 v[58:59], v[70:71], v[74:75]
	v_fmac_f64_e32 v[72:73], s[80:81], v[4:5]
	v_add_f64 v[58:59], v[60:61], v[58:59]
	v_fma_f64 v[60:61], v[4:5], v[72:73], s[82:83]
	v_fma_f64 v[60:61], v[4:5], v[60:61], s[84:85]
	;; [unrolled: 1-line block ×3, first 2 shown]
	v_mul_f64 v[70:71], v[52:53], -v[4:5]
	v_mul_f64 v[72:73], v[54:55], 0.5
	v_fmac_f64_e32 v[72:73], v[70:71], v[60:61]
	v_fma_f64 v[4:5], v[4:5], v[72:73], -v[54:55]
	v_and_b32_e32 v46, 1, v56
	v_fmac_f64_e32 v[4:5], s[86:87], v[70:71]
	v_cmp_eq_u32_e64 s[10:11], 0, v46
	v_lshlrev_b32_e32 v46, 30, v56
	v_add_f64 v[4:5], v[52:53], -v[4:5]
	v_xor_b32_e32 v46, v46, v47
	v_cndmask_b32_e64 v5, v59, v5, s[10:11]
	v_and_b32_e32 v46, 0x80000000, v46
	v_cndmask_b32_e64 v4, v58, v4, s[10:11]
	v_xor_b32_e32 v5, v5, v46
	v_cndmask_b32_e32 v4, 0, v4, vcc
	v_cndmask_b32_e32 v5, v68, v5, vcc
	v_mul_f64 v[2:3], v[2:3], v[4:5]
	v_mul_f64 v[2:3], v[2:3], v[18:19]
	;; [unrolled: 1-line block ×3, first 2 shown]
.LBB254_191:                            ;   in Loop: Header=BB254_4 Depth=1
	s_or_b64 exec, exec, s[90:91]
                                        ; implicit-def: $vgpr50_vgpr51
                                        ; implicit-def: $vgpr2_vgpr3
                                        ; implicit-def: $vgpr19
.LBB254_192:                            ;   in Loop: Header=BB254_4 Depth=1
	s_andn2_saveexec_b64 s[12:13], s[88:89]
	s_cbranch_execz .LBB254_198
; %bb.193:                              ;   in Loop: Header=BB254_4 Depth=1
	v_cmp_ne_u32_e32 vcc, 0, v50
	v_cmp_ne_u32_e64 s[10:11], s5, v19
	s_or_b64 s[10:11], vcc, s[10:11]
	v_add_f64 v[46:47], v[4:5], -v[4:5]
	s_and_saveexec_b64 s[88:89], s[10:11]
	s_xor_b64 s[10:11], exec, s[88:89]
; %bb.194:                              ;   in Loop: Header=BB254_4 Depth=1
                                        ; implicit-def: $vgpr50_vgpr51
                                        ; implicit-def: $vgpr2_vgpr3
; %bb.195:                              ;   in Loop: Header=BB254_4 Depth=1
	s_or_saveexec_b64 s[10:11], s[10:11]
	v_pk_mov_b32 v[48:49], v[46:47], v[46:47] op_sel:[0,1]
	s_xor_b64 exec, exec, s[10:11]
; %bb.196:                              ;   in Loop: Header=BB254_4 Depth=1
	v_cmp_lt_i64_e32 vcc, -1, v[50:51]
	v_cndmask_b32_e32 v49, 0, v51, vcc
	v_cndmask_b32_e32 v48, 0, v2, vcc
	;; [unrolled: 1-line block ×4, first 2 shown]
; %bb.197:                              ;   in Loop: Header=BB254_4 Depth=1
	s_or_b64 exec, exec, s[10:11]
.LBB254_198:                            ;   in Loop: Header=BB254_4 Depth=1
	s_or_b64 exec, exec, s[12:13]
                                        ; implicit-def: $vgpr4_vgpr5
.LBB254_199:                            ;   in Loop: Header=BB254_4 Depth=1
	s_andn2_saveexec_b64 s[12:13], s[20:21]
	s_cbranch_execz .LBB254_209
; %bb.200:                              ;   in Loop: Header=BB254_4 Depth=1
	s_mov_b32 s10, 0
	s_mov_b32 s11, 0x41d00000
	v_cmp_nlt_f64_e64 s[20:21], |v[4:5]|, s[10:11]
	v_trig_preop_f64 v[54:55], |v[4:5]|, 0
	v_trig_preop_f64 v[52:53], |v[4:5]|, 1
	v_ldexp_f64 v[56:57], |v[4:5]|, s29
	v_trig_preop_f64 v[50:51], |v[4:5]|, 2
	v_and_b32_e32 v69, 0x7fffffff, v5
                                        ; implicit-def: $vgpr46
                                        ; implicit-def: $vgpr2_vgpr3
                                        ; implicit-def: $vgpr48_vgpr49
	s_and_saveexec_b64 s[10:11], s[20:21]
	s_xor_b64 s[88:89], exec, s[10:11]
	s_cbranch_execz .LBB254_202
; %bb.201:                              ;   in Loop: Header=BB254_4 Depth=1
	v_cmp_ge_f64_e64 vcc, |v[4:5]|, s[30:31]
	v_cndmask_b32_e32 v3, v69, v57, vcc
	v_cndmask_b32_e32 v2, v4, v56, vcc
	v_mul_f64 v[58:59], v[54:55], v[2:3]
	v_mul_f64 v[48:49], v[52:53], v[2:3]
	v_fma_f64 v[60:61], v[54:55], v[2:3], -v[58:59]
	v_add_f64 v[70:71], v[48:49], v[60:61]
	v_add_f64 v[72:73], v[58:59], v[70:71]
	v_ldexp_f64 v[74:75], v[72:73], -2
	v_fract_f64_e32 v[76:77], v[74:75]
	v_cmp_neq_f64_e64 vcc, |v[74:75]|, s[34:35]
	v_cndmask_b32_e32 v75, 0, v77, vcc
	v_cndmask_b32_e32 v74, 0, v76, vcc
	v_add_f64 v[76:77], v[70:71], -v[48:49]
	v_add_f64 v[60:61], v[60:61], -v[76:77]
	;; [unrolled: 1-line block ×4, first 2 shown]
	v_add_f64 v[60:61], v[60:61], v[76:77]
	v_fma_f64 v[48:49], v[52:53], v[2:3], -v[48:49]
	v_mul_f64 v[76:77], v[50:51], v[2:3]
	v_add_f64 v[78:79], v[76:77], v[48:49]
	v_add_f64 v[80:81], v[78:79], v[60:61]
	v_add_f64 v[58:59], v[72:73], -v[58:59]
	v_add_f64 v[72:73], v[80:81], -v[78:79]
	;; [unrolled: 1-line block ×5, first 2 shown]
	v_add_f64 v[60:61], v[60:61], v[72:73]
	v_add_f64 v[72:73], v[78:79], -v[76:77]
	v_add_f64 v[48:49], v[48:49], -v[72:73]
	;; [unrolled: 1-line block ×5, first 2 shown]
	v_add_f64 v[70:71], v[58:59], v[80:81]
	v_add_f64 v[48:49], v[48:49], v[72:73]
	v_add_f64 v[58:59], v[70:71], -v[58:59]
	v_add_f64 v[48:49], v[48:49], v[60:61]
	v_fma_f64 v[2:3], v[50:51], v[2:3], -v[76:77]
	v_add_f64 v[58:59], v[80:81], -v[58:59]
	v_add_f64 v[2:3], v[2:3], v[48:49]
	v_ldexp_f64 v[48:49], v[74:75], 2
	v_add_f64 v[2:3], v[58:59], v[2:3]
	v_add_f64 v[58:59], v[70:71], v[48:49]
	v_cmp_gt_f64_e32 vcc, 0, v[58:59]
	v_cndmask_b32_e32 v19, 0, v65, vcc
	v_add_f64 v[48:49], v[48:49], v[18:19]
	v_add_f64 v[58:59], v[70:71], v[48:49]
	v_cvt_i32_f64_e32 v19, v[58:59]
	v_cvt_f64_i32_e32 v[58:59], v19
	v_add_f64 v[48:49], v[48:49], -v[58:59]
	v_add_f64 v[58:59], v[70:71], v[48:49]
	v_add_f64 v[48:49], v[58:59], -v[48:49]
	v_cmp_le_f64_e32 vcc, 0.5, v[58:59]
	v_add_f64 v[48:49], v[70:71], -v[48:49]
	v_addc_co_u32_e64 v46, s[10:11], 0, v19, vcc
	v_cndmask_b32_e32 v19, 0, v66, vcc
	v_add_f64 v[2:3], v[2:3], v[48:49]
	v_add_f64 v[48:49], v[58:59], -v[18:19]
	v_add_f64 v[58:59], v[48:49], v[2:3]
	v_add_f64 v[48:49], v[58:59], -v[48:49]
	s_mov_b32 s36, s38
	v_add_f64 v[2:3], v[2:3], -v[48:49]
	v_mul_f64 v[48:49], v[58:59], s[36:37]
	v_fma_f64 v[60:61], v[58:59], s[36:37], -v[48:49]
	s_mov_b32 s43, s41
	v_fmac_f64_e32 v[60:61], s[42:43], v[58:59]
	v_fmac_f64_e32 v[60:61], s[36:37], v[2:3]
	v_add_f64 v[2:3], v[48:49], v[60:61]
	v_add_f64 v[48:49], v[2:3], -v[48:49]
	v_add_f64 v[48:49], v[60:61], -v[48:49]
	s_andn2_saveexec_b64 s[10:11], s[88:89]
	s_cbranch_execz .LBB254_204
	s_branch .LBB254_203
.LBB254_202:                            ;   in Loop: Header=BB254_4 Depth=1
	s_andn2_saveexec_b64 s[10:11], s[88:89]
	s_cbranch_execz .LBB254_204
.LBB254_203:                            ;   in Loop: Header=BB254_4 Depth=1
	v_mul_f64 v[2:3], |v[4:5]|, s[44:45]
	v_rndne_f64_e32 v[58:59], v[2:3]
	v_fma_f64 v[2:3], v[58:59], s[38:39], |v[4:5]|
	v_mul_f64 v[60:61], v[58:59], s[46:47]
	v_add_f64 v[72:73], v[2:3], v[60:61]
	v_fma_f64 v[48:49], s[46:47], v[58:59], v[2:3]
	s_mov_b32 s40, s46
	v_add_f64 v[2:3], v[2:3], -v[72:73]
	v_fma_f64 v[70:71], s[40:41], v[58:59], v[60:61]
	v_add_f64 v[2:3], v[2:3], v[60:61]
	v_add_f64 v[60:61], v[72:73], -v[48:49]
	v_add_f64 v[2:3], v[60:61], v[2:3]
	v_add_f64 v[60:61], v[2:3], -v[70:71]
	v_fmac_f64_e32 v[60:61], s[48:49], v[58:59]
	v_add_f64 v[2:3], v[48:49], v[60:61]
	v_add_f64 v[48:49], v[2:3], -v[48:49]
	v_add_f64 v[48:49], v[60:61], -v[48:49]
	v_cvt_i32_f64_e32 v46, v[58:59]
.LBB254_204:                            ;   in Loop: Header=BB254_4 Depth=1
	s_or_b64 exec, exec, s[10:11]
                                        ; implicit-def: $vgpr70
                                        ; implicit-def: $vgpr58_vgpr59
                                        ; implicit-def: $vgpr60_vgpr61
	s_and_saveexec_b64 s[10:11], s[20:21]
	s_xor_b64 s[20:21], exec, s[10:11]
	s_cbranch_execz .LBB254_206
; %bb.205:                              ;   in Loop: Header=BB254_4 Depth=1
	v_cmp_ge_f64_e64 vcc, |v[4:5]|, s[30:31]
	v_cndmask_b32_e32 v57, v69, v57, vcc
	v_cndmask_b32_e32 v56, v4, v56, vcc
	v_mul_f64 v[60:61], v[54:55], v[56:57]
	v_mul_f64 v[58:59], v[52:53], v[56:57]
	v_fma_f64 v[54:55], v[54:55], v[56:57], -v[60:61]
	v_add_f64 v[70:71], v[58:59], v[54:55]
	v_add_f64 v[72:73], v[60:61], v[70:71]
	v_ldexp_f64 v[74:75], v[72:73], -2
	v_fract_f64_e32 v[76:77], v[74:75]
	v_cmp_neq_f64_e64 vcc, |v[74:75]|, s[34:35]
	v_cndmask_b32_e32 v75, 0, v77, vcc
	v_cndmask_b32_e32 v74, 0, v76, vcc
	v_add_f64 v[76:77], v[70:71], -v[58:59]
	v_add_f64 v[54:55], v[54:55], -v[76:77]
	;; [unrolled: 1-line block ×4, first 2 shown]
	v_fma_f64 v[52:53], v[52:53], v[56:57], -v[58:59]
	v_mul_f64 v[58:59], v[50:51], v[56:57]
	v_add_f64 v[54:55], v[54:55], v[76:77]
	v_add_f64 v[76:77], v[58:59], v[52:53]
	;; [unrolled: 1-line block ×3, first 2 shown]
	v_add_f64 v[60:61], v[72:73], -v[60:61]
	v_add_f64 v[72:73], v[78:79], -v[76:77]
	;; [unrolled: 1-line block ×5, first 2 shown]
	v_add_f64 v[54:55], v[54:55], v[72:73]
	v_add_f64 v[72:73], v[76:77], -v[58:59]
	v_add_f64 v[52:53], v[52:53], -v[72:73]
	;; [unrolled: 1-line block ×4, first 2 shown]
	v_add_f64 v[52:53], v[52:53], v[72:73]
	v_add_f64 v[60:61], v[70:71], -v[60:61]
	v_add_f64 v[52:53], v[52:53], v[54:55]
	v_fma_f64 v[50:51], v[50:51], v[56:57], -v[58:59]
	v_add_f64 v[70:71], v[60:61], v[78:79]
	v_add_f64 v[50:51], v[50:51], v[52:53]
	v_ldexp_f64 v[52:53], v[74:75], 2
	v_add_f64 v[54:55], v[70:71], v[52:53]
	v_cmp_gt_f64_e32 vcc, 0, v[54:55]
	v_cndmask_b32_e32 v19, 0, v65, vcc
	v_add_f64 v[52:53], v[52:53], v[18:19]
	v_add_f64 v[54:55], v[70:71], v[52:53]
	v_cvt_i32_f64_e32 v19, v[54:55]
	v_cvt_f64_i32_e32 v[54:55], v19
	v_add_f64 v[52:53], v[52:53], -v[54:55]
	v_add_f64 v[60:61], v[70:71], -v[60:61]
	v_add_f64 v[54:55], v[70:71], v[52:53]
	v_add_f64 v[60:61], v[78:79], -v[60:61]
	v_add_f64 v[52:53], v[54:55], -v[52:53]
	v_cmp_le_f64_e32 vcc, 0.5, v[54:55]
	v_add_f64 v[50:51], v[60:61], v[50:51]
	v_add_f64 v[52:53], v[70:71], -v[52:53]
	v_addc_co_u32_e64 v70, s[10:11], 0, v19, vcc
	v_cndmask_b32_e32 v19, 0, v66, vcc
	v_add_f64 v[50:51], v[50:51], v[52:53]
	v_add_f64 v[52:53], v[54:55], -v[18:19]
	v_add_f64 v[54:55], v[52:53], v[50:51]
	v_add_f64 v[52:53], v[54:55], -v[52:53]
	s_mov_b32 s36, s38
	v_add_f64 v[50:51], v[50:51], -v[52:53]
	v_mul_f64 v[52:53], v[54:55], s[36:37]
	v_fma_f64 v[56:57], v[54:55], s[36:37], -v[52:53]
	s_mov_b32 s43, s41
	v_fmac_f64_e32 v[56:57], s[42:43], v[54:55]
	v_fmac_f64_e32 v[56:57], s[36:37], v[50:51]
	v_add_f64 v[58:59], v[52:53], v[56:57]
	v_add_f64 v[50:51], v[58:59], -v[52:53]
	v_add_f64 v[60:61], v[56:57], -v[50:51]
	s_andn2_saveexec_b64 s[10:11], s[20:21]
	s_cbranch_execnz .LBB254_207
	s_branch .LBB254_208
.LBB254_206:                            ;   in Loop: Header=BB254_4 Depth=1
	s_andn2_saveexec_b64 s[10:11], s[20:21]
	s_cbranch_execz .LBB254_208
.LBB254_207:                            ;   in Loop: Header=BB254_4 Depth=1
	v_mul_f64 v[50:51], |v[4:5]|, s[44:45]
	v_rndne_f64_e32 v[50:51], v[50:51]
	v_fma_f64 v[52:53], v[50:51], s[38:39], |v[4:5]|
	v_mul_f64 v[56:57], v[50:51], s[46:47]
	v_add_f64 v[60:61], v[52:53], v[56:57]
	v_fma_f64 v[54:55], s[46:47], v[50:51], v[52:53]
	s_mov_b32 s40, s46
	v_add_f64 v[52:53], v[52:53], -v[60:61]
	v_fma_f64 v[58:59], s[40:41], v[50:51], v[56:57]
	v_add_f64 v[52:53], v[52:53], v[56:57]
	v_add_f64 v[56:57], v[60:61], -v[54:55]
	v_add_f64 v[52:53], v[56:57], v[52:53]
	v_add_f64 v[52:53], v[52:53], -v[58:59]
	v_fmac_f64_e32 v[52:53], s[48:49], v[50:51]
	v_add_f64 v[58:59], v[54:55], v[52:53]
	v_add_f64 v[54:55], v[58:59], -v[54:55]
	v_add_f64 v[60:61], v[52:53], -v[54:55]
	v_cvt_i32_f64_e32 v70, v[50:51]
.LBB254_208:                            ;   in Loop: Header=BB254_4 Depth=1
	s_or_b64 exec, exec, s[10:11]
	v_mul_f64 v[50:51], v[2:3], v[2:3]
	v_pk_mov_b32 v[72:73], s[68:69], s[68:69] op_sel:[0,1]
	v_mul_f64 v[52:53], v[50:51], 0.5
	v_fma_f64 v[74:75], s[70:71], v[50:51], v[72:73]
	v_add_f64 v[54:55], -v[52:53], 1.0
	v_fma_f64 v[74:75], v[50:51], v[74:75], s[72:73]
	v_add_f64 v[56:57], -v[54:55], 1.0
	v_fma_f64 v[74:75], v[50:51], v[74:75], s[74:75]
	v_add_f64 v[52:53], v[56:57], -v[52:53]
	v_fma_f64 v[74:75], v[50:51], v[74:75], s[76:77]
	v_mul_f64 v[56:57], v[50:51], v[50:51]
	v_fma_f64 v[74:75], v[50:51], v[74:75], s[62:63]
	v_fma_f64 v[52:53], v[2:3], -v[48:49], v[52:53]
	v_fmac_f64_e32 v[52:53], v[56:57], v[74:75]
	v_add_f64 v[52:53], v[54:55], v[52:53]
	v_pk_mov_b32 v[54:55], s[78:79], s[78:79] op_sel:[0,1]
	v_fma_f64 v[56:57], s[80:81], v[50:51], v[54:55]
	v_fma_f64 v[56:57], v[50:51], v[56:57], s[82:83]
	;; [unrolled: 1-line block ×4, first 2 shown]
	v_mul_f64 v[74:75], v[2:3], -v[50:51]
	v_mul_f64 v[76:77], v[48:49], 0.5
	v_fmac_f64_e32 v[76:77], v[74:75], v[56:57]
	v_fma_f64 v[48:49], v[50:51], v[76:77], -v[48:49]
	s_mov_b32 s86, s62
	v_fmac_f64_e32 v[48:49], s[86:87], v[74:75]
	v_add_f64 v[2:3], v[2:3], -v[48:49]
	v_and_b32_e32 v19, 1, v46
	v_xor_b32_e32 v3, 0x80000000, v3
	v_cmp_eq_u32_e32 vcc, 0, v19
	v_lshlrev_b32_e32 v19, 30, v46
	v_cndmask_b32_e32 v3, v3, v53, vcc
	v_and_b32_e32 v19, 0x80000000, v19
	v_cndmask_b32_e32 v2, v2, v52, vcc
	v_xor_b32_e32 v3, v3, v19
	v_cmp_class_f64_e64 vcc, v[4:5], s4
	v_cndmask_b32_e32 v48, 0, v2, vcc
	v_cndmask_b32_e32 v49, v68, v3, vcc
	v_mul_f64 v[2:3], v[58:59], v[58:59]
	v_mul_f64 v[4:5], v[2:3], 0.5
	v_fmac_f64_e32 v[72:73], s[70:71], v[2:3]
	v_add_f64 v[50:51], -v[4:5], 1.0
	v_fma_f64 v[56:57], v[2:3], v[72:73], s[72:73]
	v_add_f64 v[52:53], -v[50:51], 1.0
	v_fma_f64 v[56:57], v[2:3], v[56:57], s[74:75]
	v_add_f64 v[4:5], v[52:53], -v[4:5]
	v_fma_f64 v[56:57], v[2:3], v[56:57], s[76:77]
	v_mul_f64 v[52:53], v[2:3], v[2:3]
	v_fma_f64 v[56:57], v[2:3], v[56:57], s[62:63]
	v_fma_f64 v[4:5], v[58:59], -v[60:61], v[4:5]
	v_fmac_f64_e32 v[4:5], v[52:53], v[56:57]
	v_fmac_f64_e32 v[54:55], s[80:81], v[2:3]
	v_add_f64 v[4:5], v[50:51], v[4:5]
	v_fma_f64 v[50:51], v[2:3], v[54:55], s[82:83]
	v_fma_f64 v[50:51], v[2:3], v[50:51], s[84:85]
	;; [unrolled: 1-line block ×3, first 2 shown]
	v_mul_f64 v[52:53], v[58:59], -v[2:3]
	v_mul_f64 v[54:55], v[60:61], 0.5
	v_fmac_f64_e32 v[54:55], v[52:53], v[50:51]
	v_fma_f64 v[2:3], v[2:3], v[54:55], -v[60:61]
	v_fmac_f64_e32 v[2:3], s[86:87], v[52:53]
	v_and_b32_e32 v19, 1, v70
	v_add_f64 v[2:3], v[58:59], -v[2:3]
	v_cmp_eq_u32_e64 s[10:11], 0, v19
	v_cndmask_b32_e64 v2, v4, v2, s[10:11]
	v_lshlrev_b32_e32 v4, 30, v70
	v_xor_b32_e32 v4, v4, v47
	v_cndmask_b32_e64 v3, v5, v3, s[10:11]
	v_and_b32_e32 v4, 0x80000000, v4
	v_xor_b32_e32 v3, v3, v4
	v_cndmask_b32_e32 v46, 0, v2, vcc
	v_cndmask_b32_e32 v47, v68, v3, vcc
.LBB254_209:                            ;   in Loop: Header=BB254_4 Depth=1
	s_or_b64 exec, exec, s[12:13]
                                        ; implicit-def: $vgpr2_vgpr3
.LBB254_210:                            ;   in Loop: Header=BB254_4 Depth=1
	s_andn2_saveexec_b64 s[12:13], s[94:95]
	s_cbranch_execz .LBB254_212
; %bb.211:                              ;   in Loop: Header=BB254_4 Depth=1
	s_mov_b32 s50, s52
	v_mul_f64 v[4:5], v[2:3], s[50:51]
	v_rndne_f64_e32 v[4:5], v[4:5]
	v_fma_f64 v[48:49], v[4:5], s[54:55], -v[2:3]
	v_fmac_f64_e32 v[48:49], s[56:57], v[4:5]
	v_pk_mov_b32 v[50:51], v[28:29], v[28:29] op_sel:[0,1]
	v_fmac_f64_e32 v[50:51], s[58:59], v[48:49]
	v_pk_mov_b32 v[52:53], v[30:31], v[30:31] op_sel:[0,1]
	;; [unrolled: 2-line block ×9, first 2 shown]
	v_fmac_f64_e32 v[50:51], v[48:49], v[52:53]
	v_fma_f64 v[50:51], v[48:49], v[50:51], 1.0
	v_fma_f64 v[48:49], v[48:49], v[50:51], 1.0
	v_cvt_i32_f64_e32 v4, v[4:5]
	v_ldexp_f64 v[4:5], v[48:49], v4
	v_cmp_ngt_f64_e32 vcc, s[64:65], v[2:3]
	v_cmp_nlt_f64_e64 s[10:11], s[66:67], v[2:3]
	v_cndmask_b32_e32 v5, v67, v5, vcc
	s_and_b64 vcc, s[10:11], vcc
	v_cndmask_b32_e64 v49, 0, v5, s[10:11]
	v_cndmask_b32_e32 v48, 0, v4, vcc
.LBB254_212:                            ;   in Loop: Header=BB254_4 Depth=1
	s_or_b64 exec, exec, s[12:13]
	v_add_f64 v[48:49], s[16:17], v[48:49]
	v_add_f64 v[46:47], s[18:19], v[46:47]
	v_xor_b32_e32 v2, 0x80000000, v49
	v_cmp_gt_f64_e32 vcc, 0, v[48:49]
	v_cndmask_b32_e32 v53, v49, v2, vcc
	v_cndmask_b32_e32 v52, v48, v48, vcc
	v_xor_b32_e32 v2, 0x80000000, v47
	v_cmp_gt_f64_e32 vcc, 0, v[46:47]
	v_cndmask_b32_e32 v51, v47, v2, vcc
	v_cndmask_b32_e32 v50, v46, v46, vcc
	v_cmp_ge_f64_e32 vcc, v[52:53], v[50:51]
                                        ; implicit-def: $vgpr4_vgpr5
	s_and_saveexec_b64 s[10:11], vcc
	s_xor_b64 s[12:13], exec, s[10:11]
	s_cbranch_execz .LBB254_222
; %bb.213:                              ;   in Loop: Header=BB254_4 Depth=1
	v_cmp_neq_f64_e32 vcc, 0, v[48:49]
	v_cmp_neq_f64_e64 s[10:11], 0, v[46:47]
	s_or_b64 s[10:11], vcc, s[10:11]
                                        ; implicit-def: $vgpr4_vgpr5
	s_and_saveexec_b64 s[20:21], s[10:11]
	s_xor_b64 s[10:11], exec, s[20:21]
	s_cbranch_execz .LBB254_215
; %bb.214:                              ;   in Loop: Header=BB254_4 Depth=1
	v_div_scale_f64 v[2:3], s[20:21], v[48:49], v[48:49], v[46:47]
	v_rcp_f64_e32 v[4:5], v[2:3]
	v_div_scale_f64 v[50:51], vcc, v[46:47], v[48:49], v[46:47]
	v_fma_f64 v[52:53], -v[2:3], v[4:5], 1.0
	v_fmac_f64_e32 v[4:5], v[4:5], v[52:53]
	v_fma_f64 v[52:53], -v[2:3], v[4:5], 1.0
	v_fmac_f64_e32 v[4:5], v[4:5], v[52:53]
	v_mul_f64 v[52:53], v[50:51], v[4:5]
	v_fma_f64 v[2:3], -v[2:3], v[52:53], v[50:51]
	v_div_fmas_f64 v[2:3], v[2:3], v[4:5], v[52:53]
	v_div_fixup_f64 v[4:5], v[2:3], v[48:49], v[46:47]
	v_fmac_f64_e32 v[48:49], v[46:47], v[4:5]
	v_div_scale_f64 v[2:3], s[20:21], v[48:49], v[48:49], 1.0
	v_rcp_f64_e32 v[46:47], v[2:3]
	v_fma_f64 v[50:51], -v[2:3], v[46:47], 1.0
	v_fmac_f64_e32 v[46:47], v[46:47], v[50:51]
	v_fma_f64 v[50:51], -v[2:3], v[46:47], 1.0
	v_fmac_f64_e32 v[46:47], v[46:47], v[50:51]
	v_div_scale_f64 v[50:51], vcc, 1.0, v[48:49], 1.0
	v_mul_f64 v[52:53], v[50:51], v[46:47]
	v_fma_f64 v[2:3], -v[2:3], v[52:53], v[50:51]
                                        ; implicit-def: $vgpr50_vgpr51
	s_nop 1
	v_div_fmas_f64 v[2:3], v[2:3], v[46:47], v[52:53]
	v_div_fixup_f64 v[46:47], v[2:3], v[48:49], 1.0
	v_pk_mov_b32 v[2:3], s[16:17], s[16:17] op_sel:[0,1]
	v_pk_mov_b32 v[48:49], s[18:19], s[18:19] op_sel:[0,1]
	v_fma_f64 v[2:3], s[18:19], v[4:5], v[2:3]
	v_fma_f64 v[4:5], -s[16:17], v[4:5], v[48:49]
	v_mul_f64 v[2:3], v[2:3], v[46:47]
	v_mul_f64 v[4:5], v[4:5], v[46:47]
                                        ; implicit-def: $vgpr52_vgpr53
.LBB254_215:                            ;   in Loop: Header=BB254_4 Depth=1
	s_andn2_saveexec_b64 s[10:11], s[10:11]
	s_cbranch_execz .LBB254_217
; %bb.216:                              ;   in Loop: Header=BB254_4 Depth=1
	v_div_scale_f64 v[2:3], s[20:21], v[52:53], v[52:53], s[16:17]
	v_rcp_f64_e32 v[4:5], v[2:3]
	v_div_scale_f64 v[46:47], vcc, s[16:17], v[52:53], s[16:17]
	v_fma_f64 v[48:49], -v[2:3], v[4:5], 1.0
	v_fmac_f64_e32 v[4:5], v[4:5], v[48:49]
	v_fma_f64 v[48:49], -v[2:3], v[4:5], 1.0
	v_fmac_f64_e32 v[4:5], v[4:5], v[48:49]
	v_mul_f64 v[48:49], v[46:47], v[4:5]
	v_fma_f64 v[2:3], -v[2:3], v[48:49], v[46:47]
	v_div_scale_f64 v[46:47], s[20:21], v[50:51], v[50:51], s[18:19]
	v_rcp_f64_e32 v[54:55], v[46:47]
	v_div_fmas_f64 v[2:3], v[2:3], v[4:5], v[48:49]
	v_div_fixup_f64 v[2:3], v[2:3], v[52:53], s[16:17]
	v_fma_f64 v[4:5], -v[46:47], v[54:55], 1.0
	v_fmac_f64_e32 v[54:55], v[54:55], v[4:5]
	v_fma_f64 v[4:5], -v[46:47], v[54:55], 1.0
	v_fmac_f64_e32 v[54:55], v[54:55], v[4:5]
	v_div_scale_f64 v[4:5], vcc, s[18:19], v[50:51], s[18:19]
	v_mul_f64 v[48:49], v[4:5], v[54:55]
	v_fma_f64 v[4:5], -v[46:47], v[48:49], v[4:5]
	s_nop 1
	v_div_fmas_f64 v[4:5], v[4:5], v[54:55], v[48:49]
	v_div_fixup_f64 v[4:5], v[4:5], v[50:51], s[18:19]
.LBB254_217:                            ;   in Loop: Header=BB254_4 Depth=1
	s_or_b64 exec, exec, s[10:11]
                                        ; implicit-def: $vgpr46_vgpr47
                                        ; implicit-def: $vgpr48_vgpr49
	s_andn2_saveexec_b64 s[10:11], s[12:13]
	s_cbranch_execnz .LBB254_223
.LBB254_218:                            ;   in Loop: Header=BB254_4 Depth=1
	s_or_b64 exec, exec, s[10:11]
	s_and_saveexec_b64 s[10:11], s[0:1]
	s_xor_b64 s[0:1], exec, s[10:11]
	s_cbranch_execz .LBB254_224
.LBB254_219:                            ;   in Loop: Header=BB254_4 Depth=1
	v_mov_b32_e32 v19, s22
	v_add_co_u32_e32 v46, vcc, s33, v20
	v_addc_co_u32_e32 v47, vcc, 0, v19, vcc
	global_store_dwordx4 v[46:47], v[6:9], off
	s_or_b64 exec, exec, s[0:1]
	s_and_saveexec_b64 s[0:1], s[2:3]
	s_cbranch_execnz .LBB254_225
.LBB254_220:                            ;   in Loop: Header=BB254_4 Depth=1
	s_or_b64 exec, exec, s[0:1]
	s_and_saveexec_b64 s[0:1], s[6:7]
	s_cbranch_execz .LBB254_226
.LBB254_221:                            ;   in Loop: Header=BB254_4 Depth=1
	v_mov_b32_e32 v7, s22
	v_add_co_u32_e32 v6, vcc, s33, v26
	v_addc_co_u32_e32 v7, vcc, v7, v1, vcc
	global_store_dwordx4 v[6:7], v[10:13], off offset:-8
	s_or_b64 exec, exec, s[0:1]
	s_and_saveexec_b64 s[0:1], s[8:9]
	s_cbranch_execz .LBB254_3
	s_branch .LBB254_227
.LBB254_222:                            ;   in Loop: Header=BB254_4 Depth=1
	s_andn2_saveexec_b64 s[10:11], s[12:13]
	s_cbranch_execz .LBB254_218
.LBB254_223:                            ;   in Loop: Header=BB254_4 Depth=1
	v_div_scale_f64 v[2:3], s[12:13], v[46:47], v[46:47], v[48:49]
	v_rcp_f64_e32 v[4:5], v[2:3]
	v_div_scale_f64 v[50:51], vcc, v[48:49], v[46:47], v[48:49]
	v_fma_f64 v[52:53], -v[2:3], v[4:5], 1.0
	v_fmac_f64_e32 v[4:5], v[4:5], v[52:53]
	v_fma_f64 v[52:53], -v[2:3], v[4:5], 1.0
	v_fmac_f64_e32 v[4:5], v[4:5], v[52:53]
	v_mul_f64 v[52:53], v[50:51], v[4:5]
	v_fma_f64 v[2:3], -v[2:3], v[52:53], v[50:51]
	v_div_fmas_f64 v[2:3], v[2:3], v[4:5], v[52:53]
	v_div_fixup_f64 v[4:5], v[2:3], v[46:47], v[48:49]
	v_fmac_f64_e32 v[46:47], v[48:49], v[4:5]
	v_div_scale_f64 v[2:3], s[12:13], v[46:47], v[46:47], 1.0
	v_rcp_f64_e32 v[48:49], v[2:3]
	v_fma_f64 v[50:51], -v[2:3], v[48:49], 1.0
	v_fmac_f64_e32 v[48:49], v[48:49], v[50:51]
	v_fma_f64 v[50:51], -v[2:3], v[48:49], 1.0
	v_fmac_f64_e32 v[48:49], v[48:49], v[50:51]
	v_div_scale_f64 v[50:51], vcc, 1.0, v[46:47], 1.0
	v_mul_f64 v[52:53], v[50:51], v[48:49]
	v_fma_f64 v[2:3], -v[2:3], v[52:53], v[50:51]
	s_nop 1
	v_div_fmas_f64 v[2:3], v[2:3], v[48:49], v[52:53]
	v_div_fixup_f64 v[46:47], v[2:3], v[46:47], 1.0
	v_pk_mov_b32 v[2:3], s[18:19], s[18:19] op_sel:[0,1]
	v_pk_mov_b32 v[48:49], s[16:17], s[16:17] op_sel:[0,1]
	v_fma_f64 v[2:3], s[16:17], v[4:5], v[2:3]
	v_fma_f64 v[4:5], s[18:19], v[4:5], -v[48:49]
	v_mul_f64 v[2:3], v[2:3], v[46:47]
	v_mul_f64 v[4:5], v[4:5], v[46:47]
	s_or_b64 exec, exec, s[10:11]
	s_and_saveexec_b64 s[10:11], s[0:1]
	s_xor_b64 s[0:1], exec, s[10:11]
	s_cbranch_execnz .LBB254_219
.LBB254_224:                            ;   in Loop: Header=BB254_4 Depth=1
	s_or_b64 exec, exec, s[0:1]
	s_and_saveexec_b64 s[0:1], s[2:3]
	s_cbranch_execz .LBB254_220
.LBB254_225:                            ;   in Loop: Header=BB254_4 Depth=1
	v_mov_b32_e32 v7, s22
	v_add_co_u32_e32 v6, vcc, s33, v24
	v_addc_co_u32_e32 v7, vcc, 0, v7, vcc
	global_store_dwordx4 v[6:7], v[14:17], off
	s_or_b64 exec, exec, s[0:1]
	s_and_saveexec_b64 s[0:1], s[6:7]
	s_cbranch_execnz .LBB254_221
.LBB254_226:                            ;   in Loop: Header=BB254_4 Depth=1
	s_or_b64 exec, exec, s[0:1]
	s_and_saveexec_b64 s[0:1], s[8:9]
	s_cbranch_execz .LBB254_3
.LBB254_227:                            ;   in Loop: Header=BB254_4 Depth=1
	v_mov_b32_e32 v7, s22
	v_add_co_u32_e32 v6, vcc, s33, v22
	v_addc_co_u32_e32 v7, vcc, v7, v23, vcc
	global_store_dwordx4 v[6:7], v[2:5], off offset:-8
	s_branch .LBB254_3
.LBB254_228:
	s_cbranch_execz .LBB254_230
	s_branch .LBB254_441
.LBB254_229:
.LBB254_230:
	v_mov_b32_e32 v16, 0
	v_lshlrev_b32_e32 v2, 2, v0
	v_mov_b32_e32 v3, v16
	s_mov_b32 s33, 0
	v_cmp_gt_i64_e32 vcc, s[14:15], v[2:3]
	s_and_saveexec_b64 s[0:1], vcc
	s_cbranch_execz .LBB254_441
; %bb.231:
	v_readlane_b32 s0, v82, 0
	v_readlane_b32 s1, v82, 1
	s_load_dword s0, s[0:1], 0xd4c
	v_readlane_b32 s2, v82, 2
	v_readlane_b32 s4, v82, 4
	;; [unrolled: 1-line block ×4, first 2 shown]
	s_waitcnt lgkmcnt(0)
	s_and_b32 s0, s0, 0xffff
	s_lshl_b32 s90, s0, 2
	s_add_u32 s1, s2, s4
	v_lshlrev_b32_e32 v1, 6, v0
	s_addc_u32 s2, s3, s5
	v_add_lshl_u32 v18, v0, s0, 2
	v_mov_b32_e32 v0, s2
	v_add_co_u32_e32 v20, vcc, s1, v1
	s_mov_b32 s6, 0
	s_mov_b32 s8, 0
	;; [unrolled: 1-line block ×26, first 2 shown]
	v_mov_b32_e32 v19, v16
	v_addc_co_u32_e32 v21, vcc, 0, v0, vcc
	s_lshl_b32 s91, s0, 6
	s_mov_b32 s92, s33
	s_mov_b64 s[4:5], 0
	s_mov_b32 s93, 0x7ff00000
	s_mov_b32 s94, 0x108aa2
	;; [unrolled: 1-line block ×4, first 2 shown]
	s_movk_i32 s95, 0xff80
	s_mov_b32 s11, 0x7ff00000
	s_mov_b32 s13, 0x3ff921fb
	;; [unrolled: 1-line block ×27, first 2 shown]
	s_movk_i32 s72, 0x1f8
	s_mov_b32 s75, 0x40900000
	s_mov_b32 s77, 0xc090cc00
	s_mov_b64 s[78:79], 0xffff
	v_mov_b32_e32 v50, 0x40100000
	v_mov_b32_e32 v51, 0x3ff00000
	;; [unrolled: 1-line block ×22, first 2 shown]
	s_branch .LBB254_233
.LBB254_232:                            ;   in Loop: Header=BB254_233 Depth=1
	s_or_b64 exec, exec, s[0:1]
	v_cmp_le_i64_e32 vcc, s[14:15], v[18:19]
	v_cmp_lt_u64_e64 s[0:1], s[78:79], v[18:19]
	global_store_dwordx4 v[20:21], v[4:7], off
	global_store_dwordx4 v[20:21], v[12:15], off offset:16
	global_store_dwordx4 v[20:21], v[8:11], off offset:32
	;; [unrolled: 1-line block ×3, first 2 shown]
	s_or_b64 s[0:1], vcc, s[0:1]
	v_mov_b32_e32 v0, s33
	v_add_co_u32_e32 v18, vcc, s90, v18
	v_addc_co_u32_e32 v19, vcc, v19, v0, vcc
	v_mov_b32_e32 v0, s92
	s_and_b64 s[0:1], exec, s[0:1]
	v_add_co_u32_e32 v20, vcc, s91, v20
	s_or_b64 s[4:5], s[0:1], s[4:5]
	v_addc_co_u32_e32 v21, vcc, v21, v0, vcc
	s_andn2_b64 exec, exec, s[4:5]
	s_cbranch_execz .LBB254_441
.LBB254_233:                            ; =>This Inner Loop Header: Depth=1
	global_load_dwordx4 v[4:7], v[20:21], off
	global_load_dwordx4 v[12:15], v[20:21], off offset:16
	global_load_dwordx4 v[0:3], v[20:21], off offset:48
	;; [unrolled: 1-line block ×3, first 2 shown]
                                        ; implicit-def: $vgpr42_vgpr43
	s_waitcnt vmcnt(3)
	v_xor_b32_e32 v41, 0x80000000, v7
	v_and_b32_e32 v46, 0x7fffffff, v41
	v_or_b32_e32 v17, v46, v6
	v_mov_b32_e32 v40, v6
	v_cmp_ne_u32_e32 vcc, 0, v17
	s_and_saveexec_b64 s[0:1], vcc
	s_xor_b64 s[80:81], exec, s[0:1]
	s_cbranch_execz .LBB254_275
; %bb.234:                              ;   in Loop: Header=BB254_233 Depth=1
	v_xor_b32_e32 v45, 0x80000000, v5
	v_mov_b32_e32 v44, v4
	v_and_b32_e32 v17, 0x7fffffff, v45
	v_or_b32_e32 v40, v17, v44
	v_cmp_ne_u32_e32 vcc, 0, v40
                                        ; implicit-def: $vgpr42_vgpr43
	s_and_saveexec_b64 s[0:1], vcc
	s_xor_b64 s[82:83], exec, s[0:1]
	s_cbranch_execz .LBB254_264
; %bb.235:                              ;   in Loop: Header=BB254_233 Depth=1
	v_cmp_gt_u32_e32 vcc, s93, v46
                                        ; implicit-def: $vgpr42_vgpr43
	s_and_saveexec_b64 s[0:1], vcc
	s_xor_b64 s[84:85], exec, s[0:1]
	s_cbranch_execz .LBB254_257
; %bb.236:                              ;   in Loop: Header=BB254_233 Depth=1
	v_add_u32_e32 v17, 0xbf79d1be, v45
	v_cmp_lt_u32_e32 vcc, s94, v17
                                        ; implicit-def: $vgpr42_vgpr43
	s_and_saveexec_b64 s[0:1], vcc
	s_xor_b64 s[2:3], exec, s[0:1]
	s_cbranch_execz .LBB254_246
; %bb.237:                              ;   in Loop: Header=BB254_233 Depth=1
	v_cmp_nlt_f64_e64 s[86:87], |v[6:7]|, s[6:7]
                                        ; implicit-def: $vgpr40
                                        ; implicit-def: $vgpr42_vgpr43
                                        ; implicit-def: $vgpr44_vgpr45
	s_and_saveexec_b64 s[0:1], s[86:87]
	s_xor_b64 s[88:89], exec, s[0:1]
	s_cbranch_execz .LBB254_239
; %bb.238:                              ;   in Loop: Header=BB254_233 Depth=1
	v_and_b32_e32 v17, 0x7fffffff, v7
	v_ldexp_f64 v[46:47], |v[6:7]|, s95
	v_cmp_ge_f64_e64 vcc, |v[6:7]|, s[8:9]
	v_trig_preop_f64 v[42:43], |v[6:7]|, 0
	v_cndmask_b32_e32 v47, v17, v47, vcc
	v_cndmask_b32_e32 v46, v6, v46, vcc
	v_trig_preop_f64 v[44:45], |v[6:7]|, 1
	v_mul_f64 v[54:55], v[42:43], v[46:47]
	v_mul_f64 v[48:49], v[44:45], v[46:47]
	v_fma_f64 v[42:43], v[42:43], v[46:47], -v[54:55]
	v_add_f64 v[56:57], v[48:49], v[42:43]
	v_add_f64 v[58:59], v[54:55], v[56:57]
	v_ldexp_f64 v[60:61], v[58:59], -2
	v_fract_f64_e32 v[62:63], v[60:61]
	v_cmp_neq_f64_e64 vcc, |v[60:61]|, s[10:11]
	v_cndmask_b32_e32 v61, 0, v63, vcc
	v_cndmask_b32_e32 v60, 0, v62, vcc
	v_add_f64 v[62:63], v[56:57], -v[48:49]
	v_add_f64 v[42:43], v[42:43], -v[62:63]
	;; [unrolled: 1-line block ×4, first 2 shown]
	v_fma_f64 v[44:45], v[44:45], v[46:47], -v[48:49]
	v_trig_preop_f64 v[48:49], |v[6:7]|, 2
	v_add_f64 v[42:43], v[42:43], v[62:63]
	v_mul_f64 v[62:63], v[48:49], v[46:47]
	v_add_f64 v[64:65], v[62:63], v[44:45]
	v_add_f64 v[66:67], v[64:65], v[42:43]
	v_add_f64 v[54:55], v[58:59], -v[54:55]
	v_add_f64 v[58:59], v[66:67], -v[64:65]
	;; [unrolled: 1-line block ×5, first 2 shown]
	v_add_f64 v[42:43], v[42:43], v[58:59]
	v_add_f64 v[58:59], v[64:65], -v[62:63]
	v_add_f64 v[44:45], v[44:45], -v[58:59]
	v_add_f64 v[58:59], v[64:65], -v[58:59]
	v_add_f64 v[58:59], v[62:63], -v[58:59]
	v_add_f64 v[44:45], v[44:45], v[58:59]
	v_add_f64 v[54:55], v[56:57], -v[54:55]
	v_add_f64 v[42:43], v[44:45], v[42:43]
	v_fma_f64 v[44:45], v[48:49], v[46:47], -v[62:63]
	v_add_f64 v[56:57], v[54:55], v[66:67]
	v_add_f64 v[42:43], v[44:45], v[42:43]
	v_ldexp_f64 v[44:45], v[60:61], 2
	v_add_f64 v[46:47], v[56:57], v[44:45]
	v_cmp_gt_f64_e32 vcc, 0, v[46:47]
	v_cndmask_b32_e32 v17, 0, v50, vcc
	v_add_f64 v[44:45], v[44:45], v[16:17]
	v_add_f64 v[46:47], v[56:57], v[44:45]
	v_cvt_i32_f64_e32 v17, v[46:47]
	v_cvt_f64_i32_e32 v[46:47], v17
	v_add_f64 v[44:45], v[44:45], -v[46:47]
	v_add_f64 v[54:55], v[56:57], -v[54:55]
	v_add_f64 v[46:47], v[56:57], v[44:45]
	v_add_f64 v[54:55], v[66:67], -v[54:55]
	v_add_f64 v[44:45], v[46:47], -v[44:45]
	v_cmp_le_f64_e32 vcc, 0.5, v[46:47]
	v_add_f64 v[42:43], v[54:55], v[42:43]
	v_add_f64 v[44:45], v[56:57], -v[44:45]
	v_addc_co_u32_e64 v40, s[0:1], 0, v17, vcc
	v_cndmask_b32_e32 v17, 0, v51, vcc
	v_add_f64 v[42:43], v[42:43], v[44:45]
	v_add_f64 v[44:45], v[46:47], -v[16:17]
	v_add_f64 v[46:47], v[44:45], v[42:43]
	v_add_f64 v[44:45], v[46:47], -v[44:45]
	s_mov_b32 s12, s20
	v_add_f64 v[42:43], v[42:43], -v[44:45]
	v_mul_f64 v[44:45], v[46:47], s[12:13]
	v_fma_f64 v[48:49], v[46:47], s[12:13], -v[44:45]
	s_mov_b32 s25, s23
	v_fmac_f64_e32 v[48:49], s[24:25], v[46:47]
	v_fmac_f64_e32 v[48:49], s[12:13], v[42:43]
	v_add_f64 v[42:43], v[44:45], v[48:49]
	v_add_f64 v[44:45], v[42:43], -v[44:45]
	v_add_f64 v[44:45], v[48:49], -v[44:45]
	s_andn2_saveexec_b64 s[0:1], s[88:89]
	s_cbranch_execz .LBB254_241
	s_branch .LBB254_240
.LBB254_239:                            ;   in Loop: Header=BB254_233 Depth=1
	s_andn2_saveexec_b64 s[0:1], s[88:89]
	s_cbranch_execz .LBB254_241
.LBB254_240:                            ;   in Loop: Header=BB254_233 Depth=1
	v_mul_f64 v[42:43], |v[6:7]|, s[26:27]
	v_rndne_f64_e32 v[46:47], v[42:43]
	v_fma_f64 v[42:43], v[46:47], s[20:21], |v[6:7]|
	v_mul_f64 v[48:49], v[46:47], s[28:29]
	v_add_f64 v[56:57], v[42:43], v[48:49]
	v_fma_f64 v[44:45], s[28:29], v[46:47], v[42:43]
	s_mov_b32 s22, s28
	v_add_f64 v[42:43], v[42:43], -v[56:57]
	v_fma_f64 v[54:55], s[22:23], v[46:47], v[48:49]
	v_add_f64 v[42:43], v[42:43], v[48:49]
	v_add_f64 v[48:49], v[56:57], -v[44:45]
	v_add_f64 v[42:43], v[48:49], v[42:43]
	v_add_f64 v[48:49], v[42:43], -v[54:55]
	v_fmac_f64_e32 v[48:49], s[30:31], v[46:47]
	v_add_f64 v[42:43], v[44:45], v[48:49]
	v_add_f64 v[44:45], v[42:43], -v[44:45]
	v_add_f64 v[44:45], v[48:49], -v[44:45]
	v_cvt_i32_f64_e32 v40, v[46:47]
.LBB254_241:                            ;   in Loop: Header=BB254_233 Depth=1
	s_or_b64 exec, exec, s[0:1]
                                        ; implicit-def: $vgpr54
                                        ; implicit-def: $vgpr46_vgpr47
                                        ; implicit-def: $vgpr48_vgpr49
	s_and_saveexec_b64 s[0:1], s[86:87]
	s_xor_b64 s[86:87], exec, s[0:1]
	s_cbranch_execz .LBB254_243
; %bb.242:                              ;   in Loop: Header=BB254_233 Depth=1
	v_and_b32_e32 v17, 0x7fffffff, v7
	v_ldexp_f64 v[54:55], |v[6:7]|, s95
	v_cmp_ge_f64_e64 vcc, |v[6:7]|, s[8:9]
	v_trig_preop_f64 v[46:47], |v[6:7]|, 0
	v_cndmask_b32_e32 v55, v17, v55, vcc
	v_cndmask_b32_e32 v54, v6, v54, vcc
	v_trig_preop_f64 v[48:49], |v[6:7]|, 1
	v_mul_f64 v[58:59], v[46:47], v[54:55]
	v_mul_f64 v[56:57], v[48:49], v[54:55]
	v_fma_f64 v[46:47], v[46:47], v[54:55], -v[58:59]
	v_add_f64 v[60:61], v[56:57], v[46:47]
	v_add_f64 v[62:63], v[58:59], v[60:61]
	v_ldexp_f64 v[64:65], v[62:63], -2
	v_fract_f64_e32 v[66:67], v[64:65]
	v_cmp_neq_f64_e64 vcc, |v[64:65]|, s[10:11]
	v_cndmask_b32_e32 v65, 0, v67, vcc
	v_cndmask_b32_e32 v64, 0, v66, vcc
	v_add_f64 v[66:67], v[60:61], -v[56:57]
	v_add_f64 v[46:47], v[46:47], -v[66:67]
	;; [unrolled: 1-line block ×4, first 2 shown]
	v_fma_f64 v[48:49], v[48:49], v[54:55], -v[56:57]
	v_trig_preop_f64 v[56:57], |v[6:7]|, 2
	v_add_f64 v[46:47], v[46:47], v[66:67]
	v_mul_f64 v[66:67], v[56:57], v[54:55]
	v_add_f64 v[68:69], v[66:67], v[48:49]
	v_add_f64 v[70:71], v[68:69], v[46:47]
	v_add_f64 v[58:59], v[62:63], -v[58:59]
	v_add_f64 v[62:63], v[70:71], -v[68:69]
	;; [unrolled: 1-line block ×5, first 2 shown]
	v_add_f64 v[46:47], v[46:47], v[62:63]
	v_add_f64 v[62:63], v[68:69], -v[66:67]
	v_add_f64 v[48:49], v[48:49], -v[62:63]
	;; [unrolled: 1-line block ×4, first 2 shown]
	v_add_f64 v[48:49], v[48:49], v[62:63]
	v_add_f64 v[58:59], v[60:61], -v[58:59]
	v_add_f64 v[46:47], v[48:49], v[46:47]
	v_fma_f64 v[48:49], v[56:57], v[54:55], -v[66:67]
	v_add_f64 v[60:61], v[58:59], v[70:71]
	v_add_f64 v[46:47], v[48:49], v[46:47]
	v_ldexp_f64 v[48:49], v[64:65], 2
	v_add_f64 v[54:55], v[60:61], v[48:49]
	v_cmp_gt_f64_e32 vcc, 0, v[54:55]
	v_cndmask_b32_e32 v17, 0, v50, vcc
	v_add_f64 v[48:49], v[48:49], v[16:17]
	v_add_f64 v[54:55], v[60:61], v[48:49]
	v_cvt_i32_f64_e32 v17, v[54:55]
	v_cvt_f64_i32_e32 v[54:55], v17
	v_add_f64 v[48:49], v[48:49], -v[54:55]
	v_add_f64 v[58:59], v[60:61], -v[58:59]
	v_add_f64 v[56:57], v[60:61], v[48:49]
	v_add_f64 v[58:59], v[70:71], -v[58:59]
	v_add_f64 v[48:49], v[56:57], -v[48:49]
	v_cmp_le_f64_e32 vcc, 0.5, v[56:57]
	v_add_f64 v[46:47], v[58:59], v[46:47]
	v_add_f64 v[48:49], v[60:61], -v[48:49]
	v_addc_co_u32_e64 v54, s[0:1], 0, v17, vcc
	v_cndmask_b32_e32 v17, 0, v51, vcc
	v_add_f64 v[46:47], v[46:47], v[48:49]
	v_add_f64 v[48:49], v[56:57], -v[16:17]
	v_add_f64 v[56:57], v[48:49], v[46:47]
	v_add_f64 v[48:49], v[56:57], -v[48:49]
	s_mov_b32 s12, s20
	v_add_f64 v[46:47], v[46:47], -v[48:49]
	v_mul_f64 v[48:49], v[56:57], s[12:13]
	v_fma_f64 v[58:59], v[56:57], s[12:13], -v[48:49]
	s_mov_b32 s25, s23
	v_fmac_f64_e32 v[58:59], s[24:25], v[56:57]
	v_fmac_f64_e32 v[58:59], s[12:13], v[46:47]
	v_add_f64 v[46:47], v[48:49], v[58:59]
	v_add_f64 v[48:49], v[46:47], -v[48:49]
	v_add_f64 v[48:49], v[58:59], -v[48:49]
	s_andn2_saveexec_b64 s[0:1], s[86:87]
	s_cbranch_execnz .LBB254_244
	s_branch .LBB254_245
.LBB254_243:                            ;   in Loop: Header=BB254_233 Depth=1
	s_andn2_saveexec_b64 s[0:1], s[86:87]
	s_cbranch_execz .LBB254_245
.LBB254_244:                            ;   in Loop: Header=BB254_233 Depth=1
	v_mul_f64 v[46:47], |v[6:7]|, s[26:27]
	v_rndne_f64_e32 v[54:55], v[46:47]
	v_fma_f64 v[46:47], v[54:55], s[20:21], |v[6:7]|
	v_mul_f64 v[56:57], v[54:55], s[28:29]
	v_add_f64 v[60:61], v[46:47], v[56:57]
	v_fma_f64 v[48:49], s[28:29], v[54:55], v[46:47]
	s_mov_b32 s22, s28
	v_add_f64 v[46:47], v[46:47], -v[60:61]
	v_fma_f64 v[58:59], s[22:23], v[54:55], v[56:57]
	v_add_f64 v[46:47], v[46:47], v[56:57]
	v_add_f64 v[56:57], v[60:61], -v[48:49]
	v_add_f64 v[46:47], v[56:57], v[46:47]
	v_add_f64 v[56:57], v[46:47], -v[58:59]
	v_fmac_f64_e32 v[56:57], s[30:31], v[54:55]
	v_add_f64 v[46:47], v[48:49], v[56:57]
	v_add_f64 v[48:49], v[46:47], -v[48:49]
	v_add_f64 v[48:49], v[56:57], -v[48:49]
	v_cvt_i32_f64_e32 v54, v[54:55]
.LBB254_245:                            ;   in Loop: Header=BB254_233 Depth=1
	s_or_b64 exec, exec, s[0:1]
	s_mov_b32 s34, s36
	v_mul_f64 v[56:57], v[4:5], s[34:35]
	v_rndne_f64_e32 v[56:57], v[56:57]
	v_fma_f64 v[58:59], v[56:57], s[38:39], -v[4:5]
	v_fmac_f64_e32 v[58:59], s[40:41], v[56:57]
	v_pk_mov_b32 v[60:61], v[22:23], v[22:23] op_sel:[0,1]
	v_fmac_f64_e32 v[60:61], s[42:43], v[58:59]
	v_pk_mov_b32 v[62:63], v[24:25], v[24:25] op_sel:[0,1]
	;; [unrolled: 2-line block ×9, first 2 shown]
	v_fmac_f64_e32 v[60:61], v[58:59], v[62:63]
	v_fma_f64 v[60:61], v[58:59], v[60:61], 1.0
	v_fma_f64 v[58:59], v[58:59], v[60:61], 1.0
	v_cvt_i32_f64_e32 v17, v[56:57]
	v_ldexp_f64 v[56:57], v[58:59], v17
	v_cmp_ngt_f64_e32 vcc, s[48:49], v[4:5]
	v_cmp_nlt_f64_e64 s[0:1], s[50:51], v[4:5]
	v_cndmask_b32_e32 v17, v52, v57, vcc
	s_and_b64 vcc, s[0:1], vcc
	v_cndmask_b32_e32 v4, 0, v56, vcc
	v_mul_f64 v[56:57], v[42:43], v[42:43]
	v_pk_mov_b32 v[64:65], s[52:53], s[52:53] op_sel:[0,1]
	v_mul_f64 v[58:59], v[56:57], 0.5
	v_fma_f64 v[66:67], s[54:55], v[56:57], v[64:65]
	v_add_f64 v[60:61], -v[58:59], 1.0
	v_fma_f64 v[66:67], v[56:57], v[66:67], s[56:57]
	v_add_f64 v[62:63], -v[60:61], 1.0
	v_fma_f64 v[66:67], v[56:57], v[66:67], s[58:59]
	v_add_f64 v[58:59], v[62:63], -v[58:59]
	v_fma_f64 v[66:67], v[56:57], v[66:67], s[60:61]
	v_mul_f64 v[62:63], v[56:57], v[56:57]
	v_fma_f64 v[66:67], v[56:57], v[66:67], s[46:47]
	v_fma_f64 v[58:59], v[42:43], -v[44:45], v[58:59]
	v_fmac_f64_e32 v[58:59], v[62:63], v[66:67]
	v_add_f64 v[58:59], v[60:61], v[58:59]
	v_pk_mov_b32 v[60:61], s[62:63], s[62:63] op_sel:[0,1]
	v_fma_f64 v[62:63], s[64:65], v[56:57], v[60:61]
	v_fma_f64 v[62:63], v[56:57], v[62:63], s[66:67]
	;; [unrolled: 1-line block ×4, first 2 shown]
	v_mul_f64 v[66:67], v[42:43], -v[56:57]
	v_mul_f64 v[68:69], v[44:45], 0.5
	v_fmac_f64_e32 v[68:69], v[66:67], v[62:63]
	v_fma_f64 v[44:45], v[56:57], v[68:69], -v[44:45]
	s_mov_b32 s70, s46
	v_fmac_f64_e32 v[44:45], s[70:71], v[66:67]
	v_add_f64 v[42:43], v[42:43], -v[44:45]
	v_cndmask_b32_e64 v5, 0, v17, s[0:1]
	v_xor_b32_e32 v17, 0x80000000, v43
	v_and_b32_e32 v43, 1, v40
	v_cmp_eq_u32_e32 vcc, 0, v43
	v_lshlrev_b32_e32 v40, 30, v40
	v_cndmask_b32_e32 v17, v17, v59, vcc
	v_and_b32_e32 v40, 0x80000000, v40
	v_cndmask_b32_e32 v42, v42, v58, vcc
	v_xor_b32_e32 v17, v17, v40
	v_cmp_class_f64_e64 vcc, v[6:7], s72
	v_cndmask_b32_e32 v6, 0, v42, vcc
	v_cndmask_b32_e32 v7, v53, v17, vcc
	v_mul_f64 v[42:43], v[4:5], v[6:7]
	v_mul_f64 v[6:7], v[46:47], v[46:47]
	v_mul_f64 v[44:45], v[6:7], 0.5
	v_fmac_f64_e32 v[64:65], s[54:55], v[6:7]
	v_add_f64 v[56:57], -v[44:45], 1.0
	v_fma_f64 v[62:63], v[6:7], v[64:65], s[56:57]
	v_add_f64 v[58:59], -v[56:57], 1.0
	v_fma_f64 v[62:63], v[6:7], v[62:63], s[58:59]
	v_add_f64 v[44:45], v[58:59], -v[44:45]
	v_fma_f64 v[62:63], v[6:7], v[62:63], s[60:61]
	v_mul_f64 v[58:59], v[6:7], v[6:7]
	v_fma_f64 v[62:63], v[6:7], v[62:63], s[46:47]
	v_fma_f64 v[44:45], v[46:47], -v[48:49], v[44:45]
	v_fmac_f64_e32 v[44:45], v[58:59], v[62:63]
	v_fmac_f64_e32 v[60:61], s[64:65], v[6:7]
	v_add_f64 v[44:45], v[56:57], v[44:45]
	v_fma_f64 v[56:57], v[6:7], v[60:61], s[66:67]
	v_fma_f64 v[56:57], v[6:7], v[56:57], s[68:69]
	;; [unrolled: 1-line block ×3, first 2 shown]
	v_mul_f64 v[58:59], v[46:47], -v[6:7]
	v_mul_f64 v[60:61], v[48:49], 0.5
	v_fmac_f64_e32 v[60:61], v[58:59], v[56:57]
	v_fma_f64 v[6:7], v[6:7], v[60:61], -v[48:49]
	v_and_b32_e32 v17, 1, v54
	v_fmac_f64_e32 v[6:7], s[70:71], v[58:59]
	v_cmp_eq_u32_e64 s[0:1], 0, v17
	v_lshlrev_b32_e32 v17, 30, v54
	v_add_f64 v[6:7], v[46:47], -v[6:7]
	v_xor_b32_e32 v17, v17, v41
	v_cndmask_b32_e64 v7, v45, v7, s[0:1]
	v_and_b32_e32 v17, 0x80000000, v17
	v_cndmask_b32_e64 v6, v44, v6, s[0:1]
	v_xor_b32_e32 v7, v7, v17
	v_cndmask_b32_e32 v6, 0, v6, vcc
	v_cndmask_b32_e32 v7, v53, v7, vcc
	v_mul_f64 v[40:41], v[4:5], v[6:7]
                                        ; implicit-def: $vgpr6_vgpr7
.LBB254_246:                            ;   in Loop: Header=BB254_233 Depth=1
	s_andn2_saveexec_b64 s[86:87], s[2:3]
	s_cbranch_execz .LBB254_249
; %bb.247:                              ;   in Loop: Header=BB254_233 Depth=1
	v_cmp_nlt_f64_e64 s[2:3], |v[6:7]|, s[6:7]
                                        ; implicit-def: $vgpr40
                                        ; implicit-def: $vgpr42_vgpr43
                                        ; implicit-def: $vgpr44_vgpr45
	s_and_saveexec_b64 s[0:1], s[2:3]
	s_xor_b64 s[88:89], exec, s[0:1]
	s_cbranch_execz .LBB254_250
; %bb.248:                              ;   in Loop: Header=BB254_233 Depth=1
	v_and_b32_e32 v17, 0x7fffffff, v7
	v_ldexp_f64 v[46:47], |v[6:7]|, s95
	v_cmp_ge_f64_e64 vcc, |v[6:7]|, s[8:9]
	v_trig_preop_f64 v[42:43], |v[6:7]|, 0
	v_cndmask_b32_e32 v47, v17, v47, vcc
	v_cndmask_b32_e32 v46, v6, v46, vcc
	v_trig_preop_f64 v[44:45], |v[6:7]|, 1
	v_mul_f64 v[54:55], v[42:43], v[46:47]
	v_mul_f64 v[48:49], v[44:45], v[46:47]
	v_fma_f64 v[42:43], v[42:43], v[46:47], -v[54:55]
	v_add_f64 v[56:57], v[48:49], v[42:43]
	v_add_f64 v[58:59], v[54:55], v[56:57]
	v_ldexp_f64 v[60:61], v[58:59], -2
	v_fract_f64_e32 v[62:63], v[60:61]
	v_cmp_neq_f64_e64 vcc, |v[60:61]|, s[10:11]
	v_cndmask_b32_e32 v61, 0, v63, vcc
	v_cndmask_b32_e32 v60, 0, v62, vcc
	v_add_f64 v[62:63], v[56:57], -v[48:49]
	v_add_f64 v[42:43], v[42:43], -v[62:63]
	;; [unrolled: 1-line block ×4, first 2 shown]
	v_fma_f64 v[44:45], v[44:45], v[46:47], -v[48:49]
	v_trig_preop_f64 v[48:49], |v[6:7]|, 2
	v_add_f64 v[42:43], v[42:43], v[62:63]
	v_mul_f64 v[62:63], v[48:49], v[46:47]
	v_add_f64 v[64:65], v[62:63], v[44:45]
	v_add_f64 v[66:67], v[64:65], v[42:43]
	v_add_f64 v[54:55], v[58:59], -v[54:55]
	v_add_f64 v[58:59], v[66:67], -v[64:65]
	;; [unrolled: 1-line block ×5, first 2 shown]
	v_add_f64 v[42:43], v[42:43], v[58:59]
	v_add_f64 v[58:59], v[64:65], -v[62:63]
	v_add_f64 v[44:45], v[44:45], -v[58:59]
	;; [unrolled: 1-line block ×4, first 2 shown]
	v_add_f64 v[44:45], v[44:45], v[58:59]
	v_add_f64 v[54:55], v[56:57], -v[54:55]
	v_add_f64 v[42:43], v[44:45], v[42:43]
	v_fma_f64 v[44:45], v[48:49], v[46:47], -v[62:63]
	v_add_f64 v[56:57], v[54:55], v[66:67]
	v_add_f64 v[42:43], v[44:45], v[42:43]
	v_ldexp_f64 v[44:45], v[60:61], 2
	v_add_f64 v[46:47], v[56:57], v[44:45]
	v_cmp_gt_f64_e32 vcc, 0, v[46:47]
	v_cndmask_b32_e32 v17, 0, v50, vcc
	v_add_f64 v[44:45], v[44:45], v[16:17]
	v_add_f64 v[46:47], v[56:57], v[44:45]
	v_cvt_i32_f64_e32 v17, v[46:47]
	v_cvt_f64_i32_e32 v[46:47], v17
	v_add_f64 v[44:45], v[44:45], -v[46:47]
	v_add_f64 v[54:55], v[56:57], -v[54:55]
	v_add_f64 v[46:47], v[56:57], v[44:45]
	v_add_f64 v[54:55], v[66:67], -v[54:55]
	v_add_f64 v[44:45], v[46:47], -v[44:45]
	v_cmp_le_f64_e32 vcc, 0.5, v[46:47]
	v_add_f64 v[42:43], v[54:55], v[42:43]
	v_add_f64 v[44:45], v[56:57], -v[44:45]
	v_addc_co_u32_e64 v40, s[0:1], 0, v17, vcc
	v_cndmask_b32_e32 v17, 0, v51, vcc
	v_add_f64 v[42:43], v[42:43], v[44:45]
	v_add_f64 v[44:45], v[46:47], -v[16:17]
	v_add_f64 v[46:47], v[44:45], v[42:43]
	v_add_f64 v[44:45], v[46:47], -v[44:45]
	s_mov_b32 s12, s20
	v_add_f64 v[42:43], v[42:43], -v[44:45]
	v_mul_f64 v[44:45], v[46:47], s[12:13]
	v_fma_f64 v[48:49], v[46:47], s[12:13], -v[44:45]
	s_mov_b32 s25, s23
	v_fmac_f64_e32 v[48:49], s[24:25], v[46:47]
	v_fmac_f64_e32 v[48:49], s[12:13], v[42:43]
	v_add_f64 v[42:43], v[44:45], v[48:49]
	v_add_f64 v[44:45], v[42:43], -v[44:45]
	v_add_f64 v[44:45], v[48:49], -v[44:45]
	s_andn2_saveexec_b64 s[0:1], s[88:89]
	s_cbranch_execz .LBB254_252
	s_branch .LBB254_251
.LBB254_249:                            ;   in Loop: Header=BB254_233 Depth=1
	s_or_b64 exec, exec, s[86:87]
                                        ; implicit-def: $vgpr44_vgpr45
                                        ; implicit-def: $vgpr4_vgpr5
                                        ; implicit-def: $vgpr17
	s_andn2_saveexec_b64 s[2:3], s[84:85]
	s_cbranch_execnz .LBB254_258
	s_branch .LBB254_263
.LBB254_250:                            ;   in Loop: Header=BB254_233 Depth=1
	s_andn2_saveexec_b64 s[0:1], s[88:89]
	s_cbranch_execz .LBB254_252
.LBB254_251:                            ;   in Loop: Header=BB254_233 Depth=1
	v_mul_f64 v[42:43], |v[6:7]|, s[26:27]
	v_rndne_f64_e32 v[46:47], v[42:43]
	v_fma_f64 v[42:43], v[46:47], s[20:21], |v[6:7]|
	v_mul_f64 v[48:49], v[46:47], s[28:29]
	v_add_f64 v[56:57], v[42:43], v[48:49]
	v_fma_f64 v[44:45], s[28:29], v[46:47], v[42:43]
	s_mov_b32 s22, s28
	v_add_f64 v[42:43], v[42:43], -v[56:57]
	v_fma_f64 v[54:55], s[22:23], v[46:47], v[48:49]
	v_add_f64 v[42:43], v[42:43], v[48:49]
	v_add_f64 v[48:49], v[56:57], -v[44:45]
	v_add_f64 v[42:43], v[48:49], v[42:43]
	v_add_f64 v[48:49], v[42:43], -v[54:55]
	v_fmac_f64_e32 v[48:49], s[30:31], v[46:47]
	v_add_f64 v[42:43], v[44:45], v[48:49]
	v_add_f64 v[44:45], v[42:43], -v[44:45]
	v_add_f64 v[44:45], v[48:49], -v[44:45]
	v_cvt_i32_f64_e32 v40, v[46:47]
.LBB254_252:                            ;   in Loop: Header=BB254_233 Depth=1
	s_or_b64 exec, exec, s[0:1]
                                        ; implicit-def: $vgpr54
                                        ; implicit-def: $vgpr46_vgpr47
                                        ; implicit-def: $vgpr48_vgpr49
	s_and_saveexec_b64 s[0:1], s[2:3]
	s_xor_b64 s[2:3], exec, s[0:1]
	s_cbranch_execz .LBB254_254
; %bb.253:                              ;   in Loop: Header=BB254_233 Depth=1
	v_and_b32_e32 v17, 0x7fffffff, v7
	v_ldexp_f64 v[54:55], |v[6:7]|, s95
	v_cmp_ge_f64_e64 vcc, |v[6:7]|, s[8:9]
	v_trig_preop_f64 v[46:47], |v[6:7]|, 0
	v_cndmask_b32_e32 v55, v17, v55, vcc
	v_cndmask_b32_e32 v54, v6, v54, vcc
	v_trig_preop_f64 v[48:49], |v[6:7]|, 1
	v_mul_f64 v[58:59], v[46:47], v[54:55]
	v_mul_f64 v[56:57], v[48:49], v[54:55]
	v_fma_f64 v[46:47], v[46:47], v[54:55], -v[58:59]
	v_add_f64 v[60:61], v[56:57], v[46:47]
	v_add_f64 v[62:63], v[58:59], v[60:61]
	v_ldexp_f64 v[64:65], v[62:63], -2
	v_fract_f64_e32 v[66:67], v[64:65]
	v_cmp_neq_f64_e64 vcc, |v[64:65]|, s[10:11]
	v_cndmask_b32_e32 v65, 0, v67, vcc
	v_cndmask_b32_e32 v64, 0, v66, vcc
	v_add_f64 v[66:67], v[60:61], -v[56:57]
	v_add_f64 v[46:47], v[46:47], -v[66:67]
	v_add_f64 v[66:67], v[60:61], -v[66:67]
	v_add_f64 v[66:67], v[56:57], -v[66:67]
	v_fma_f64 v[48:49], v[48:49], v[54:55], -v[56:57]
	v_trig_preop_f64 v[56:57], |v[6:7]|, 2
	v_add_f64 v[46:47], v[46:47], v[66:67]
	v_mul_f64 v[66:67], v[56:57], v[54:55]
	v_add_f64 v[68:69], v[66:67], v[48:49]
	v_add_f64 v[70:71], v[68:69], v[46:47]
	v_add_f64 v[58:59], v[62:63], -v[58:59]
	v_add_f64 v[62:63], v[70:71], -v[68:69]
	v_add_f64 v[46:47], v[46:47], -v[62:63]
	v_add_f64 v[62:63], v[70:71], -v[62:63]
	v_add_f64 v[62:63], v[68:69], -v[62:63]
	v_add_f64 v[46:47], v[46:47], v[62:63]
	v_add_f64 v[62:63], v[68:69], -v[66:67]
	v_add_f64 v[48:49], v[48:49], -v[62:63]
	;; [unrolled: 1-line block ×4, first 2 shown]
	v_add_f64 v[48:49], v[48:49], v[62:63]
	v_add_f64 v[58:59], v[60:61], -v[58:59]
	v_add_f64 v[46:47], v[48:49], v[46:47]
	v_fma_f64 v[48:49], v[56:57], v[54:55], -v[66:67]
	v_add_f64 v[60:61], v[58:59], v[70:71]
	v_add_f64 v[46:47], v[48:49], v[46:47]
	v_ldexp_f64 v[48:49], v[64:65], 2
	v_add_f64 v[54:55], v[60:61], v[48:49]
	v_cmp_gt_f64_e32 vcc, 0, v[54:55]
	v_cndmask_b32_e32 v17, 0, v50, vcc
	v_add_f64 v[48:49], v[48:49], v[16:17]
	v_add_f64 v[54:55], v[60:61], v[48:49]
	v_cvt_i32_f64_e32 v17, v[54:55]
	v_cvt_f64_i32_e32 v[54:55], v17
	v_add_f64 v[48:49], v[48:49], -v[54:55]
	v_add_f64 v[58:59], v[60:61], -v[58:59]
	v_add_f64 v[56:57], v[60:61], v[48:49]
	v_add_f64 v[58:59], v[70:71], -v[58:59]
	v_add_f64 v[48:49], v[56:57], -v[48:49]
	v_cmp_le_f64_e32 vcc, 0.5, v[56:57]
	v_add_f64 v[46:47], v[58:59], v[46:47]
	v_add_f64 v[48:49], v[60:61], -v[48:49]
	v_addc_co_u32_e64 v54, s[0:1], 0, v17, vcc
	v_cndmask_b32_e32 v17, 0, v51, vcc
	v_add_f64 v[46:47], v[46:47], v[48:49]
	v_add_f64 v[48:49], v[56:57], -v[16:17]
	v_add_f64 v[56:57], v[48:49], v[46:47]
	v_add_f64 v[48:49], v[56:57], -v[48:49]
	s_mov_b32 s12, s20
	v_add_f64 v[46:47], v[46:47], -v[48:49]
	v_mul_f64 v[48:49], v[56:57], s[12:13]
	v_fma_f64 v[58:59], v[56:57], s[12:13], -v[48:49]
	s_mov_b32 s25, s23
	v_fmac_f64_e32 v[58:59], s[24:25], v[56:57]
	v_fmac_f64_e32 v[58:59], s[12:13], v[46:47]
	v_add_f64 v[46:47], v[48:49], v[58:59]
	v_add_f64 v[48:49], v[46:47], -v[48:49]
	v_add_f64 v[48:49], v[58:59], -v[48:49]
	s_andn2_saveexec_b64 s[0:1], s[2:3]
	s_cbranch_execnz .LBB254_255
	s_branch .LBB254_256
.LBB254_254:                            ;   in Loop: Header=BB254_233 Depth=1
	s_andn2_saveexec_b64 s[0:1], s[2:3]
	s_cbranch_execz .LBB254_256
.LBB254_255:                            ;   in Loop: Header=BB254_233 Depth=1
	v_mul_f64 v[46:47], |v[6:7]|, s[26:27]
	v_rndne_f64_e32 v[54:55], v[46:47]
	v_fma_f64 v[46:47], v[54:55], s[20:21], |v[6:7]|
	v_mul_f64 v[56:57], v[54:55], s[28:29]
	v_add_f64 v[60:61], v[46:47], v[56:57]
	v_fma_f64 v[48:49], s[28:29], v[54:55], v[46:47]
	s_mov_b32 s22, s28
	v_add_f64 v[46:47], v[46:47], -v[60:61]
	v_fma_f64 v[58:59], s[22:23], v[54:55], v[56:57]
	v_add_f64 v[46:47], v[46:47], v[56:57]
	v_add_f64 v[56:57], v[60:61], -v[48:49]
	v_add_f64 v[46:47], v[56:57], v[46:47]
	v_add_f64 v[56:57], v[46:47], -v[58:59]
	v_fmac_f64_e32 v[56:57], s[30:31], v[54:55]
	v_add_f64 v[46:47], v[48:49], v[56:57]
	v_add_f64 v[48:49], v[46:47], -v[48:49]
	v_add_f64 v[48:49], v[56:57], -v[48:49]
	v_cvt_i32_f64_e32 v54, v[54:55]
.LBB254_256:                            ;   in Loop: Header=BB254_233 Depth=1
	s_or_b64 exec, exec, s[0:1]
	v_mul_f64 v[56:57], v[42:43], v[42:43]
	v_pk_mov_b32 v[64:65], s[52:53], s[52:53] op_sel:[0,1]
	v_mul_f64 v[58:59], v[56:57], 0.5
	v_fma_f64 v[66:67], s[54:55], v[56:57], v[64:65]
	v_add_f64 v[60:61], -v[58:59], 1.0
	v_fma_f64 v[66:67], v[56:57], v[66:67], s[56:57]
	v_fma_f64 v[66:67], v[56:57], v[66:67], s[58:59]
	v_add_f64 v[68:69], -v[60:61], 1.0
	v_fma_f64 v[66:67], v[56:57], v[66:67], s[60:61]
	v_add_f64 v[58:59], v[68:69], -v[58:59]
	v_mul_f64 v[62:63], v[56:57], v[56:57]
	v_fma_f64 v[66:67], v[56:57], v[66:67], s[46:47]
	v_fma_f64 v[58:59], v[42:43], -v[44:45], v[58:59]
	v_fmac_f64_e32 v[58:59], v[62:63], v[66:67]
	v_pk_mov_b32 v[62:63], s[62:63], s[62:63] op_sel:[0,1]
	v_fma_f64 v[66:67], s[64:65], v[56:57], v[62:63]
	v_fma_f64 v[66:67], v[56:57], v[66:67], s[66:67]
	;; [unrolled: 1-line block ×3, first 2 shown]
	v_add_f64 v[58:59], v[60:61], v[58:59]
	v_mul_f64 v[60:61], v[42:43], -v[56:57]
	v_fma_f64 v[66:67], v[56:57], v[66:67], s[44:45]
	v_mul_f64 v[68:69], v[44:45], 0.5
	v_fmac_f64_e32 v[68:69], v[60:61], v[66:67]
	v_fma_f64 v[44:45], v[56:57], v[68:69], -v[44:45]
	s_mov_b32 s70, s46
	v_fmac_f64_e32 v[44:45], s[70:71], v[60:61]
	v_and_b32_e32 v17, 1, v40
	v_add_f64 v[42:43], v[42:43], -v[44:45]
	s_mov_b32 s0, 0x19ba0da4
	v_xor_b32_e32 v43, 0x80000000, v43
	v_cmp_eq_u32_e32 vcc, 0, v17
	v_lshlrev_b32_e32 v40, 30, v40
	s_mov_b32 s1, 0xc0937be3
	v_cndmask_b32_e32 v17, v42, v58, vcc
	v_cndmask_b32_e32 v42, v43, v59, vcc
	v_and_b32_e32 v40, 0x80000000, v40
	v_add_f64 v[4:5], -v[4:5], s[0:1]
	v_xor_b32_e32 v40, v42, v40
	v_mul_f64 v[42:43], v[4:5], s[36:37]
	v_rndne_f64_e32 v[42:43], v[42:43]
	v_fma_f64 v[44:45], s[38:39], v[42:43], v[4:5]
	v_fmac_f64_e32 v[44:45], s[40:41], v[42:43]
	v_pk_mov_b32 v[56:57], v[22:23], v[22:23] op_sel:[0,1]
	v_fmac_f64_e32 v[56:57], s[42:43], v[44:45]
	v_pk_mov_b32 v[58:59], v[24:25], v[24:25] op_sel:[0,1]
	;; [unrolled: 2-line block ×9, first 2 shown]
	v_fmac_f64_e32 v[56:57], v[44:45], v[58:59]
	v_cmp_class_f64_e64 vcc, v[6:7], s72
	v_fma_f64 v[56:57], v[44:45], v[56:57], 1.0
	v_cndmask_b32_e32 v6, 0, v17, vcc
	v_fma_f64 v[44:45], v[44:45], v[56:57], 1.0
	v_cvt_i32_f64_e32 v17, v[42:43]
	v_ldexp_f64 v[42:43], v[44:45], v17
	v_cmp_nlt_f64_e64 s[0:1], s[74:75], v[4:5]
	v_cndmask_b32_e64 v17, v52, v43, s[0:1]
	v_cmp_ngt_f64_e64 s[2:3], s[76:77], v[4:5]
	v_cndmask_b32_e64 v17, 0, v17, s[2:3]
	v_and_b32_e32 v5, 0xfffff, v17
	v_lshrrev_b32_e32 v17, 20, v17
	v_cndmask_b32_e32 v7, v53, v40, vcc
	v_add_u32_e32 v40, 0xffffff09, v17
	v_lshrrev_b16_e32 v17, 15, v40
	v_add_u16_e32 v17, v40, v17
	s_and_b64 s[0:1], s[2:3], s[0:1]
	v_ashrrev_i16_e32 v17, 1, v17
	v_cndmask_b32_e64 v4, 0, v42, s[0:1]
	v_or_b32_e32 v5, 0x7fe00000, v5
	v_bfe_i32 v42, v17, 0, 16
	v_mul_f64 v[6:7], v[4:5], v[6:7]
	v_lshl_add_u32 v17, v42, 20, v51
	v_sub_u32_e32 v40, v40, v42
	v_mul_f64 v[6:7], v[6:7], v[16:17]
	v_lshl_add_u32 v45, v40, 20, v51
	v_mov_b32_e32 v44, v16
	v_mul_f64 v[42:43], v[6:7], v[44:45]
	v_mul_f64 v[6:7], v[46:47], v[46:47]
	v_mul_f64 v[56:57], v[6:7], 0.5
	v_fmac_f64_e32 v[64:65], s[54:55], v[6:7]
	v_add_f64 v[58:59], -v[56:57], 1.0
	v_fma_f64 v[64:65], v[6:7], v[64:65], s[56:57]
	v_add_f64 v[60:61], -v[58:59], 1.0
	v_fma_f64 v[64:65], v[6:7], v[64:65], s[58:59]
	v_add_f64 v[56:57], v[60:61], -v[56:57]
	v_fma_f64 v[64:65], v[6:7], v[64:65], s[60:61]
	v_mul_f64 v[60:61], v[6:7], v[6:7]
	v_fma_f64 v[64:65], v[6:7], v[64:65], s[46:47]
	v_fma_f64 v[56:57], v[46:47], -v[48:49], v[56:57]
	v_fmac_f64_e32 v[56:57], v[60:61], v[64:65]
	v_fmac_f64_e32 v[62:63], s[64:65], v[6:7]
	v_add_f64 v[56:57], v[58:59], v[56:57]
	v_fma_f64 v[58:59], v[6:7], v[62:63], s[66:67]
	v_fma_f64 v[58:59], v[6:7], v[58:59], s[68:69]
	;; [unrolled: 1-line block ×3, first 2 shown]
	v_mul_f64 v[60:61], v[46:47], -v[6:7]
	v_mul_f64 v[62:63], v[48:49], 0.5
	v_fmac_f64_e32 v[62:63], v[60:61], v[58:59]
	v_fma_f64 v[6:7], v[6:7], v[62:63], -v[48:49]
	v_and_b32_e32 v40, 1, v54
	v_fmac_f64_e32 v[6:7], s[70:71], v[60:61]
	v_cmp_eq_u32_e64 s[0:1], 0, v40
	v_lshlrev_b32_e32 v40, 30, v54
	v_add_f64 v[6:7], v[46:47], -v[6:7]
	v_xor_b32_e32 v40, v40, v41
	v_cndmask_b32_e64 v7, v57, v7, s[0:1]
	v_and_b32_e32 v40, 0x80000000, v40
	v_cndmask_b32_e64 v6, v56, v6, s[0:1]
	v_xor_b32_e32 v7, v7, v40
	v_cndmask_b32_e32 v6, 0, v6, vcc
	v_cndmask_b32_e32 v7, v53, v7, vcc
	v_mul_f64 v[4:5], v[4:5], v[6:7]
	v_mul_f64 v[4:5], v[4:5], v[16:17]
	;; [unrolled: 1-line block ×3, first 2 shown]
	s_or_b64 exec, exec, s[86:87]
                                        ; implicit-def: $vgpr44_vgpr45
                                        ; implicit-def: $vgpr4_vgpr5
                                        ; implicit-def: $vgpr17
.LBB254_257:                            ;   in Loop: Header=BB254_233 Depth=1
	s_andn2_saveexec_b64 s[2:3], s[84:85]
	s_cbranch_execz .LBB254_263
.LBB254_258:                            ;   in Loop: Header=BB254_233 Depth=1
	v_cmp_ne_u32_e32 vcc, 0, v44
	v_cmp_ne_u32_e64 s[0:1], s93, v17
	s_or_b64 s[0:1], vcc, s[0:1]
	v_add_f64 v[40:41], v[6:7], -v[6:7]
	s_and_saveexec_b64 s[84:85], s[0:1]
	s_xor_b64 s[0:1], exec, s[84:85]
; %bb.259:                              ;   in Loop: Header=BB254_233 Depth=1
                                        ; implicit-def: $vgpr44_vgpr45
                                        ; implicit-def: $vgpr4_vgpr5
; %bb.260:                              ;   in Loop: Header=BB254_233 Depth=1
	s_or_saveexec_b64 s[0:1], s[0:1]
	v_pk_mov_b32 v[42:43], v[40:41], v[40:41] op_sel:[0,1]
	s_xor_b64 exec, exec, s[0:1]
; %bb.261:                              ;   in Loop: Header=BB254_233 Depth=1
	v_cmp_lt_i64_e32 vcc, -1, v[44:45]
	v_cndmask_b32_e32 v43, 0, v45, vcc
	v_cndmask_b32_e32 v42, 0, v4, vcc
	;; [unrolled: 1-line block ×4, first 2 shown]
; %bb.262:                              ;   in Loop: Header=BB254_233 Depth=1
	s_or_b64 exec, exec, s[0:1]
.LBB254_263:                            ;   in Loop: Header=BB254_233 Depth=1
	s_or_b64 exec, exec, s[2:3]
                                        ; implicit-def: $vgpr6_vgpr7
.LBB254_264:                            ;   in Loop: Header=BB254_233 Depth=1
	s_andn2_saveexec_b64 s[2:3], s[82:83]
	s_cbranch_execz .LBB254_274
; %bb.265:                              ;   in Loop: Header=BB254_233 Depth=1
	v_cmp_nlt_f64_e64 s[82:83], |v[6:7]|, s[6:7]
                                        ; implicit-def: $vgpr40
                                        ; implicit-def: $vgpr4_vgpr5
                                        ; implicit-def: $vgpr42_vgpr43
	s_and_saveexec_b64 s[0:1], s[82:83]
	s_xor_b64 s[84:85], exec, s[0:1]
	s_cbranch_execz .LBB254_267
; %bb.266:                              ;   in Loop: Header=BB254_233 Depth=1
	v_and_b32_e32 v17, 0x7fffffff, v7
	v_ldexp_f64 v[44:45], |v[6:7]|, s95
	v_cmp_ge_f64_e64 vcc, |v[6:7]|, s[8:9]
	v_trig_preop_f64 v[4:5], |v[6:7]|, 0
	v_cndmask_b32_e32 v45, v17, v45, vcc
	v_cndmask_b32_e32 v44, v6, v44, vcc
	v_trig_preop_f64 v[42:43], |v[6:7]|, 1
	v_mul_f64 v[48:49], v[4:5], v[44:45]
	v_mul_f64 v[46:47], v[42:43], v[44:45]
	v_fma_f64 v[4:5], v[4:5], v[44:45], -v[48:49]
	v_add_f64 v[54:55], v[46:47], v[4:5]
	v_add_f64 v[56:57], v[48:49], v[54:55]
	v_ldexp_f64 v[58:59], v[56:57], -2
	v_fract_f64_e32 v[60:61], v[58:59]
	v_cmp_neq_f64_e64 vcc, |v[58:59]|, s[10:11]
	v_cndmask_b32_e32 v59, 0, v61, vcc
	v_cndmask_b32_e32 v58, 0, v60, vcc
	v_add_f64 v[60:61], v[54:55], -v[46:47]
	v_add_f64 v[4:5], v[4:5], -v[60:61]
	;; [unrolled: 1-line block ×4, first 2 shown]
	v_fma_f64 v[42:43], v[42:43], v[44:45], -v[46:47]
	v_trig_preop_f64 v[46:47], |v[6:7]|, 2
	v_add_f64 v[4:5], v[4:5], v[60:61]
	v_mul_f64 v[60:61], v[46:47], v[44:45]
	v_add_f64 v[62:63], v[60:61], v[42:43]
	v_add_f64 v[64:65], v[62:63], v[4:5]
	v_add_f64 v[48:49], v[56:57], -v[48:49]
	v_add_f64 v[56:57], v[64:65], -v[62:63]
	v_add_f64 v[4:5], v[4:5], -v[56:57]
	v_add_f64 v[56:57], v[64:65], -v[56:57]
	v_add_f64 v[56:57], v[62:63], -v[56:57]
	v_add_f64 v[4:5], v[4:5], v[56:57]
	v_add_f64 v[56:57], v[62:63], -v[60:61]
	v_add_f64 v[42:43], v[42:43], -v[56:57]
	v_add_f64 v[56:57], v[62:63], -v[56:57]
	v_add_f64 v[56:57], v[60:61], -v[56:57]
	v_add_f64 v[42:43], v[42:43], v[56:57]
	v_add_f64 v[48:49], v[54:55], -v[48:49]
	v_add_f64 v[4:5], v[42:43], v[4:5]
	v_fma_f64 v[42:43], v[46:47], v[44:45], -v[60:61]
	v_add_f64 v[54:55], v[48:49], v[64:65]
	v_add_f64 v[4:5], v[42:43], v[4:5]
	v_ldexp_f64 v[42:43], v[58:59], 2
	v_add_f64 v[44:45], v[54:55], v[42:43]
	v_cmp_gt_f64_e32 vcc, 0, v[44:45]
	v_cndmask_b32_e32 v17, 0, v50, vcc
	v_add_f64 v[42:43], v[42:43], v[16:17]
	v_add_f64 v[44:45], v[54:55], v[42:43]
	v_cvt_i32_f64_e32 v17, v[44:45]
	v_cvt_f64_i32_e32 v[44:45], v17
	v_add_f64 v[42:43], v[42:43], -v[44:45]
	v_add_f64 v[48:49], v[54:55], -v[48:49]
	v_add_f64 v[44:45], v[54:55], v[42:43]
	v_add_f64 v[48:49], v[64:65], -v[48:49]
	v_add_f64 v[42:43], v[44:45], -v[42:43]
	v_cmp_le_f64_e32 vcc, 0.5, v[44:45]
	v_add_f64 v[4:5], v[48:49], v[4:5]
	v_add_f64 v[42:43], v[54:55], -v[42:43]
	v_addc_co_u32_e64 v40, s[0:1], 0, v17, vcc
	v_cndmask_b32_e32 v17, 0, v51, vcc
	v_add_f64 v[4:5], v[4:5], v[42:43]
	v_add_f64 v[42:43], v[44:45], -v[16:17]
	v_add_f64 v[44:45], v[42:43], v[4:5]
	v_add_f64 v[42:43], v[44:45], -v[42:43]
	s_mov_b32 s12, s20
	v_add_f64 v[4:5], v[4:5], -v[42:43]
	v_mul_f64 v[42:43], v[44:45], s[12:13]
	v_fma_f64 v[46:47], v[44:45], s[12:13], -v[42:43]
	s_mov_b32 s25, s23
	v_fmac_f64_e32 v[46:47], s[24:25], v[44:45]
	v_fmac_f64_e32 v[46:47], s[12:13], v[4:5]
	v_add_f64 v[4:5], v[42:43], v[46:47]
	v_add_f64 v[42:43], v[4:5], -v[42:43]
	v_add_f64 v[42:43], v[46:47], -v[42:43]
	s_andn2_saveexec_b64 s[0:1], s[84:85]
	s_cbranch_execz .LBB254_269
	s_branch .LBB254_268
.LBB254_267:                            ;   in Loop: Header=BB254_233 Depth=1
	s_andn2_saveexec_b64 s[0:1], s[84:85]
	s_cbranch_execz .LBB254_269
.LBB254_268:                            ;   in Loop: Header=BB254_233 Depth=1
	v_mul_f64 v[4:5], |v[6:7]|, s[26:27]
	v_rndne_f64_e32 v[44:45], v[4:5]
	v_fma_f64 v[4:5], v[44:45], s[20:21], |v[6:7]|
	v_mul_f64 v[46:47], v[44:45], s[28:29]
	v_add_f64 v[54:55], v[4:5], v[46:47]
	v_fma_f64 v[42:43], s[28:29], v[44:45], v[4:5]
	s_mov_b32 s22, s28
	v_add_f64 v[4:5], v[4:5], -v[54:55]
	v_fma_f64 v[48:49], s[22:23], v[44:45], v[46:47]
	v_add_f64 v[4:5], v[4:5], v[46:47]
	v_add_f64 v[46:47], v[54:55], -v[42:43]
	v_add_f64 v[4:5], v[46:47], v[4:5]
	v_add_f64 v[46:47], v[4:5], -v[48:49]
	v_fmac_f64_e32 v[46:47], s[30:31], v[44:45]
	v_add_f64 v[4:5], v[42:43], v[46:47]
	v_add_f64 v[42:43], v[4:5], -v[42:43]
	v_add_f64 v[42:43], v[46:47], -v[42:43]
	v_cvt_i32_f64_e32 v40, v[44:45]
.LBB254_269:                            ;   in Loop: Header=BB254_233 Depth=1
	s_or_b64 exec, exec, s[0:1]
                                        ; implicit-def: $vgpr48
                                        ; implicit-def: $vgpr44_vgpr45
                                        ; implicit-def: $vgpr46_vgpr47
	s_and_saveexec_b64 s[0:1], s[82:83]
	s_xor_b64 s[82:83], exec, s[0:1]
	s_cbranch_execz .LBB254_271
; %bb.270:                              ;   in Loop: Header=BB254_233 Depth=1
	v_and_b32_e32 v17, 0x7fffffff, v7
	v_ldexp_f64 v[48:49], |v[6:7]|, s95
	v_cmp_ge_f64_e64 vcc, |v[6:7]|, s[8:9]
	v_trig_preop_f64 v[44:45], |v[6:7]|, 0
	v_cndmask_b32_e32 v49, v17, v49, vcc
	v_cndmask_b32_e32 v48, v6, v48, vcc
	v_trig_preop_f64 v[46:47], |v[6:7]|, 1
	v_mul_f64 v[56:57], v[44:45], v[48:49]
	v_mul_f64 v[54:55], v[46:47], v[48:49]
	v_fma_f64 v[44:45], v[44:45], v[48:49], -v[56:57]
	v_add_f64 v[58:59], v[54:55], v[44:45]
	v_add_f64 v[60:61], v[56:57], v[58:59]
	v_ldexp_f64 v[62:63], v[60:61], -2
	v_fract_f64_e32 v[64:65], v[62:63]
	v_cmp_neq_f64_e64 vcc, |v[62:63]|, s[10:11]
	v_cndmask_b32_e32 v63, 0, v65, vcc
	v_cndmask_b32_e32 v62, 0, v64, vcc
	v_add_f64 v[64:65], v[58:59], -v[54:55]
	v_add_f64 v[44:45], v[44:45], -v[64:65]
	;; [unrolled: 1-line block ×4, first 2 shown]
	v_fma_f64 v[46:47], v[46:47], v[48:49], -v[54:55]
	v_trig_preop_f64 v[54:55], |v[6:7]|, 2
	v_add_f64 v[44:45], v[44:45], v[64:65]
	v_mul_f64 v[64:65], v[54:55], v[48:49]
	v_add_f64 v[66:67], v[64:65], v[46:47]
	v_add_f64 v[68:69], v[66:67], v[44:45]
	v_add_f64 v[56:57], v[60:61], -v[56:57]
	v_add_f64 v[60:61], v[68:69], -v[66:67]
	;; [unrolled: 1-line block ×5, first 2 shown]
	v_add_f64 v[44:45], v[44:45], v[60:61]
	v_add_f64 v[60:61], v[66:67], -v[64:65]
	v_add_f64 v[46:47], v[46:47], -v[60:61]
	;; [unrolled: 1-line block ×4, first 2 shown]
	v_add_f64 v[46:47], v[46:47], v[60:61]
	v_add_f64 v[56:57], v[58:59], -v[56:57]
	v_add_f64 v[44:45], v[46:47], v[44:45]
	v_fma_f64 v[46:47], v[54:55], v[48:49], -v[64:65]
	v_add_f64 v[58:59], v[56:57], v[68:69]
	v_add_f64 v[44:45], v[46:47], v[44:45]
	v_ldexp_f64 v[46:47], v[62:63], 2
	v_add_f64 v[48:49], v[58:59], v[46:47]
	v_cmp_gt_f64_e32 vcc, 0, v[48:49]
	v_cndmask_b32_e32 v17, 0, v50, vcc
	v_add_f64 v[46:47], v[46:47], v[16:17]
	v_add_f64 v[48:49], v[58:59], v[46:47]
	v_cvt_i32_f64_e32 v17, v[48:49]
	v_cvt_f64_i32_e32 v[48:49], v17
	v_add_f64 v[46:47], v[46:47], -v[48:49]
	v_add_f64 v[56:57], v[58:59], -v[56:57]
	v_add_f64 v[54:55], v[58:59], v[46:47]
	v_add_f64 v[56:57], v[68:69], -v[56:57]
	v_add_f64 v[46:47], v[54:55], -v[46:47]
	v_cmp_le_f64_e32 vcc, 0.5, v[54:55]
	v_add_f64 v[44:45], v[56:57], v[44:45]
	v_add_f64 v[46:47], v[58:59], -v[46:47]
	v_addc_co_u32_e64 v48, s[0:1], 0, v17, vcc
	v_cndmask_b32_e32 v17, 0, v51, vcc
	v_add_f64 v[44:45], v[44:45], v[46:47]
	v_add_f64 v[46:47], v[54:55], -v[16:17]
	v_add_f64 v[54:55], v[46:47], v[44:45]
	v_add_f64 v[46:47], v[54:55], -v[46:47]
	s_mov_b32 s12, s20
	v_add_f64 v[44:45], v[44:45], -v[46:47]
	v_mul_f64 v[46:47], v[54:55], s[12:13]
	v_fma_f64 v[56:57], v[54:55], s[12:13], -v[46:47]
	s_mov_b32 s25, s23
	v_fmac_f64_e32 v[56:57], s[24:25], v[54:55]
	v_fmac_f64_e32 v[56:57], s[12:13], v[44:45]
	v_add_f64 v[44:45], v[46:47], v[56:57]
	v_add_f64 v[46:47], v[44:45], -v[46:47]
	v_add_f64 v[46:47], v[56:57], -v[46:47]
	s_andn2_saveexec_b64 s[0:1], s[82:83]
	s_cbranch_execnz .LBB254_272
	s_branch .LBB254_273
.LBB254_271:                            ;   in Loop: Header=BB254_233 Depth=1
	s_andn2_saveexec_b64 s[0:1], s[82:83]
	s_cbranch_execz .LBB254_273
.LBB254_272:                            ;   in Loop: Header=BB254_233 Depth=1
	v_mul_f64 v[44:45], |v[6:7]|, s[26:27]
	v_rndne_f64_e32 v[48:49], v[44:45]
	v_fma_f64 v[44:45], v[48:49], s[20:21], |v[6:7]|
	v_mul_f64 v[54:55], v[48:49], s[28:29]
	v_add_f64 v[58:59], v[44:45], v[54:55]
	v_fma_f64 v[46:47], s[28:29], v[48:49], v[44:45]
	s_mov_b32 s22, s28
	v_add_f64 v[44:45], v[44:45], -v[58:59]
	v_fma_f64 v[56:57], s[22:23], v[48:49], v[54:55]
	v_add_f64 v[44:45], v[44:45], v[54:55]
	v_add_f64 v[54:55], v[58:59], -v[46:47]
	v_add_f64 v[44:45], v[54:55], v[44:45]
	v_add_f64 v[54:55], v[44:45], -v[56:57]
	v_fmac_f64_e32 v[54:55], s[30:31], v[48:49]
	v_add_f64 v[44:45], v[46:47], v[54:55]
	v_add_f64 v[46:47], v[44:45], -v[46:47]
	v_add_f64 v[46:47], v[54:55], -v[46:47]
	v_cvt_i32_f64_e32 v48, v[48:49]
.LBB254_273:                            ;   in Loop: Header=BB254_233 Depth=1
	s_or_b64 exec, exec, s[0:1]
	v_mul_f64 v[54:55], v[4:5], v[4:5]
	v_pk_mov_b32 v[62:63], s[52:53], s[52:53] op_sel:[0,1]
	v_mul_f64 v[56:57], v[54:55], 0.5
	v_fma_f64 v[64:65], s[54:55], v[54:55], v[62:63]
	v_add_f64 v[58:59], -v[56:57], 1.0
	v_fma_f64 v[64:65], v[54:55], v[64:65], s[56:57]
	v_add_f64 v[60:61], -v[58:59], 1.0
	v_fma_f64 v[64:65], v[54:55], v[64:65], s[58:59]
	v_add_f64 v[56:57], v[60:61], -v[56:57]
	v_fma_f64 v[64:65], v[54:55], v[64:65], s[60:61]
	v_mul_f64 v[60:61], v[54:55], v[54:55]
	v_fma_f64 v[64:65], v[54:55], v[64:65], s[46:47]
	v_fma_f64 v[56:57], v[4:5], -v[42:43], v[56:57]
	v_fmac_f64_e32 v[56:57], v[60:61], v[64:65]
	v_add_f64 v[56:57], v[58:59], v[56:57]
	v_pk_mov_b32 v[58:59], s[62:63], s[62:63] op_sel:[0,1]
	v_fma_f64 v[60:61], s[64:65], v[54:55], v[58:59]
	v_fma_f64 v[60:61], v[54:55], v[60:61], s[66:67]
	;; [unrolled: 1-line block ×4, first 2 shown]
	v_mul_f64 v[64:65], v[4:5], -v[54:55]
	v_mul_f64 v[66:67], v[42:43], 0.5
	v_fmac_f64_e32 v[66:67], v[64:65], v[60:61]
	v_fma_f64 v[42:43], v[54:55], v[66:67], -v[42:43]
	s_mov_b32 s70, s46
	v_fmac_f64_e32 v[42:43], s[70:71], v[64:65]
	v_add_f64 v[4:5], v[4:5], -v[42:43]
	v_and_b32_e32 v17, 1, v40
	v_xor_b32_e32 v5, 0x80000000, v5
	v_cmp_eq_u32_e32 vcc, 0, v17
	v_lshlrev_b32_e32 v17, 30, v40
	v_cndmask_b32_e32 v5, v5, v57, vcc
	v_and_b32_e32 v17, 0x80000000, v17
	v_cndmask_b32_e32 v4, v4, v56, vcc
	v_xor_b32_e32 v5, v5, v17
	v_cmp_class_f64_e64 vcc, v[6:7], s72
	v_cndmask_b32_e32 v42, 0, v4, vcc
	v_cndmask_b32_e32 v43, v53, v5, vcc
	v_mul_f64 v[4:5], v[44:45], v[44:45]
	v_mul_f64 v[6:7], v[4:5], 0.5
	v_fmac_f64_e32 v[62:63], s[54:55], v[4:5]
	v_add_f64 v[54:55], -v[6:7], 1.0
	v_fma_f64 v[60:61], v[4:5], v[62:63], s[56:57]
	v_add_f64 v[56:57], -v[54:55], 1.0
	v_fma_f64 v[60:61], v[4:5], v[60:61], s[58:59]
	v_add_f64 v[6:7], v[56:57], -v[6:7]
	v_fma_f64 v[60:61], v[4:5], v[60:61], s[60:61]
	v_mul_f64 v[56:57], v[4:5], v[4:5]
	v_fma_f64 v[60:61], v[4:5], v[60:61], s[46:47]
	v_fma_f64 v[6:7], v[44:45], -v[46:47], v[6:7]
	v_fmac_f64_e32 v[6:7], v[56:57], v[60:61]
	v_fmac_f64_e32 v[58:59], s[64:65], v[4:5]
	v_add_f64 v[6:7], v[54:55], v[6:7]
	v_fma_f64 v[54:55], v[4:5], v[58:59], s[66:67]
	v_fma_f64 v[54:55], v[4:5], v[54:55], s[68:69]
	;; [unrolled: 1-line block ×3, first 2 shown]
	v_mul_f64 v[56:57], v[44:45], -v[4:5]
	v_mul_f64 v[58:59], v[46:47], 0.5
	v_fmac_f64_e32 v[58:59], v[56:57], v[54:55]
	v_fma_f64 v[4:5], v[4:5], v[58:59], -v[46:47]
	v_fmac_f64_e32 v[4:5], s[70:71], v[56:57]
	v_and_b32_e32 v17, 1, v48
	v_add_f64 v[4:5], v[44:45], -v[4:5]
	v_cmp_eq_u32_e64 s[0:1], 0, v17
	v_cndmask_b32_e64 v4, v6, v4, s[0:1]
	v_lshlrev_b32_e32 v6, 30, v48
	v_xor_b32_e32 v6, v6, v41
	v_cndmask_b32_e64 v5, v7, v5, s[0:1]
	v_and_b32_e32 v6, 0x80000000, v6
	v_xor_b32_e32 v5, v5, v6
	v_cndmask_b32_e32 v40, 0, v4, vcc
	v_cndmask_b32_e32 v41, v53, v5, vcc
.LBB254_274:                            ;   in Loop: Header=BB254_233 Depth=1
	s_or_b64 exec, exec, s[2:3]
                                        ; implicit-def: $vgpr4_vgpr5
.LBB254_275:                            ;   in Loop: Header=BB254_233 Depth=1
	s_andn2_saveexec_b64 s[2:3], s[80:81]
	s_cbranch_execz .LBB254_277
; %bb.276:                              ;   in Loop: Header=BB254_233 Depth=1
	s_mov_b32 s34, s36
	v_mul_f64 v[6:7], v[4:5], s[34:35]
	v_rndne_f64_e32 v[6:7], v[6:7]
	v_fma_f64 v[42:43], v[6:7], s[38:39], -v[4:5]
	v_fmac_f64_e32 v[42:43], s[40:41], v[6:7]
	v_pk_mov_b32 v[44:45], v[22:23], v[22:23] op_sel:[0,1]
	v_fmac_f64_e32 v[44:45], s[42:43], v[42:43]
	v_pk_mov_b32 v[46:47], v[24:25], v[24:25] op_sel:[0,1]
	v_fmac_f64_e32 v[46:47], v[42:43], v[44:45]
	v_pk_mov_b32 v[44:45], v[26:27], v[26:27] op_sel:[0,1]
	v_fmac_f64_e32 v[44:45], v[42:43], v[46:47]
	v_pk_mov_b32 v[46:47], v[28:29], v[28:29] op_sel:[0,1]
	v_fmac_f64_e32 v[46:47], v[42:43], v[44:45]
	v_pk_mov_b32 v[44:45], v[30:31], v[30:31] op_sel:[0,1]
	v_fmac_f64_e32 v[44:45], v[42:43], v[46:47]
	v_pk_mov_b32 v[46:47], v[32:33], v[32:33] op_sel:[0,1]
	v_fmac_f64_e32 v[46:47], v[42:43], v[44:45]
	v_pk_mov_b32 v[44:45], v[34:35], v[34:35] op_sel:[0,1]
	v_fmac_f64_e32 v[44:45], v[42:43], v[46:47]
	v_pk_mov_b32 v[46:47], v[36:37], v[36:37] op_sel:[0,1]
	v_fmac_f64_e32 v[46:47], v[42:43], v[44:45]
	v_pk_mov_b32 v[44:45], v[38:39], v[38:39] op_sel:[0,1]
	v_fmac_f64_e32 v[44:45], v[42:43], v[46:47]
	v_fma_f64 v[44:45], v[42:43], v[44:45], 1.0
	v_fma_f64 v[42:43], v[42:43], v[44:45], 1.0
	v_cvt_i32_f64_e32 v6, v[6:7]
	v_ldexp_f64 v[6:7], v[42:43], v6
	v_cmp_ngt_f64_e32 vcc, s[48:49], v[4:5]
	v_cmp_nlt_f64_e64 s[0:1], s[50:51], v[4:5]
	v_cndmask_b32_e32 v7, v52, v7, vcc
	s_and_b64 vcc, s[0:1], vcc
	v_cndmask_b32_e64 v43, 0, v7, s[0:1]
	v_cndmask_b32_e32 v42, 0, v6, vcc
.LBB254_277:                            ;   in Loop: Header=BB254_233 Depth=1
	s_or_b64 exec, exec, s[2:3]
	v_add_f64 v[42:43], s[16:17], v[42:43]
	v_add_f64 v[40:41], s[18:19], v[40:41]
	v_xor_b32_e32 v4, 0x80000000, v43
	v_cmp_gt_f64_e32 vcc, 0, v[42:43]
	v_cndmask_b32_e32 v47, v43, v4, vcc
	v_cndmask_b32_e32 v46, v42, v42, vcc
	v_xor_b32_e32 v4, 0x80000000, v41
	v_cmp_gt_f64_e32 vcc, 0, v[40:41]
	v_cndmask_b32_e32 v45, v41, v4, vcc
	v_cndmask_b32_e32 v44, v40, v40, vcc
	v_cmp_ge_f64_e32 vcc, v[46:47], v[44:45]
                                        ; implicit-def: $vgpr6_vgpr7
	s_and_saveexec_b64 s[0:1], vcc
	s_xor_b64 s[2:3], exec, s[0:1]
	s_cbranch_execz .LBB254_283
; %bb.278:                              ;   in Loop: Header=BB254_233 Depth=1
	v_cmp_neq_f64_e32 vcc, 0, v[42:43]
	v_cmp_neq_f64_e64 s[0:1], 0, v[40:41]
	s_or_b64 s[0:1], vcc, s[0:1]
                                        ; implicit-def: $vgpr6_vgpr7
	s_and_saveexec_b64 s[80:81], s[0:1]
	s_xor_b64 s[0:1], exec, s[80:81]
	s_cbranch_execz .LBB254_280
; %bb.279:                              ;   in Loop: Header=BB254_233 Depth=1
	v_div_scale_f64 v[4:5], s[80:81], v[42:43], v[42:43], v[40:41]
	v_rcp_f64_e32 v[6:7], v[4:5]
	v_div_scale_f64 v[44:45], vcc, v[40:41], v[42:43], v[40:41]
	v_fma_f64 v[46:47], -v[4:5], v[6:7], 1.0
	v_fmac_f64_e32 v[6:7], v[6:7], v[46:47]
	v_fma_f64 v[46:47], -v[4:5], v[6:7], 1.0
	v_fmac_f64_e32 v[6:7], v[6:7], v[46:47]
	v_mul_f64 v[46:47], v[44:45], v[6:7]
	v_fma_f64 v[4:5], -v[4:5], v[46:47], v[44:45]
	v_div_fmas_f64 v[4:5], v[4:5], v[6:7], v[46:47]
	v_div_fixup_f64 v[6:7], v[4:5], v[42:43], v[40:41]
	v_fmac_f64_e32 v[42:43], v[40:41], v[6:7]
	v_div_scale_f64 v[4:5], s[80:81], v[42:43], v[42:43], 1.0
	v_rcp_f64_e32 v[40:41], v[4:5]
	v_fma_f64 v[44:45], -v[4:5], v[40:41], 1.0
	v_fmac_f64_e32 v[40:41], v[40:41], v[44:45]
	v_fma_f64 v[44:45], -v[4:5], v[40:41], 1.0
	v_fmac_f64_e32 v[40:41], v[40:41], v[44:45]
	v_div_scale_f64 v[44:45], vcc, 1.0, v[42:43], 1.0
	v_mul_f64 v[46:47], v[44:45], v[40:41]
	v_fma_f64 v[4:5], -v[4:5], v[46:47], v[44:45]
                                        ; implicit-def: $vgpr44_vgpr45
	s_nop 1
	v_div_fmas_f64 v[4:5], v[4:5], v[40:41], v[46:47]
	v_div_fixup_f64 v[40:41], v[4:5], v[42:43], 1.0
	v_pk_mov_b32 v[4:5], s[16:17], s[16:17] op_sel:[0,1]
	v_pk_mov_b32 v[42:43], s[18:19], s[18:19] op_sel:[0,1]
	v_fma_f64 v[4:5], s[18:19], v[6:7], v[4:5]
	v_fma_f64 v[6:7], -s[16:17], v[6:7], v[42:43]
	v_mul_f64 v[4:5], v[4:5], v[40:41]
	v_mul_f64 v[6:7], v[6:7], v[40:41]
                                        ; implicit-def: $vgpr46_vgpr47
.LBB254_280:                            ;   in Loop: Header=BB254_233 Depth=1
	s_andn2_saveexec_b64 s[0:1], s[0:1]
	s_cbranch_execz .LBB254_282
; %bb.281:                              ;   in Loop: Header=BB254_233 Depth=1
	v_div_scale_f64 v[4:5], s[80:81], v[46:47], v[46:47], s[16:17]
	v_rcp_f64_e32 v[6:7], v[4:5]
	v_div_scale_f64 v[40:41], vcc, s[16:17], v[46:47], s[16:17]
	v_fma_f64 v[42:43], -v[4:5], v[6:7], 1.0
	v_fmac_f64_e32 v[6:7], v[6:7], v[42:43]
	v_fma_f64 v[42:43], -v[4:5], v[6:7], 1.0
	v_fmac_f64_e32 v[6:7], v[6:7], v[42:43]
	v_mul_f64 v[42:43], v[40:41], v[6:7]
	v_fma_f64 v[4:5], -v[4:5], v[42:43], v[40:41]
	v_div_scale_f64 v[40:41], s[80:81], v[44:45], v[44:45], s[18:19]
	v_rcp_f64_e32 v[48:49], v[40:41]
	v_div_fmas_f64 v[4:5], v[4:5], v[6:7], v[42:43]
	v_div_fixup_f64 v[4:5], v[4:5], v[46:47], s[16:17]
	v_fma_f64 v[6:7], -v[40:41], v[48:49], 1.0
	v_fmac_f64_e32 v[48:49], v[48:49], v[6:7]
	v_fma_f64 v[6:7], -v[40:41], v[48:49], 1.0
	v_fmac_f64_e32 v[48:49], v[48:49], v[6:7]
	v_div_scale_f64 v[6:7], vcc, s[18:19], v[44:45], s[18:19]
	v_mul_f64 v[42:43], v[6:7], v[48:49]
	v_fma_f64 v[6:7], -v[40:41], v[42:43], v[6:7]
	s_nop 1
	v_div_fmas_f64 v[6:7], v[6:7], v[48:49], v[42:43]
	v_div_fixup_f64 v[6:7], v[6:7], v[44:45], s[18:19]
.LBB254_282:                            ;   in Loop: Header=BB254_233 Depth=1
	s_or_b64 exec, exec, s[0:1]
                                        ; implicit-def: $vgpr40_vgpr41
                                        ; implicit-def: $vgpr42_vgpr43
.LBB254_283:                            ;   in Loop: Header=BB254_233 Depth=1
	s_andn2_saveexec_b64 s[0:1], s[2:3]
	s_cbranch_execz .LBB254_285
; %bb.284:                              ;   in Loop: Header=BB254_233 Depth=1
	v_div_scale_f64 v[4:5], s[2:3], v[40:41], v[40:41], v[42:43]
	v_rcp_f64_e32 v[6:7], v[4:5]
	v_div_scale_f64 v[44:45], vcc, v[42:43], v[40:41], v[42:43]
	v_fma_f64 v[46:47], -v[4:5], v[6:7], 1.0
	v_fmac_f64_e32 v[6:7], v[6:7], v[46:47]
	v_fma_f64 v[46:47], -v[4:5], v[6:7], 1.0
	v_fmac_f64_e32 v[6:7], v[6:7], v[46:47]
	v_mul_f64 v[46:47], v[44:45], v[6:7]
	v_fma_f64 v[4:5], -v[4:5], v[46:47], v[44:45]
	v_div_fmas_f64 v[4:5], v[4:5], v[6:7], v[46:47]
	v_div_fixup_f64 v[6:7], v[4:5], v[40:41], v[42:43]
	v_fmac_f64_e32 v[40:41], v[42:43], v[6:7]
	v_div_scale_f64 v[4:5], s[2:3], v[40:41], v[40:41], 1.0
	v_rcp_f64_e32 v[42:43], v[4:5]
	v_fma_f64 v[44:45], -v[4:5], v[42:43], 1.0
	v_fmac_f64_e32 v[42:43], v[42:43], v[44:45]
	v_fma_f64 v[44:45], -v[4:5], v[42:43], 1.0
	v_fmac_f64_e32 v[42:43], v[42:43], v[44:45]
	v_div_scale_f64 v[44:45], vcc, 1.0, v[40:41], 1.0
	v_mul_f64 v[46:47], v[44:45], v[42:43]
	v_fma_f64 v[4:5], -v[4:5], v[46:47], v[44:45]
	s_nop 1
	v_div_fmas_f64 v[4:5], v[4:5], v[42:43], v[46:47]
	v_div_fixup_f64 v[40:41], v[4:5], v[40:41], 1.0
	v_pk_mov_b32 v[4:5], s[18:19], s[18:19] op_sel:[0,1]
	v_pk_mov_b32 v[42:43], s[16:17], s[16:17] op_sel:[0,1]
	v_fma_f64 v[4:5], s[16:17], v[6:7], v[4:5]
	v_fma_f64 v[6:7], s[18:19], v[6:7], -v[42:43]
	v_mul_f64 v[4:5], v[4:5], v[40:41]
	v_mul_f64 v[6:7], v[6:7], v[40:41]
.LBB254_285:                            ;   in Loop: Header=BB254_233 Depth=1
	s_or_b64 exec, exec, s[0:1]
	s_waitcnt vmcnt(2)
	v_xor_b32_e32 v41, 0x80000000, v15
	v_and_b32_e32 v46, 0x7fffffff, v41
	v_or_b32_e32 v17, v46, v14
	v_mov_b32_e32 v40, v14
	v_cmp_ne_u32_e32 vcc, 0, v17
                                        ; implicit-def: $vgpr42_vgpr43
	s_and_saveexec_b64 s[0:1], vcc
	s_xor_b64 s[80:81], exec, s[0:1]
	s_cbranch_execz .LBB254_327
; %bb.286:                              ;   in Loop: Header=BB254_233 Depth=1
	v_xor_b32_e32 v45, 0x80000000, v13
	v_mov_b32_e32 v44, v12
	v_and_b32_e32 v17, 0x7fffffff, v45
	v_or_b32_e32 v40, v17, v44
	v_cmp_ne_u32_e32 vcc, 0, v40
                                        ; implicit-def: $vgpr42_vgpr43
	s_and_saveexec_b64 s[0:1], vcc
	s_xor_b64 s[82:83], exec, s[0:1]
	s_cbranch_execz .LBB254_316
; %bb.287:                              ;   in Loop: Header=BB254_233 Depth=1
	v_cmp_gt_u32_e32 vcc, s93, v46
                                        ; implicit-def: $vgpr42_vgpr43
	s_and_saveexec_b64 s[0:1], vcc
	s_xor_b64 s[84:85], exec, s[0:1]
	s_cbranch_execz .LBB254_309
; %bb.288:                              ;   in Loop: Header=BB254_233 Depth=1
	v_add_u32_e32 v17, 0xbf79d1be, v45
	v_cmp_lt_u32_e32 vcc, s94, v17
                                        ; implicit-def: $vgpr42_vgpr43
	s_and_saveexec_b64 s[0:1], vcc
	s_xor_b64 s[2:3], exec, s[0:1]
	s_cbranch_execz .LBB254_298
; %bb.289:                              ;   in Loop: Header=BB254_233 Depth=1
	v_cmp_nlt_f64_e64 s[86:87], |v[14:15]|, s[6:7]
                                        ; implicit-def: $vgpr40
                                        ; implicit-def: $vgpr42_vgpr43
                                        ; implicit-def: $vgpr44_vgpr45
	s_and_saveexec_b64 s[0:1], s[86:87]
	s_xor_b64 s[88:89], exec, s[0:1]
	s_cbranch_execz .LBB254_291
; %bb.290:                              ;   in Loop: Header=BB254_233 Depth=1
	v_and_b32_e32 v17, 0x7fffffff, v15
	v_ldexp_f64 v[46:47], |v[14:15]|, s95
	v_cmp_ge_f64_e64 vcc, |v[14:15]|, s[8:9]
	v_trig_preop_f64 v[42:43], |v[14:15]|, 0
	v_cndmask_b32_e32 v47, v17, v47, vcc
	v_cndmask_b32_e32 v46, v14, v46, vcc
	v_trig_preop_f64 v[44:45], |v[14:15]|, 1
	v_mul_f64 v[54:55], v[42:43], v[46:47]
	v_mul_f64 v[48:49], v[44:45], v[46:47]
	v_fma_f64 v[42:43], v[42:43], v[46:47], -v[54:55]
	v_add_f64 v[56:57], v[48:49], v[42:43]
	v_add_f64 v[58:59], v[54:55], v[56:57]
	v_ldexp_f64 v[60:61], v[58:59], -2
	v_fract_f64_e32 v[62:63], v[60:61]
	v_cmp_neq_f64_e64 vcc, |v[60:61]|, s[10:11]
	v_cndmask_b32_e32 v61, 0, v63, vcc
	v_cndmask_b32_e32 v60, 0, v62, vcc
	v_add_f64 v[62:63], v[56:57], -v[48:49]
	v_add_f64 v[42:43], v[42:43], -v[62:63]
	;; [unrolled: 1-line block ×4, first 2 shown]
	v_fma_f64 v[44:45], v[44:45], v[46:47], -v[48:49]
	v_trig_preop_f64 v[48:49], |v[14:15]|, 2
	v_add_f64 v[42:43], v[42:43], v[62:63]
	v_mul_f64 v[62:63], v[48:49], v[46:47]
	v_add_f64 v[64:65], v[62:63], v[44:45]
	v_add_f64 v[66:67], v[64:65], v[42:43]
	v_add_f64 v[54:55], v[58:59], -v[54:55]
	v_add_f64 v[58:59], v[66:67], -v[64:65]
	;; [unrolled: 1-line block ×5, first 2 shown]
	v_add_f64 v[42:43], v[42:43], v[58:59]
	v_add_f64 v[58:59], v[64:65], -v[62:63]
	v_add_f64 v[44:45], v[44:45], -v[58:59]
	;; [unrolled: 1-line block ×4, first 2 shown]
	v_add_f64 v[44:45], v[44:45], v[58:59]
	v_add_f64 v[54:55], v[56:57], -v[54:55]
	v_add_f64 v[42:43], v[44:45], v[42:43]
	v_fma_f64 v[44:45], v[48:49], v[46:47], -v[62:63]
	v_add_f64 v[56:57], v[54:55], v[66:67]
	v_add_f64 v[42:43], v[44:45], v[42:43]
	v_ldexp_f64 v[44:45], v[60:61], 2
	v_add_f64 v[46:47], v[56:57], v[44:45]
	v_cmp_gt_f64_e32 vcc, 0, v[46:47]
	v_cndmask_b32_e32 v17, 0, v50, vcc
	v_add_f64 v[44:45], v[44:45], v[16:17]
	v_add_f64 v[46:47], v[56:57], v[44:45]
	v_cvt_i32_f64_e32 v17, v[46:47]
	v_cvt_f64_i32_e32 v[46:47], v17
	v_add_f64 v[44:45], v[44:45], -v[46:47]
	v_add_f64 v[54:55], v[56:57], -v[54:55]
	v_add_f64 v[46:47], v[56:57], v[44:45]
	v_add_f64 v[54:55], v[66:67], -v[54:55]
	v_add_f64 v[44:45], v[46:47], -v[44:45]
	v_cmp_le_f64_e32 vcc, 0.5, v[46:47]
	v_add_f64 v[42:43], v[54:55], v[42:43]
	v_add_f64 v[44:45], v[56:57], -v[44:45]
	v_addc_co_u32_e64 v40, s[0:1], 0, v17, vcc
	v_cndmask_b32_e32 v17, 0, v51, vcc
	v_add_f64 v[42:43], v[42:43], v[44:45]
	v_add_f64 v[44:45], v[46:47], -v[16:17]
	v_add_f64 v[46:47], v[44:45], v[42:43]
	v_add_f64 v[44:45], v[46:47], -v[44:45]
	s_mov_b32 s12, s20
	v_add_f64 v[42:43], v[42:43], -v[44:45]
	v_mul_f64 v[44:45], v[46:47], s[12:13]
	v_fma_f64 v[48:49], v[46:47], s[12:13], -v[44:45]
	s_mov_b32 s25, s23
	v_fmac_f64_e32 v[48:49], s[24:25], v[46:47]
	v_fmac_f64_e32 v[48:49], s[12:13], v[42:43]
	v_add_f64 v[42:43], v[44:45], v[48:49]
	v_add_f64 v[44:45], v[42:43], -v[44:45]
	v_add_f64 v[44:45], v[48:49], -v[44:45]
	s_andn2_saveexec_b64 s[0:1], s[88:89]
	s_cbranch_execz .LBB254_293
	s_branch .LBB254_292
.LBB254_291:                            ;   in Loop: Header=BB254_233 Depth=1
	s_andn2_saveexec_b64 s[0:1], s[88:89]
	s_cbranch_execz .LBB254_293
.LBB254_292:                            ;   in Loop: Header=BB254_233 Depth=1
	v_mul_f64 v[42:43], |v[14:15]|, s[26:27]
	v_rndne_f64_e32 v[46:47], v[42:43]
	v_fma_f64 v[42:43], v[46:47], s[20:21], |v[14:15]|
	v_mul_f64 v[48:49], v[46:47], s[28:29]
	v_add_f64 v[56:57], v[42:43], v[48:49]
	v_fma_f64 v[44:45], s[28:29], v[46:47], v[42:43]
	s_mov_b32 s22, s28
	v_add_f64 v[42:43], v[42:43], -v[56:57]
	v_fma_f64 v[54:55], s[22:23], v[46:47], v[48:49]
	v_add_f64 v[42:43], v[42:43], v[48:49]
	v_add_f64 v[48:49], v[56:57], -v[44:45]
	v_add_f64 v[42:43], v[48:49], v[42:43]
	v_add_f64 v[48:49], v[42:43], -v[54:55]
	v_fmac_f64_e32 v[48:49], s[30:31], v[46:47]
	v_add_f64 v[42:43], v[44:45], v[48:49]
	v_add_f64 v[44:45], v[42:43], -v[44:45]
	v_add_f64 v[44:45], v[48:49], -v[44:45]
	v_cvt_i32_f64_e32 v40, v[46:47]
.LBB254_293:                            ;   in Loop: Header=BB254_233 Depth=1
	s_or_b64 exec, exec, s[0:1]
                                        ; implicit-def: $vgpr54
                                        ; implicit-def: $vgpr46_vgpr47
                                        ; implicit-def: $vgpr48_vgpr49
	s_and_saveexec_b64 s[0:1], s[86:87]
	s_xor_b64 s[86:87], exec, s[0:1]
	s_cbranch_execz .LBB254_295
; %bb.294:                              ;   in Loop: Header=BB254_233 Depth=1
	v_and_b32_e32 v17, 0x7fffffff, v15
	v_ldexp_f64 v[54:55], |v[14:15]|, s95
	v_cmp_ge_f64_e64 vcc, |v[14:15]|, s[8:9]
	v_trig_preop_f64 v[46:47], |v[14:15]|, 0
	v_cndmask_b32_e32 v55, v17, v55, vcc
	v_cndmask_b32_e32 v54, v14, v54, vcc
	v_trig_preop_f64 v[48:49], |v[14:15]|, 1
	v_mul_f64 v[58:59], v[46:47], v[54:55]
	v_mul_f64 v[56:57], v[48:49], v[54:55]
	v_fma_f64 v[46:47], v[46:47], v[54:55], -v[58:59]
	v_add_f64 v[60:61], v[56:57], v[46:47]
	v_add_f64 v[62:63], v[58:59], v[60:61]
	v_ldexp_f64 v[64:65], v[62:63], -2
	v_fract_f64_e32 v[66:67], v[64:65]
	v_cmp_neq_f64_e64 vcc, |v[64:65]|, s[10:11]
	v_cndmask_b32_e32 v65, 0, v67, vcc
	v_cndmask_b32_e32 v64, 0, v66, vcc
	v_add_f64 v[66:67], v[60:61], -v[56:57]
	v_add_f64 v[46:47], v[46:47], -v[66:67]
	v_add_f64 v[66:67], v[60:61], -v[66:67]
	v_add_f64 v[66:67], v[56:57], -v[66:67]
	v_fma_f64 v[48:49], v[48:49], v[54:55], -v[56:57]
	v_trig_preop_f64 v[56:57], |v[14:15]|, 2
	v_add_f64 v[46:47], v[46:47], v[66:67]
	v_mul_f64 v[66:67], v[56:57], v[54:55]
	v_add_f64 v[68:69], v[66:67], v[48:49]
	v_add_f64 v[70:71], v[68:69], v[46:47]
	v_add_f64 v[58:59], v[62:63], -v[58:59]
	v_add_f64 v[62:63], v[70:71], -v[68:69]
	v_add_f64 v[46:47], v[46:47], -v[62:63]
	v_add_f64 v[62:63], v[70:71], -v[62:63]
	v_add_f64 v[62:63], v[68:69], -v[62:63]
	v_add_f64 v[46:47], v[46:47], v[62:63]
	v_add_f64 v[62:63], v[68:69], -v[66:67]
	v_add_f64 v[48:49], v[48:49], -v[62:63]
	;; [unrolled: 1-line block ×4, first 2 shown]
	v_add_f64 v[48:49], v[48:49], v[62:63]
	v_add_f64 v[58:59], v[60:61], -v[58:59]
	v_add_f64 v[46:47], v[48:49], v[46:47]
	v_fma_f64 v[48:49], v[56:57], v[54:55], -v[66:67]
	v_add_f64 v[60:61], v[58:59], v[70:71]
	v_add_f64 v[46:47], v[48:49], v[46:47]
	v_ldexp_f64 v[48:49], v[64:65], 2
	v_add_f64 v[54:55], v[60:61], v[48:49]
	v_cmp_gt_f64_e32 vcc, 0, v[54:55]
	v_cndmask_b32_e32 v17, 0, v50, vcc
	v_add_f64 v[48:49], v[48:49], v[16:17]
	v_add_f64 v[54:55], v[60:61], v[48:49]
	v_cvt_i32_f64_e32 v17, v[54:55]
	v_cvt_f64_i32_e32 v[54:55], v17
	v_add_f64 v[48:49], v[48:49], -v[54:55]
	v_add_f64 v[58:59], v[60:61], -v[58:59]
	v_add_f64 v[56:57], v[60:61], v[48:49]
	v_add_f64 v[58:59], v[70:71], -v[58:59]
	v_add_f64 v[48:49], v[56:57], -v[48:49]
	v_cmp_le_f64_e32 vcc, 0.5, v[56:57]
	v_add_f64 v[46:47], v[58:59], v[46:47]
	v_add_f64 v[48:49], v[60:61], -v[48:49]
	v_addc_co_u32_e64 v54, s[0:1], 0, v17, vcc
	v_cndmask_b32_e32 v17, 0, v51, vcc
	v_add_f64 v[46:47], v[46:47], v[48:49]
	v_add_f64 v[48:49], v[56:57], -v[16:17]
	v_add_f64 v[56:57], v[48:49], v[46:47]
	v_add_f64 v[48:49], v[56:57], -v[48:49]
	s_mov_b32 s12, s20
	v_add_f64 v[46:47], v[46:47], -v[48:49]
	v_mul_f64 v[48:49], v[56:57], s[12:13]
	v_fma_f64 v[58:59], v[56:57], s[12:13], -v[48:49]
	s_mov_b32 s25, s23
	v_fmac_f64_e32 v[58:59], s[24:25], v[56:57]
	v_fmac_f64_e32 v[58:59], s[12:13], v[46:47]
	v_add_f64 v[46:47], v[48:49], v[58:59]
	v_add_f64 v[48:49], v[46:47], -v[48:49]
	v_add_f64 v[48:49], v[58:59], -v[48:49]
	s_andn2_saveexec_b64 s[0:1], s[86:87]
	s_cbranch_execnz .LBB254_296
	s_branch .LBB254_297
.LBB254_295:                            ;   in Loop: Header=BB254_233 Depth=1
	s_andn2_saveexec_b64 s[0:1], s[86:87]
	s_cbranch_execz .LBB254_297
.LBB254_296:                            ;   in Loop: Header=BB254_233 Depth=1
	v_mul_f64 v[46:47], |v[14:15]|, s[26:27]
	v_rndne_f64_e32 v[54:55], v[46:47]
	v_fma_f64 v[46:47], v[54:55], s[20:21], |v[14:15]|
	v_mul_f64 v[56:57], v[54:55], s[28:29]
	v_add_f64 v[60:61], v[46:47], v[56:57]
	v_fma_f64 v[48:49], s[28:29], v[54:55], v[46:47]
	s_mov_b32 s22, s28
	v_add_f64 v[46:47], v[46:47], -v[60:61]
	v_fma_f64 v[58:59], s[22:23], v[54:55], v[56:57]
	v_add_f64 v[46:47], v[46:47], v[56:57]
	v_add_f64 v[56:57], v[60:61], -v[48:49]
	v_add_f64 v[46:47], v[56:57], v[46:47]
	v_add_f64 v[56:57], v[46:47], -v[58:59]
	v_fmac_f64_e32 v[56:57], s[30:31], v[54:55]
	v_add_f64 v[46:47], v[48:49], v[56:57]
	v_add_f64 v[48:49], v[46:47], -v[48:49]
	v_add_f64 v[48:49], v[56:57], -v[48:49]
	v_cvt_i32_f64_e32 v54, v[54:55]
.LBB254_297:                            ;   in Loop: Header=BB254_233 Depth=1
	s_or_b64 exec, exec, s[0:1]
	s_mov_b32 s34, s36
	v_mul_f64 v[56:57], v[12:13], s[34:35]
	v_rndne_f64_e32 v[56:57], v[56:57]
	v_fma_f64 v[58:59], v[56:57], s[38:39], -v[12:13]
	v_fmac_f64_e32 v[58:59], s[40:41], v[56:57]
	v_pk_mov_b32 v[60:61], v[22:23], v[22:23] op_sel:[0,1]
	v_fmac_f64_e32 v[60:61], s[42:43], v[58:59]
	v_pk_mov_b32 v[62:63], v[24:25], v[24:25] op_sel:[0,1]
	;; [unrolled: 2-line block ×9, first 2 shown]
	v_fmac_f64_e32 v[60:61], v[58:59], v[62:63]
	v_fma_f64 v[60:61], v[58:59], v[60:61], 1.0
	v_fma_f64 v[58:59], v[58:59], v[60:61], 1.0
	v_cvt_i32_f64_e32 v17, v[56:57]
	v_ldexp_f64 v[56:57], v[58:59], v17
	v_cmp_ngt_f64_e32 vcc, s[48:49], v[12:13]
	v_cmp_nlt_f64_e64 s[0:1], s[50:51], v[12:13]
	v_cndmask_b32_e32 v17, v52, v57, vcc
	s_and_b64 vcc, s[0:1], vcc
	v_cndmask_b32_e32 v12, 0, v56, vcc
	v_mul_f64 v[56:57], v[42:43], v[42:43]
	v_pk_mov_b32 v[64:65], s[52:53], s[52:53] op_sel:[0,1]
	v_mul_f64 v[58:59], v[56:57], 0.5
	v_fma_f64 v[66:67], s[54:55], v[56:57], v[64:65]
	v_add_f64 v[60:61], -v[58:59], 1.0
	v_fma_f64 v[66:67], v[56:57], v[66:67], s[56:57]
	v_add_f64 v[62:63], -v[60:61], 1.0
	v_fma_f64 v[66:67], v[56:57], v[66:67], s[58:59]
	v_add_f64 v[58:59], v[62:63], -v[58:59]
	v_fma_f64 v[66:67], v[56:57], v[66:67], s[60:61]
	v_mul_f64 v[62:63], v[56:57], v[56:57]
	v_fma_f64 v[66:67], v[56:57], v[66:67], s[46:47]
	v_fma_f64 v[58:59], v[42:43], -v[44:45], v[58:59]
	v_fmac_f64_e32 v[58:59], v[62:63], v[66:67]
	v_add_f64 v[58:59], v[60:61], v[58:59]
	v_pk_mov_b32 v[60:61], s[62:63], s[62:63] op_sel:[0,1]
	v_fma_f64 v[62:63], s[64:65], v[56:57], v[60:61]
	v_fma_f64 v[62:63], v[56:57], v[62:63], s[66:67]
	;; [unrolled: 1-line block ×4, first 2 shown]
	v_mul_f64 v[66:67], v[42:43], -v[56:57]
	v_mul_f64 v[68:69], v[44:45], 0.5
	v_fmac_f64_e32 v[68:69], v[66:67], v[62:63]
	v_fma_f64 v[44:45], v[56:57], v[68:69], -v[44:45]
	s_mov_b32 s70, s46
	v_fmac_f64_e32 v[44:45], s[70:71], v[66:67]
	v_add_f64 v[42:43], v[42:43], -v[44:45]
	v_cndmask_b32_e64 v13, 0, v17, s[0:1]
	v_xor_b32_e32 v17, 0x80000000, v43
	v_and_b32_e32 v43, 1, v40
	v_cmp_eq_u32_e32 vcc, 0, v43
	v_lshlrev_b32_e32 v40, 30, v40
	v_cndmask_b32_e32 v17, v17, v59, vcc
	v_and_b32_e32 v40, 0x80000000, v40
	v_cndmask_b32_e32 v42, v42, v58, vcc
	v_xor_b32_e32 v17, v17, v40
	v_cmp_class_f64_e64 vcc, v[14:15], s72
	v_cndmask_b32_e32 v14, 0, v42, vcc
	v_cndmask_b32_e32 v15, v53, v17, vcc
	v_mul_f64 v[42:43], v[12:13], v[14:15]
	v_mul_f64 v[14:15], v[46:47], v[46:47]
	v_mul_f64 v[44:45], v[14:15], 0.5
	v_fmac_f64_e32 v[64:65], s[54:55], v[14:15]
	v_add_f64 v[56:57], -v[44:45], 1.0
	v_fma_f64 v[62:63], v[14:15], v[64:65], s[56:57]
	v_add_f64 v[58:59], -v[56:57], 1.0
	v_fma_f64 v[62:63], v[14:15], v[62:63], s[58:59]
	v_add_f64 v[44:45], v[58:59], -v[44:45]
	v_fma_f64 v[62:63], v[14:15], v[62:63], s[60:61]
	v_mul_f64 v[58:59], v[14:15], v[14:15]
	v_fma_f64 v[62:63], v[14:15], v[62:63], s[46:47]
	v_fma_f64 v[44:45], v[46:47], -v[48:49], v[44:45]
	v_fmac_f64_e32 v[44:45], v[58:59], v[62:63]
	v_fmac_f64_e32 v[60:61], s[64:65], v[14:15]
	v_add_f64 v[44:45], v[56:57], v[44:45]
	v_fma_f64 v[56:57], v[14:15], v[60:61], s[66:67]
	v_fma_f64 v[56:57], v[14:15], v[56:57], s[68:69]
	;; [unrolled: 1-line block ×3, first 2 shown]
	v_mul_f64 v[58:59], v[46:47], -v[14:15]
	v_mul_f64 v[60:61], v[48:49], 0.5
	v_fmac_f64_e32 v[60:61], v[58:59], v[56:57]
	v_fma_f64 v[14:15], v[14:15], v[60:61], -v[48:49]
	v_and_b32_e32 v17, 1, v54
	v_fmac_f64_e32 v[14:15], s[70:71], v[58:59]
	v_cmp_eq_u32_e64 s[0:1], 0, v17
	v_lshlrev_b32_e32 v17, 30, v54
	v_add_f64 v[14:15], v[46:47], -v[14:15]
	v_xor_b32_e32 v17, v17, v41
	v_cndmask_b32_e64 v15, v45, v15, s[0:1]
	v_and_b32_e32 v17, 0x80000000, v17
	v_cndmask_b32_e64 v14, v44, v14, s[0:1]
	v_xor_b32_e32 v15, v15, v17
	v_cndmask_b32_e32 v14, 0, v14, vcc
	v_cndmask_b32_e32 v15, v53, v15, vcc
	v_mul_f64 v[40:41], v[12:13], v[14:15]
                                        ; implicit-def: $vgpr14_vgpr15
.LBB254_298:                            ;   in Loop: Header=BB254_233 Depth=1
	s_andn2_saveexec_b64 s[86:87], s[2:3]
	s_cbranch_execz .LBB254_308
; %bb.299:                              ;   in Loop: Header=BB254_233 Depth=1
	v_cmp_nlt_f64_e64 s[2:3], |v[14:15]|, s[6:7]
                                        ; implicit-def: $vgpr40
                                        ; implicit-def: $vgpr42_vgpr43
                                        ; implicit-def: $vgpr44_vgpr45
	s_and_saveexec_b64 s[0:1], s[2:3]
	s_xor_b64 s[88:89], exec, s[0:1]
	s_cbranch_execz .LBB254_301
; %bb.300:                              ;   in Loop: Header=BB254_233 Depth=1
	v_and_b32_e32 v17, 0x7fffffff, v15
	v_ldexp_f64 v[46:47], |v[14:15]|, s95
	v_cmp_ge_f64_e64 vcc, |v[14:15]|, s[8:9]
	v_trig_preop_f64 v[42:43], |v[14:15]|, 0
	v_cndmask_b32_e32 v47, v17, v47, vcc
	v_cndmask_b32_e32 v46, v14, v46, vcc
	v_trig_preop_f64 v[44:45], |v[14:15]|, 1
	v_mul_f64 v[54:55], v[42:43], v[46:47]
	v_mul_f64 v[48:49], v[44:45], v[46:47]
	v_fma_f64 v[42:43], v[42:43], v[46:47], -v[54:55]
	v_add_f64 v[56:57], v[48:49], v[42:43]
	v_add_f64 v[58:59], v[54:55], v[56:57]
	v_ldexp_f64 v[60:61], v[58:59], -2
	v_fract_f64_e32 v[62:63], v[60:61]
	v_cmp_neq_f64_e64 vcc, |v[60:61]|, s[10:11]
	v_cndmask_b32_e32 v61, 0, v63, vcc
	v_cndmask_b32_e32 v60, 0, v62, vcc
	v_add_f64 v[62:63], v[56:57], -v[48:49]
	v_add_f64 v[42:43], v[42:43], -v[62:63]
	;; [unrolled: 1-line block ×4, first 2 shown]
	v_fma_f64 v[44:45], v[44:45], v[46:47], -v[48:49]
	v_trig_preop_f64 v[48:49], |v[14:15]|, 2
	v_add_f64 v[42:43], v[42:43], v[62:63]
	v_mul_f64 v[62:63], v[48:49], v[46:47]
	v_add_f64 v[64:65], v[62:63], v[44:45]
	v_add_f64 v[66:67], v[64:65], v[42:43]
	v_add_f64 v[54:55], v[58:59], -v[54:55]
	v_add_f64 v[58:59], v[66:67], -v[64:65]
	;; [unrolled: 1-line block ×5, first 2 shown]
	v_add_f64 v[42:43], v[42:43], v[58:59]
	v_add_f64 v[58:59], v[64:65], -v[62:63]
	v_add_f64 v[44:45], v[44:45], -v[58:59]
	;; [unrolled: 1-line block ×4, first 2 shown]
	v_add_f64 v[44:45], v[44:45], v[58:59]
	v_add_f64 v[54:55], v[56:57], -v[54:55]
	v_add_f64 v[42:43], v[44:45], v[42:43]
	v_fma_f64 v[44:45], v[48:49], v[46:47], -v[62:63]
	v_add_f64 v[56:57], v[54:55], v[66:67]
	v_add_f64 v[42:43], v[44:45], v[42:43]
	v_ldexp_f64 v[44:45], v[60:61], 2
	v_add_f64 v[46:47], v[56:57], v[44:45]
	v_cmp_gt_f64_e32 vcc, 0, v[46:47]
	v_cndmask_b32_e32 v17, 0, v50, vcc
	v_add_f64 v[44:45], v[44:45], v[16:17]
	v_add_f64 v[46:47], v[56:57], v[44:45]
	v_cvt_i32_f64_e32 v17, v[46:47]
	v_cvt_f64_i32_e32 v[46:47], v17
	v_add_f64 v[44:45], v[44:45], -v[46:47]
	v_add_f64 v[54:55], v[56:57], -v[54:55]
	v_add_f64 v[46:47], v[56:57], v[44:45]
	v_add_f64 v[54:55], v[66:67], -v[54:55]
	v_add_f64 v[44:45], v[46:47], -v[44:45]
	v_cmp_le_f64_e32 vcc, 0.5, v[46:47]
	v_add_f64 v[42:43], v[54:55], v[42:43]
	v_add_f64 v[44:45], v[56:57], -v[44:45]
	v_addc_co_u32_e64 v40, s[0:1], 0, v17, vcc
	v_cndmask_b32_e32 v17, 0, v51, vcc
	v_add_f64 v[42:43], v[42:43], v[44:45]
	v_add_f64 v[44:45], v[46:47], -v[16:17]
	v_add_f64 v[46:47], v[44:45], v[42:43]
	v_add_f64 v[44:45], v[46:47], -v[44:45]
	s_mov_b32 s12, s20
	v_add_f64 v[42:43], v[42:43], -v[44:45]
	v_mul_f64 v[44:45], v[46:47], s[12:13]
	v_fma_f64 v[48:49], v[46:47], s[12:13], -v[44:45]
	s_mov_b32 s25, s23
	v_fmac_f64_e32 v[48:49], s[24:25], v[46:47]
	v_fmac_f64_e32 v[48:49], s[12:13], v[42:43]
	v_add_f64 v[42:43], v[44:45], v[48:49]
	v_add_f64 v[44:45], v[42:43], -v[44:45]
	v_add_f64 v[44:45], v[48:49], -v[44:45]
	s_andn2_saveexec_b64 s[0:1], s[88:89]
	s_cbranch_execz .LBB254_303
	s_branch .LBB254_302
.LBB254_301:                            ;   in Loop: Header=BB254_233 Depth=1
	s_andn2_saveexec_b64 s[0:1], s[88:89]
	s_cbranch_execz .LBB254_303
.LBB254_302:                            ;   in Loop: Header=BB254_233 Depth=1
	v_mul_f64 v[42:43], |v[14:15]|, s[26:27]
	v_rndne_f64_e32 v[46:47], v[42:43]
	v_fma_f64 v[42:43], v[46:47], s[20:21], |v[14:15]|
	v_mul_f64 v[48:49], v[46:47], s[28:29]
	v_add_f64 v[56:57], v[42:43], v[48:49]
	v_fma_f64 v[44:45], s[28:29], v[46:47], v[42:43]
	s_mov_b32 s22, s28
	v_add_f64 v[42:43], v[42:43], -v[56:57]
	v_fma_f64 v[54:55], s[22:23], v[46:47], v[48:49]
	v_add_f64 v[42:43], v[42:43], v[48:49]
	v_add_f64 v[48:49], v[56:57], -v[44:45]
	v_add_f64 v[42:43], v[48:49], v[42:43]
	v_add_f64 v[48:49], v[42:43], -v[54:55]
	v_fmac_f64_e32 v[48:49], s[30:31], v[46:47]
	v_add_f64 v[42:43], v[44:45], v[48:49]
	v_add_f64 v[44:45], v[42:43], -v[44:45]
	v_add_f64 v[44:45], v[48:49], -v[44:45]
	v_cvt_i32_f64_e32 v40, v[46:47]
.LBB254_303:                            ;   in Loop: Header=BB254_233 Depth=1
	s_or_b64 exec, exec, s[0:1]
                                        ; implicit-def: $vgpr54
                                        ; implicit-def: $vgpr46_vgpr47
                                        ; implicit-def: $vgpr48_vgpr49
	s_and_saveexec_b64 s[0:1], s[2:3]
	s_xor_b64 s[2:3], exec, s[0:1]
	s_cbranch_execz .LBB254_305
; %bb.304:                              ;   in Loop: Header=BB254_233 Depth=1
	v_and_b32_e32 v17, 0x7fffffff, v15
	v_ldexp_f64 v[54:55], |v[14:15]|, s95
	v_cmp_ge_f64_e64 vcc, |v[14:15]|, s[8:9]
	v_trig_preop_f64 v[46:47], |v[14:15]|, 0
	v_cndmask_b32_e32 v55, v17, v55, vcc
	v_cndmask_b32_e32 v54, v14, v54, vcc
	v_trig_preop_f64 v[48:49], |v[14:15]|, 1
	v_mul_f64 v[58:59], v[46:47], v[54:55]
	v_mul_f64 v[56:57], v[48:49], v[54:55]
	v_fma_f64 v[46:47], v[46:47], v[54:55], -v[58:59]
	v_add_f64 v[60:61], v[56:57], v[46:47]
	v_add_f64 v[62:63], v[58:59], v[60:61]
	v_ldexp_f64 v[64:65], v[62:63], -2
	v_fract_f64_e32 v[66:67], v[64:65]
	v_cmp_neq_f64_e64 vcc, |v[64:65]|, s[10:11]
	v_cndmask_b32_e32 v65, 0, v67, vcc
	v_cndmask_b32_e32 v64, 0, v66, vcc
	v_add_f64 v[66:67], v[60:61], -v[56:57]
	v_add_f64 v[46:47], v[46:47], -v[66:67]
	;; [unrolled: 1-line block ×4, first 2 shown]
	v_fma_f64 v[48:49], v[48:49], v[54:55], -v[56:57]
	v_trig_preop_f64 v[56:57], |v[14:15]|, 2
	v_add_f64 v[46:47], v[46:47], v[66:67]
	v_mul_f64 v[66:67], v[56:57], v[54:55]
	v_add_f64 v[68:69], v[66:67], v[48:49]
	v_add_f64 v[70:71], v[68:69], v[46:47]
	v_add_f64 v[58:59], v[62:63], -v[58:59]
	v_add_f64 v[62:63], v[70:71], -v[68:69]
	;; [unrolled: 1-line block ×5, first 2 shown]
	v_add_f64 v[46:47], v[46:47], v[62:63]
	v_add_f64 v[62:63], v[68:69], -v[66:67]
	v_add_f64 v[48:49], v[48:49], -v[62:63]
	;; [unrolled: 1-line block ×4, first 2 shown]
	v_add_f64 v[48:49], v[48:49], v[62:63]
	v_add_f64 v[58:59], v[60:61], -v[58:59]
	v_add_f64 v[46:47], v[48:49], v[46:47]
	v_fma_f64 v[48:49], v[56:57], v[54:55], -v[66:67]
	v_add_f64 v[60:61], v[58:59], v[70:71]
	v_add_f64 v[46:47], v[48:49], v[46:47]
	v_ldexp_f64 v[48:49], v[64:65], 2
	v_add_f64 v[54:55], v[60:61], v[48:49]
	v_cmp_gt_f64_e32 vcc, 0, v[54:55]
	v_cndmask_b32_e32 v17, 0, v50, vcc
	v_add_f64 v[48:49], v[48:49], v[16:17]
	v_add_f64 v[54:55], v[60:61], v[48:49]
	v_cvt_i32_f64_e32 v17, v[54:55]
	v_cvt_f64_i32_e32 v[54:55], v17
	v_add_f64 v[48:49], v[48:49], -v[54:55]
	v_add_f64 v[58:59], v[60:61], -v[58:59]
	v_add_f64 v[56:57], v[60:61], v[48:49]
	v_add_f64 v[58:59], v[70:71], -v[58:59]
	v_add_f64 v[48:49], v[56:57], -v[48:49]
	v_cmp_le_f64_e32 vcc, 0.5, v[56:57]
	v_add_f64 v[46:47], v[58:59], v[46:47]
	v_add_f64 v[48:49], v[60:61], -v[48:49]
	v_addc_co_u32_e64 v54, s[0:1], 0, v17, vcc
	v_cndmask_b32_e32 v17, 0, v51, vcc
	v_add_f64 v[46:47], v[46:47], v[48:49]
	v_add_f64 v[48:49], v[56:57], -v[16:17]
	v_add_f64 v[56:57], v[48:49], v[46:47]
	v_add_f64 v[48:49], v[56:57], -v[48:49]
	s_mov_b32 s12, s20
	v_add_f64 v[46:47], v[46:47], -v[48:49]
	v_mul_f64 v[48:49], v[56:57], s[12:13]
	v_fma_f64 v[58:59], v[56:57], s[12:13], -v[48:49]
	s_mov_b32 s25, s23
	v_fmac_f64_e32 v[58:59], s[24:25], v[56:57]
	v_fmac_f64_e32 v[58:59], s[12:13], v[46:47]
	v_add_f64 v[46:47], v[48:49], v[58:59]
	v_add_f64 v[48:49], v[46:47], -v[48:49]
	v_add_f64 v[48:49], v[58:59], -v[48:49]
	s_andn2_saveexec_b64 s[0:1], s[2:3]
	s_cbranch_execnz .LBB254_306
	s_branch .LBB254_307
.LBB254_305:                            ;   in Loop: Header=BB254_233 Depth=1
	s_andn2_saveexec_b64 s[0:1], s[2:3]
	s_cbranch_execz .LBB254_307
.LBB254_306:                            ;   in Loop: Header=BB254_233 Depth=1
	v_mul_f64 v[46:47], |v[14:15]|, s[26:27]
	v_rndne_f64_e32 v[54:55], v[46:47]
	v_fma_f64 v[46:47], v[54:55], s[20:21], |v[14:15]|
	v_mul_f64 v[56:57], v[54:55], s[28:29]
	v_add_f64 v[60:61], v[46:47], v[56:57]
	v_fma_f64 v[48:49], s[28:29], v[54:55], v[46:47]
	s_mov_b32 s22, s28
	v_add_f64 v[46:47], v[46:47], -v[60:61]
	v_fma_f64 v[58:59], s[22:23], v[54:55], v[56:57]
	v_add_f64 v[46:47], v[46:47], v[56:57]
	v_add_f64 v[56:57], v[60:61], -v[48:49]
	v_add_f64 v[46:47], v[56:57], v[46:47]
	v_add_f64 v[56:57], v[46:47], -v[58:59]
	v_fmac_f64_e32 v[56:57], s[30:31], v[54:55]
	v_add_f64 v[46:47], v[48:49], v[56:57]
	v_add_f64 v[48:49], v[46:47], -v[48:49]
	v_add_f64 v[48:49], v[56:57], -v[48:49]
	v_cvt_i32_f64_e32 v54, v[54:55]
.LBB254_307:                            ;   in Loop: Header=BB254_233 Depth=1
	s_or_b64 exec, exec, s[0:1]
	v_mul_f64 v[56:57], v[42:43], v[42:43]
	v_pk_mov_b32 v[64:65], s[52:53], s[52:53] op_sel:[0,1]
	v_mul_f64 v[58:59], v[56:57], 0.5
	v_fma_f64 v[66:67], s[54:55], v[56:57], v[64:65]
	v_add_f64 v[60:61], -v[58:59], 1.0
	v_fma_f64 v[66:67], v[56:57], v[66:67], s[56:57]
	v_fma_f64 v[66:67], v[56:57], v[66:67], s[58:59]
	v_add_f64 v[68:69], -v[60:61], 1.0
	v_fma_f64 v[66:67], v[56:57], v[66:67], s[60:61]
	v_add_f64 v[58:59], v[68:69], -v[58:59]
	v_mul_f64 v[62:63], v[56:57], v[56:57]
	v_fma_f64 v[66:67], v[56:57], v[66:67], s[46:47]
	v_fma_f64 v[58:59], v[42:43], -v[44:45], v[58:59]
	v_fmac_f64_e32 v[58:59], v[62:63], v[66:67]
	v_pk_mov_b32 v[62:63], s[62:63], s[62:63] op_sel:[0,1]
	v_fma_f64 v[66:67], s[64:65], v[56:57], v[62:63]
	v_fma_f64 v[66:67], v[56:57], v[66:67], s[66:67]
	v_fma_f64 v[66:67], v[56:57], v[66:67], s[68:69]
	v_add_f64 v[58:59], v[60:61], v[58:59]
	v_mul_f64 v[60:61], v[42:43], -v[56:57]
	v_fma_f64 v[66:67], v[56:57], v[66:67], s[44:45]
	v_mul_f64 v[68:69], v[44:45], 0.5
	v_fmac_f64_e32 v[68:69], v[60:61], v[66:67]
	v_fma_f64 v[44:45], v[56:57], v[68:69], -v[44:45]
	s_mov_b32 s70, s46
	v_fmac_f64_e32 v[44:45], s[70:71], v[60:61]
	v_and_b32_e32 v17, 1, v40
	v_add_f64 v[42:43], v[42:43], -v[44:45]
	s_mov_b32 s0, 0x19ba0da4
	v_xor_b32_e32 v43, 0x80000000, v43
	v_cmp_eq_u32_e32 vcc, 0, v17
	v_lshlrev_b32_e32 v40, 30, v40
	s_mov_b32 s1, 0xc0937be3
	v_cndmask_b32_e32 v17, v42, v58, vcc
	v_cndmask_b32_e32 v42, v43, v59, vcc
	v_and_b32_e32 v40, 0x80000000, v40
	v_add_f64 v[12:13], -v[12:13], s[0:1]
	v_xor_b32_e32 v40, v42, v40
	v_mul_f64 v[42:43], v[12:13], s[36:37]
	v_rndne_f64_e32 v[42:43], v[42:43]
	v_fma_f64 v[44:45], s[38:39], v[42:43], v[12:13]
	v_fmac_f64_e32 v[44:45], s[40:41], v[42:43]
	v_pk_mov_b32 v[56:57], v[22:23], v[22:23] op_sel:[0,1]
	v_fmac_f64_e32 v[56:57], s[42:43], v[44:45]
	v_pk_mov_b32 v[58:59], v[24:25], v[24:25] op_sel:[0,1]
	;; [unrolled: 2-line block ×9, first 2 shown]
	v_fmac_f64_e32 v[56:57], v[44:45], v[58:59]
	v_cmp_class_f64_e64 vcc, v[14:15], s72
	v_fma_f64 v[56:57], v[44:45], v[56:57], 1.0
	v_cndmask_b32_e32 v14, 0, v17, vcc
	v_fma_f64 v[44:45], v[44:45], v[56:57], 1.0
	v_cvt_i32_f64_e32 v17, v[42:43]
	v_ldexp_f64 v[42:43], v[44:45], v17
	v_cmp_nlt_f64_e64 s[0:1], s[74:75], v[12:13]
	v_cndmask_b32_e64 v17, v52, v43, s[0:1]
	v_cmp_ngt_f64_e64 s[2:3], s[76:77], v[12:13]
	v_cndmask_b32_e64 v17, 0, v17, s[2:3]
	v_and_b32_e32 v13, 0xfffff, v17
	v_lshrrev_b32_e32 v17, 20, v17
	v_cndmask_b32_e32 v15, v53, v40, vcc
	v_add_u32_e32 v40, 0xffffff09, v17
	v_lshrrev_b16_e32 v17, 15, v40
	v_add_u16_e32 v17, v40, v17
	s_and_b64 s[0:1], s[2:3], s[0:1]
	v_ashrrev_i16_e32 v17, 1, v17
	v_cndmask_b32_e64 v12, 0, v42, s[0:1]
	v_or_b32_e32 v13, 0x7fe00000, v13
	v_bfe_i32 v42, v17, 0, 16
	v_mul_f64 v[14:15], v[12:13], v[14:15]
	v_lshl_add_u32 v17, v42, 20, v51
	v_sub_u32_e32 v40, v40, v42
	v_mul_f64 v[14:15], v[14:15], v[16:17]
	v_lshl_add_u32 v45, v40, 20, v51
	v_mov_b32_e32 v44, v16
	v_mul_f64 v[42:43], v[14:15], v[44:45]
	v_mul_f64 v[14:15], v[46:47], v[46:47]
	v_mul_f64 v[56:57], v[14:15], 0.5
	v_fmac_f64_e32 v[64:65], s[54:55], v[14:15]
	v_add_f64 v[58:59], -v[56:57], 1.0
	v_fma_f64 v[64:65], v[14:15], v[64:65], s[56:57]
	v_add_f64 v[60:61], -v[58:59], 1.0
	v_fma_f64 v[64:65], v[14:15], v[64:65], s[58:59]
	v_add_f64 v[56:57], v[60:61], -v[56:57]
	v_fma_f64 v[64:65], v[14:15], v[64:65], s[60:61]
	v_mul_f64 v[60:61], v[14:15], v[14:15]
	v_fma_f64 v[64:65], v[14:15], v[64:65], s[46:47]
	v_fma_f64 v[56:57], v[46:47], -v[48:49], v[56:57]
	v_fmac_f64_e32 v[56:57], v[60:61], v[64:65]
	v_fmac_f64_e32 v[62:63], s[64:65], v[14:15]
	v_add_f64 v[56:57], v[58:59], v[56:57]
	v_fma_f64 v[58:59], v[14:15], v[62:63], s[66:67]
	v_fma_f64 v[58:59], v[14:15], v[58:59], s[68:69]
	;; [unrolled: 1-line block ×3, first 2 shown]
	v_mul_f64 v[60:61], v[46:47], -v[14:15]
	v_mul_f64 v[62:63], v[48:49], 0.5
	v_fmac_f64_e32 v[62:63], v[60:61], v[58:59]
	v_fma_f64 v[14:15], v[14:15], v[62:63], -v[48:49]
	v_and_b32_e32 v40, 1, v54
	v_fmac_f64_e32 v[14:15], s[70:71], v[60:61]
	v_cmp_eq_u32_e64 s[0:1], 0, v40
	v_lshlrev_b32_e32 v40, 30, v54
	v_add_f64 v[14:15], v[46:47], -v[14:15]
	v_xor_b32_e32 v40, v40, v41
	v_cndmask_b32_e64 v15, v57, v15, s[0:1]
	v_and_b32_e32 v40, 0x80000000, v40
	v_cndmask_b32_e64 v14, v56, v14, s[0:1]
	v_xor_b32_e32 v15, v15, v40
	v_cndmask_b32_e32 v14, 0, v14, vcc
	v_cndmask_b32_e32 v15, v53, v15, vcc
	v_mul_f64 v[12:13], v[12:13], v[14:15]
	v_mul_f64 v[12:13], v[12:13], v[16:17]
	;; [unrolled: 1-line block ×3, first 2 shown]
.LBB254_308:                            ;   in Loop: Header=BB254_233 Depth=1
	s_or_b64 exec, exec, s[86:87]
                                        ; implicit-def: $vgpr44_vgpr45
                                        ; implicit-def: $vgpr12_vgpr13
                                        ; implicit-def: $vgpr17
.LBB254_309:                            ;   in Loop: Header=BB254_233 Depth=1
	s_andn2_saveexec_b64 s[2:3], s[84:85]
	s_cbranch_execz .LBB254_315
; %bb.310:                              ;   in Loop: Header=BB254_233 Depth=1
	v_cmp_ne_u32_e32 vcc, 0, v44
	v_cmp_ne_u32_e64 s[0:1], s93, v17
	s_or_b64 s[0:1], vcc, s[0:1]
	v_add_f64 v[40:41], v[14:15], -v[14:15]
	s_and_saveexec_b64 s[84:85], s[0:1]
	s_xor_b64 s[0:1], exec, s[84:85]
; %bb.311:                              ;   in Loop: Header=BB254_233 Depth=1
                                        ; implicit-def: $vgpr44_vgpr45
                                        ; implicit-def: $vgpr12_vgpr13
; %bb.312:                              ;   in Loop: Header=BB254_233 Depth=1
	s_or_saveexec_b64 s[0:1], s[0:1]
	v_pk_mov_b32 v[42:43], v[40:41], v[40:41] op_sel:[0,1]
	s_xor_b64 exec, exec, s[0:1]
; %bb.313:                              ;   in Loop: Header=BB254_233 Depth=1
	v_cmp_lt_i64_e32 vcc, -1, v[44:45]
	v_cndmask_b32_e32 v43, 0, v45, vcc
	v_cndmask_b32_e32 v42, 0, v12, vcc
	;; [unrolled: 1-line block ×4, first 2 shown]
; %bb.314:                              ;   in Loop: Header=BB254_233 Depth=1
	s_or_b64 exec, exec, s[0:1]
.LBB254_315:                            ;   in Loop: Header=BB254_233 Depth=1
	s_or_b64 exec, exec, s[2:3]
                                        ; implicit-def: $vgpr14_vgpr15
.LBB254_316:                            ;   in Loop: Header=BB254_233 Depth=1
	s_andn2_saveexec_b64 s[2:3], s[82:83]
	s_cbranch_execz .LBB254_326
; %bb.317:                              ;   in Loop: Header=BB254_233 Depth=1
	v_cmp_nlt_f64_e64 s[82:83], |v[14:15]|, s[6:7]
                                        ; implicit-def: $vgpr40
                                        ; implicit-def: $vgpr12_vgpr13
                                        ; implicit-def: $vgpr42_vgpr43
	s_and_saveexec_b64 s[0:1], s[82:83]
	s_xor_b64 s[84:85], exec, s[0:1]
	s_cbranch_execz .LBB254_319
; %bb.318:                              ;   in Loop: Header=BB254_233 Depth=1
	v_and_b32_e32 v17, 0x7fffffff, v15
	v_ldexp_f64 v[44:45], |v[14:15]|, s95
	v_cmp_ge_f64_e64 vcc, |v[14:15]|, s[8:9]
	v_trig_preop_f64 v[12:13], |v[14:15]|, 0
	v_cndmask_b32_e32 v45, v17, v45, vcc
	v_cndmask_b32_e32 v44, v14, v44, vcc
	v_trig_preop_f64 v[42:43], |v[14:15]|, 1
	v_mul_f64 v[48:49], v[12:13], v[44:45]
	v_mul_f64 v[46:47], v[42:43], v[44:45]
	v_fma_f64 v[12:13], v[12:13], v[44:45], -v[48:49]
	v_add_f64 v[54:55], v[46:47], v[12:13]
	v_add_f64 v[56:57], v[48:49], v[54:55]
	v_ldexp_f64 v[58:59], v[56:57], -2
	v_fract_f64_e32 v[60:61], v[58:59]
	v_cmp_neq_f64_e64 vcc, |v[58:59]|, s[10:11]
	v_cndmask_b32_e32 v59, 0, v61, vcc
	v_cndmask_b32_e32 v58, 0, v60, vcc
	v_add_f64 v[60:61], v[54:55], -v[46:47]
	v_add_f64 v[12:13], v[12:13], -v[60:61]
	;; [unrolled: 1-line block ×4, first 2 shown]
	v_fma_f64 v[42:43], v[42:43], v[44:45], -v[46:47]
	v_trig_preop_f64 v[46:47], |v[14:15]|, 2
	v_add_f64 v[12:13], v[12:13], v[60:61]
	v_mul_f64 v[60:61], v[46:47], v[44:45]
	v_add_f64 v[62:63], v[60:61], v[42:43]
	v_add_f64 v[64:65], v[62:63], v[12:13]
	v_add_f64 v[48:49], v[56:57], -v[48:49]
	v_add_f64 v[56:57], v[64:65], -v[62:63]
	;; [unrolled: 1-line block ×5, first 2 shown]
	v_add_f64 v[12:13], v[12:13], v[56:57]
	v_add_f64 v[56:57], v[62:63], -v[60:61]
	v_add_f64 v[42:43], v[42:43], -v[56:57]
	;; [unrolled: 1-line block ×4, first 2 shown]
	v_add_f64 v[42:43], v[42:43], v[56:57]
	v_add_f64 v[48:49], v[54:55], -v[48:49]
	v_add_f64 v[12:13], v[42:43], v[12:13]
	v_fma_f64 v[42:43], v[46:47], v[44:45], -v[60:61]
	v_add_f64 v[54:55], v[48:49], v[64:65]
	v_add_f64 v[12:13], v[42:43], v[12:13]
	v_ldexp_f64 v[42:43], v[58:59], 2
	v_add_f64 v[44:45], v[54:55], v[42:43]
	v_cmp_gt_f64_e32 vcc, 0, v[44:45]
	v_cndmask_b32_e32 v17, 0, v50, vcc
	v_add_f64 v[42:43], v[42:43], v[16:17]
	v_add_f64 v[44:45], v[54:55], v[42:43]
	v_cvt_i32_f64_e32 v17, v[44:45]
	v_cvt_f64_i32_e32 v[44:45], v17
	v_add_f64 v[42:43], v[42:43], -v[44:45]
	v_add_f64 v[48:49], v[54:55], -v[48:49]
	v_add_f64 v[44:45], v[54:55], v[42:43]
	v_add_f64 v[48:49], v[64:65], -v[48:49]
	v_add_f64 v[42:43], v[44:45], -v[42:43]
	v_cmp_le_f64_e32 vcc, 0.5, v[44:45]
	v_add_f64 v[12:13], v[48:49], v[12:13]
	v_add_f64 v[42:43], v[54:55], -v[42:43]
	v_addc_co_u32_e64 v40, s[0:1], 0, v17, vcc
	v_cndmask_b32_e32 v17, 0, v51, vcc
	v_add_f64 v[12:13], v[12:13], v[42:43]
	v_add_f64 v[42:43], v[44:45], -v[16:17]
	v_add_f64 v[44:45], v[42:43], v[12:13]
	v_add_f64 v[42:43], v[44:45], -v[42:43]
	s_mov_b32 s12, s20
	v_add_f64 v[12:13], v[12:13], -v[42:43]
	v_mul_f64 v[42:43], v[44:45], s[12:13]
	v_fma_f64 v[46:47], v[44:45], s[12:13], -v[42:43]
	s_mov_b32 s25, s23
	v_fmac_f64_e32 v[46:47], s[24:25], v[44:45]
	v_fmac_f64_e32 v[46:47], s[12:13], v[12:13]
	v_add_f64 v[12:13], v[42:43], v[46:47]
	v_add_f64 v[42:43], v[12:13], -v[42:43]
	v_add_f64 v[42:43], v[46:47], -v[42:43]
	s_andn2_saveexec_b64 s[0:1], s[84:85]
	s_cbranch_execz .LBB254_321
	s_branch .LBB254_320
.LBB254_319:                            ;   in Loop: Header=BB254_233 Depth=1
	s_andn2_saveexec_b64 s[0:1], s[84:85]
	s_cbranch_execz .LBB254_321
.LBB254_320:                            ;   in Loop: Header=BB254_233 Depth=1
	v_mul_f64 v[12:13], |v[14:15]|, s[26:27]
	v_rndne_f64_e32 v[44:45], v[12:13]
	v_fma_f64 v[12:13], v[44:45], s[20:21], |v[14:15]|
	v_mul_f64 v[46:47], v[44:45], s[28:29]
	v_add_f64 v[54:55], v[12:13], v[46:47]
	v_fma_f64 v[42:43], s[28:29], v[44:45], v[12:13]
	s_mov_b32 s22, s28
	v_add_f64 v[12:13], v[12:13], -v[54:55]
	v_fma_f64 v[48:49], s[22:23], v[44:45], v[46:47]
	v_add_f64 v[12:13], v[12:13], v[46:47]
	v_add_f64 v[46:47], v[54:55], -v[42:43]
	v_add_f64 v[12:13], v[46:47], v[12:13]
	v_add_f64 v[46:47], v[12:13], -v[48:49]
	v_fmac_f64_e32 v[46:47], s[30:31], v[44:45]
	v_add_f64 v[12:13], v[42:43], v[46:47]
	v_add_f64 v[42:43], v[12:13], -v[42:43]
	v_add_f64 v[42:43], v[46:47], -v[42:43]
	v_cvt_i32_f64_e32 v40, v[44:45]
.LBB254_321:                            ;   in Loop: Header=BB254_233 Depth=1
	s_or_b64 exec, exec, s[0:1]
                                        ; implicit-def: $vgpr48
                                        ; implicit-def: $vgpr44_vgpr45
                                        ; implicit-def: $vgpr46_vgpr47
	s_and_saveexec_b64 s[0:1], s[82:83]
	s_xor_b64 s[82:83], exec, s[0:1]
	s_cbranch_execz .LBB254_323
; %bb.322:                              ;   in Loop: Header=BB254_233 Depth=1
	v_and_b32_e32 v17, 0x7fffffff, v15
	v_ldexp_f64 v[48:49], |v[14:15]|, s95
	v_cmp_ge_f64_e64 vcc, |v[14:15]|, s[8:9]
	v_trig_preop_f64 v[44:45], |v[14:15]|, 0
	v_cndmask_b32_e32 v49, v17, v49, vcc
	v_cndmask_b32_e32 v48, v14, v48, vcc
	v_trig_preop_f64 v[46:47], |v[14:15]|, 1
	v_mul_f64 v[56:57], v[44:45], v[48:49]
	v_mul_f64 v[54:55], v[46:47], v[48:49]
	v_fma_f64 v[44:45], v[44:45], v[48:49], -v[56:57]
	v_add_f64 v[58:59], v[54:55], v[44:45]
	v_add_f64 v[60:61], v[56:57], v[58:59]
	v_ldexp_f64 v[62:63], v[60:61], -2
	v_fract_f64_e32 v[64:65], v[62:63]
	v_cmp_neq_f64_e64 vcc, |v[62:63]|, s[10:11]
	v_cndmask_b32_e32 v63, 0, v65, vcc
	v_cndmask_b32_e32 v62, 0, v64, vcc
	v_add_f64 v[64:65], v[58:59], -v[54:55]
	v_add_f64 v[44:45], v[44:45], -v[64:65]
	;; [unrolled: 1-line block ×4, first 2 shown]
	v_fma_f64 v[46:47], v[46:47], v[48:49], -v[54:55]
	v_trig_preop_f64 v[54:55], |v[14:15]|, 2
	v_add_f64 v[44:45], v[44:45], v[64:65]
	v_mul_f64 v[64:65], v[54:55], v[48:49]
	v_add_f64 v[66:67], v[64:65], v[46:47]
	v_add_f64 v[68:69], v[66:67], v[44:45]
	v_add_f64 v[56:57], v[60:61], -v[56:57]
	v_add_f64 v[60:61], v[68:69], -v[66:67]
	;; [unrolled: 1-line block ×5, first 2 shown]
	v_add_f64 v[44:45], v[44:45], v[60:61]
	v_add_f64 v[60:61], v[66:67], -v[64:65]
	v_add_f64 v[46:47], v[46:47], -v[60:61]
	v_add_f64 v[60:61], v[66:67], -v[60:61]
	v_add_f64 v[60:61], v[64:65], -v[60:61]
	v_add_f64 v[46:47], v[46:47], v[60:61]
	v_add_f64 v[56:57], v[58:59], -v[56:57]
	v_add_f64 v[44:45], v[46:47], v[44:45]
	v_fma_f64 v[46:47], v[54:55], v[48:49], -v[64:65]
	v_add_f64 v[58:59], v[56:57], v[68:69]
	v_add_f64 v[44:45], v[46:47], v[44:45]
	v_ldexp_f64 v[46:47], v[62:63], 2
	v_add_f64 v[48:49], v[58:59], v[46:47]
	v_cmp_gt_f64_e32 vcc, 0, v[48:49]
	v_cndmask_b32_e32 v17, 0, v50, vcc
	v_add_f64 v[46:47], v[46:47], v[16:17]
	v_add_f64 v[48:49], v[58:59], v[46:47]
	v_cvt_i32_f64_e32 v17, v[48:49]
	v_cvt_f64_i32_e32 v[48:49], v17
	v_add_f64 v[46:47], v[46:47], -v[48:49]
	v_add_f64 v[56:57], v[58:59], -v[56:57]
	v_add_f64 v[54:55], v[58:59], v[46:47]
	v_add_f64 v[56:57], v[68:69], -v[56:57]
	v_add_f64 v[46:47], v[54:55], -v[46:47]
	v_cmp_le_f64_e32 vcc, 0.5, v[54:55]
	v_add_f64 v[44:45], v[56:57], v[44:45]
	v_add_f64 v[46:47], v[58:59], -v[46:47]
	v_addc_co_u32_e64 v48, s[0:1], 0, v17, vcc
	v_cndmask_b32_e32 v17, 0, v51, vcc
	v_add_f64 v[44:45], v[44:45], v[46:47]
	v_add_f64 v[46:47], v[54:55], -v[16:17]
	v_add_f64 v[54:55], v[46:47], v[44:45]
	v_add_f64 v[46:47], v[54:55], -v[46:47]
	s_mov_b32 s12, s20
	v_add_f64 v[44:45], v[44:45], -v[46:47]
	v_mul_f64 v[46:47], v[54:55], s[12:13]
	v_fma_f64 v[56:57], v[54:55], s[12:13], -v[46:47]
	s_mov_b32 s25, s23
	v_fmac_f64_e32 v[56:57], s[24:25], v[54:55]
	v_fmac_f64_e32 v[56:57], s[12:13], v[44:45]
	v_add_f64 v[44:45], v[46:47], v[56:57]
	v_add_f64 v[46:47], v[44:45], -v[46:47]
	v_add_f64 v[46:47], v[56:57], -v[46:47]
	s_andn2_saveexec_b64 s[0:1], s[82:83]
	s_cbranch_execnz .LBB254_324
	s_branch .LBB254_325
.LBB254_323:                            ;   in Loop: Header=BB254_233 Depth=1
	s_andn2_saveexec_b64 s[0:1], s[82:83]
	s_cbranch_execz .LBB254_325
.LBB254_324:                            ;   in Loop: Header=BB254_233 Depth=1
	v_mul_f64 v[44:45], |v[14:15]|, s[26:27]
	v_rndne_f64_e32 v[48:49], v[44:45]
	v_fma_f64 v[44:45], v[48:49], s[20:21], |v[14:15]|
	v_mul_f64 v[54:55], v[48:49], s[28:29]
	v_add_f64 v[58:59], v[44:45], v[54:55]
	v_fma_f64 v[46:47], s[28:29], v[48:49], v[44:45]
	s_mov_b32 s22, s28
	v_add_f64 v[44:45], v[44:45], -v[58:59]
	v_fma_f64 v[56:57], s[22:23], v[48:49], v[54:55]
	v_add_f64 v[44:45], v[44:45], v[54:55]
	v_add_f64 v[54:55], v[58:59], -v[46:47]
	v_add_f64 v[44:45], v[54:55], v[44:45]
	v_add_f64 v[54:55], v[44:45], -v[56:57]
	v_fmac_f64_e32 v[54:55], s[30:31], v[48:49]
	v_add_f64 v[44:45], v[46:47], v[54:55]
	v_add_f64 v[46:47], v[44:45], -v[46:47]
	v_add_f64 v[46:47], v[54:55], -v[46:47]
	v_cvt_i32_f64_e32 v48, v[48:49]
.LBB254_325:                            ;   in Loop: Header=BB254_233 Depth=1
	s_or_b64 exec, exec, s[0:1]
	v_mul_f64 v[54:55], v[12:13], v[12:13]
	v_pk_mov_b32 v[62:63], s[52:53], s[52:53] op_sel:[0,1]
	v_mul_f64 v[56:57], v[54:55], 0.5
	v_fma_f64 v[64:65], s[54:55], v[54:55], v[62:63]
	v_add_f64 v[58:59], -v[56:57], 1.0
	v_fma_f64 v[64:65], v[54:55], v[64:65], s[56:57]
	v_add_f64 v[60:61], -v[58:59], 1.0
	v_fma_f64 v[64:65], v[54:55], v[64:65], s[58:59]
	v_add_f64 v[56:57], v[60:61], -v[56:57]
	v_fma_f64 v[64:65], v[54:55], v[64:65], s[60:61]
	v_mul_f64 v[60:61], v[54:55], v[54:55]
	v_fma_f64 v[64:65], v[54:55], v[64:65], s[46:47]
	v_fma_f64 v[56:57], v[12:13], -v[42:43], v[56:57]
	v_fmac_f64_e32 v[56:57], v[60:61], v[64:65]
	v_add_f64 v[56:57], v[58:59], v[56:57]
	v_pk_mov_b32 v[58:59], s[62:63], s[62:63] op_sel:[0,1]
	v_fma_f64 v[60:61], s[64:65], v[54:55], v[58:59]
	v_fma_f64 v[60:61], v[54:55], v[60:61], s[66:67]
	;; [unrolled: 1-line block ×4, first 2 shown]
	v_mul_f64 v[64:65], v[12:13], -v[54:55]
	v_mul_f64 v[66:67], v[42:43], 0.5
	v_fmac_f64_e32 v[66:67], v[64:65], v[60:61]
	v_fma_f64 v[42:43], v[54:55], v[66:67], -v[42:43]
	s_mov_b32 s70, s46
	v_fmac_f64_e32 v[42:43], s[70:71], v[64:65]
	v_add_f64 v[12:13], v[12:13], -v[42:43]
	v_and_b32_e32 v17, 1, v40
	v_xor_b32_e32 v13, 0x80000000, v13
	v_cmp_eq_u32_e32 vcc, 0, v17
	v_lshlrev_b32_e32 v17, 30, v40
	v_cndmask_b32_e32 v13, v13, v57, vcc
	v_and_b32_e32 v17, 0x80000000, v17
	v_cndmask_b32_e32 v12, v12, v56, vcc
	v_xor_b32_e32 v13, v13, v17
	v_cmp_class_f64_e64 vcc, v[14:15], s72
	v_cndmask_b32_e32 v42, 0, v12, vcc
	v_cndmask_b32_e32 v43, v53, v13, vcc
	v_mul_f64 v[12:13], v[44:45], v[44:45]
	v_mul_f64 v[14:15], v[12:13], 0.5
	v_fmac_f64_e32 v[62:63], s[54:55], v[12:13]
	v_add_f64 v[54:55], -v[14:15], 1.0
	v_fma_f64 v[60:61], v[12:13], v[62:63], s[56:57]
	v_add_f64 v[56:57], -v[54:55], 1.0
	v_fma_f64 v[60:61], v[12:13], v[60:61], s[58:59]
	v_add_f64 v[14:15], v[56:57], -v[14:15]
	v_fma_f64 v[60:61], v[12:13], v[60:61], s[60:61]
	v_mul_f64 v[56:57], v[12:13], v[12:13]
	v_fma_f64 v[60:61], v[12:13], v[60:61], s[46:47]
	v_fma_f64 v[14:15], v[44:45], -v[46:47], v[14:15]
	v_fmac_f64_e32 v[14:15], v[56:57], v[60:61]
	v_fmac_f64_e32 v[58:59], s[64:65], v[12:13]
	v_add_f64 v[14:15], v[54:55], v[14:15]
	v_fma_f64 v[54:55], v[12:13], v[58:59], s[66:67]
	v_fma_f64 v[54:55], v[12:13], v[54:55], s[68:69]
	;; [unrolled: 1-line block ×3, first 2 shown]
	v_mul_f64 v[56:57], v[44:45], -v[12:13]
	v_mul_f64 v[58:59], v[46:47], 0.5
	v_fmac_f64_e32 v[58:59], v[56:57], v[54:55]
	v_fma_f64 v[12:13], v[12:13], v[58:59], -v[46:47]
	v_fmac_f64_e32 v[12:13], s[70:71], v[56:57]
	v_and_b32_e32 v17, 1, v48
	v_add_f64 v[12:13], v[44:45], -v[12:13]
	v_cmp_eq_u32_e64 s[0:1], 0, v17
	v_cndmask_b32_e64 v12, v14, v12, s[0:1]
	v_lshlrev_b32_e32 v14, 30, v48
	v_xor_b32_e32 v14, v14, v41
	v_cndmask_b32_e64 v13, v15, v13, s[0:1]
	v_and_b32_e32 v14, 0x80000000, v14
	v_xor_b32_e32 v13, v13, v14
	v_cndmask_b32_e32 v40, 0, v12, vcc
	v_cndmask_b32_e32 v41, v53, v13, vcc
.LBB254_326:                            ;   in Loop: Header=BB254_233 Depth=1
	s_or_b64 exec, exec, s[2:3]
                                        ; implicit-def: $vgpr12_vgpr13
.LBB254_327:                            ;   in Loop: Header=BB254_233 Depth=1
	s_andn2_saveexec_b64 s[2:3], s[80:81]
	s_cbranch_execz .LBB254_329
; %bb.328:                              ;   in Loop: Header=BB254_233 Depth=1
	s_mov_b32 s34, s36
	v_mul_f64 v[14:15], v[12:13], s[34:35]
	v_rndne_f64_e32 v[14:15], v[14:15]
	v_fma_f64 v[42:43], v[14:15], s[38:39], -v[12:13]
	v_fmac_f64_e32 v[42:43], s[40:41], v[14:15]
	v_pk_mov_b32 v[44:45], v[22:23], v[22:23] op_sel:[0,1]
	v_fmac_f64_e32 v[44:45], s[42:43], v[42:43]
	v_pk_mov_b32 v[46:47], v[24:25], v[24:25] op_sel:[0,1]
	;; [unrolled: 2-line block ×9, first 2 shown]
	v_fmac_f64_e32 v[44:45], v[42:43], v[46:47]
	v_fma_f64 v[44:45], v[42:43], v[44:45], 1.0
	v_fma_f64 v[42:43], v[42:43], v[44:45], 1.0
	v_cvt_i32_f64_e32 v14, v[14:15]
	v_ldexp_f64 v[14:15], v[42:43], v14
	v_cmp_ngt_f64_e32 vcc, s[48:49], v[12:13]
	v_cmp_nlt_f64_e64 s[0:1], s[50:51], v[12:13]
	v_cndmask_b32_e32 v15, v52, v15, vcc
	s_and_b64 vcc, s[0:1], vcc
	v_cndmask_b32_e64 v43, 0, v15, s[0:1]
	v_cndmask_b32_e32 v42, 0, v14, vcc
.LBB254_329:                            ;   in Loop: Header=BB254_233 Depth=1
	s_or_b64 exec, exec, s[2:3]
	v_add_f64 v[42:43], s[16:17], v[42:43]
	v_add_f64 v[40:41], s[18:19], v[40:41]
	v_xor_b32_e32 v12, 0x80000000, v43
	v_cmp_gt_f64_e32 vcc, 0, v[42:43]
	v_cndmask_b32_e32 v47, v43, v12, vcc
	v_cndmask_b32_e32 v46, v42, v42, vcc
	v_xor_b32_e32 v12, 0x80000000, v41
	v_cmp_gt_f64_e32 vcc, 0, v[40:41]
	v_cndmask_b32_e32 v45, v41, v12, vcc
	v_cndmask_b32_e32 v44, v40, v40, vcc
	v_cmp_ge_f64_e32 vcc, v[46:47], v[44:45]
                                        ; implicit-def: $vgpr14_vgpr15
	s_and_saveexec_b64 s[0:1], vcc
	s_xor_b64 s[2:3], exec, s[0:1]
	s_cbranch_execz .LBB254_335
; %bb.330:                              ;   in Loop: Header=BB254_233 Depth=1
	v_cmp_neq_f64_e32 vcc, 0, v[42:43]
	v_cmp_neq_f64_e64 s[0:1], 0, v[40:41]
	s_or_b64 s[0:1], vcc, s[0:1]
                                        ; implicit-def: $vgpr14_vgpr15
	s_and_saveexec_b64 s[80:81], s[0:1]
	s_xor_b64 s[0:1], exec, s[80:81]
	s_cbranch_execz .LBB254_332
; %bb.331:                              ;   in Loop: Header=BB254_233 Depth=1
	v_div_scale_f64 v[12:13], s[80:81], v[42:43], v[42:43], v[40:41]
	v_rcp_f64_e32 v[14:15], v[12:13]
	v_div_scale_f64 v[44:45], vcc, v[40:41], v[42:43], v[40:41]
	v_fma_f64 v[46:47], -v[12:13], v[14:15], 1.0
	v_fmac_f64_e32 v[14:15], v[14:15], v[46:47]
	v_fma_f64 v[46:47], -v[12:13], v[14:15], 1.0
	v_fmac_f64_e32 v[14:15], v[14:15], v[46:47]
	v_mul_f64 v[46:47], v[44:45], v[14:15]
	v_fma_f64 v[12:13], -v[12:13], v[46:47], v[44:45]
	v_div_fmas_f64 v[12:13], v[12:13], v[14:15], v[46:47]
	v_div_fixup_f64 v[14:15], v[12:13], v[42:43], v[40:41]
	v_fmac_f64_e32 v[42:43], v[40:41], v[14:15]
	v_div_scale_f64 v[12:13], s[80:81], v[42:43], v[42:43], 1.0
	v_rcp_f64_e32 v[40:41], v[12:13]
	v_fma_f64 v[44:45], -v[12:13], v[40:41], 1.0
	v_fmac_f64_e32 v[40:41], v[40:41], v[44:45]
	v_fma_f64 v[44:45], -v[12:13], v[40:41], 1.0
	v_fmac_f64_e32 v[40:41], v[40:41], v[44:45]
	v_div_scale_f64 v[44:45], vcc, 1.0, v[42:43], 1.0
	v_mul_f64 v[46:47], v[44:45], v[40:41]
	v_fma_f64 v[12:13], -v[12:13], v[46:47], v[44:45]
                                        ; implicit-def: $vgpr44_vgpr45
	s_nop 1
	v_div_fmas_f64 v[12:13], v[12:13], v[40:41], v[46:47]
	v_div_fixup_f64 v[40:41], v[12:13], v[42:43], 1.0
	v_pk_mov_b32 v[12:13], s[16:17], s[16:17] op_sel:[0,1]
	v_pk_mov_b32 v[42:43], s[18:19], s[18:19] op_sel:[0,1]
	v_fma_f64 v[12:13], s[18:19], v[14:15], v[12:13]
	v_fma_f64 v[14:15], -s[16:17], v[14:15], v[42:43]
	v_mul_f64 v[12:13], v[12:13], v[40:41]
	v_mul_f64 v[14:15], v[14:15], v[40:41]
                                        ; implicit-def: $vgpr46_vgpr47
.LBB254_332:                            ;   in Loop: Header=BB254_233 Depth=1
	s_andn2_saveexec_b64 s[0:1], s[0:1]
	s_cbranch_execz .LBB254_334
; %bb.333:                              ;   in Loop: Header=BB254_233 Depth=1
	v_div_scale_f64 v[12:13], s[80:81], v[46:47], v[46:47], s[16:17]
	v_rcp_f64_e32 v[14:15], v[12:13]
	v_div_scale_f64 v[40:41], vcc, s[16:17], v[46:47], s[16:17]
	v_fma_f64 v[42:43], -v[12:13], v[14:15], 1.0
	v_fmac_f64_e32 v[14:15], v[14:15], v[42:43]
	v_fma_f64 v[42:43], -v[12:13], v[14:15], 1.0
	v_fmac_f64_e32 v[14:15], v[14:15], v[42:43]
	v_mul_f64 v[42:43], v[40:41], v[14:15]
	v_fma_f64 v[12:13], -v[12:13], v[42:43], v[40:41]
	v_div_scale_f64 v[40:41], s[80:81], v[44:45], v[44:45], s[18:19]
	v_rcp_f64_e32 v[48:49], v[40:41]
	v_div_fmas_f64 v[12:13], v[12:13], v[14:15], v[42:43]
	v_div_fixup_f64 v[12:13], v[12:13], v[46:47], s[16:17]
	v_fma_f64 v[14:15], -v[40:41], v[48:49], 1.0
	v_fmac_f64_e32 v[48:49], v[48:49], v[14:15]
	v_fma_f64 v[14:15], -v[40:41], v[48:49], 1.0
	v_fmac_f64_e32 v[48:49], v[48:49], v[14:15]
	v_div_scale_f64 v[14:15], vcc, s[18:19], v[44:45], s[18:19]
	v_mul_f64 v[42:43], v[14:15], v[48:49]
	v_fma_f64 v[14:15], -v[40:41], v[42:43], v[14:15]
	s_nop 1
	v_div_fmas_f64 v[14:15], v[14:15], v[48:49], v[42:43]
	v_div_fixup_f64 v[14:15], v[14:15], v[44:45], s[18:19]
.LBB254_334:                            ;   in Loop: Header=BB254_233 Depth=1
	s_or_b64 exec, exec, s[0:1]
                                        ; implicit-def: $vgpr40_vgpr41
                                        ; implicit-def: $vgpr42_vgpr43
.LBB254_335:                            ;   in Loop: Header=BB254_233 Depth=1
	s_andn2_saveexec_b64 s[0:1], s[2:3]
	s_cbranch_execz .LBB254_337
; %bb.336:                              ;   in Loop: Header=BB254_233 Depth=1
	v_div_scale_f64 v[12:13], s[2:3], v[40:41], v[40:41], v[42:43]
	v_rcp_f64_e32 v[14:15], v[12:13]
	v_div_scale_f64 v[44:45], vcc, v[42:43], v[40:41], v[42:43]
	v_fma_f64 v[46:47], -v[12:13], v[14:15], 1.0
	v_fmac_f64_e32 v[14:15], v[14:15], v[46:47]
	v_fma_f64 v[46:47], -v[12:13], v[14:15], 1.0
	v_fmac_f64_e32 v[14:15], v[14:15], v[46:47]
	v_mul_f64 v[46:47], v[44:45], v[14:15]
	v_fma_f64 v[12:13], -v[12:13], v[46:47], v[44:45]
	v_div_fmas_f64 v[12:13], v[12:13], v[14:15], v[46:47]
	v_div_fixup_f64 v[14:15], v[12:13], v[40:41], v[42:43]
	v_fmac_f64_e32 v[40:41], v[42:43], v[14:15]
	v_div_scale_f64 v[12:13], s[2:3], v[40:41], v[40:41], 1.0
	v_rcp_f64_e32 v[42:43], v[12:13]
	v_fma_f64 v[44:45], -v[12:13], v[42:43], 1.0
	v_fmac_f64_e32 v[42:43], v[42:43], v[44:45]
	v_fma_f64 v[44:45], -v[12:13], v[42:43], 1.0
	v_fmac_f64_e32 v[42:43], v[42:43], v[44:45]
	v_div_scale_f64 v[44:45], vcc, 1.0, v[40:41], 1.0
	v_mul_f64 v[46:47], v[44:45], v[42:43]
	v_fma_f64 v[12:13], -v[12:13], v[46:47], v[44:45]
	s_nop 1
	v_div_fmas_f64 v[12:13], v[12:13], v[42:43], v[46:47]
	v_div_fixup_f64 v[40:41], v[12:13], v[40:41], 1.0
	v_pk_mov_b32 v[12:13], s[18:19], s[18:19] op_sel:[0,1]
	v_pk_mov_b32 v[42:43], s[16:17], s[16:17] op_sel:[0,1]
	v_fma_f64 v[12:13], s[16:17], v[14:15], v[12:13]
	v_fma_f64 v[14:15], s[18:19], v[14:15], -v[42:43]
	v_mul_f64 v[12:13], v[12:13], v[40:41]
	v_mul_f64 v[14:15], v[14:15], v[40:41]
.LBB254_337:                            ;   in Loop: Header=BB254_233 Depth=1
	s_or_b64 exec, exec, s[0:1]
	s_waitcnt vmcnt(0)
	v_xor_b32_e32 v41, 0x80000000, v11
	v_and_b32_e32 v46, 0x7fffffff, v41
	v_or_b32_e32 v17, v46, v10
	v_mov_b32_e32 v40, v10
	v_cmp_ne_u32_e32 vcc, 0, v17
                                        ; implicit-def: $vgpr42_vgpr43
	s_and_saveexec_b64 s[0:1], vcc
	s_xor_b64 s[80:81], exec, s[0:1]
	s_cbranch_execz .LBB254_379
; %bb.338:                              ;   in Loop: Header=BB254_233 Depth=1
	v_xor_b32_e32 v45, 0x80000000, v9
	v_mov_b32_e32 v44, v8
	v_and_b32_e32 v17, 0x7fffffff, v45
	v_or_b32_e32 v40, v17, v44
	v_cmp_ne_u32_e32 vcc, 0, v40
                                        ; implicit-def: $vgpr42_vgpr43
	s_and_saveexec_b64 s[0:1], vcc
	s_xor_b64 s[82:83], exec, s[0:1]
	s_cbranch_execz .LBB254_368
; %bb.339:                              ;   in Loop: Header=BB254_233 Depth=1
	v_cmp_gt_u32_e32 vcc, s93, v46
                                        ; implicit-def: $vgpr42_vgpr43
	s_and_saveexec_b64 s[0:1], vcc
	s_xor_b64 s[84:85], exec, s[0:1]
	s_cbranch_execz .LBB254_361
; %bb.340:                              ;   in Loop: Header=BB254_233 Depth=1
	v_add_u32_e32 v17, 0xbf79d1be, v45
	v_cmp_lt_u32_e32 vcc, s94, v17
                                        ; implicit-def: $vgpr42_vgpr43
	s_and_saveexec_b64 s[0:1], vcc
	s_xor_b64 s[2:3], exec, s[0:1]
	s_cbranch_execz .LBB254_350
; %bb.341:                              ;   in Loop: Header=BB254_233 Depth=1
	v_cmp_nlt_f64_e64 s[86:87], |v[10:11]|, s[6:7]
                                        ; implicit-def: $vgpr40
                                        ; implicit-def: $vgpr42_vgpr43
                                        ; implicit-def: $vgpr44_vgpr45
	s_and_saveexec_b64 s[0:1], s[86:87]
	s_xor_b64 s[88:89], exec, s[0:1]
	s_cbranch_execz .LBB254_343
; %bb.342:                              ;   in Loop: Header=BB254_233 Depth=1
	v_and_b32_e32 v17, 0x7fffffff, v11
	v_ldexp_f64 v[46:47], |v[10:11]|, s95
	v_cmp_ge_f64_e64 vcc, |v[10:11]|, s[8:9]
	v_trig_preop_f64 v[42:43], |v[10:11]|, 0
	v_cndmask_b32_e32 v47, v17, v47, vcc
	v_cndmask_b32_e32 v46, v10, v46, vcc
	v_trig_preop_f64 v[44:45], |v[10:11]|, 1
	v_mul_f64 v[54:55], v[42:43], v[46:47]
	v_mul_f64 v[48:49], v[44:45], v[46:47]
	v_fma_f64 v[42:43], v[42:43], v[46:47], -v[54:55]
	v_add_f64 v[56:57], v[48:49], v[42:43]
	v_add_f64 v[58:59], v[54:55], v[56:57]
	v_ldexp_f64 v[60:61], v[58:59], -2
	v_fract_f64_e32 v[62:63], v[60:61]
	v_cmp_neq_f64_e64 vcc, |v[60:61]|, s[10:11]
	v_cndmask_b32_e32 v61, 0, v63, vcc
	v_cndmask_b32_e32 v60, 0, v62, vcc
	v_add_f64 v[62:63], v[56:57], -v[48:49]
	v_add_f64 v[42:43], v[42:43], -v[62:63]
	;; [unrolled: 1-line block ×4, first 2 shown]
	v_fma_f64 v[44:45], v[44:45], v[46:47], -v[48:49]
	v_trig_preop_f64 v[48:49], |v[10:11]|, 2
	v_add_f64 v[42:43], v[42:43], v[62:63]
	v_mul_f64 v[62:63], v[48:49], v[46:47]
	v_add_f64 v[64:65], v[62:63], v[44:45]
	v_add_f64 v[66:67], v[64:65], v[42:43]
	v_add_f64 v[54:55], v[58:59], -v[54:55]
	v_add_f64 v[58:59], v[66:67], -v[64:65]
	;; [unrolled: 1-line block ×5, first 2 shown]
	v_add_f64 v[42:43], v[42:43], v[58:59]
	v_add_f64 v[58:59], v[64:65], -v[62:63]
	v_add_f64 v[44:45], v[44:45], -v[58:59]
	;; [unrolled: 1-line block ×4, first 2 shown]
	v_add_f64 v[44:45], v[44:45], v[58:59]
	v_add_f64 v[54:55], v[56:57], -v[54:55]
	v_add_f64 v[42:43], v[44:45], v[42:43]
	v_fma_f64 v[44:45], v[48:49], v[46:47], -v[62:63]
	v_add_f64 v[56:57], v[54:55], v[66:67]
	v_add_f64 v[42:43], v[44:45], v[42:43]
	v_ldexp_f64 v[44:45], v[60:61], 2
	v_add_f64 v[46:47], v[56:57], v[44:45]
	v_cmp_gt_f64_e32 vcc, 0, v[46:47]
	v_cndmask_b32_e32 v17, 0, v50, vcc
	v_add_f64 v[44:45], v[44:45], v[16:17]
	v_add_f64 v[46:47], v[56:57], v[44:45]
	v_cvt_i32_f64_e32 v17, v[46:47]
	v_cvt_f64_i32_e32 v[46:47], v17
	v_add_f64 v[44:45], v[44:45], -v[46:47]
	v_add_f64 v[54:55], v[56:57], -v[54:55]
	v_add_f64 v[46:47], v[56:57], v[44:45]
	v_add_f64 v[54:55], v[66:67], -v[54:55]
	v_add_f64 v[44:45], v[46:47], -v[44:45]
	v_cmp_le_f64_e32 vcc, 0.5, v[46:47]
	v_add_f64 v[42:43], v[54:55], v[42:43]
	v_add_f64 v[44:45], v[56:57], -v[44:45]
	v_addc_co_u32_e64 v40, s[0:1], 0, v17, vcc
	v_cndmask_b32_e32 v17, 0, v51, vcc
	v_add_f64 v[42:43], v[42:43], v[44:45]
	v_add_f64 v[44:45], v[46:47], -v[16:17]
	v_add_f64 v[46:47], v[44:45], v[42:43]
	v_add_f64 v[44:45], v[46:47], -v[44:45]
	s_mov_b32 s12, s20
	v_add_f64 v[42:43], v[42:43], -v[44:45]
	v_mul_f64 v[44:45], v[46:47], s[12:13]
	v_fma_f64 v[48:49], v[46:47], s[12:13], -v[44:45]
	s_mov_b32 s25, s23
	v_fmac_f64_e32 v[48:49], s[24:25], v[46:47]
	v_fmac_f64_e32 v[48:49], s[12:13], v[42:43]
	v_add_f64 v[42:43], v[44:45], v[48:49]
	v_add_f64 v[44:45], v[42:43], -v[44:45]
	v_add_f64 v[44:45], v[48:49], -v[44:45]
	s_andn2_saveexec_b64 s[0:1], s[88:89]
	s_cbranch_execz .LBB254_345
	s_branch .LBB254_344
.LBB254_343:                            ;   in Loop: Header=BB254_233 Depth=1
	s_andn2_saveexec_b64 s[0:1], s[88:89]
	s_cbranch_execz .LBB254_345
.LBB254_344:                            ;   in Loop: Header=BB254_233 Depth=1
	v_mul_f64 v[42:43], |v[10:11]|, s[26:27]
	v_rndne_f64_e32 v[46:47], v[42:43]
	v_fma_f64 v[42:43], v[46:47], s[20:21], |v[10:11]|
	v_mul_f64 v[48:49], v[46:47], s[28:29]
	v_add_f64 v[56:57], v[42:43], v[48:49]
	v_fma_f64 v[44:45], s[28:29], v[46:47], v[42:43]
	s_mov_b32 s22, s28
	v_add_f64 v[42:43], v[42:43], -v[56:57]
	v_fma_f64 v[54:55], s[22:23], v[46:47], v[48:49]
	v_add_f64 v[42:43], v[42:43], v[48:49]
	v_add_f64 v[48:49], v[56:57], -v[44:45]
	v_add_f64 v[42:43], v[48:49], v[42:43]
	v_add_f64 v[48:49], v[42:43], -v[54:55]
	v_fmac_f64_e32 v[48:49], s[30:31], v[46:47]
	v_add_f64 v[42:43], v[44:45], v[48:49]
	v_add_f64 v[44:45], v[42:43], -v[44:45]
	v_add_f64 v[44:45], v[48:49], -v[44:45]
	v_cvt_i32_f64_e32 v40, v[46:47]
.LBB254_345:                            ;   in Loop: Header=BB254_233 Depth=1
	s_or_b64 exec, exec, s[0:1]
                                        ; implicit-def: $vgpr54
                                        ; implicit-def: $vgpr46_vgpr47
                                        ; implicit-def: $vgpr48_vgpr49
	s_and_saveexec_b64 s[0:1], s[86:87]
	s_xor_b64 s[86:87], exec, s[0:1]
	s_cbranch_execz .LBB254_347
; %bb.346:                              ;   in Loop: Header=BB254_233 Depth=1
	v_and_b32_e32 v17, 0x7fffffff, v11
	v_ldexp_f64 v[54:55], |v[10:11]|, s95
	v_cmp_ge_f64_e64 vcc, |v[10:11]|, s[8:9]
	v_trig_preop_f64 v[46:47], |v[10:11]|, 0
	v_cndmask_b32_e32 v55, v17, v55, vcc
	v_cndmask_b32_e32 v54, v10, v54, vcc
	v_trig_preop_f64 v[48:49], |v[10:11]|, 1
	v_mul_f64 v[58:59], v[46:47], v[54:55]
	v_mul_f64 v[56:57], v[48:49], v[54:55]
	v_fma_f64 v[46:47], v[46:47], v[54:55], -v[58:59]
	v_add_f64 v[60:61], v[56:57], v[46:47]
	v_add_f64 v[62:63], v[58:59], v[60:61]
	v_ldexp_f64 v[64:65], v[62:63], -2
	v_fract_f64_e32 v[66:67], v[64:65]
	v_cmp_neq_f64_e64 vcc, |v[64:65]|, s[10:11]
	v_cndmask_b32_e32 v65, 0, v67, vcc
	v_cndmask_b32_e32 v64, 0, v66, vcc
	v_add_f64 v[66:67], v[60:61], -v[56:57]
	v_add_f64 v[46:47], v[46:47], -v[66:67]
	;; [unrolled: 1-line block ×4, first 2 shown]
	v_fma_f64 v[48:49], v[48:49], v[54:55], -v[56:57]
	v_trig_preop_f64 v[56:57], |v[10:11]|, 2
	v_add_f64 v[46:47], v[46:47], v[66:67]
	v_mul_f64 v[66:67], v[56:57], v[54:55]
	v_add_f64 v[68:69], v[66:67], v[48:49]
	v_add_f64 v[70:71], v[68:69], v[46:47]
	v_add_f64 v[58:59], v[62:63], -v[58:59]
	v_add_f64 v[62:63], v[70:71], -v[68:69]
	;; [unrolled: 1-line block ×5, first 2 shown]
	v_add_f64 v[46:47], v[46:47], v[62:63]
	v_add_f64 v[62:63], v[68:69], -v[66:67]
	v_add_f64 v[48:49], v[48:49], -v[62:63]
	;; [unrolled: 1-line block ×4, first 2 shown]
	v_add_f64 v[48:49], v[48:49], v[62:63]
	v_add_f64 v[58:59], v[60:61], -v[58:59]
	v_add_f64 v[46:47], v[48:49], v[46:47]
	v_fma_f64 v[48:49], v[56:57], v[54:55], -v[66:67]
	v_add_f64 v[60:61], v[58:59], v[70:71]
	v_add_f64 v[46:47], v[48:49], v[46:47]
	v_ldexp_f64 v[48:49], v[64:65], 2
	v_add_f64 v[54:55], v[60:61], v[48:49]
	v_cmp_gt_f64_e32 vcc, 0, v[54:55]
	v_cndmask_b32_e32 v17, 0, v50, vcc
	v_add_f64 v[48:49], v[48:49], v[16:17]
	v_add_f64 v[54:55], v[60:61], v[48:49]
	v_cvt_i32_f64_e32 v17, v[54:55]
	v_cvt_f64_i32_e32 v[54:55], v17
	v_add_f64 v[48:49], v[48:49], -v[54:55]
	v_add_f64 v[58:59], v[60:61], -v[58:59]
	v_add_f64 v[56:57], v[60:61], v[48:49]
	v_add_f64 v[58:59], v[70:71], -v[58:59]
	v_add_f64 v[48:49], v[56:57], -v[48:49]
	v_cmp_le_f64_e32 vcc, 0.5, v[56:57]
	v_add_f64 v[46:47], v[58:59], v[46:47]
	v_add_f64 v[48:49], v[60:61], -v[48:49]
	v_addc_co_u32_e64 v54, s[0:1], 0, v17, vcc
	v_cndmask_b32_e32 v17, 0, v51, vcc
	v_add_f64 v[46:47], v[46:47], v[48:49]
	v_add_f64 v[48:49], v[56:57], -v[16:17]
	v_add_f64 v[56:57], v[48:49], v[46:47]
	v_add_f64 v[48:49], v[56:57], -v[48:49]
	s_mov_b32 s12, s20
	v_add_f64 v[46:47], v[46:47], -v[48:49]
	v_mul_f64 v[48:49], v[56:57], s[12:13]
	v_fma_f64 v[58:59], v[56:57], s[12:13], -v[48:49]
	s_mov_b32 s25, s23
	v_fmac_f64_e32 v[58:59], s[24:25], v[56:57]
	v_fmac_f64_e32 v[58:59], s[12:13], v[46:47]
	v_add_f64 v[46:47], v[48:49], v[58:59]
	v_add_f64 v[48:49], v[46:47], -v[48:49]
	v_add_f64 v[48:49], v[58:59], -v[48:49]
	s_andn2_saveexec_b64 s[0:1], s[86:87]
	s_cbranch_execnz .LBB254_348
	s_branch .LBB254_349
.LBB254_347:                            ;   in Loop: Header=BB254_233 Depth=1
	s_andn2_saveexec_b64 s[0:1], s[86:87]
	s_cbranch_execz .LBB254_349
.LBB254_348:                            ;   in Loop: Header=BB254_233 Depth=1
	v_mul_f64 v[46:47], |v[10:11]|, s[26:27]
	v_rndne_f64_e32 v[54:55], v[46:47]
	v_fma_f64 v[46:47], v[54:55], s[20:21], |v[10:11]|
	v_mul_f64 v[56:57], v[54:55], s[28:29]
	v_add_f64 v[60:61], v[46:47], v[56:57]
	v_fma_f64 v[48:49], s[28:29], v[54:55], v[46:47]
	s_mov_b32 s22, s28
	v_add_f64 v[46:47], v[46:47], -v[60:61]
	v_fma_f64 v[58:59], s[22:23], v[54:55], v[56:57]
	v_add_f64 v[46:47], v[46:47], v[56:57]
	v_add_f64 v[56:57], v[60:61], -v[48:49]
	v_add_f64 v[46:47], v[56:57], v[46:47]
	v_add_f64 v[56:57], v[46:47], -v[58:59]
	v_fmac_f64_e32 v[56:57], s[30:31], v[54:55]
	v_add_f64 v[46:47], v[48:49], v[56:57]
	v_add_f64 v[48:49], v[46:47], -v[48:49]
	v_add_f64 v[48:49], v[56:57], -v[48:49]
	v_cvt_i32_f64_e32 v54, v[54:55]
.LBB254_349:                            ;   in Loop: Header=BB254_233 Depth=1
	s_or_b64 exec, exec, s[0:1]
	s_mov_b32 s34, s36
	v_mul_f64 v[56:57], v[8:9], s[34:35]
	v_rndne_f64_e32 v[56:57], v[56:57]
	v_fma_f64 v[58:59], v[56:57], s[38:39], -v[8:9]
	v_fmac_f64_e32 v[58:59], s[40:41], v[56:57]
	v_pk_mov_b32 v[60:61], v[22:23], v[22:23] op_sel:[0,1]
	v_fmac_f64_e32 v[60:61], s[42:43], v[58:59]
	v_pk_mov_b32 v[62:63], v[24:25], v[24:25] op_sel:[0,1]
	;; [unrolled: 2-line block ×9, first 2 shown]
	v_fmac_f64_e32 v[60:61], v[58:59], v[62:63]
	v_fma_f64 v[60:61], v[58:59], v[60:61], 1.0
	v_fma_f64 v[58:59], v[58:59], v[60:61], 1.0
	v_cvt_i32_f64_e32 v17, v[56:57]
	v_ldexp_f64 v[56:57], v[58:59], v17
	v_cmp_ngt_f64_e32 vcc, s[48:49], v[8:9]
	v_cmp_nlt_f64_e64 s[0:1], s[50:51], v[8:9]
	v_cndmask_b32_e32 v17, v52, v57, vcc
	s_and_b64 vcc, s[0:1], vcc
	v_cndmask_b32_e32 v8, 0, v56, vcc
	v_mul_f64 v[56:57], v[42:43], v[42:43]
	v_pk_mov_b32 v[64:65], s[52:53], s[52:53] op_sel:[0,1]
	v_mul_f64 v[58:59], v[56:57], 0.5
	v_fma_f64 v[66:67], s[54:55], v[56:57], v[64:65]
	v_add_f64 v[60:61], -v[58:59], 1.0
	v_fma_f64 v[66:67], v[56:57], v[66:67], s[56:57]
	v_add_f64 v[62:63], -v[60:61], 1.0
	v_fma_f64 v[66:67], v[56:57], v[66:67], s[58:59]
	v_add_f64 v[58:59], v[62:63], -v[58:59]
	v_fma_f64 v[66:67], v[56:57], v[66:67], s[60:61]
	v_mul_f64 v[62:63], v[56:57], v[56:57]
	v_fma_f64 v[66:67], v[56:57], v[66:67], s[46:47]
	v_fma_f64 v[58:59], v[42:43], -v[44:45], v[58:59]
	v_fmac_f64_e32 v[58:59], v[62:63], v[66:67]
	v_add_f64 v[58:59], v[60:61], v[58:59]
	v_pk_mov_b32 v[60:61], s[62:63], s[62:63] op_sel:[0,1]
	v_fma_f64 v[62:63], s[64:65], v[56:57], v[60:61]
	v_fma_f64 v[62:63], v[56:57], v[62:63], s[66:67]
	;; [unrolled: 1-line block ×4, first 2 shown]
	v_mul_f64 v[66:67], v[42:43], -v[56:57]
	v_mul_f64 v[68:69], v[44:45], 0.5
	v_fmac_f64_e32 v[68:69], v[66:67], v[62:63]
	v_fma_f64 v[44:45], v[56:57], v[68:69], -v[44:45]
	s_mov_b32 s70, s46
	v_fmac_f64_e32 v[44:45], s[70:71], v[66:67]
	v_add_f64 v[42:43], v[42:43], -v[44:45]
	v_cndmask_b32_e64 v9, 0, v17, s[0:1]
	v_xor_b32_e32 v17, 0x80000000, v43
	v_and_b32_e32 v43, 1, v40
	v_cmp_eq_u32_e32 vcc, 0, v43
	v_lshlrev_b32_e32 v40, 30, v40
	v_cndmask_b32_e32 v17, v17, v59, vcc
	v_and_b32_e32 v40, 0x80000000, v40
	v_cndmask_b32_e32 v42, v42, v58, vcc
	v_xor_b32_e32 v17, v17, v40
	v_cmp_class_f64_e64 vcc, v[10:11], s72
	v_cndmask_b32_e32 v10, 0, v42, vcc
	v_cndmask_b32_e32 v11, v53, v17, vcc
	v_mul_f64 v[42:43], v[8:9], v[10:11]
	v_mul_f64 v[10:11], v[46:47], v[46:47]
	v_mul_f64 v[44:45], v[10:11], 0.5
	v_fmac_f64_e32 v[64:65], s[54:55], v[10:11]
	v_add_f64 v[56:57], -v[44:45], 1.0
	v_fma_f64 v[62:63], v[10:11], v[64:65], s[56:57]
	v_add_f64 v[58:59], -v[56:57], 1.0
	v_fma_f64 v[62:63], v[10:11], v[62:63], s[58:59]
	v_add_f64 v[44:45], v[58:59], -v[44:45]
	v_fma_f64 v[62:63], v[10:11], v[62:63], s[60:61]
	v_mul_f64 v[58:59], v[10:11], v[10:11]
	v_fma_f64 v[62:63], v[10:11], v[62:63], s[46:47]
	v_fma_f64 v[44:45], v[46:47], -v[48:49], v[44:45]
	v_fmac_f64_e32 v[44:45], v[58:59], v[62:63]
	v_fmac_f64_e32 v[60:61], s[64:65], v[10:11]
	v_add_f64 v[44:45], v[56:57], v[44:45]
	v_fma_f64 v[56:57], v[10:11], v[60:61], s[66:67]
	v_fma_f64 v[56:57], v[10:11], v[56:57], s[68:69]
	;; [unrolled: 1-line block ×3, first 2 shown]
	v_mul_f64 v[58:59], v[46:47], -v[10:11]
	v_mul_f64 v[60:61], v[48:49], 0.5
	v_fmac_f64_e32 v[60:61], v[58:59], v[56:57]
	v_fma_f64 v[10:11], v[10:11], v[60:61], -v[48:49]
	v_and_b32_e32 v17, 1, v54
	v_fmac_f64_e32 v[10:11], s[70:71], v[58:59]
	v_cmp_eq_u32_e64 s[0:1], 0, v17
	v_lshlrev_b32_e32 v17, 30, v54
	v_add_f64 v[10:11], v[46:47], -v[10:11]
	v_xor_b32_e32 v17, v17, v41
	v_cndmask_b32_e64 v11, v45, v11, s[0:1]
	v_and_b32_e32 v17, 0x80000000, v17
	v_cndmask_b32_e64 v10, v44, v10, s[0:1]
	v_xor_b32_e32 v11, v11, v17
	v_cndmask_b32_e32 v10, 0, v10, vcc
	v_cndmask_b32_e32 v11, v53, v11, vcc
	v_mul_f64 v[40:41], v[8:9], v[10:11]
                                        ; implicit-def: $vgpr10_vgpr11
.LBB254_350:                            ;   in Loop: Header=BB254_233 Depth=1
	s_andn2_saveexec_b64 s[86:87], s[2:3]
	s_cbranch_execz .LBB254_360
; %bb.351:                              ;   in Loop: Header=BB254_233 Depth=1
	v_cmp_nlt_f64_e64 s[2:3], |v[10:11]|, s[6:7]
                                        ; implicit-def: $vgpr40
                                        ; implicit-def: $vgpr42_vgpr43
                                        ; implicit-def: $vgpr44_vgpr45
	s_and_saveexec_b64 s[0:1], s[2:3]
	s_xor_b64 s[88:89], exec, s[0:1]
	s_cbranch_execz .LBB254_353
; %bb.352:                              ;   in Loop: Header=BB254_233 Depth=1
	v_and_b32_e32 v17, 0x7fffffff, v11
	v_ldexp_f64 v[46:47], |v[10:11]|, s95
	v_cmp_ge_f64_e64 vcc, |v[10:11]|, s[8:9]
	v_trig_preop_f64 v[42:43], |v[10:11]|, 0
	v_cndmask_b32_e32 v47, v17, v47, vcc
	v_cndmask_b32_e32 v46, v10, v46, vcc
	v_trig_preop_f64 v[44:45], |v[10:11]|, 1
	v_mul_f64 v[54:55], v[42:43], v[46:47]
	v_mul_f64 v[48:49], v[44:45], v[46:47]
	v_fma_f64 v[42:43], v[42:43], v[46:47], -v[54:55]
	v_add_f64 v[56:57], v[48:49], v[42:43]
	v_add_f64 v[58:59], v[54:55], v[56:57]
	v_ldexp_f64 v[60:61], v[58:59], -2
	v_fract_f64_e32 v[62:63], v[60:61]
	v_cmp_neq_f64_e64 vcc, |v[60:61]|, s[10:11]
	v_cndmask_b32_e32 v61, 0, v63, vcc
	v_cndmask_b32_e32 v60, 0, v62, vcc
	v_add_f64 v[62:63], v[56:57], -v[48:49]
	v_add_f64 v[42:43], v[42:43], -v[62:63]
	;; [unrolled: 1-line block ×4, first 2 shown]
	v_fma_f64 v[44:45], v[44:45], v[46:47], -v[48:49]
	v_trig_preop_f64 v[48:49], |v[10:11]|, 2
	v_add_f64 v[42:43], v[42:43], v[62:63]
	v_mul_f64 v[62:63], v[48:49], v[46:47]
	v_add_f64 v[64:65], v[62:63], v[44:45]
	v_add_f64 v[66:67], v[64:65], v[42:43]
	v_add_f64 v[54:55], v[58:59], -v[54:55]
	v_add_f64 v[58:59], v[66:67], -v[64:65]
	;; [unrolled: 1-line block ×5, first 2 shown]
	v_add_f64 v[42:43], v[42:43], v[58:59]
	v_add_f64 v[58:59], v[64:65], -v[62:63]
	v_add_f64 v[44:45], v[44:45], -v[58:59]
	v_add_f64 v[58:59], v[64:65], -v[58:59]
	v_add_f64 v[58:59], v[62:63], -v[58:59]
	v_add_f64 v[44:45], v[44:45], v[58:59]
	v_add_f64 v[54:55], v[56:57], -v[54:55]
	v_add_f64 v[42:43], v[44:45], v[42:43]
	v_fma_f64 v[44:45], v[48:49], v[46:47], -v[62:63]
	v_add_f64 v[56:57], v[54:55], v[66:67]
	v_add_f64 v[42:43], v[44:45], v[42:43]
	v_ldexp_f64 v[44:45], v[60:61], 2
	v_add_f64 v[46:47], v[56:57], v[44:45]
	v_cmp_gt_f64_e32 vcc, 0, v[46:47]
	v_cndmask_b32_e32 v17, 0, v50, vcc
	v_add_f64 v[44:45], v[44:45], v[16:17]
	v_add_f64 v[46:47], v[56:57], v[44:45]
	v_cvt_i32_f64_e32 v17, v[46:47]
	v_cvt_f64_i32_e32 v[46:47], v17
	v_add_f64 v[44:45], v[44:45], -v[46:47]
	v_add_f64 v[54:55], v[56:57], -v[54:55]
	v_add_f64 v[46:47], v[56:57], v[44:45]
	v_add_f64 v[54:55], v[66:67], -v[54:55]
	v_add_f64 v[44:45], v[46:47], -v[44:45]
	v_cmp_le_f64_e32 vcc, 0.5, v[46:47]
	v_add_f64 v[42:43], v[54:55], v[42:43]
	v_add_f64 v[44:45], v[56:57], -v[44:45]
	v_addc_co_u32_e64 v40, s[0:1], 0, v17, vcc
	v_cndmask_b32_e32 v17, 0, v51, vcc
	v_add_f64 v[42:43], v[42:43], v[44:45]
	v_add_f64 v[44:45], v[46:47], -v[16:17]
	v_add_f64 v[46:47], v[44:45], v[42:43]
	v_add_f64 v[44:45], v[46:47], -v[44:45]
	s_mov_b32 s12, s20
	v_add_f64 v[42:43], v[42:43], -v[44:45]
	v_mul_f64 v[44:45], v[46:47], s[12:13]
	v_fma_f64 v[48:49], v[46:47], s[12:13], -v[44:45]
	s_mov_b32 s25, s23
	v_fmac_f64_e32 v[48:49], s[24:25], v[46:47]
	v_fmac_f64_e32 v[48:49], s[12:13], v[42:43]
	v_add_f64 v[42:43], v[44:45], v[48:49]
	v_add_f64 v[44:45], v[42:43], -v[44:45]
	v_add_f64 v[44:45], v[48:49], -v[44:45]
	s_andn2_saveexec_b64 s[0:1], s[88:89]
	s_cbranch_execz .LBB254_355
	s_branch .LBB254_354
.LBB254_353:                            ;   in Loop: Header=BB254_233 Depth=1
	s_andn2_saveexec_b64 s[0:1], s[88:89]
	s_cbranch_execz .LBB254_355
.LBB254_354:                            ;   in Loop: Header=BB254_233 Depth=1
	v_mul_f64 v[42:43], |v[10:11]|, s[26:27]
	v_rndne_f64_e32 v[46:47], v[42:43]
	v_fma_f64 v[42:43], v[46:47], s[20:21], |v[10:11]|
	v_mul_f64 v[48:49], v[46:47], s[28:29]
	v_add_f64 v[56:57], v[42:43], v[48:49]
	v_fma_f64 v[44:45], s[28:29], v[46:47], v[42:43]
	s_mov_b32 s22, s28
	v_add_f64 v[42:43], v[42:43], -v[56:57]
	v_fma_f64 v[54:55], s[22:23], v[46:47], v[48:49]
	v_add_f64 v[42:43], v[42:43], v[48:49]
	v_add_f64 v[48:49], v[56:57], -v[44:45]
	v_add_f64 v[42:43], v[48:49], v[42:43]
	v_add_f64 v[48:49], v[42:43], -v[54:55]
	v_fmac_f64_e32 v[48:49], s[30:31], v[46:47]
	v_add_f64 v[42:43], v[44:45], v[48:49]
	v_add_f64 v[44:45], v[42:43], -v[44:45]
	v_add_f64 v[44:45], v[48:49], -v[44:45]
	v_cvt_i32_f64_e32 v40, v[46:47]
.LBB254_355:                            ;   in Loop: Header=BB254_233 Depth=1
	s_or_b64 exec, exec, s[0:1]
                                        ; implicit-def: $vgpr54
                                        ; implicit-def: $vgpr46_vgpr47
                                        ; implicit-def: $vgpr48_vgpr49
	s_and_saveexec_b64 s[0:1], s[2:3]
	s_xor_b64 s[2:3], exec, s[0:1]
	s_cbranch_execz .LBB254_357
; %bb.356:                              ;   in Loop: Header=BB254_233 Depth=1
	v_and_b32_e32 v17, 0x7fffffff, v11
	v_ldexp_f64 v[54:55], |v[10:11]|, s95
	v_cmp_ge_f64_e64 vcc, |v[10:11]|, s[8:9]
	v_trig_preop_f64 v[46:47], |v[10:11]|, 0
	v_cndmask_b32_e32 v55, v17, v55, vcc
	v_cndmask_b32_e32 v54, v10, v54, vcc
	v_trig_preop_f64 v[48:49], |v[10:11]|, 1
	v_mul_f64 v[58:59], v[46:47], v[54:55]
	v_mul_f64 v[56:57], v[48:49], v[54:55]
	v_fma_f64 v[46:47], v[46:47], v[54:55], -v[58:59]
	v_add_f64 v[60:61], v[56:57], v[46:47]
	v_add_f64 v[62:63], v[58:59], v[60:61]
	v_ldexp_f64 v[64:65], v[62:63], -2
	v_fract_f64_e32 v[66:67], v[64:65]
	v_cmp_neq_f64_e64 vcc, |v[64:65]|, s[10:11]
	v_cndmask_b32_e32 v65, 0, v67, vcc
	v_cndmask_b32_e32 v64, 0, v66, vcc
	v_add_f64 v[66:67], v[60:61], -v[56:57]
	v_add_f64 v[46:47], v[46:47], -v[66:67]
	;; [unrolled: 1-line block ×4, first 2 shown]
	v_fma_f64 v[48:49], v[48:49], v[54:55], -v[56:57]
	v_trig_preop_f64 v[56:57], |v[10:11]|, 2
	v_add_f64 v[46:47], v[46:47], v[66:67]
	v_mul_f64 v[66:67], v[56:57], v[54:55]
	v_add_f64 v[68:69], v[66:67], v[48:49]
	v_add_f64 v[70:71], v[68:69], v[46:47]
	v_add_f64 v[58:59], v[62:63], -v[58:59]
	v_add_f64 v[62:63], v[70:71], -v[68:69]
	;; [unrolled: 1-line block ×5, first 2 shown]
	v_add_f64 v[46:47], v[46:47], v[62:63]
	v_add_f64 v[62:63], v[68:69], -v[66:67]
	v_add_f64 v[48:49], v[48:49], -v[62:63]
	;; [unrolled: 1-line block ×4, first 2 shown]
	v_add_f64 v[48:49], v[48:49], v[62:63]
	v_add_f64 v[58:59], v[60:61], -v[58:59]
	v_add_f64 v[46:47], v[48:49], v[46:47]
	v_fma_f64 v[48:49], v[56:57], v[54:55], -v[66:67]
	v_add_f64 v[60:61], v[58:59], v[70:71]
	v_add_f64 v[46:47], v[48:49], v[46:47]
	v_ldexp_f64 v[48:49], v[64:65], 2
	v_add_f64 v[54:55], v[60:61], v[48:49]
	v_cmp_gt_f64_e32 vcc, 0, v[54:55]
	v_cndmask_b32_e32 v17, 0, v50, vcc
	v_add_f64 v[48:49], v[48:49], v[16:17]
	v_add_f64 v[54:55], v[60:61], v[48:49]
	v_cvt_i32_f64_e32 v17, v[54:55]
	v_cvt_f64_i32_e32 v[54:55], v17
	v_add_f64 v[48:49], v[48:49], -v[54:55]
	v_add_f64 v[58:59], v[60:61], -v[58:59]
	v_add_f64 v[56:57], v[60:61], v[48:49]
	v_add_f64 v[58:59], v[70:71], -v[58:59]
	v_add_f64 v[48:49], v[56:57], -v[48:49]
	v_cmp_le_f64_e32 vcc, 0.5, v[56:57]
	v_add_f64 v[46:47], v[58:59], v[46:47]
	v_add_f64 v[48:49], v[60:61], -v[48:49]
	v_addc_co_u32_e64 v54, s[0:1], 0, v17, vcc
	v_cndmask_b32_e32 v17, 0, v51, vcc
	v_add_f64 v[46:47], v[46:47], v[48:49]
	v_add_f64 v[48:49], v[56:57], -v[16:17]
	v_add_f64 v[56:57], v[48:49], v[46:47]
	v_add_f64 v[48:49], v[56:57], -v[48:49]
	s_mov_b32 s12, s20
	v_add_f64 v[46:47], v[46:47], -v[48:49]
	v_mul_f64 v[48:49], v[56:57], s[12:13]
	v_fma_f64 v[58:59], v[56:57], s[12:13], -v[48:49]
	s_mov_b32 s25, s23
	v_fmac_f64_e32 v[58:59], s[24:25], v[56:57]
	v_fmac_f64_e32 v[58:59], s[12:13], v[46:47]
	v_add_f64 v[46:47], v[48:49], v[58:59]
	v_add_f64 v[48:49], v[46:47], -v[48:49]
	v_add_f64 v[48:49], v[58:59], -v[48:49]
	s_andn2_saveexec_b64 s[0:1], s[2:3]
	s_cbranch_execnz .LBB254_358
	s_branch .LBB254_359
.LBB254_357:                            ;   in Loop: Header=BB254_233 Depth=1
	s_andn2_saveexec_b64 s[0:1], s[2:3]
	s_cbranch_execz .LBB254_359
.LBB254_358:                            ;   in Loop: Header=BB254_233 Depth=1
	v_mul_f64 v[46:47], |v[10:11]|, s[26:27]
	v_rndne_f64_e32 v[54:55], v[46:47]
	v_fma_f64 v[46:47], v[54:55], s[20:21], |v[10:11]|
	v_mul_f64 v[56:57], v[54:55], s[28:29]
	v_add_f64 v[60:61], v[46:47], v[56:57]
	v_fma_f64 v[48:49], s[28:29], v[54:55], v[46:47]
	s_mov_b32 s22, s28
	v_add_f64 v[46:47], v[46:47], -v[60:61]
	v_fma_f64 v[58:59], s[22:23], v[54:55], v[56:57]
	v_add_f64 v[46:47], v[46:47], v[56:57]
	v_add_f64 v[56:57], v[60:61], -v[48:49]
	v_add_f64 v[46:47], v[56:57], v[46:47]
	v_add_f64 v[56:57], v[46:47], -v[58:59]
	v_fmac_f64_e32 v[56:57], s[30:31], v[54:55]
	v_add_f64 v[46:47], v[48:49], v[56:57]
	v_add_f64 v[48:49], v[46:47], -v[48:49]
	v_add_f64 v[48:49], v[56:57], -v[48:49]
	v_cvt_i32_f64_e32 v54, v[54:55]
.LBB254_359:                            ;   in Loop: Header=BB254_233 Depth=1
	s_or_b64 exec, exec, s[0:1]
	v_mul_f64 v[56:57], v[42:43], v[42:43]
	v_pk_mov_b32 v[64:65], s[52:53], s[52:53] op_sel:[0,1]
	v_mul_f64 v[58:59], v[56:57], 0.5
	v_fma_f64 v[66:67], s[54:55], v[56:57], v[64:65]
	v_add_f64 v[60:61], -v[58:59], 1.0
	v_fma_f64 v[66:67], v[56:57], v[66:67], s[56:57]
	v_fma_f64 v[66:67], v[56:57], v[66:67], s[58:59]
	v_add_f64 v[68:69], -v[60:61], 1.0
	v_fma_f64 v[66:67], v[56:57], v[66:67], s[60:61]
	v_add_f64 v[58:59], v[68:69], -v[58:59]
	v_mul_f64 v[62:63], v[56:57], v[56:57]
	v_fma_f64 v[66:67], v[56:57], v[66:67], s[46:47]
	v_fma_f64 v[58:59], v[42:43], -v[44:45], v[58:59]
	v_fmac_f64_e32 v[58:59], v[62:63], v[66:67]
	v_pk_mov_b32 v[62:63], s[62:63], s[62:63] op_sel:[0,1]
	v_fma_f64 v[66:67], s[64:65], v[56:57], v[62:63]
	v_fma_f64 v[66:67], v[56:57], v[66:67], s[66:67]
	;; [unrolled: 1-line block ×3, first 2 shown]
	v_add_f64 v[58:59], v[60:61], v[58:59]
	v_mul_f64 v[60:61], v[42:43], -v[56:57]
	v_fma_f64 v[66:67], v[56:57], v[66:67], s[44:45]
	v_mul_f64 v[68:69], v[44:45], 0.5
	v_fmac_f64_e32 v[68:69], v[60:61], v[66:67]
	v_fma_f64 v[44:45], v[56:57], v[68:69], -v[44:45]
	s_mov_b32 s70, s46
	v_fmac_f64_e32 v[44:45], s[70:71], v[60:61]
	v_and_b32_e32 v17, 1, v40
	v_add_f64 v[42:43], v[42:43], -v[44:45]
	s_mov_b32 s0, 0x19ba0da4
	v_xor_b32_e32 v43, 0x80000000, v43
	v_cmp_eq_u32_e32 vcc, 0, v17
	v_lshlrev_b32_e32 v40, 30, v40
	s_mov_b32 s1, 0xc0937be3
	v_cndmask_b32_e32 v17, v42, v58, vcc
	v_cndmask_b32_e32 v42, v43, v59, vcc
	v_and_b32_e32 v40, 0x80000000, v40
	v_add_f64 v[8:9], -v[8:9], s[0:1]
	v_xor_b32_e32 v40, v42, v40
	v_mul_f64 v[42:43], v[8:9], s[36:37]
	v_rndne_f64_e32 v[42:43], v[42:43]
	v_fma_f64 v[44:45], s[38:39], v[42:43], v[8:9]
	v_fmac_f64_e32 v[44:45], s[40:41], v[42:43]
	v_pk_mov_b32 v[56:57], v[22:23], v[22:23] op_sel:[0,1]
	v_fmac_f64_e32 v[56:57], s[42:43], v[44:45]
	v_pk_mov_b32 v[58:59], v[24:25], v[24:25] op_sel:[0,1]
	;; [unrolled: 2-line block ×9, first 2 shown]
	v_fmac_f64_e32 v[56:57], v[44:45], v[58:59]
	v_cmp_class_f64_e64 vcc, v[10:11], s72
	v_fma_f64 v[56:57], v[44:45], v[56:57], 1.0
	v_cndmask_b32_e32 v10, 0, v17, vcc
	v_fma_f64 v[44:45], v[44:45], v[56:57], 1.0
	v_cvt_i32_f64_e32 v17, v[42:43]
	v_ldexp_f64 v[42:43], v[44:45], v17
	v_cmp_nlt_f64_e64 s[0:1], s[74:75], v[8:9]
	v_cndmask_b32_e64 v17, v52, v43, s[0:1]
	v_cmp_ngt_f64_e64 s[2:3], s[76:77], v[8:9]
	v_cndmask_b32_e64 v17, 0, v17, s[2:3]
	v_and_b32_e32 v9, 0xfffff, v17
	v_lshrrev_b32_e32 v17, 20, v17
	v_cndmask_b32_e32 v11, v53, v40, vcc
	v_add_u32_e32 v40, 0xffffff09, v17
	v_lshrrev_b16_e32 v17, 15, v40
	v_add_u16_e32 v17, v40, v17
	s_and_b64 s[0:1], s[2:3], s[0:1]
	v_ashrrev_i16_e32 v17, 1, v17
	v_cndmask_b32_e64 v8, 0, v42, s[0:1]
	v_or_b32_e32 v9, 0x7fe00000, v9
	v_bfe_i32 v42, v17, 0, 16
	v_mul_f64 v[10:11], v[8:9], v[10:11]
	v_lshl_add_u32 v17, v42, 20, v51
	v_sub_u32_e32 v40, v40, v42
	v_mul_f64 v[10:11], v[10:11], v[16:17]
	v_lshl_add_u32 v45, v40, 20, v51
	v_mov_b32_e32 v44, v16
	v_mul_f64 v[42:43], v[10:11], v[44:45]
	v_mul_f64 v[10:11], v[46:47], v[46:47]
	v_mul_f64 v[56:57], v[10:11], 0.5
	v_fmac_f64_e32 v[64:65], s[54:55], v[10:11]
	v_add_f64 v[58:59], -v[56:57], 1.0
	v_fma_f64 v[64:65], v[10:11], v[64:65], s[56:57]
	v_add_f64 v[60:61], -v[58:59], 1.0
	v_fma_f64 v[64:65], v[10:11], v[64:65], s[58:59]
	v_add_f64 v[56:57], v[60:61], -v[56:57]
	v_fma_f64 v[64:65], v[10:11], v[64:65], s[60:61]
	v_mul_f64 v[60:61], v[10:11], v[10:11]
	v_fma_f64 v[64:65], v[10:11], v[64:65], s[46:47]
	v_fma_f64 v[56:57], v[46:47], -v[48:49], v[56:57]
	v_fmac_f64_e32 v[56:57], v[60:61], v[64:65]
	v_fmac_f64_e32 v[62:63], s[64:65], v[10:11]
	v_add_f64 v[56:57], v[58:59], v[56:57]
	v_fma_f64 v[58:59], v[10:11], v[62:63], s[66:67]
	v_fma_f64 v[58:59], v[10:11], v[58:59], s[68:69]
	;; [unrolled: 1-line block ×3, first 2 shown]
	v_mul_f64 v[60:61], v[46:47], -v[10:11]
	v_mul_f64 v[62:63], v[48:49], 0.5
	v_fmac_f64_e32 v[62:63], v[60:61], v[58:59]
	v_fma_f64 v[10:11], v[10:11], v[62:63], -v[48:49]
	v_and_b32_e32 v40, 1, v54
	v_fmac_f64_e32 v[10:11], s[70:71], v[60:61]
	v_cmp_eq_u32_e64 s[0:1], 0, v40
	v_lshlrev_b32_e32 v40, 30, v54
	v_add_f64 v[10:11], v[46:47], -v[10:11]
	v_xor_b32_e32 v40, v40, v41
	v_cndmask_b32_e64 v11, v57, v11, s[0:1]
	v_and_b32_e32 v40, 0x80000000, v40
	v_cndmask_b32_e64 v10, v56, v10, s[0:1]
	v_xor_b32_e32 v11, v11, v40
	v_cndmask_b32_e32 v10, 0, v10, vcc
	v_cndmask_b32_e32 v11, v53, v11, vcc
	v_mul_f64 v[8:9], v[8:9], v[10:11]
	v_mul_f64 v[8:9], v[8:9], v[16:17]
	;; [unrolled: 1-line block ×3, first 2 shown]
.LBB254_360:                            ;   in Loop: Header=BB254_233 Depth=1
	s_or_b64 exec, exec, s[86:87]
                                        ; implicit-def: $vgpr44_vgpr45
                                        ; implicit-def: $vgpr8_vgpr9
                                        ; implicit-def: $vgpr17
.LBB254_361:                            ;   in Loop: Header=BB254_233 Depth=1
	s_andn2_saveexec_b64 s[2:3], s[84:85]
	s_cbranch_execz .LBB254_367
; %bb.362:                              ;   in Loop: Header=BB254_233 Depth=1
	v_cmp_ne_u32_e32 vcc, 0, v44
	v_cmp_ne_u32_e64 s[0:1], s93, v17
	s_or_b64 s[0:1], vcc, s[0:1]
	v_add_f64 v[40:41], v[10:11], -v[10:11]
	s_and_saveexec_b64 s[84:85], s[0:1]
	s_xor_b64 s[0:1], exec, s[84:85]
; %bb.363:                              ;   in Loop: Header=BB254_233 Depth=1
                                        ; implicit-def: $vgpr44_vgpr45
                                        ; implicit-def: $vgpr8_vgpr9
; %bb.364:                              ;   in Loop: Header=BB254_233 Depth=1
	s_or_saveexec_b64 s[0:1], s[0:1]
	v_pk_mov_b32 v[42:43], v[40:41], v[40:41] op_sel:[0,1]
	s_xor_b64 exec, exec, s[0:1]
; %bb.365:                              ;   in Loop: Header=BB254_233 Depth=1
	v_cmp_lt_i64_e32 vcc, -1, v[44:45]
	v_cndmask_b32_e32 v43, 0, v45, vcc
	v_cndmask_b32_e32 v42, 0, v8, vcc
	;; [unrolled: 1-line block ×4, first 2 shown]
; %bb.366:                              ;   in Loop: Header=BB254_233 Depth=1
	s_or_b64 exec, exec, s[0:1]
.LBB254_367:                            ;   in Loop: Header=BB254_233 Depth=1
	s_or_b64 exec, exec, s[2:3]
                                        ; implicit-def: $vgpr10_vgpr11
.LBB254_368:                            ;   in Loop: Header=BB254_233 Depth=1
	s_andn2_saveexec_b64 s[2:3], s[82:83]
	s_cbranch_execz .LBB254_378
; %bb.369:                              ;   in Loop: Header=BB254_233 Depth=1
	v_cmp_nlt_f64_e64 s[82:83], |v[10:11]|, s[6:7]
                                        ; implicit-def: $vgpr40
                                        ; implicit-def: $vgpr8_vgpr9
                                        ; implicit-def: $vgpr42_vgpr43
	s_and_saveexec_b64 s[0:1], s[82:83]
	s_xor_b64 s[84:85], exec, s[0:1]
	s_cbranch_execz .LBB254_371
; %bb.370:                              ;   in Loop: Header=BB254_233 Depth=1
	v_and_b32_e32 v17, 0x7fffffff, v11
	v_ldexp_f64 v[44:45], |v[10:11]|, s95
	v_cmp_ge_f64_e64 vcc, |v[10:11]|, s[8:9]
	v_trig_preop_f64 v[8:9], |v[10:11]|, 0
	v_cndmask_b32_e32 v45, v17, v45, vcc
	v_cndmask_b32_e32 v44, v10, v44, vcc
	v_trig_preop_f64 v[42:43], |v[10:11]|, 1
	v_mul_f64 v[48:49], v[8:9], v[44:45]
	v_mul_f64 v[46:47], v[42:43], v[44:45]
	v_fma_f64 v[8:9], v[8:9], v[44:45], -v[48:49]
	v_add_f64 v[54:55], v[46:47], v[8:9]
	v_add_f64 v[56:57], v[48:49], v[54:55]
	v_ldexp_f64 v[58:59], v[56:57], -2
	v_fract_f64_e32 v[60:61], v[58:59]
	v_cmp_neq_f64_e64 vcc, |v[58:59]|, s[10:11]
	v_cndmask_b32_e32 v59, 0, v61, vcc
	v_cndmask_b32_e32 v58, 0, v60, vcc
	v_add_f64 v[60:61], v[54:55], -v[46:47]
	v_add_f64 v[8:9], v[8:9], -v[60:61]
	;; [unrolled: 1-line block ×4, first 2 shown]
	v_fma_f64 v[42:43], v[42:43], v[44:45], -v[46:47]
	v_trig_preop_f64 v[46:47], |v[10:11]|, 2
	v_add_f64 v[8:9], v[8:9], v[60:61]
	v_mul_f64 v[60:61], v[46:47], v[44:45]
	v_add_f64 v[62:63], v[60:61], v[42:43]
	v_add_f64 v[64:65], v[62:63], v[8:9]
	v_add_f64 v[48:49], v[56:57], -v[48:49]
	v_add_f64 v[56:57], v[64:65], -v[62:63]
	;; [unrolled: 1-line block ×5, first 2 shown]
	v_add_f64 v[8:9], v[8:9], v[56:57]
	v_add_f64 v[56:57], v[62:63], -v[60:61]
	v_add_f64 v[42:43], v[42:43], -v[56:57]
	;; [unrolled: 1-line block ×4, first 2 shown]
	v_add_f64 v[42:43], v[42:43], v[56:57]
	v_add_f64 v[48:49], v[54:55], -v[48:49]
	v_add_f64 v[8:9], v[42:43], v[8:9]
	v_fma_f64 v[42:43], v[46:47], v[44:45], -v[60:61]
	v_add_f64 v[54:55], v[48:49], v[64:65]
	v_add_f64 v[8:9], v[42:43], v[8:9]
	v_ldexp_f64 v[42:43], v[58:59], 2
	v_add_f64 v[44:45], v[54:55], v[42:43]
	v_cmp_gt_f64_e32 vcc, 0, v[44:45]
	v_cndmask_b32_e32 v17, 0, v50, vcc
	v_add_f64 v[42:43], v[42:43], v[16:17]
	v_add_f64 v[44:45], v[54:55], v[42:43]
	v_cvt_i32_f64_e32 v17, v[44:45]
	v_cvt_f64_i32_e32 v[44:45], v17
	v_add_f64 v[42:43], v[42:43], -v[44:45]
	v_add_f64 v[48:49], v[54:55], -v[48:49]
	v_add_f64 v[44:45], v[54:55], v[42:43]
	v_add_f64 v[48:49], v[64:65], -v[48:49]
	v_add_f64 v[42:43], v[44:45], -v[42:43]
	v_cmp_le_f64_e32 vcc, 0.5, v[44:45]
	v_add_f64 v[8:9], v[48:49], v[8:9]
	v_add_f64 v[42:43], v[54:55], -v[42:43]
	v_addc_co_u32_e64 v40, s[0:1], 0, v17, vcc
	v_cndmask_b32_e32 v17, 0, v51, vcc
	v_add_f64 v[8:9], v[8:9], v[42:43]
	v_add_f64 v[42:43], v[44:45], -v[16:17]
	v_add_f64 v[44:45], v[42:43], v[8:9]
	v_add_f64 v[42:43], v[44:45], -v[42:43]
	s_mov_b32 s12, s20
	v_add_f64 v[8:9], v[8:9], -v[42:43]
	v_mul_f64 v[42:43], v[44:45], s[12:13]
	v_fma_f64 v[46:47], v[44:45], s[12:13], -v[42:43]
	s_mov_b32 s25, s23
	v_fmac_f64_e32 v[46:47], s[24:25], v[44:45]
	v_fmac_f64_e32 v[46:47], s[12:13], v[8:9]
	v_add_f64 v[8:9], v[42:43], v[46:47]
	v_add_f64 v[42:43], v[8:9], -v[42:43]
	v_add_f64 v[42:43], v[46:47], -v[42:43]
	s_andn2_saveexec_b64 s[0:1], s[84:85]
	s_cbranch_execz .LBB254_373
	s_branch .LBB254_372
.LBB254_371:                            ;   in Loop: Header=BB254_233 Depth=1
	s_andn2_saveexec_b64 s[0:1], s[84:85]
	s_cbranch_execz .LBB254_373
.LBB254_372:                            ;   in Loop: Header=BB254_233 Depth=1
	v_mul_f64 v[8:9], |v[10:11]|, s[26:27]
	v_rndne_f64_e32 v[44:45], v[8:9]
	v_fma_f64 v[8:9], v[44:45], s[20:21], |v[10:11]|
	v_mul_f64 v[46:47], v[44:45], s[28:29]
	v_add_f64 v[54:55], v[8:9], v[46:47]
	v_fma_f64 v[42:43], s[28:29], v[44:45], v[8:9]
	s_mov_b32 s22, s28
	v_add_f64 v[8:9], v[8:9], -v[54:55]
	v_fma_f64 v[48:49], s[22:23], v[44:45], v[46:47]
	v_add_f64 v[8:9], v[8:9], v[46:47]
	v_add_f64 v[46:47], v[54:55], -v[42:43]
	v_add_f64 v[8:9], v[46:47], v[8:9]
	v_add_f64 v[46:47], v[8:9], -v[48:49]
	v_fmac_f64_e32 v[46:47], s[30:31], v[44:45]
	v_add_f64 v[8:9], v[42:43], v[46:47]
	v_add_f64 v[42:43], v[8:9], -v[42:43]
	v_add_f64 v[42:43], v[46:47], -v[42:43]
	v_cvt_i32_f64_e32 v40, v[44:45]
.LBB254_373:                            ;   in Loop: Header=BB254_233 Depth=1
	s_or_b64 exec, exec, s[0:1]
                                        ; implicit-def: $vgpr48
                                        ; implicit-def: $vgpr44_vgpr45
                                        ; implicit-def: $vgpr46_vgpr47
	s_and_saveexec_b64 s[0:1], s[82:83]
	s_xor_b64 s[82:83], exec, s[0:1]
	s_cbranch_execz .LBB254_375
; %bb.374:                              ;   in Loop: Header=BB254_233 Depth=1
	v_and_b32_e32 v17, 0x7fffffff, v11
	v_ldexp_f64 v[48:49], |v[10:11]|, s95
	v_cmp_ge_f64_e64 vcc, |v[10:11]|, s[8:9]
	v_trig_preop_f64 v[44:45], |v[10:11]|, 0
	v_cndmask_b32_e32 v49, v17, v49, vcc
	v_cndmask_b32_e32 v48, v10, v48, vcc
	v_trig_preop_f64 v[46:47], |v[10:11]|, 1
	v_mul_f64 v[56:57], v[44:45], v[48:49]
	v_mul_f64 v[54:55], v[46:47], v[48:49]
	v_fma_f64 v[44:45], v[44:45], v[48:49], -v[56:57]
	v_add_f64 v[58:59], v[54:55], v[44:45]
	v_add_f64 v[60:61], v[56:57], v[58:59]
	v_ldexp_f64 v[62:63], v[60:61], -2
	v_fract_f64_e32 v[64:65], v[62:63]
	v_cmp_neq_f64_e64 vcc, |v[62:63]|, s[10:11]
	v_cndmask_b32_e32 v63, 0, v65, vcc
	v_cndmask_b32_e32 v62, 0, v64, vcc
	v_add_f64 v[64:65], v[58:59], -v[54:55]
	v_add_f64 v[44:45], v[44:45], -v[64:65]
	;; [unrolled: 1-line block ×4, first 2 shown]
	v_fma_f64 v[46:47], v[46:47], v[48:49], -v[54:55]
	v_trig_preop_f64 v[54:55], |v[10:11]|, 2
	v_add_f64 v[44:45], v[44:45], v[64:65]
	v_mul_f64 v[64:65], v[54:55], v[48:49]
	v_add_f64 v[66:67], v[64:65], v[46:47]
	v_add_f64 v[68:69], v[66:67], v[44:45]
	v_add_f64 v[56:57], v[60:61], -v[56:57]
	v_add_f64 v[60:61], v[68:69], -v[66:67]
	;; [unrolled: 1-line block ×5, first 2 shown]
	v_add_f64 v[44:45], v[44:45], v[60:61]
	v_add_f64 v[60:61], v[66:67], -v[64:65]
	v_add_f64 v[46:47], v[46:47], -v[60:61]
	;; [unrolled: 1-line block ×4, first 2 shown]
	v_add_f64 v[46:47], v[46:47], v[60:61]
	v_add_f64 v[56:57], v[58:59], -v[56:57]
	v_add_f64 v[44:45], v[46:47], v[44:45]
	v_fma_f64 v[46:47], v[54:55], v[48:49], -v[64:65]
	v_add_f64 v[58:59], v[56:57], v[68:69]
	v_add_f64 v[44:45], v[46:47], v[44:45]
	v_ldexp_f64 v[46:47], v[62:63], 2
	v_add_f64 v[48:49], v[58:59], v[46:47]
	v_cmp_gt_f64_e32 vcc, 0, v[48:49]
	v_cndmask_b32_e32 v17, 0, v50, vcc
	v_add_f64 v[46:47], v[46:47], v[16:17]
	v_add_f64 v[48:49], v[58:59], v[46:47]
	v_cvt_i32_f64_e32 v17, v[48:49]
	v_cvt_f64_i32_e32 v[48:49], v17
	v_add_f64 v[46:47], v[46:47], -v[48:49]
	v_add_f64 v[56:57], v[58:59], -v[56:57]
	v_add_f64 v[54:55], v[58:59], v[46:47]
	v_add_f64 v[56:57], v[68:69], -v[56:57]
	v_add_f64 v[46:47], v[54:55], -v[46:47]
	v_cmp_le_f64_e32 vcc, 0.5, v[54:55]
	v_add_f64 v[44:45], v[56:57], v[44:45]
	v_add_f64 v[46:47], v[58:59], -v[46:47]
	v_addc_co_u32_e64 v48, s[0:1], 0, v17, vcc
	v_cndmask_b32_e32 v17, 0, v51, vcc
	v_add_f64 v[44:45], v[44:45], v[46:47]
	v_add_f64 v[46:47], v[54:55], -v[16:17]
	v_add_f64 v[54:55], v[46:47], v[44:45]
	v_add_f64 v[46:47], v[54:55], -v[46:47]
	s_mov_b32 s12, s20
	v_add_f64 v[44:45], v[44:45], -v[46:47]
	v_mul_f64 v[46:47], v[54:55], s[12:13]
	v_fma_f64 v[56:57], v[54:55], s[12:13], -v[46:47]
	s_mov_b32 s25, s23
	v_fmac_f64_e32 v[56:57], s[24:25], v[54:55]
	v_fmac_f64_e32 v[56:57], s[12:13], v[44:45]
	v_add_f64 v[44:45], v[46:47], v[56:57]
	v_add_f64 v[46:47], v[44:45], -v[46:47]
	v_add_f64 v[46:47], v[56:57], -v[46:47]
	s_andn2_saveexec_b64 s[0:1], s[82:83]
	s_cbranch_execnz .LBB254_376
	s_branch .LBB254_377
.LBB254_375:                            ;   in Loop: Header=BB254_233 Depth=1
	s_andn2_saveexec_b64 s[0:1], s[82:83]
	s_cbranch_execz .LBB254_377
.LBB254_376:                            ;   in Loop: Header=BB254_233 Depth=1
	v_mul_f64 v[44:45], |v[10:11]|, s[26:27]
	v_rndne_f64_e32 v[48:49], v[44:45]
	v_fma_f64 v[44:45], v[48:49], s[20:21], |v[10:11]|
	v_mul_f64 v[54:55], v[48:49], s[28:29]
	v_add_f64 v[58:59], v[44:45], v[54:55]
	v_fma_f64 v[46:47], s[28:29], v[48:49], v[44:45]
	s_mov_b32 s22, s28
	v_add_f64 v[44:45], v[44:45], -v[58:59]
	v_fma_f64 v[56:57], s[22:23], v[48:49], v[54:55]
	v_add_f64 v[44:45], v[44:45], v[54:55]
	v_add_f64 v[54:55], v[58:59], -v[46:47]
	v_add_f64 v[44:45], v[54:55], v[44:45]
	v_add_f64 v[54:55], v[44:45], -v[56:57]
	v_fmac_f64_e32 v[54:55], s[30:31], v[48:49]
	v_add_f64 v[44:45], v[46:47], v[54:55]
	v_add_f64 v[46:47], v[44:45], -v[46:47]
	v_add_f64 v[46:47], v[54:55], -v[46:47]
	v_cvt_i32_f64_e32 v48, v[48:49]
.LBB254_377:                            ;   in Loop: Header=BB254_233 Depth=1
	s_or_b64 exec, exec, s[0:1]
	v_mul_f64 v[54:55], v[8:9], v[8:9]
	v_pk_mov_b32 v[62:63], s[52:53], s[52:53] op_sel:[0,1]
	v_mul_f64 v[56:57], v[54:55], 0.5
	v_fma_f64 v[64:65], s[54:55], v[54:55], v[62:63]
	v_add_f64 v[58:59], -v[56:57], 1.0
	v_fma_f64 v[64:65], v[54:55], v[64:65], s[56:57]
	v_add_f64 v[60:61], -v[58:59], 1.0
	v_fma_f64 v[64:65], v[54:55], v[64:65], s[58:59]
	v_add_f64 v[56:57], v[60:61], -v[56:57]
	v_fma_f64 v[64:65], v[54:55], v[64:65], s[60:61]
	v_mul_f64 v[60:61], v[54:55], v[54:55]
	v_fma_f64 v[64:65], v[54:55], v[64:65], s[46:47]
	v_fma_f64 v[56:57], v[8:9], -v[42:43], v[56:57]
	v_fmac_f64_e32 v[56:57], v[60:61], v[64:65]
	v_add_f64 v[56:57], v[58:59], v[56:57]
	v_pk_mov_b32 v[58:59], s[62:63], s[62:63] op_sel:[0,1]
	v_fma_f64 v[60:61], s[64:65], v[54:55], v[58:59]
	v_fma_f64 v[60:61], v[54:55], v[60:61], s[66:67]
	;; [unrolled: 1-line block ×4, first 2 shown]
	v_mul_f64 v[64:65], v[8:9], -v[54:55]
	v_mul_f64 v[66:67], v[42:43], 0.5
	v_fmac_f64_e32 v[66:67], v[64:65], v[60:61]
	v_fma_f64 v[42:43], v[54:55], v[66:67], -v[42:43]
	s_mov_b32 s70, s46
	v_fmac_f64_e32 v[42:43], s[70:71], v[64:65]
	v_add_f64 v[8:9], v[8:9], -v[42:43]
	v_and_b32_e32 v17, 1, v40
	v_xor_b32_e32 v9, 0x80000000, v9
	v_cmp_eq_u32_e32 vcc, 0, v17
	v_lshlrev_b32_e32 v17, 30, v40
	v_cndmask_b32_e32 v9, v9, v57, vcc
	v_and_b32_e32 v17, 0x80000000, v17
	v_cndmask_b32_e32 v8, v8, v56, vcc
	v_xor_b32_e32 v9, v9, v17
	v_cmp_class_f64_e64 vcc, v[10:11], s72
	v_cndmask_b32_e32 v42, 0, v8, vcc
	v_cndmask_b32_e32 v43, v53, v9, vcc
	v_mul_f64 v[8:9], v[44:45], v[44:45]
	v_mul_f64 v[10:11], v[8:9], 0.5
	v_fmac_f64_e32 v[62:63], s[54:55], v[8:9]
	v_add_f64 v[54:55], -v[10:11], 1.0
	v_fma_f64 v[60:61], v[8:9], v[62:63], s[56:57]
	v_add_f64 v[56:57], -v[54:55], 1.0
	v_fma_f64 v[60:61], v[8:9], v[60:61], s[58:59]
	v_add_f64 v[10:11], v[56:57], -v[10:11]
	v_fma_f64 v[60:61], v[8:9], v[60:61], s[60:61]
	v_mul_f64 v[56:57], v[8:9], v[8:9]
	v_fma_f64 v[60:61], v[8:9], v[60:61], s[46:47]
	v_fma_f64 v[10:11], v[44:45], -v[46:47], v[10:11]
	v_fmac_f64_e32 v[10:11], v[56:57], v[60:61]
	v_fmac_f64_e32 v[58:59], s[64:65], v[8:9]
	v_add_f64 v[10:11], v[54:55], v[10:11]
	v_fma_f64 v[54:55], v[8:9], v[58:59], s[66:67]
	v_fma_f64 v[54:55], v[8:9], v[54:55], s[68:69]
	v_fma_f64 v[54:55], v[8:9], v[54:55], s[44:45]
	v_mul_f64 v[56:57], v[44:45], -v[8:9]
	v_mul_f64 v[58:59], v[46:47], 0.5
	v_fmac_f64_e32 v[58:59], v[56:57], v[54:55]
	v_fma_f64 v[8:9], v[8:9], v[58:59], -v[46:47]
	v_fmac_f64_e32 v[8:9], s[70:71], v[56:57]
	v_and_b32_e32 v17, 1, v48
	v_add_f64 v[8:9], v[44:45], -v[8:9]
	v_cmp_eq_u32_e64 s[0:1], 0, v17
	v_cndmask_b32_e64 v8, v10, v8, s[0:1]
	v_lshlrev_b32_e32 v10, 30, v48
	v_xor_b32_e32 v10, v10, v41
	v_cndmask_b32_e64 v9, v11, v9, s[0:1]
	v_and_b32_e32 v10, 0x80000000, v10
	v_xor_b32_e32 v9, v9, v10
	v_cndmask_b32_e32 v40, 0, v8, vcc
	v_cndmask_b32_e32 v41, v53, v9, vcc
.LBB254_378:                            ;   in Loop: Header=BB254_233 Depth=1
	s_or_b64 exec, exec, s[2:3]
                                        ; implicit-def: $vgpr8_vgpr9
.LBB254_379:                            ;   in Loop: Header=BB254_233 Depth=1
	s_andn2_saveexec_b64 s[2:3], s[80:81]
	s_cbranch_execz .LBB254_381
; %bb.380:                              ;   in Loop: Header=BB254_233 Depth=1
	s_mov_b32 s34, s36
	v_mul_f64 v[10:11], v[8:9], s[34:35]
	v_rndne_f64_e32 v[10:11], v[10:11]
	v_fma_f64 v[42:43], v[10:11], s[38:39], -v[8:9]
	v_fmac_f64_e32 v[42:43], s[40:41], v[10:11]
	v_pk_mov_b32 v[44:45], v[22:23], v[22:23] op_sel:[0,1]
	v_fmac_f64_e32 v[44:45], s[42:43], v[42:43]
	v_pk_mov_b32 v[46:47], v[24:25], v[24:25] op_sel:[0,1]
	;; [unrolled: 2-line block ×9, first 2 shown]
	v_fmac_f64_e32 v[44:45], v[42:43], v[46:47]
	v_fma_f64 v[44:45], v[42:43], v[44:45], 1.0
	v_fma_f64 v[42:43], v[42:43], v[44:45], 1.0
	v_cvt_i32_f64_e32 v10, v[10:11]
	v_ldexp_f64 v[10:11], v[42:43], v10
	v_cmp_ngt_f64_e32 vcc, s[48:49], v[8:9]
	v_cmp_nlt_f64_e64 s[0:1], s[50:51], v[8:9]
	v_cndmask_b32_e32 v11, v52, v11, vcc
	s_and_b64 vcc, s[0:1], vcc
	v_cndmask_b32_e64 v43, 0, v11, s[0:1]
	v_cndmask_b32_e32 v42, 0, v10, vcc
.LBB254_381:                            ;   in Loop: Header=BB254_233 Depth=1
	s_or_b64 exec, exec, s[2:3]
	v_add_f64 v[42:43], s[16:17], v[42:43]
	v_add_f64 v[40:41], s[18:19], v[40:41]
	v_xor_b32_e32 v8, 0x80000000, v43
	v_cmp_gt_f64_e32 vcc, 0, v[42:43]
	v_cndmask_b32_e32 v47, v43, v8, vcc
	v_cndmask_b32_e32 v46, v42, v42, vcc
	v_xor_b32_e32 v8, 0x80000000, v41
	v_cmp_gt_f64_e32 vcc, 0, v[40:41]
	v_cndmask_b32_e32 v45, v41, v8, vcc
	v_cndmask_b32_e32 v44, v40, v40, vcc
	v_cmp_ge_f64_e32 vcc, v[46:47], v[44:45]
                                        ; implicit-def: $vgpr10_vgpr11
	s_and_saveexec_b64 s[0:1], vcc
	s_xor_b64 s[2:3], exec, s[0:1]
	s_cbranch_execz .LBB254_387
; %bb.382:                              ;   in Loop: Header=BB254_233 Depth=1
	v_cmp_neq_f64_e32 vcc, 0, v[42:43]
	v_cmp_neq_f64_e64 s[0:1], 0, v[40:41]
	s_or_b64 s[0:1], vcc, s[0:1]
                                        ; implicit-def: $vgpr10_vgpr11
	s_and_saveexec_b64 s[80:81], s[0:1]
	s_xor_b64 s[0:1], exec, s[80:81]
	s_cbranch_execz .LBB254_384
; %bb.383:                              ;   in Loop: Header=BB254_233 Depth=1
	v_div_scale_f64 v[8:9], s[80:81], v[42:43], v[42:43], v[40:41]
	v_rcp_f64_e32 v[10:11], v[8:9]
	v_div_scale_f64 v[44:45], vcc, v[40:41], v[42:43], v[40:41]
	v_fma_f64 v[46:47], -v[8:9], v[10:11], 1.0
	v_fmac_f64_e32 v[10:11], v[10:11], v[46:47]
	v_fma_f64 v[46:47], -v[8:9], v[10:11], 1.0
	v_fmac_f64_e32 v[10:11], v[10:11], v[46:47]
	v_mul_f64 v[46:47], v[44:45], v[10:11]
	v_fma_f64 v[8:9], -v[8:9], v[46:47], v[44:45]
	v_div_fmas_f64 v[8:9], v[8:9], v[10:11], v[46:47]
	v_div_fixup_f64 v[10:11], v[8:9], v[42:43], v[40:41]
	v_fmac_f64_e32 v[42:43], v[40:41], v[10:11]
	v_div_scale_f64 v[8:9], s[80:81], v[42:43], v[42:43], 1.0
	v_rcp_f64_e32 v[40:41], v[8:9]
	v_fma_f64 v[44:45], -v[8:9], v[40:41], 1.0
	v_fmac_f64_e32 v[40:41], v[40:41], v[44:45]
	v_fma_f64 v[44:45], -v[8:9], v[40:41], 1.0
	v_fmac_f64_e32 v[40:41], v[40:41], v[44:45]
	v_div_scale_f64 v[44:45], vcc, 1.0, v[42:43], 1.0
	v_mul_f64 v[46:47], v[44:45], v[40:41]
	v_fma_f64 v[8:9], -v[8:9], v[46:47], v[44:45]
                                        ; implicit-def: $vgpr44_vgpr45
	s_nop 1
	v_div_fmas_f64 v[8:9], v[8:9], v[40:41], v[46:47]
	v_div_fixup_f64 v[40:41], v[8:9], v[42:43], 1.0
	v_pk_mov_b32 v[8:9], s[16:17], s[16:17] op_sel:[0,1]
	v_pk_mov_b32 v[42:43], s[18:19], s[18:19] op_sel:[0,1]
	v_fma_f64 v[8:9], s[18:19], v[10:11], v[8:9]
	v_fma_f64 v[10:11], -s[16:17], v[10:11], v[42:43]
	v_mul_f64 v[8:9], v[8:9], v[40:41]
	v_mul_f64 v[10:11], v[10:11], v[40:41]
                                        ; implicit-def: $vgpr46_vgpr47
.LBB254_384:                            ;   in Loop: Header=BB254_233 Depth=1
	s_andn2_saveexec_b64 s[0:1], s[0:1]
	s_cbranch_execz .LBB254_386
; %bb.385:                              ;   in Loop: Header=BB254_233 Depth=1
	v_div_scale_f64 v[8:9], s[80:81], v[46:47], v[46:47], s[16:17]
	v_rcp_f64_e32 v[10:11], v[8:9]
	v_div_scale_f64 v[40:41], vcc, s[16:17], v[46:47], s[16:17]
	v_fma_f64 v[42:43], -v[8:9], v[10:11], 1.0
	v_fmac_f64_e32 v[10:11], v[10:11], v[42:43]
	v_fma_f64 v[42:43], -v[8:9], v[10:11], 1.0
	v_fmac_f64_e32 v[10:11], v[10:11], v[42:43]
	v_mul_f64 v[42:43], v[40:41], v[10:11]
	v_fma_f64 v[8:9], -v[8:9], v[42:43], v[40:41]
	v_div_scale_f64 v[40:41], s[80:81], v[44:45], v[44:45], s[18:19]
	v_rcp_f64_e32 v[48:49], v[40:41]
	v_div_fmas_f64 v[8:9], v[8:9], v[10:11], v[42:43]
	v_div_fixup_f64 v[8:9], v[8:9], v[46:47], s[16:17]
	v_fma_f64 v[10:11], -v[40:41], v[48:49], 1.0
	v_fmac_f64_e32 v[48:49], v[48:49], v[10:11]
	v_fma_f64 v[10:11], -v[40:41], v[48:49], 1.0
	v_fmac_f64_e32 v[48:49], v[48:49], v[10:11]
	v_div_scale_f64 v[10:11], vcc, s[18:19], v[44:45], s[18:19]
	v_mul_f64 v[42:43], v[10:11], v[48:49]
	v_fma_f64 v[10:11], -v[40:41], v[42:43], v[10:11]
	s_nop 1
	v_div_fmas_f64 v[10:11], v[10:11], v[48:49], v[42:43]
	v_div_fixup_f64 v[10:11], v[10:11], v[44:45], s[18:19]
.LBB254_386:                            ;   in Loop: Header=BB254_233 Depth=1
	s_or_b64 exec, exec, s[0:1]
                                        ; implicit-def: $vgpr40_vgpr41
                                        ; implicit-def: $vgpr42_vgpr43
.LBB254_387:                            ;   in Loop: Header=BB254_233 Depth=1
	s_andn2_saveexec_b64 s[0:1], s[2:3]
	s_cbranch_execz .LBB254_389
; %bb.388:                              ;   in Loop: Header=BB254_233 Depth=1
	v_div_scale_f64 v[8:9], s[2:3], v[40:41], v[40:41], v[42:43]
	v_rcp_f64_e32 v[10:11], v[8:9]
	v_div_scale_f64 v[44:45], vcc, v[42:43], v[40:41], v[42:43]
	v_fma_f64 v[46:47], -v[8:9], v[10:11], 1.0
	v_fmac_f64_e32 v[10:11], v[10:11], v[46:47]
	v_fma_f64 v[46:47], -v[8:9], v[10:11], 1.0
	v_fmac_f64_e32 v[10:11], v[10:11], v[46:47]
	v_mul_f64 v[46:47], v[44:45], v[10:11]
	v_fma_f64 v[8:9], -v[8:9], v[46:47], v[44:45]
	v_div_fmas_f64 v[8:9], v[8:9], v[10:11], v[46:47]
	v_div_fixup_f64 v[10:11], v[8:9], v[40:41], v[42:43]
	v_fmac_f64_e32 v[40:41], v[42:43], v[10:11]
	v_div_scale_f64 v[8:9], s[2:3], v[40:41], v[40:41], 1.0
	v_rcp_f64_e32 v[42:43], v[8:9]
	v_fma_f64 v[44:45], -v[8:9], v[42:43], 1.0
	v_fmac_f64_e32 v[42:43], v[42:43], v[44:45]
	v_fma_f64 v[44:45], -v[8:9], v[42:43], 1.0
	v_fmac_f64_e32 v[42:43], v[42:43], v[44:45]
	v_div_scale_f64 v[44:45], vcc, 1.0, v[40:41], 1.0
	v_mul_f64 v[46:47], v[44:45], v[42:43]
	v_fma_f64 v[8:9], -v[8:9], v[46:47], v[44:45]
	s_nop 1
	v_div_fmas_f64 v[8:9], v[8:9], v[42:43], v[46:47]
	v_div_fixup_f64 v[40:41], v[8:9], v[40:41], 1.0
	v_pk_mov_b32 v[8:9], s[18:19], s[18:19] op_sel:[0,1]
	v_pk_mov_b32 v[42:43], s[16:17], s[16:17] op_sel:[0,1]
	v_fma_f64 v[8:9], s[16:17], v[10:11], v[8:9]
	v_fma_f64 v[10:11], s[18:19], v[10:11], -v[42:43]
	v_mul_f64 v[8:9], v[8:9], v[40:41]
	v_mul_f64 v[10:11], v[10:11], v[40:41]
.LBB254_389:                            ;   in Loop: Header=BB254_233 Depth=1
	s_or_b64 exec, exec, s[0:1]
	v_xor_b32_e32 v41, 0x80000000, v3
	v_and_b32_e32 v46, 0x7fffffff, v41
	v_or_b32_e32 v17, v46, v2
	v_mov_b32_e32 v40, v2
	v_cmp_ne_u32_e32 vcc, 0, v17
                                        ; implicit-def: $vgpr42_vgpr43
	s_and_saveexec_b64 s[0:1], vcc
	s_xor_b64 s[80:81], exec, s[0:1]
	s_cbranch_execz .LBB254_431
; %bb.390:                              ;   in Loop: Header=BB254_233 Depth=1
	v_xor_b32_e32 v45, 0x80000000, v1
	v_mov_b32_e32 v44, v0
	v_and_b32_e32 v17, 0x7fffffff, v45
	v_or_b32_e32 v40, v17, v44
	v_cmp_ne_u32_e32 vcc, 0, v40
                                        ; implicit-def: $vgpr42_vgpr43
	s_and_saveexec_b64 s[0:1], vcc
	s_xor_b64 s[82:83], exec, s[0:1]
	s_cbranch_execz .LBB254_420
; %bb.391:                              ;   in Loop: Header=BB254_233 Depth=1
	v_cmp_gt_u32_e32 vcc, s93, v46
                                        ; implicit-def: $vgpr42_vgpr43
	s_and_saveexec_b64 s[0:1], vcc
	s_xor_b64 s[84:85], exec, s[0:1]
	s_cbranch_execz .LBB254_413
; %bb.392:                              ;   in Loop: Header=BB254_233 Depth=1
	v_add_u32_e32 v17, 0xbf79d1be, v45
	v_cmp_lt_u32_e32 vcc, s94, v17
                                        ; implicit-def: $vgpr42_vgpr43
	s_and_saveexec_b64 s[0:1], vcc
	s_xor_b64 s[2:3], exec, s[0:1]
	s_cbranch_execz .LBB254_402
; %bb.393:                              ;   in Loop: Header=BB254_233 Depth=1
	v_cmp_nlt_f64_e64 s[86:87], |v[2:3]|, s[6:7]
                                        ; implicit-def: $vgpr40
                                        ; implicit-def: $vgpr42_vgpr43
                                        ; implicit-def: $vgpr44_vgpr45
	s_and_saveexec_b64 s[0:1], s[86:87]
	s_xor_b64 s[88:89], exec, s[0:1]
	s_cbranch_execz .LBB254_395
; %bb.394:                              ;   in Loop: Header=BB254_233 Depth=1
	v_and_b32_e32 v17, 0x7fffffff, v3
	v_ldexp_f64 v[46:47], |v[2:3]|, s95
	v_cmp_ge_f64_e64 vcc, |v[2:3]|, s[8:9]
	v_trig_preop_f64 v[42:43], |v[2:3]|, 0
	v_cndmask_b32_e32 v47, v17, v47, vcc
	v_cndmask_b32_e32 v46, v2, v46, vcc
	v_trig_preop_f64 v[44:45], |v[2:3]|, 1
	v_mul_f64 v[54:55], v[42:43], v[46:47]
	v_mul_f64 v[48:49], v[44:45], v[46:47]
	v_fma_f64 v[42:43], v[42:43], v[46:47], -v[54:55]
	v_add_f64 v[56:57], v[48:49], v[42:43]
	v_add_f64 v[58:59], v[54:55], v[56:57]
	v_ldexp_f64 v[60:61], v[58:59], -2
	v_fract_f64_e32 v[62:63], v[60:61]
	v_cmp_neq_f64_e64 vcc, |v[60:61]|, s[10:11]
	v_cndmask_b32_e32 v61, 0, v63, vcc
	v_cndmask_b32_e32 v60, 0, v62, vcc
	v_add_f64 v[62:63], v[56:57], -v[48:49]
	v_add_f64 v[42:43], v[42:43], -v[62:63]
	;; [unrolled: 1-line block ×4, first 2 shown]
	v_fma_f64 v[44:45], v[44:45], v[46:47], -v[48:49]
	v_trig_preop_f64 v[48:49], |v[2:3]|, 2
	v_add_f64 v[42:43], v[42:43], v[62:63]
	v_mul_f64 v[62:63], v[48:49], v[46:47]
	v_add_f64 v[64:65], v[62:63], v[44:45]
	v_add_f64 v[66:67], v[64:65], v[42:43]
	v_add_f64 v[54:55], v[58:59], -v[54:55]
	v_add_f64 v[58:59], v[66:67], -v[64:65]
	;; [unrolled: 1-line block ×5, first 2 shown]
	v_add_f64 v[42:43], v[42:43], v[58:59]
	v_add_f64 v[58:59], v[64:65], -v[62:63]
	v_add_f64 v[44:45], v[44:45], -v[58:59]
	;; [unrolled: 1-line block ×4, first 2 shown]
	v_add_f64 v[44:45], v[44:45], v[58:59]
	v_add_f64 v[54:55], v[56:57], -v[54:55]
	v_add_f64 v[42:43], v[44:45], v[42:43]
	v_fma_f64 v[44:45], v[48:49], v[46:47], -v[62:63]
	v_add_f64 v[56:57], v[54:55], v[66:67]
	v_add_f64 v[42:43], v[44:45], v[42:43]
	v_ldexp_f64 v[44:45], v[60:61], 2
	v_add_f64 v[46:47], v[56:57], v[44:45]
	v_cmp_gt_f64_e32 vcc, 0, v[46:47]
	v_cndmask_b32_e32 v17, 0, v50, vcc
	v_add_f64 v[44:45], v[44:45], v[16:17]
	v_add_f64 v[46:47], v[56:57], v[44:45]
	v_cvt_i32_f64_e32 v17, v[46:47]
	v_cvt_f64_i32_e32 v[46:47], v17
	v_add_f64 v[44:45], v[44:45], -v[46:47]
	v_add_f64 v[54:55], v[56:57], -v[54:55]
	v_add_f64 v[46:47], v[56:57], v[44:45]
	v_add_f64 v[54:55], v[66:67], -v[54:55]
	v_add_f64 v[44:45], v[46:47], -v[44:45]
	v_cmp_le_f64_e32 vcc, 0.5, v[46:47]
	v_add_f64 v[42:43], v[54:55], v[42:43]
	v_add_f64 v[44:45], v[56:57], -v[44:45]
	v_addc_co_u32_e64 v40, s[0:1], 0, v17, vcc
	v_cndmask_b32_e32 v17, 0, v51, vcc
	v_add_f64 v[42:43], v[42:43], v[44:45]
	v_add_f64 v[44:45], v[46:47], -v[16:17]
	v_add_f64 v[46:47], v[44:45], v[42:43]
	v_add_f64 v[44:45], v[46:47], -v[44:45]
	s_mov_b32 s12, s20
	v_add_f64 v[42:43], v[42:43], -v[44:45]
	v_mul_f64 v[44:45], v[46:47], s[12:13]
	v_fma_f64 v[48:49], v[46:47], s[12:13], -v[44:45]
	s_mov_b32 s25, s23
	v_fmac_f64_e32 v[48:49], s[24:25], v[46:47]
	v_fmac_f64_e32 v[48:49], s[12:13], v[42:43]
	v_add_f64 v[42:43], v[44:45], v[48:49]
	v_add_f64 v[44:45], v[42:43], -v[44:45]
	v_add_f64 v[44:45], v[48:49], -v[44:45]
	s_andn2_saveexec_b64 s[0:1], s[88:89]
	s_cbranch_execz .LBB254_397
	s_branch .LBB254_396
.LBB254_395:                            ;   in Loop: Header=BB254_233 Depth=1
	s_andn2_saveexec_b64 s[0:1], s[88:89]
	s_cbranch_execz .LBB254_397
.LBB254_396:                            ;   in Loop: Header=BB254_233 Depth=1
	v_mul_f64 v[42:43], |v[2:3]|, s[26:27]
	v_rndne_f64_e32 v[46:47], v[42:43]
	v_fma_f64 v[42:43], v[46:47], s[20:21], |v[2:3]|
	v_mul_f64 v[48:49], v[46:47], s[28:29]
	v_add_f64 v[56:57], v[42:43], v[48:49]
	v_fma_f64 v[44:45], s[28:29], v[46:47], v[42:43]
	s_mov_b32 s22, s28
	v_add_f64 v[42:43], v[42:43], -v[56:57]
	v_fma_f64 v[54:55], s[22:23], v[46:47], v[48:49]
	v_add_f64 v[42:43], v[42:43], v[48:49]
	v_add_f64 v[48:49], v[56:57], -v[44:45]
	v_add_f64 v[42:43], v[48:49], v[42:43]
	v_add_f64 v[48:49], v[42:43], -v[54:55]
	v_fmac_f64_e32 v[48:49], s[30:31], v[46:47]
	v_add_f64 v[42:43], v[44:45], v[48:49]
	v_add_f64 v[44:45], v[42:43], -v[44:45]
	v_add_f64 v[44:45], v[48:49], -v[44:45]
	v_cvt_i32_f64_e32 v40, v[46:47]
.LBB254_397:                            ;   in Loop: Header=BB254_233 Depth=1
	s_or_b64 exec, exec, s[0:1]
                                        ; implicit-def: $vgpr54
                                        ; implicit-def: $vgpr46_vgpr47
                                        ; implicit-def: $vgpr48_vgpr49
	s_and_saveexec_b64 s[0:1], s[86:87]
	s_xor_b64 s[86:87], exec, s[0:1]
	s_cbranch_execz .LBB254_399
; %bb.398:                              ;   in Loop: Header=BB254_233 Depth=1
	v_and_b32_e32 v17, 0x7fffffff, v3
	v_ldexp_f64 v[54:55], |v[2:3]|, s95
	v_cmp_ge_f64_e64 vcc, |v[2:3]|, s[8:9]
	v_trig_preop_f64 v[46:47], |v[2:3]|, 0
	v_cndmask_b32_e32 v55, v17, v55, vcc
	v_cndmask_b32_e32 v54, v2, v54, vcc
	v_trig_preop_f64 v[48:49], |v[2:3]|, 1
	v_mul_f64 v[58:59], v[46:47], v[54:55]
	v_mul_f64 v[56:57], v[48:49], v[54:55]
	v_fma_f64 v[46:47], v[46:47], v[54:55], -v[58:59]
	v_add_f64 v[60:61], v[56:57], v[46:47]
	v_add_f64 v[62:63], v[58:59], v[60:61]
	v_ldexp_f64 v[64:65], v[62:63], -2
	v_fract_f64_e32 v[66:67], v[64:65]
	v_cmp_neq_f64_e64 vcc, |v[64:65]|, s[10:11]
	v_cndmask_b32_e32 v65, 0, v67, vcc
	v_cndmask_b32_e32 v64, 0, v66, vcc
	v_add_f64 v[66:67], v[60:61], -v[56:57]
	v_add_f64 v[46:47], v[46:47], -v[66:67]
	;; [unrolled: 1-line block ×4, first 2 shown]
	v_fma_f64 v[48:49], v[48:49], v[54:55], -v[56:57]
	v_trig_preop_f64 v[56:57], |v[2:3]|, 2
	v_add_f64 v[46:47], v[46:47], v[66:67]
	v_mul_f64 v[66:67], v[56:57], v[54:55]
	v_add_f64 v[68:69], v[66:67], v[48:49]
	v_add_f64 v[70:71], v[68:69], v[46:47]
	v_add_f64 v[58:59], v[62:63], -v[58:59]
	v_add_f64 v[62:63], v[70:71], -v[68:69]
	;; [unrolled: 1-line block ×5, first 2 shown]
	v_add_f64 v[46:47], v[46:47], v[62:63]
	v_add_f64 v[62:63], v[68:69], -v[66:67]
	v_add_f64 v[48:49], v[48:49], -v[62:63]
	;; [unrolled: 1-line block ×4, first 2 shown]
	v_add_f64 v[48:49], v[48:49], v[62:63]
	v_add_f64 v[58:59], v[60:61], -v[58:59]
	v_add_f64 v[46:47], v[48:49], v[46:47]
	v_fma_f64 v[48:49], v[56:57], v[54:55], -v[66:67]
	v_add_f64 v[60:61], v[58:59], v[70:71]
	v_add_f64 v[46:47], v[48:49], v[46:47]
	v_ldexp_f64 v[48:49], v[64:65], 2
	v_add_f64 v[54:55], v[60:61], v[48:49]
	v_cmp_gt_f64_e32 vcc, 0, v[54:55]
	v_cndmask_b32_e32 v17, 0, v50, vcc
	v_add_f64 v[48:49], v[48:49], v[16:17]
	v_add_f64 v[54:55], v[60:61], v[48:49]
	v_cvt_i32_f64_e32 v17, v[54:55]
	v_cvt_f64_i32_e32 v[54:55], v17
	v_add_f64 v[48:49], v[48:49], -v[54:55]
	v_add_f64 v[58:59], v[60:61], -v[58:59]
	v_add_f64 v[56:57], v[60:61], v[48:49]
	v_add_f64 v[58:59], v[70:71], -v[58:59]
	v_add_f64 v[48:49], v[56:57], -v[48:49]
	v_cmp_le_f64_e32 vcc, 0.5, v[56:57]
	v_add_f64 v[46:47], v[58:59], v[46:47]
	v_add_f64 v[48:49], v[60:61], -v[48:49]
	v_addc_co_u32_e64 v54, s[0:1], 0, v17, vcc
	v_cndmask_b32_e32 v17, 0, v51, vcc
	v_add_f64 v[46:47], v[46:47], v[48:49]
	v_add_f64 v[48:49], v[56:57], -v[16:17]
	v_add_f64 v[56:57], v[48:49], v[46:47]
	v_add_f64 v[48:49], v[56:57], -v[48:49]
	s_mov_b32 s12, s20
	v_add_f64 v[46:47], v[46:47], -v[48:49]
	v_mul_f64 v[48:49], v[56:57], s[12:13]
	v_fma_f64 v[58:59], v[56:57], s[12:13], -v[48:49]
	s_mov_b32 s25, s23
	v_fmac_f64_e32 v[58:59], s[24:25], v[56:57]
	v_fmac_f64_e32 v[58:59], s[12:13], v[46:47]
	v_add_f64 v[46:47], v[48:49], v[58:59]
	v_add_f64 v[48:49], v[46:47], -v[48:49]
	v_add_f64 v[48:49], v[58:59], -v[48:49]
	s_andn2_saveexec_b64 s[0:1], s[86:87]
	s_cbranch_execnz .LBB254_400
	s_branch .LBB254_401
.LBB254_399:                            ;   in Loop: Header=BB254_233 Depth=1
	s_andn2_saveexec_b64 s[0:1], s[86:87]
	s_cbranch_execz .LBB254_401
.LBB254_400:                            ;   in Loop: Header=BB254_233 Depth=1
	v_mul_f64 v[46:47], |v[2:3]|, s[26:27]
	v_rndne_f64_e32 v[54:55], v[46:47]
	v_fma_f64 v[46:47], v[54:55], s[20:21], |v[2:3]|
	v_mul_f64 v[56:57], v[54:55], s[28:29]
	v_add_f64 v[60:61], v[46:47], v[56:57]
	v_fma_f64 v[48:49], s[28:29], v[54:55], v[46:47]
	s_mov_b32 s22, s28
	v_add_f64 v[46:47], v[46:47], -v[60:61]
	v_fma_f64 v[58:59], s[22:23], v[54:55], v[56:57]
	v_add_f64 v[46:47], v[46:47], v[56:57]
	v_add_f64 v[56:57], v[60:61], -v[48:49]
	v_add_f64 v[46:47], v[56:57], v[46:47]
	v_add_f64 v[56:57], v[46:47], -v[58:59]
	v_fmac_f64_e32 v[56:57], s[30:31], v[54:55]
	v_add_f64 v[46:47], v[48:49], v[56:57]
	v_add_f64 v[48:49], v[46:47], -v[48:49]
	v_add_f64 v[48:49], v[56:57], -v[48:49]
	v_cvt_i32_f64_e32 v54, v[54:55]
.LBB254_401:                            ;   in Loop: Header=BB254_233 Depth=1
	s_or_b64 exec, exec, s[0:1]
	s_mov_b32 s34, s36
	v_mul_f64 v[56:57], v[0:1], s[34:35]
	v_rndne_f64_e32 v[56:57], v[56:57]
	v_fma_f64 v[58:59], v[56:57], s[38:39], -v[0:1]
	v_fmac_f64_e32 v[58:59], s[40:41], v[56:57]
	v_pk_mov_b32 v[60:61], v[22:23], v[22:23] op_sel:[0,1]
	v_fmac_f64_e32 v[60:61], s[42:43], v[58:59]
	v_pk_mov_b32 v[62:63], v[24:25], v[24:25] op_sel:[0,1]
	;; [unrolled: 2-line block ×9, first 2 shown]
	v_fmac_f64_e32 v[60:61], v[58:59], v[62:63]
	v_fma_f64 v[60:61], v[58:59], v[60:61], 1.0
	v_fma_f64 v[58:59], v[58:59], v[60:61], 1.0
	v_cvt_i32_f64_e32 v17, v[56:57]
	v_ldexp_f64 v[56:57], v[58:59], v17
	v_cmp_ngt_f64_e32 vcc, s[48:49], v[0:1]
	v_cmp_nlt_f64_e64 s[0:1], s[50:51], v[0:1]
	v_cndmask_b32_e32 v17, v52, v57, vcc
	s_and_b64 vcc, s[0:1], vcc
	v_cndmask_b32_e32 v0, 0, v56, vcc
	v_mul_f64 v[56:57], v[42:43], v[42:43]
	v_pk_mov_b32 v[64:65], s[52:53], s[52:53] op_sel:[0,1]
	v_mul_f64 v[58:59], v[56:57], 0.5
	v_fma_f64 v[66:67], s[54:55], v[56:57], v[64:65]
	v_add_f64 v[60:61], -v[58:59], 1.0
	v_fma_f64 v[66:67], v[56:57], v[66:67], s[56:57]
	v_add_f64 v[62:63], -v[60:61], 1.0
	v_fma_f64 v[66:67], v[56:57], v[66:67], s[58:59]
	v_add_f64 v[58:59], v[62:63], -v[58:59]
	v_fma_f64 v[66:67], v[56:57], v[66:67], s[60:61]
	v_mul_f64 v[62:63], v[56:57], v[56:57]
	v_fma_f64 v[66:67], v[56:57], v[66:67], s[46:47]
	v_fma_f64 v[58:59], v[42:43], -v[44:45], v[58:59]
	v_fmac_f64_e32 v[58:59], v[62:63], v[66:67]
	v_add_f64 v[58:59], v[60:61], v[58:59]
	v_pk_mov_b32 v[60:61], s[62:63], s[62:63] op_sel:[0,1]
	v_fma_f64 v[62:63], s[64:65], v[56:57], v[60:61]
	v_fma_f64 v[62:63], v[56:57], v[62:63], s[66:67]
	;; [unrolled: 1-line block ×4, first 2 shown]
	v_mul_f64 v[66:67], v[42:43], -v[56:57]
	v_mul_f64 v[68:69], v[44:45], 0.5
	v_fmac_f64_e32 v[68:69], v[66:67], v[62:63]
	v_fma_f64 v[44:45], v[56:57], v[68:69], -v[44:45]
	s_mov_b32 s70, s46
	v_fmac_f64_e32 v[44:45], s[70:71], v[66:67]
	v_add_f64 v[42:43], v[42:43], -v[44:45]
	v_cndmask_b32_e64 v1, 0, v17, s[0:1]
	v_xor_b32_e32 v17, 0x80000000, v43
	v_and_b32_e32 v43, 1, v40
	v_cmp_eq_u32_e32 vcc, 0, v43
	v_lshlrev_b32_e32 v40, 30, v40
	v_cndmask_b32_e32 v17, v17, v59, vcc
	v_and_b32_e32 v40, 0x80000000, v40
	v_cndmask_b32_e32 v42, v42, v58, vcc
	v_xor_b32_e32 v17, v17, v40
	v_cmp_class_f64_e64 vcc, v[2:3], s72
	v_cndmask_b32_e32 v2, 0, v42, vcc
	v_cndmask_b32_e32 v3, v53, v17, vcc
	v_mul_f64 v[42:43], v[0:1], v[2:3]
	v_mul_f64 v[2:3], v[46:47], v[46:47]
	v_mul_f64 v[44:45], v[2:3], 0.5
	v_fmac_f64_e32 v[64:65], s[54:55], v[2:3]
	v_add_f64 v[56:57], -v[44:45], 1.0
	v_fma_f64 v[62:63], v[2:3], v[64:65], s[56:57]
	v_add_f64 v[58:59], -v[56:57], 1.0
	v_fma_f64 v[62:63], v[2:3], v[62:63], s[58:59]
	v_add_f64 v[44:45], v[58:59], -v[44:45]
	v_fma_f64 v[62:63], v[2:3], v[62:63], s[60:61]
	v_mul_f64 v[58:59], v[2:3], v[2:3]
	v_fma_f64 v[62:63], v[2:3], v[62:63], s[46:47]
	v_fma_f64 v[44:45], v[46:47], -v[48:49], v[44:45]
	v_fmac_f64_e32 v[44:45], v[58:59], v[62:63]
	v_fmac_f64_e32 v[60:61], s[64:65], v[2:3]
	v_add_f64 v[44:45], v[56:57], v[44:45]
	v_fma_f64 v[56:57], v[2:3], v[60:61], s[66:67]
	v_fma_f64 v[56:57], v[2:3], v[56:57], s[68:69]
	;; [unrolled: 1-line block ×3, first 2 shown]
	v_mul_f64 v[58:59], v[46:47], -v[2:3]
	v_mul_f64 v[60:61], v[48:49], 0.5
	v_fmac_f64_e32 v[60:61], v[58:59], v[56:57]
	v_fma_f64 v[2:3], v[2:3], v[60:61], -v[48:49]
	v_and_b32_e32 v17, 1, v54
	v_fmac_f64_e32 v[2:3], s[70:71], v[58:59]
	v_cmp_eq_u32_e64 s[0:1], 0, v17
	v_lshlrev_b32_e32 v17, 30, v54
	v_add_f64 v[2:3], v[46:47], -v[2:3]
	v_xor_b32_e32 v17, v17, v41
	v_cndmask_b32_e64 v3, v45, v3, s[0:1]
	v_and_b32_e32 v17, 0x80000000, v17
	v_cndmask_b32_e64 v2, v44, v2, s[0:1]
	v_xor_b32_e32 v3, v3, v17
	v_cndmask_b32_e32 v2, 0, v2, vcc
	v_cndmask_b32_e32 v3, v53, v3, vcc
	v_mul_f64 v[40:41], v[0:1], v[2:3]
                                        ; implicit-def: $vgpr2_vgpr3
.LBB254_402:                            ;   in Loop: Header=BB254_233 Depth=1
	s_andn2_saveexec_b64 s[86:87], s[2:3]
	s_cbranch_execz .LBB254_412
; %bb.403:                              ;   in Loop: Header=BB254_233 Depth=1
	v_cmp_nlt_f64_e64 s[2:3], |v[2:3]|, s[6:7]
                                        ; implicit-def: $vgpr40
                                        ; implicit-def: $vgpr42_vgpr43
                                        ; implicit-def: $vgpr44_vgpr45
	s_and_saveexec_b64 s[0:1], s[2:3]
	s_xor_b64 s[88:89], exec, s[0:1]
	s_cbranch_execz .LBB254_405
; %bb.404:                              ;   in Loop: Header=BB254_233 Depth=1
	v_and_b32_e32 v17, 0x7fffffff, v3
	v_ldexp_f64 v[46:47], |v[2:3]|, s95
	v_cmp_ge_f64_e64 vcc, |v[2:3]|, s[8:9]
	v_trig_preop_f64 v[42:43], |v[2:3]|, 0
	v_cndmask_b32_e32 v47, v17, v47, vcc
	v_cndmask_b32_e32 v46, v2, v46, vcc
	v_trig_preop_f64 v[44:45], |v[2:3]|, 1
	v_mul_f64 v[54:55], v[42:43], v[46:47]
	v_mul_f64 v[48:49], v[44:45], v[46:47]
	v_fma_f64 v[42:43], v[42:43], v[46:47], -v[54:55]
	v_add_f64 v[56:57], v[48:49], v[42:43]
	v_add_f64 v[58:59], v[54:55], v[56:57]
	v_ldexp_f64 v[60:61], v[58:59], -2
	v_fract_f64_e32 v[62:63], v[60:61]
	v_cmp_neq_f64_e64 vcc, |v[60:61]|, s[10:11]
	v_cndmask_b32_e32 v61, 0, v63, vcc
	v_cndmask_b32_e32 v60, 0, v62, vcc
	v_add_f64 v[62:63], v[56:57], -v[48:49]
	v_add_f64 v[42:43], v[42:43], -v[62:63]
	;; [unrolled: 1-line block ×4, first 2 shown]
	v_fma_f64 v[44:45], v[44:45], v[46:47], -v[48:49]
	v_trig_preop_f64 v[48:49], |v[2:3]|, 2
	v_add_f64 v[42:43], v[42:43], v[62:63]
	v_mul_f64 v[62:63], v[48:49], v[46:47]
	v_add_f64 v[64:65], v[62:63], v[44:45]
	v_add_f64 v[66:67], v[64:65], v[42:43]
	v_add_f64 v[54:55], v[58:59], -v[54:55]
	v_add_f64 v[58:59], v[66:67], -v[64:65]
	;; [unrolled: 1-line block ×5, first 2 shown]
	v_add_f64 v[42:43], v[42:43], v[58:59]
	v_add_f64 v[58:59], v[64:65], -v[62:63]
	v_add_f64 v[44:45], v[44:45], -v[58:59]
	;; [unrolled: 1-line block ×4, first 2 shown]
	v_add_f64 v[44:45], v[44:45], v[58:59]
	v_add_f64 v[54:55], v[56:57], -v[54:55]
	v_add_f64 v[42:43], v[44:45], v[42:43]
	v_fma_f64 v[44:45], v[48:49], v[46:47], -v[62:63]
	v_add_f64 v[56:57], v[54:55], v[66:67]
	v_add_f64 v[42:43], v[44:45], v[42:43]
	v_ldexp_f64 v[44:45], v[60:61], 2
	v_add_f64 v[46:47], v[56:57], v[44:45]
	v_cmp_gt_f64_e32 vcc, 0, v[46:47]
	v_cndmask_b32_e32 v17, 0, v50, vcc
	v_add_f64 v[44:45], v[44:45], v[16:17]
	v_add_f64 v[46:47], v[56:57], v[44:45]
	v_cvt_i32_f64_e32 v17, v[46:47]
	v_cvt_f64_i32_e32 v[46:47], v17
	v_add_f64 v[44:45], v[44:45], -v[46:47]
	v_add_f64 v[54:55], v[56:57], -v[54:55]
	v_add_f64 v[46:47], v[56:57], v[44:45]
	v_add_f64 v[54:55], v[66:67], -v[54:55]
	v_add_f64 v[44:45], v[46:47], -v[44:45]
	v_cmp_le_f64_e32 vcc, 0.5, v[46:47]
	v_add_f64 v[42:43], v[54:55], v[42:43]
	v_add_f64 v[44:45], v[56:57], -v[44:45]
	v_addc_co_u32_e64 v40, s[0:1], 0, v17, vcc
	v_cndmask_b32_e32 v17, 0, v51, vcc
	v_add_f64 v[42:43], v[42:43], v[44:45]
	v_add_f64 v[44:45], v[46:47], -v[16:17]
	v_add_f64 v[46:47], v[44:45], v[42:43]
	v_add_f64 v[44:45], v[46:47], -v[44:45]
	s_mov_b32 s12, s20
	v_add_f64 v[42:43], v[42:43], -v[44:45]
	v_mul_f64 v[44:45], v[46:47], s[12:13]
	v_fma_f64 v[48:49], v[46:47], s[12:13], -v[44:45]
	s_mov_b32 s25, s23
	v_fmac_f64_e32 v[48:49], s[24:25], v[46:47]
	v_fmac_f64_e32 v[48:49], s[12:13], v[42:43]
	v_add_f64 v[42:43], v[44:45], v[48:49]
	v_add_f64 v[44:45], v[42:43], -v[44:45]
	v_add_f64 v[44:45], v[48:49], -v[44:45]
	s_andn2_saveexec_b64 s[0:1], s[88:89]
	s_cbranch_execz .LBB254_407
	s_branch .LBB254_406
.LBB254_405:                            ;   in Loop: Header=BB254_233 Depth=1
	s_andn2_saveexec_b64 s[0:1], s[88:89]
	s_cbranch_execz .LBB254_407
.LBB254_406:                            ;   in Loop: Header=BB254_233 Depth=1
	v_mul_f64 v[42:43], |v[2:3]|, s[26:27]
	v_rndne_f64_e32 v[46:47], v[42:43]
	v_fma_f64 v[42:43], v[46:47], s[20:21], |v[2:3]|
	v_mul_f64 v[48:49], v[46:47], s[28:29]
	v_add_f64 v[56:57], v[42:43], v[48:49]
	v_fma_f64 v[44:45], s[28:29], v[46:47], v[42:43]
	s_mov_b32 s22, s28
	v_add_f64 v[42:43], v[42:43], -v[56:57]
	v_fma_f64 v[54:55], s[22:23], v[46:47], v[48:49]
	v_add_f64 v[42:43], v[42:43], v[48:49]
	v_add_f64 v[48:49], v[56:57], -v[44:45]
	v_add_f64 v[42:43], v[48:49], v[42:43]
	v_add_f64 v[48:49], v[42:43], -v[54:55]
	v_fmac_f64_e32 v[48:49], s[30:31], v[46:47]
	v_add_f64 v[42:43], v[44:45], v[48:49]
	v_add_f64 v[44:45], v[42:43], -v[44:45]
	v_add_f64 v[44:45], v[48:49], -v[44:45]
	v_cvt_i32_f64_e32 v40, v[46:47]
.LBB254_407:                            ;   in Loop: Header=BB254_233 Depth=1
	s_or_b64 exec, exec, s[0:1]
                                        ; implicit-def: $vgpr54
                                        ; implicit-def: $vgpr46_vgpr47
                                        ; implicit-def: $vgpr48_vgpr49
	s_and_saveexec_b64 s[0:1], s[2:3]
	s_xor_b64 s[2:3], exec, s[0:1]
	s_cbranch_execz .LBB254_409
; %bb.408:                              ;   in Loop: Header=BB254_233 Depth=1
	v_and_b32_e32 v17, 0x7fffffff, v3
	v_ldexp_f64 v[54:55], |v[2:3]|, s95
	v_cmp_ge_f64_e64 vcc, |v[2:3]|, s[8:9]
	v_trig_preop_f64 v[46:47], |v[2:3]|, 0
	v_cndmask_b32_e32 v55, v17, v55, vcc
	v_cndmask_b32_e32 v54, v2, v54, vcc
	v_trig_preop_f64 v[48:49], |v[2:3]|, 1
	v_mul_f64 v[58:59], v[46:47], v[54:55]
	v_mul_f64 v[56:57], v[48:49], v[54:55]
	v_fma_f64 v[46:47], v[46:47], v[54:55], -v[58:59]
	v_add_f64 v[60:61], v[56:57], v[46:47]
	v_add_f64 v[62:63], v[58:59], v[60:61]
	v_ldexp_f64 v[64:65], v[62:63], -2
	v_fract_f64_e32 v[66:67], v[64:65]
	v_cmp_neq_f64_e64 vcc, |v[64:65]|, s[10:11]
	v_cndmask_b32_e32 v65, 0, v67, vcc
	v_cndmask_b32_e32 v64, 0, v66, vcc
	v_add_f64 v[66:67], v[60:61], -v[56:57]
	v_add_f64 v[46:47], v[46:47], -v[66:67]
	;; [unrolled: 1-line block ×4, first 2 shown]
	v_fma_f64 v[48:49], v[48:49], v[54:55], -v[56:57]
	v_trig_preop_f64 v[56:57], |v[2:3]|, 2
	v_add_f64 v[46:47], v[46:47], v[66:67]
	v_mul_f64 v[66:67], v[56:57], v[54:55]
	v_add_f64 v[68:69], v[66:67], v[48:49]
	v_add_f64 v[70:71], v[68:69], v[46:47]
	v_add_f64 v[58:59], v[62:63], -v[58:59]
	v_add_f64 v[62:63], v[70:71], -v[68:69]
	;; [unrolled: 1-line block ×5, first 2 shown]
	v_add_f64 v[46:47], v[46:47], v[62:63]
	v_add_f64 v[62:63], v[68:69], -v[66:67]
	v_add_f64 v[48:49], v[48:49], -v[62:63]
	;; [unrolled: 1-line block ×4, first 2 shown]
	v_add_f64 v[48:49], v[48:49], v[62:63]
	v_add_f64 v[58:59], v[60:61], -v[58:59]
	v_add_f64 v[46:47], v[48:49], v[46:47]
	v_fma_f64 v[48:49], v[56:57], v[54:55], -v[66:67]
	v_add_f64 v[60:61], v[58:59], v[70:71]
	v_add_f64 v[46:47], v[48:49], v[46:47]
	v_ldexp_f64 v[48:49], v[64:65], 2
	v_add_f64 v[54:55], v[60:61], v[48:49]
	v_cmp_gt_f64_e32 vcc, 0, v[54:55]
	v_cndmask_b32_e32 v17, 0, v50, vcc
	v_add_f64 v[48:49], v[48:49], v[16:17]
	v_add_f64 v[54:55], v[60:61], v[48:49]
	v_cvt_i32_f64_e32 v17, v[54:55]
	v_cvt_f64_i32_e32 v[54:55], v17
	v_add_f64 v[48:49], v[48:49], -v[54:55]
	v_add_f64 v[58:59], v[60:61], -v[58:59]
	v_add_f64 v[56:57], v[60:61], v[48:49]
	v_add_f64 v[58:59], v[70:71], -v[58:59]
	v_add_f64 v[48:49], v[56:57], -v[48:49]
	v_cmp_le_f64_e32 vcc, 0.5, v[56:57]
	v_add_f64 v[46:47], v[58:59], v[46:47]
	v_add_f64 v[48:49], v[60:61], -v[48:49]
	v_addc_co_u32_e64 v54, s[0:1], 0, v17, vcc
	v_cndmask_b32_e32 v17, 0, v51, vcc
	v_add_f64 v[46:47], v[46:47], v[48:49]
	v_add_f64 v[48:49], v[56:57], -v[16:17]
	v_add_f64 v[56:57], v[48:49], v[46:47]
	v_add_f64 v[48:49], v[56:57], -v[48:49]
	s_mov_b32 s12, s20
	v_add_f64 v[46:47], v[46:47], -v[48:49]
	v_mul_f64 v[48:49], v[56:57], s[12:13]
	v_fma_f64 v[58:59], v[56:57], s[12:13], -v[48:49]
	s_mov_b32 s25, s23
	v_fmac_f64_e32 v[58:59], s[24:25], v[56:57]
	v_fmac_f64_e32 v[58:59], s[12:13], v[46:47]
	v_add_f64 v[46:47], v[48:49], v[58:59]
	v_add_f64 v[48:49], v[46:47], -v[48:49]
	v_add_f64 v[48:49], v[58:59], -v[48:49]
	s_andn2_saveexec_b64 s[0:1], s[2:3]
	s_cbranch_execnz .LBB254_410
	s_branch .LBB254_411
.LBB254_409:                            ;   in Loop: Header=BB254_233 Depth=1
	s_andn2_saveexec_b64 s[0:1], s[2:3]
	s_cbranch_execz .LBB254_411
.LBB254_410:                            ;   in Loop: Header=BB254_233 Depth=1
	v_mul_f64 v[46:47], |v[2:3]|, s[26:27]
	v_rndne_f64_e32 v[54:55], v[46:47]
	v_fma_f64 v[46:47], v[54:55], s[20:21], |v[2:3]|
	v_mul_f64 v[56:57], v[54:55], s[28:29]
	v_add_f64 v[60:61], v[46:47], v[56:57]
	v_fma_f64 v[48:49], s[28:29], v[54:55], v[46:47]
	s_mov_b32 s22, s28
	v_add_f64 v[46:47], v[46:47], -v[60:61]
	v_fma_f64 v[58:59], s[22:23], v[54:55], v[56:57]
	v_add_f64 v[46:47], v[46:47], v[56:57]
	v_add_f64 v[56:57], v[60:61], -v[48:49]
	v_add_f64 v[46:47], v[56:57], v[46:47]
	v_add_f64 v[56:57], v[46:47], -v[58:59]
	v_fmac_f64_e32 v[56:57], s[30:31], v[54:55]
	v_add_f64 v[46:47], v[48:49], v[56:57]
	v_add_f64 v[48:49], v[46:47], -v[48:49]
	v_add_f64 v[48:49], v[56:57], -v[48:49]
	v_cvt_i32_f64_e32 v54, v[54:55]
.LBB254_411:                            ;   in Loop: Header=BB254_233 Depth=1
	s_or_b64 exec, exec, s[0:1]
	v_mul_f64 v[56:57], v[42:43], v[42:43]
	v_pk_mov_b32 v[64:65], s[52:53], s[52:53] op_sel:[0,1]
	v_mul_f64 v[58:59], v[56:57], 0.5
	v_fma_f64 v[66:67], s[54:55], v[56:57], v[64:65]
	v_add_f64 v[60:61], -v[58:59], 1.0
	v_fma_f64 v[66:67], v[56:57], v[66:67], s[56:57]
	v_fma_f64 v[66:67], v[56:57], v[66:67], s[58:59]
	v_add_f64 v[68:69], -v[60:61], 1.0
	v_fma_f64 v[66:67], v[56:57], v[66:67], s[60:61]
	v_add_f64 v[58:59], v[68:69], -v[58:59]
	v_mul_f64 v[62:63], v[56:57], v[56:57]
	v_fma_f64 v[66:67], v[56:57], v[66:67], s[46:47]
	v_fma_f64 v[58:59], v[42:43], -v[44:45], v[58:59]
	v_fmac_f64_e32 v[58:59], v[62:63], v[66:67]
	v_pk_mov_b32 v[62:63], s[62:63], s[62:63] op_sel:[0,1]
	v_fma_f64 v[66:67], s[64:65], v[56:57], v[62:63]
	v_fma_f64 v[66:67], v[56:57], v[66:67], s[66:67]
	;; [unrolled: 1-line block ×3, first 2 shown]
	v_add_f64 v[58:59], v[60:61], v[58:59]
	v_mul_f64 v[60:61], v[42:43], -v[56:57]
	v_fma_f64 v[66:67], v[56:57], v[66:67], s[44:45]
	v_mul_f64 v[68:69], v[44:45], 0.5
	v_fmac_f64_e32 v[68:69], v[60:61], v[66:67]
	v_fma_f64 v[44:45], v[56:57], v[68:69], -v[44:45]
	s_mov_b32 s70, s46
	v_fmac_f64_e32 v[44:45], s[70:71], v[60:61]
	v_and_b32_e32 v17, 1, v40
	v_add_f64 v[42:43], v[42:43], -v[44:45]
	s_mov_b32 s0, 0x19ba0da4
	v_xor_b32_e32 v43, 0x80000000, v43
	v_cmp_eq_u32_e32 vcc, 0, v17
	v_lshlrev_b32_e32 v40, 30, v40
	s_mov_b32 s1, 0xc0937be3
	v_cndmask_b32_e32 v17, v42, v58, vcc
	v_cndmask_b32_e32 v42, v43, v59, vcc
	v_and_b32_e32 v40, 0x80000000, v40
	v_add_f64 v[0:1], -v[0:1], s[0:1]
	v_xor_b32_e32 v40, v42, v40
	v_mul_f64 v[42:43], v[0:1], s[36:37]
	v_rndne_f64_e32 v[42:43], v[42:43]
	v_fma_f64 v[44:45], s[38:39], v[42:43], v[0:1]
	v_fmac_f64_e32 v[44:45], s[40:41], v[42:43]
	v_pk_mov_b32 v[56:57], v[22:23], v[22:23] op_sel:[0,1]
	v_fmac_f64_e32 v[56:57], s[42:43], v[44:45]
	v_pk_mov_b32 v[58:59], v[24:25], v[24:25] op_sel:[0,1]
	;; [unrolled: 2-line block ×9, first 2 shown]
	v_fmac_f64_e32 v[56:57], v[44:45], v[58:59]
	v_cmp_class_f64_e64 vcc, v[2:3], s72
	v_fma_f64 v[56:57], v[44:45], v[56:57], 1.0
	v_cndmask_b32_e32 v2, 0, v17, vcc
	v_fma_f64 v[44:45], v[44:45], v[56:57], 1.0
	v_cvt_i32_f64_e32 v17, v[42:43]
	v_ldexp_f64 v[42:43], v[44:45], v17
	v_cmp_nlt_f64_e64 s[0:1], s[74:75], v[0:1]
	v_cndmask_b32_e64 v17, v52, v43, s[0:1]
	v_cmp_ngt_f64_e64 s[2:3], s[76:77], v[0:1]
	v_cndmask_b32_e64 v17, 0, v17, s[2:3]
	v_and_b32_e32 v1, 0xfffff, v17
	v_lshrrev_b32_e32 v17, 20, v17
	v_cndmask_b32_e32 v3, v53, v40, vcc
	v_add_u32_e32 v40, 0xffffff09, v17
	v_lshrrev_b16_e32 v17, 15, v40
	v_add_u16_e32 v17, v40, v17
	s_and_b64 s[0:1], s[2:3], s[0:1]
	v_ashrrev_i16_e32 v17, 1, v17
	v_cndmask_b32_e64 v0, 0, v42, s[0:1]
	v_or_b32_e32 v1, 0x7fe00000, v1
	v_bfe_i32 v42, v17, 0, 16
	v_mul_f64 v[2:3], v[0:1], v[2:3]
	v_lshl_add_u32 v17, v42, 20, v51
	v_sub_u32_e32 v40, v40, v42
	v_mul_f64 v[2:3], v[2:3], v[16:17]
	v_lshl_add_u32 v45, v40, 20, v51
	v_mov_b32_e32 v44, v16
	v_mul_f64 v[42:43], v[2:3], v[44:45]
	v_mul_f64 v[2:3], v[46:47], v[46:47]
	v_mul_f64 v[56:57], v[2:3], 0.5
	v_fmac_f64_e32 v[64:65], s[54:55], v[2:3]
	v_add_f64 v[58:59], -v[56:57], 1.0
	v_fma_f64 v[64:65], v[2:3], v[64:65], s[56:57]
	v_add_f64 v[60:61], -v[58:59], 1.0
	v_fma_f64 v[64:65], v[2:3], v[64:65], s[58:59]
	v_add_f64 v[56:57], v[60:61], -v[56:57]
	v_fma_f64 v[64:65], v[2:3], v[64:65], s[60:61]
	v_mul_f64 v[60:61], v[2:3], v[2:3]
	v_fma_f64 v[64:65], v[2:3], v[64:65], s[46:47]
	v_fma_f64 v[56:57], v[46:47], -v[48:49], v[56:57]
	v_fmac_f64_e32 v[56:57], v[60:61], v[64:65]
	v_fmac_f64_e32 v[62:63], s[64:65], v[2:3]
	v_add_f64 v[56:57], v[58:59], v[56:57]
	v_fma_f64 v[58:59], v[2:3], v[62:63], s[66:67]
	v_fma_f64 v[58:59], v[2:3], v[58:59], s[68:69]
	;; [unrolled: 1-line block ×3, first 2 shown]
	v_mul_f64 v[60:61], v[46:47], -v[2:3]
	v_mul_f64 v[62:63], v[48:49], 0.5
	v_fmac_f64_e32 v[62:63], v[60:61], v[58:59]
	v_fma_f64 v[2:3], v[2:3], v[62:63], -v[48:49]
	v_and_b32_e32 v40, 1, v54
	v_fmac_f64_e32 v[2:3], s[70:71], v[60:61]
	v_cmp_eq_u32_e64 s[0:1], 0, v40
	v_lshlrev_b32_e32 v40, 30, v54
	v_add_f64 v[2:3], v[46:47], -v[2:3]
	v_xor_b32_e32 v40, v40, v41
	v_cndmask_b32_e64 v3, v57, v3, s[0:1]
	v_and_b32_e32 v40, 0x80000000, v40
	v_cndmask_b32_e64 v2, v56, v2, s[0:1]
	v_xor_b32_e32 v3, v3, v40
	v_cndmask_b32_e32 v2, 0, v2, vcc
	v_cndmask_b32_e32 v3, v53, v3, vcc
	v_mul_f64 v[0:1], v[0:1], v[2:3]
	v_mul_f64 v[0:1], v[0:1], v[16:17]
	;; [unrolled: 1-line block ×3, first 2 shown]
.LBB254_412:                            ;   in Loop: Header=BB254_233 Depth=1
	s_or_b64 exec, exec, s[86:87]
                                        ; implicit-def: $vgpr44_vgpr45
                                        ; implicit-def: $vgpr0_vgpr1
                                        ; implicit-def: $vgpr17
.LBB254_413:                            ;   in Loop: Header=BB254_233 Depth=1
	s_andn2_saveexec_b64 s[2:3], s[84:85]
	s_cbranch_execz .LBB254_419
; %bb.414:                              ;   in Loop: Header=BB254_233 Depth=1
	v_cmp_ne_u32_e32 vcc, 0, v44
	v_cmp_ne_u32_e64 s[0:1], s93, v17
	s_or_b64 s[0:1], vcc, s[0:1]
	v_add_f64 v[40:41], v[2:3], -v[2:3]
	s_and_saveexec_b64 s[84:85], s[0:1]
	s_xor_b64 s[0:1], exec, s[84:85]
; %bb.415:                              ;   in Loop: Header=BB254_233 Depth=1
                                        ; implicit-def: $vgpr44_vgpr45
                                        ; implicit-def: $vgpr0_vgpr1
; %bb.416:                              ;   in Loop: Header=BB254_233 Depth=1
	s_or_saveexec_b64 s[0:1], s[0:1]
	v_pk_mov_b32 v[42:43], v[40:41], v[40:41] op_sel:[0,1]
	s_xor_b64 exec, exec, s[0:1]
; %bb.417:                              ;   in Loop: Header=BB254_233 Depth=1
	v_cmp_lt_i64_e32 vcc, -1, v[44:45]
	v_cndmask_b32_e32 v43, 0, v45, vcc
	v_cndmask_b32_e32 v42, 0, v0, vcc
	;; [unrolled: 1-line block ×4, first 2 shown]
; %bb.418:                              ;   in Loop: Header=BB254_233 Depth=1
	s_or_b64 exec, exec, s[0:1]
.LBB254_419:                            ;   in Loop: Header=BB254_233 Depth=1
	s_or_b64 exec, exec, s[2:3]
                                        ; implicit-def: $vgpr2_vgpr3
.LBB254_420:                            ;   in Loop: Header=BB254_233 Depth=1
	s_andn2_saveexec_b64 s[2:3], s[82:83]
	s_cbranch_execz .LBB254_430
; %bb.421:                              ;   in Loop: Header=BB254_233 Depth=1
	v_cmp_nlt_f64_e64 s[82:83], |v[2:3]|, s[6:7]
                                        ; implicit-def: $vgpr40
                                        ; implicit-def: $vgpr0_vgpr1
                                        ; implicit-def: $vgpr42_vgpr43
	s_and_saveexec_b64 s[0:1], s[82:83]
	s_xor_b64 s[84:85], exec, s[0:1]
	s_cbranch_execz .LBB254_423
; %bb.422:                              ;   in Loop: Header=BB254_233 Depth=1
	v_and_b32_e32 v17, 0x7fffffff, v3
	v_ldexp_f64 v[44:45], |v[2:3]|, s95
	v_cmp_ge_f64_e64 vcc, |v[2:3]|, s[8:9]
	v_trig_preop_f64 v[0:1], |v[2:3]|, 0
	v_cndmask_b32_e32 v45, v17, v45, vcc
	v_cndmask_b32_e32 v44, v2, v44, vcc
	v_trig_preop_f64 v[42:43], |v[2:3]|, 1
	v_mul_f64 v[48:49], v[0:1], v[44:45]
	v_mul_f64 v[46:47], v[42:43], v[44:45]
	v_fma_f64 v[0:1], v[0:1], v[44:45], -v[48:49]
	v_add_f64 v[54:55], v[46:47], v[0:1]
	v_add_f64 v[56:57], v[48:49], v[54:55]
	v_ldexp_f64 v[58:59], v[56:57], -2
	v_fract_f64_e32 v[60:61], v[58:59]
	v_cmp_neq_f64_e64 vcc, |v[58:59]|, s[10:11]
	v_cndmask_b32_e32 v59, 0, v61, vcc
	v_cndmask_b32_e32 v58, 0, v60, vcc
	v_add_f64 v[60:61], v[54:55], -v[46:47]
	v_add_f64 v[0:1], v[0:1], -v[60:61]
	;; [unrolled: 1-line block ×4, first 2 shown]
	v_fma_f64 v[42:43], v[42:43], v[44:45], -v[46:47]
	v_trig_preop_f64 v[46:47], |v[2:3]|, 2
	v_add_f64 v[0:1], v[0:1], v[60:61]
	v_mul_f64 v[60:61], v[46:47], v[44:45]
	v_add_f64 v[62:63], v[60:61], v[42:43]
	v_add_f64 v[64:65], v[62:63], v[0:1]
	v_add_f64 v[48:49], v[56:57], -v[48:49]
	v_add_f64 v[56:57], v[64:65], -v[62:63]
	;; [unrolled: 1-line block ×5, first 2 shown]
	v_add_f64 v[0:1], v[0:1], v[56:57]
	v_add_f64 v[56:57], v[62:63], -v[60:61]
	v_add_f64 v[42:43], v[42:43], -v[56:57]
	;; [unrolled: 1-line block ×4, first 2 shown]
	v_add_f64 v[42:43], v[42:43], v[56:57]
	v_add_f64 v[48:49], v[54:55], -v[48:49]
	v_add_f64 v[0:1], v[42:43], v[0:1]
	v_fma_f64 v[42:43], v[46:47], v[44:45], -v[60:61]
	v_add_f64 v[54:55], v[48:49], v[64:65]
	v_add_f64 v[0:1], v[42:43], v[0:1]
	v_ldexp_f64 v[42:43], v[58:59], 2
	v_add_f64 v[44:45], v[54:55], v[42:43]
	v_cmp_gt_f64_e32 vcc, 0, v[44:45]
	v_cndmask_b32_e32 v17, 0, v50, vcc
	v_add_f64 v[42:43], v[42:43], v[16:17]
	v_add_f64 v[44:45], v[54:55], v[42:43]
	v_cvt_i32_f64_e32 v17, v[44:45]
	v_cvt_f64_i32_e32 v[44:45], v17
	v_add_f64 v[42:43], v[42:43], -v[44:45]
	v_add_f64 v[48:49], v[54:55], -v[48:49]
	v_add_f64 v[44:45], v[54:55], v[42:43]
	v_add_f64 v[48:49], v[64:65], -v[48:49]
	v_add_f64 v[42:43], v[44:45], -v[42:43]
	v_cmp_le_f64_e32 vcc, 0.5, v[44:45]
	v_add_f64 v[0:1], v[48:49], v[0:1]
	v_add_f64 v[42:43], v[54:55], -v[42:43]
	v_addc_co_u32_e64 v40, s[0:1], 0, v17, vcc
	v_cndmask_b32_e32 v17, 0, v51, vcc
	v_add_f64 v[0:1], v[0:1], v[42:43]
	v_add_f64 v[42:43], v[44:45], -v[16:17]
	v_add_f64 v[44:45], v[42:43], v[0:1]
	v_add_f64 v[42:43], v[44:45], -v[42:43]
	s_mov_b32 s12, s20
	v_add_f64 v[0:1], v[0:1], -v[42:43]
	v_mul_f64 v[42:43], v[44:45], s[12:13]
	v_fma_f64 v[46:47], v[44:45], s[12:13], -v[42:43]
	s_mov_b32 s25, s23
	v_fmac_f64_e32 v[46:47], s[24:25], v[44:45]
	v_fmac_f64_e32 v[46:47], s[12:13], v[0:1]
	v_add_f64 v[0:1], v[42:43], v[46:47]
	v_add_f64 v[42:43], v[0:1], -v[42:43]
	v_add_f64 v[42:43], v[46:47], -v[42:43]
	s_andn2_saveexec_b64 s[0:1], s[84:85]
	s_cbranch_execz .LBB254_425
	s_branch .LBB254_424
.LBB254_423:                            ;   in Loop: Header=BB254_233 Depth=1
	s_andn2_saveexec_b64 s[0:1], s[84:85]
	s_cbranch_execz .LBB254_425
.LBB254_424:                            ;   in Loop: Header=BB254_233 Depth=1
	v_mul_f64 v[0:1], |v[2:3]|, s[26:27]
	v_rndne_f64_e32 v[44:45], v[0:1]
	v_fma_f64 v[0:1], v[44:45], s[20:21], |v[2:3]|
	v_mul_f64 v[46:47], v[44:45], s[28:29]
	v_add_f64 v[54:55], v[0:1], v[46:47]
	v_fma_f64 v[42:43], s[28:29], v[44:45], v[0:1]
	s_mov_b32 s22, s28
	v_add_f64 v[0:1], v[0:1], -v[54:55]
	v_fma_f64 v[48:49], s[22:23], v[44:45], v[46:47]
	v_add_f64 v[0:1], v[0:1], v[46:47]
	v_add_f64 v[46:47], v[54:55], -v[42:43]
	v_add_f64 v[0:1], v[46:47], v[0:1]
	v_add_f64 v[46:47], v[0:1], -v[48:49]
	v_fmac_f64_e32 v[46:47], s[30:31], v[44:45]
	v_add_f64 v[0:1], v[42:43], v[46:47]
	v_add_f64 v[42:43], v[0:1], -v[42:43]
	v_add_f64 v[42:43], v[46:47], -v[42:43]
	v_cvt_i32_f64_e32 v40, v[44:45]
.LBB254_425:                            ;   in Loop: Header=BB254_233 Depth=1
	s_or_b64 exec, exec, s[0:1]
                                        ; implicit-def: $vgpr48
                                        ; implicit-def: $vgpr44_vgpr45
                                        ; implicit-def: $vgpr46_vgpr47
	s_and_saveexec_b64 s[0:1], s[82:83]
	s_xor_b64 s[82:83], exec, s[0:1]
	s_cbranch_execz .LBB254_427
; %bb.426:                              ;   in Loop: Header=BB254_233 Depth=1
	v_and_b32_e32 v17, 0x7fffffff, v3
	v_ldexp_f64 v[48:49], |v[2:3]|, s95
	v_cmp_ge_f64_e64 vcc, |v[2:3]|, s[8:9]
	v_trig_preop_f64 v[44:45], |v[2:3]|, 0
	v_cndmask_b32_e32 v49, v17, v49, vcc
	v_cndmask_b32_e32 v48, v2, v48, vcc
	v_trig_preop_f64 v[46:47], |v[2:3]|, 1
	v_mul_f64 v[56:57], v[44:45], v[48:49]
	v_mul_f64 v[54:55], v[46:47], v[48:49]
	v_fma_f64 v[44:45], v[44:45], v[48:49], -v[56:57]
	v_add_f64 v[58:59], v[54:55], v[44:45]
	v_add_f64 v[60:61], v[56:57], v[58:59]
	v_ldexp_f64 v[62:63], v[60:61], -2
	v_fract_f64_e32 v[64:65], v[62:63]
	v_cmp_neq_f64_e64 vcc, |v[62:63]|, s[10:11]
	v_cndmask_b32_e32 v63, 0, v65, vcc
	v_cndmask_b32_e32 v62, 0, v64, vcc
	v_add_f64 v[64:65], v[58:59], -v[54:55]
	v_add_f64 v[44:45], v[44:45], -v[64:65]
	;; [unrolled: 1-line block ×4, first 2 shown]
	v_fma_f64 v[46:47], v[46:47], v[48:49], -v[54:55]
	v_trig_preop_f64 v[54:55], |v[2:3]|, 2
	v_add_f64 v[44:45], v[44:45], v[64:65]
	v_mul_f64 v[64:65], v[54:55], v[48:49]
	v_add_f64 v[66:67], v[64:65], v[46:47]
	v_add_f64 v[68:69], v[66:67], v[44:45]
	v_add_f64 v[56:57], v[60:61], -v[56:57]
	v_add_f64 v[60:61], v[68:69], -v[66:67]
	;; [unrolled: 1-line block ×5, first 2 shown]
	v_add_f64 v[44:45], v[44:45], v[60:61]
	v_add_f64 v[60:61], v[66:67], -v[64:65]
	v_add_f64 v[46:47], v[46:47], -v[60:61]
	;; [unrolled: 1-line block ×4, first 2 shown]
	v_add_f64 v[46:47], v[46:47], v[60:61]
	v_add_f64 v[56:57], v[58:59], -v[56:57]
	v_add_f64 v[44:45], v[46:47], v[44:45]
	v_fma_f64 v[46:47], v[54:55], v[48:49], -v[64:65]
	v_add_f64 v[58:59], v[56:57], v[68:69]
	v_add_f64 v[44:45], v[46:47], v[44:45]
	v_ldexp_f64 v[46:47], v[62:63], 2
	v_add_f64 v[48:49], v[58:59], v[46:47]
	v_cmp_gt_f64_e32 vcc, 0, v[48:49]
	v_cndmask_b32_e32 v17, 0, v50, vcc
	v_add_f64 v[46:47], v[46:47], v[16:17]
	v_add_f64 v[48:49], v[58:59], v[46:47]
	v_cvt_i32_f64_e32 v17, v[48:49]
	v_cvt_f64_i32_e32 v[48:49], v17
	v_add_f64 v[46:47], v[46:47], -v[48:49]
	v_add_f64 v[56:57], v[58:59], -v[56:57]
	v_add_f64 v[54:55], v[58:59], v[46:47]
	v_add_f64 v[56:57], v[68:69], -v[56:57]
	v_add_f64 v[46:47], v[54:55], -v[46:47]
	v_cmp_le_f64_e32 vcc, 0.5, v[54:55]
	v_add_f64 v[44:45], v[56:57], v[44:45]
	v_add_f64 v[46:47], v[58:59], -v[46:47]
	v_addc_co_u32_e64 v48, s[0:1], 0, v17, vcc
	v_cndmask_b32_e32 v17, 0, v51, vcc
	v_add_f64 v[44:45], v[44:45], v[46:47]
	v_add_f64 v[46:47], v[54:55], -v[16:17]
	v_add_f64 v[54:55], v[46:47], v[44:45]
	v_add_f64 v[46:47], v[54:55], -v[46:47]
	s_mov_b32 s12, s20
	v_add_f64 v[44:45], v[44:45], -v[46:47]
	v_mul_f64 v[46:47], v[54:55], s[12:13]
	v_fma_f64 v[56:57], v[54:55], s[12:13], -v[46:47]
	s_mov_b32 s25, s23
	v_fmac_f64_e32 v[56:57], s[24:25], v[54:55]
	v_fmac_f64_e32 v[56:57], s[12:13], v[44:45]
	v_add_f64 v[44:45], v[46:47], v[56:57]
	v_add_f64 v[46:47], v[44:45], -v[46:47]
	v_add_f64 v[46:47], v[56:57], -v[46:47]
	s_andn2_saveexec_b64 s[0:1], s[82:83]
	s_cbranch_execnz .LBB254_428
	s_branch .LBB254_429
.LBB254_427:                            ;   in Loop: Header=BB254_233 Depth=1
	s_andn2_saveexec_b64 s[0:1], s[82:83]
	s_cbranch_execz .LBB254_429
.LBB254_428:                            ;   in Loop: Header=BB254_233 Depth=1
	v_mul_f64 v[44:45], |v[2:3]|, s[26:27]
	v_rndne_f64_e32 v[48:49], v[44:45]
	v_fma_f64 v[44:45], v[48:49], s[20:21], |v[2:3]|
	v_mul_f64 v[54:55], v[48:49], s[28:29]
	v_add_f64 v[58:59], v[44:45], v[54:55]
	v_fma_f64 v[46:47], s[28:29], v[48:49], v[44:45]
	s_mov_b32 s22, s28
	v_add_f64 v[44:45], v[44:45], -v[58:59]
	v_fma_f64 v[56:57], s[22:23], v[48:49], v[54:55]
	v_add_f64 v[44:45], v[44:45], v[54:55]
	v_add_f64 v[54:55], v[58:59], -v[46:47]
	v_add_f64 v[44:45], v[54:55], v[44:45]
	v_add_f64 v[54:55], v[44:45], -v[56:57]
	v_fmac_f64_e32 v[54:55], s[30:31], v[48:49]
	v_add_f64 v[44:45], v[46:47], v[54:55]
	v_add_f64 v[46:47], v[44:45], -v[46:47]
	v_add_f64 v[46:47], v[54:55], -v[46:47]
	v_cvt_i32_f64_e32 v48, v[48:49]
.LBB254_429:                            ;   in Loop: Header=BB254_233 Depth=1
	s_or_b64 exec, exec, s[0:1]
	v_mul_f64 v[54:55], v[0:1], v[0:1]
	v_pk_mov_b32 v[62:63], s[52:53], s[52:53] op_sel:[0,1]
	v_mul_f64 v[56:57], v[54:55], 0.5
	v_fma_f64 v[64:65], s[54:55], v[54:55], v[62:63]
	v_add_f64 v[58:59], -v[56:57], 1.0
	v_fma_f64 v[64:65], v[54:55], v[64:65], s[56:57]
	v_add_f64 v[60:61], -v[58:59], 1.0
	v_fma_f64 v[64:65], v[54:55], v[64:65], s[58:59]
	v_add_f64 v[56:57], v[60:61], -v[56:57]
	v_fma_f64 v[64:65], v[54:55], v[64:65], s[60:61]
	v_mul_f64 v[60:61], v[54:55], v[54:55]
	v_fma_f64 v[64:65], v[54:55], v[64:65], s[46:47]
	v_fma_f64 v[56:57], v[0:1], -v[42:43], v[56:57]
	v_fmac_f64_e32 v[56:57], v[60:61], v[64:65]
	v_add_f64 v[56:57], v[58:59], v[56:57]
	v_pk_mov_b32 v[58:59], s[62:63], s[62:63] op_sel:[0,1]
	v_fma_f64 v[60:61], s[64:65], v[54:55], v[58:59]
	v_fma_f64 v[60:61], v[54:55], v[60:61], s[66:67]
	;; [unrolled: 1-line block ×4, first 2 shown]
	v_mul_f64 v[64:65], v[0:1], -v[54:55]
	v_mul_f64 v[66:67], v[42:43], 0.5
	v_fmac_f64_e32 v[66:67], v[64:65], v[60:61]
	v_fma_f64 v[42:43], v[54:55], v[66:67], -v[42:43]
	s_mov_b32 s70, s46
	v_fmac_f64_e32 v[42:43], s[70:71], v[64:65]
	v_add_f64 v[0:1], v[0:1], -v[42:43]
	v_and_b32_e32 v17, 1, v40
	v_xor_b32_e32 v1, 0x80000000, v1
	v_cmp_eq_u32_e32 vcc, 0, v17
	v_lshlrev_b32_e32 v17, 30, v40
	v_cndmask_b32_e32 v1, v1, v57, vcc
	v_and_b32_e32 v17, 0x80000000, v17
	v_cndmask_b32_e32 v0, v0, v56, vcc
	v_xor_b32_e32 v1, v1, v17
	v_cmp_class_f64_e64 vcc, v[2:3], s72
	v_cndmask_b32_e32 v42, 0, v0, vcc
	v_cndmask_b32_e32 v43, v53, v1, vcc
	v_mul_f64 v[0:1], v[44:45], v[44:45]
	v_mul_f64 v[2:3], v[0:1], 0.5
	v_fmac_f64_e32 v[62:63], s[54:55], v[0:1]
	v_add_f64 v[54:55], -v[2:3], 1.0
	v_fma_f64 v[60:61], v[0:1], v[62:63], s[56:57]
	v_add_f64 v[56:57], -v[54:55], 1.0
	v_fma_f64 v[60:61], v[0:1], v[60:61], s[58:59]
	v_add_f64 v[2:3], v[56:57], -v[2:3]
	v_fma_f64 v[60:61], v[0:1], v[60:61], s[60:61]
	v_mul_f64 v[56:57], v[0:1], v[0:1]
	v_fma_f64 v[60:61], v[0:1], v[60:61], s[46:47]
	v_fma_f64 v[2:3], v[44:45], -v[46:47], v[2:3]
	v_fmac_f64_e32 v[2:3], v[56:57], v[60:61]
	v_fmac_f64_e32 v[58:59], s[64:65], v[0:1]
	v_add_f64 v[2:3], v[54:55], v[2:3]
	v_fma_f64 v[54:55], v[0:1], v[58:59], s[66:67]
	v_fma_f64 v[54:55], v[0:1], v[54:55], s[68:69]
	;; [unrolled: 1-line block ×3, first 2 shown]
	v_mul_f64 v[56:57], v[44:45], -v[0:1]
	v_mul_f64 v[58:59], v[46:47], 0.5
	v_fmac_f64_e32 v[58:59], v[56:57], v[54:55]
	v_fma_f64 v[0:1], v[0:1], v[58:59], -v[46:47]
	v_fmac_f64_e32 v[0:1], s[70:71], v[56:57]
	v_and_b32_e32 v17, 1, v48
	v_add_f64 v[0:1], v[44:45], -v[0:1]
	v_cmp_eq_u32_e64 s[0:1], 0, v17
	v_cndmask_b32_e64 v0, v2, v0, s[0:1]
	v_lshlrev_b32_e32 v2, 30, v48
	v_xor_b32_e32 v2, v2, v41
	v_cndmask_b32_e64 v1, v3, v1, s[0:1]
	v_and_b32_e32 v2, 0x80000000, v2
	v_xor_b32_e32 v1, v1, v2
	v_cndmask_b32_e32 v40, 0, v0, vcc
	v_cndmask_b32_e32 v41, v53, v1, vcc
.LBB254_430:                            ;   in Loop: Header=BB254_233 Depth=1
	s_or_b64 exec, exec, s[2:3]
                                        ; implicit-def: $vgpr0_vgpr1
.LBB254_431:                            ;   in Loop: Header=BB254_233 Depth=1
	s_andn2_saveexec_b64 s[2:3], s[80:81]
	s_cbranch_execz .LBB254_433
; %bb.432:                              ;   in Loop: Header=BB254_233 Depth=1
	s_mov_b32 s34, s36
	v_mul_f64 v[2:3], v[0:1], s[34:35]
	v_rndne_f64_e32 v[2:3], v[2:3]
	v_fma_f64 v[42:43], v[2:3], s[38:39], -v[0:1]
	v_fmac_f64_e32 v[42:43], s[40:41], v[2:3]
	v_pk_mov_b32 v[44:45], v[22:23], v[22:23] op_sel:[0,1]
	v_fmac_f64_e32 v[44:45], s[42:43], v[42:43]
	v_pk_mov_b32 v[46:47], v[24:25], v[24:25] op_sel:[0,1]
	v_fmac_f64_e32 v[46:47], v[42:43], v[44:45]
	v_pk_mov_b32 v[44:45], v[26:27], v[26:27] op_sel:[0,1]
	v_fmac_f64_e32 v[44:45], v[42:43], v[46:47]
	v_pk_mov_b32 v[46:47], v[28:29], v[28:29] op_sel:[0,1]
	v_fmac_f64_e32 v[46:47], v[42:43], v[44:45]
	v_pk_mov_b32 v[44:45], v[30:31], v[30:31] op_sel:[0,1]
	v_fmac_f64_e32 v[44:45], v[42:43], v[46:47]
	v_pk_mov_b32 v[46:47], v[32:33], v[32:33] op_sel:[0,1]
	v_fmac_f64_e32 v[46:47], v[42:43], v[44:45]
	v_pk_mov_b32 v[44:45], v[34:35], v[34:35] op_sel:[0,1]
	v_fmac_f64_e32 v[44:45], v[42:43], v[46:47]
	v_pk_mov_b32 v[46:47], v[36:37], v[36:37] op_sel:[0,1]
	v_fmac_f64_e32 v[46:47], v[42:43], v[44:45]
	v_pk_mov_b32 v[44:45], v[38:39], v[38:39] op_sel:[0,1]
	v_fmac_f64_e32 v[44:45], v[42:43], v[46:47]
	v_fma_f64 v[44:45], v[42:43], v[44:45], 1.0
	v_fma_f64 v[42:43], v[42:43], v[44:45], 1.0
	v_cvt_i32_f64_e32 v2, v[2:3]
	v_ldexp_f64 v[2:3], v[42:43], v2
	v_cmp_ngt_f64_e32 vcc, s[48:49], v[0:1]
	v_cmp_nlt_f64_e64 s[0:1], s[50:51], v[0:1]
	v_cndmask_b32_e32 v3, v52, v3, vcc
	s_and_b64 vcc, s[0:1], vcc
	v_cndmask_b32_e64 v43, 0, v3, s[0:1]
	v_cndmask_b32_e32 v42, 0, v2, vcc
.LBB254_433:                            ;   in Loop: Header=BB254_233 Depth=1
	s_or_b64 exec, exec, s[2:3]
	v_add_f64 v[42:43], s[16:17], v[42:43]
	v_add_f64 v[40:41], s[18:19], v[40:41]
	v_xor_b32_e32 v0, 0x80000000, v43
	v_cmp_gt_f64_e32 vcc, 0, v[42:43]
	v_cndmask_b32_e32 v47, v43, v0, vcc
	v_cndmask_b32_e32 v46, v42, v42, vcc
	v_xor_b32_e32 v0, 0x80000000, v41
	v_cmp_gt_f64_e32 vcc, 0, v[40:41]
	v_cndmask_b32_e32 v45, v41, v0, vcc
	v_cndmask_b32_e32 v44, v40, v40, vcc
	v_cmp_ge_f64_e32 vcc, v[46:47], v[44:45]
                                        ; implicit-def: $vgpr2_vgpr3
	s_and_saveexec_b64 s[0:1], vcc
	s_xor_b64 s[2:3], exec, s[0:1]
	s_cbranch_execz .LBB254_439
; %bb.434:                              ;   in Loop: Header=BB254_233 Depth=1
	v_cmp_neq_f64_e32 vcc, 0, v[42:43]
	v_cmp_neq_f64_e64 s[0:1], 0, v[40:41]
	s_or_b64 s[0:1], vcc, s[0:1]
                                        ; implicit-def: $vgpr2_vgpr3
	s_and_saveexec_b64 s[80:81], s[0:1]
	s_xor_b64 s[0:1], exec, s[80:81]
	s_cbranch_execz .LBB254_436
; %bb.435:                              ;   in Loop: Header=BB254_233 Depth=1
	v_div_scale_f64 v[0:1], s[80:81], v[42:43], v[42:43], v[40:41]
	v_rcp_f64_e32 v[2:3], v[0:1]
	v_div_scale_f64 v[44:45], vcc, v[40:41], v[42:43], v[40:41]
	v_fma_f64 v[46:47], -v[0:1], v[2:3], 1.0
	v_fmac_f64_e32 v[2:3], v[2:3], v[46:47]
	v_fma_f64 v[46:47], -v[0:1], v[2:3], 1.0
	v_fmac_f64_e32 v[2:3], v[2:3], v[46:47]
	v_mul_f64 v[46:47], v[44:45], v[2:3]
	v_fma_f64 v[0:1], -v[0:1], v[46:47], v[44:45]
	v_div_fmas_f64 v[0:1], v[0:1], v[2:3], v[46:47]
	v_div_fixup_f64 v[2:3], v[0:1], v[42:43], v[40:41]
	v_fmac_f64_e32 v[42:43], v[40:41], v[2:3]
	v_div_scale_f64 v[0:1], s[80:81], v[42:43], v[42:43], 1.0
	v_rcp_f64_e32 v[40:41], v[0:1]
	v_fma_f64 v[44:45], -v[0:1], v[40:41], 1.0
	v_fmac_f64_e32 v[40:41], v[40:41], v[44:45]
	v_fma_f64 v[44:45], -v[0:1], v[40:41], 1.0
	v_fmac_f64_e32 v[40:41], v[40:41], v[44:45]
	v_div_scale_f64 v[44:45], vcc, 1.0, v[42:43], 1.0
	v_mul_f64 v[46:47], v[44:45], v[40:41]
	v_fma_f64 v[0:1], -v[0:1], v[46:47], v[44:45]
                                        ; implicit-def: $vgpr44_vgpr45
	s_nop 1
	v_div_fmas_f64 v[0:1], v[0:1], v[40:41], v[46:47]
	v_div_fixup_f64 v[40:41], v[0:1], v[42:43], 1.0
	v_pk_mov_b32 v[0:1], s[16:17], s[16:17] op_sel:[0,1]
	v_pk_mov_b32 v[42:43], s[18:19], s[18:19] op_sel:[0,1]
	v_fma_f64 v[0:1], s[18:19], v[2:3], v[0:1]
	v_fma_f64 v[2:3], -s[16:17], v[2:3], v[42:43]
	v_mul_f64 v[0:1], v[0:1], v[40:41]
	v_mul_f64 v[2:3], v[2:3], v[40:41]
                                        ; implicit-def: $vgpr46_vgpr47
.LBB254_436:                            ;   in Loop: Header=BB254_233 Depth=1
	s_andn2_saveexec_b64 s[0:1], s[0:1]
	s_cbranch_execz .LBB254_438
; %bb.437:                              ;   in Loop: Header=BB254_233 Depth=1
	v_div_scale_f64 v[0:1], s[80:81], v[46:47], v[46:47], s[16:17]
	v_rcp_f64_e32 v[2:3], v[0:1]
	v_div_scale_f64 v[40:41], vcc, s[16:17], v[46:47], s[16:17]
	v_fma_f64 v[42:43], -v[0:1], v[2:3], 1.0
	v_fmac_f64_e32 v[2:3], v[2:3], v[42:43]
	v_fma_f64 v[42:43], -v[0:1], v[2:3], 1.0
	v_fmac_f64_e32 v[2:3], v[2:3], v[42:43]
	v_mul_f64 v[42:43], v[40:41], v[2:3]
	v_fma_f64 v[0:1], -v[0:1], v[42:43], v[40:41]
	v_div_scale_f64 v[40:41], s[80:81], v[44:45], v[44:45], s[18:19]
	v_rcp_f64_e32 v[48:49], v[40:41]
	v_div_fmas_f64 v[0:1], v[0:1], v[2:3], v[42:43]
	v_div_fixup_f64 v[0:1], v[0:1], v[46:47], s[16:17]
	v_fma_f64 v[2:3], -v[40:41], v[48:49], 1.0
	v_fmac_f64_e32 v[48:49], v[48:49], v[2:3]
	v_fma_f64 v[2:3], -v[40:41], v[48:49], 1.0
	v_fmac_f64_e32 v[48:49], v[48:49], v[2:3]
	v_div_scale_f64 v[2:3], vcc, s[18:19], v[44:45], s[18:19]
	v_mul_f64 v[42:43], v[2:3], v[48:49]
	v_fma_f64 v[2:3], -v[40:41], v[42:43], v[2:3]
	s_nop 1
	v_div_fmas_f64 v[2:3], v[2:3], v[48:49], v[42:43]
	v_div_fixup_f64 v[2:3], v[2:3], v[44:45], s[18:19]
.LBB254_438:                            ;   in Loop: Header=BB254_233 Depth=1
	s_or_b64 exec, exec, s[0:1]
                                        ; implicit-def: $vgpr40_vgpr41
                                        ; implicit-def: $vgpr42_vgpr43
.LBB254_439:                            ;   in Loop: Header=BB254_233 Depth=1
	s_andn2_saveexec_b64 s[0:1], s[2:3]
	s_cbranch_execz .LBB254_232
; %bb.440:                              ;   in Loop: Header=BB254_233 Depth=1
	v_div_scale_f64 v[0:1], s[2:3], v[40:41], v[40:41], v[42:43]
	v_rcp_f64_e32 v[2:3], v[0:1]
	v_div_scale_f64 v[44:45], vcc, v[42:43], v[40:41], v[42:43]
	v_fma_f64 v[46:47], -v[0:1], v[2:3], 1.0
	v_fmac_f64_e32 v[2:3], v[2:3], v[46:47]
	v_fma_f64 v[46:47], -v[0:1], v[2:3], 1.0
	v_fmac_f64_e32 v[2:3], v[2:3], v[46:47]
	v_mul_f64 v[46:47], v[44:45], v[2:3]
	v_fma_f64 v[0:1], -v[0:1], v[46:47], v[44:45]
	v_div_fmas_f64 v[0:1], v[0:1], v[2:3], v[46:47]
	v_div_fixup_f64 v[2:3], v[0:1], v[40:41], v[42:43]
	v_fmac_f64_e32 v[40:41], v[42:43], v[2:3]
	v_div_scale_f64 v[0:1], s[2:3], v[40:41], v[40:41], 1.0
	v_rcp_f64_e32 v[42:43], v[0:1]
	v_fma_f64 v[44:45], -v[0:1], v[42:43], 1.0
	v_fmac_f64_e32 v[42:43], v[42:43], v[44:45]
	v_fma_f64 v[44:45], -v[0:1], v[42:43], 1.0
	v_fmac_f64_e32 v[42:43], v[42:43], v[44:45]
	v_div_scale_f64 v[44:45], vcc, 1.0, v[40:41], 1.0
	v_mul_f64 v[46:47], v[44:45], v[42:43]
	v_fma_f64 v[0:1], -v[0:1], v[46:47], v[44:45]
	s_nop 1
	v_div_fmas_f64 v[0:1], v[0:1], v[42:43], v[46:47]
	v_div_fixup_f64 v[40:41], v[0:1], v[40:41], 1.0
	v_pk_mov_b32 v[0:1], s[18:19], s[18:19] op_sel:[0,1]
	v_pk_mov_b32 v[42:43], s[16:17], s[16:17] op_sel:[0,1]
	v_fma_f64 v[0:1], s[16:17], v[2:3], v[0:1]
	v_fma_f64 v[2:3], s[18:19], v[2:3], -v[42:43]
	v_mul_f64 v[0:1], v[0:1], v[40:41]
	v_mul_f64 v[2:3], v[2:3], v[40:41]
	s_branch .LBB254_232
.LBB254_441:
	s_endpgm
	.section	.rodata,"a",@progbits
	.p2align	6, 0x0
	.amdhsa_kernel _ZN2at6native12_GLOBAL__N_125multi_tensor_apply_kernelINS1_18TensorListMetadataILi1EEENS1_14UnaryOpFunctorIN3c107complexIdEELi1ELi1ELi0EEEJNS0_7SigmoidIS8_EEEEEvT_T0_DpT1_
		.amdhsa_group_segment_fixed_size 0
		.amdhsa_private_segment_fixed_size 0
		.amdhsa_kernarg_size 3648
		.amdhsa_user_sgpr_count 6
		.amdhsa_user_sgpr_private_segment_buffer 1
		.amdhsa_user_sgpr_dispatch_ptr 0
		.amdhsa_user_sgpr_queue_ptr 0
		.amdhsa_user_sgpr_kernarg_segment_ptr 1
		.amdhsa_user_sgpr_dispatch_id 0
		.amdhsa_user_sgpr_flat_scratch_init 0
		.amdhsa_user_sgpr_kernarg_preload_length 0
		.amdhsa_user_sgpr_kernarg_preload_offset 0
		.amdhsa_user_sgpr_private_segment_size 0
		.amdhsa_uses_dynamic_stack 0
		.amdhsa_system_sgpr_private_segment_wavefront_offset 0
		.amdhsa_system_sgpr_workgroup_id_x 1
		.amdhsa_system_sgpr_workgroup_id_y 0
		.amdhsa_system_sgpr_workgroup_id_z 0
		.amdhsa_system_sgpr_workgroup_info 0
		.amdhsa_system_vgpr_workitem_id 0
		.amdhsa_next_free_vgpr 83
		.amdhsa_next_free_sgpr 96
		.amdhsa_accum_offset 84
		.amdhsa_reserve_vcc 1
		.amdhsa_reserve_flat_scratch 0
		.amdhsa_float_round_mode_32 0
		.amdhsa_float_round_mode_16_64 0
		.amdhsa_float_denorm_mode_32 3
		.amdhsa_float_denorm_mode_16_64 3
		.amdhsa_dx10_clamp 1
		.amdhsa_ieee_mode 1
		.amdhsa_fp16_overflow 0
		.amdhsa_tg_split 0
		.amdhsa_exception_fp_ieee_invalid_op 0
		.amdhsa_exception_fp_denorm_src 0
		.amdhsa_exception_fp_ieee_div_zero 0
		.amdhsa_exception_fp_ieee_overflow 0
		.amdhsa_exception_fp_ieee_underflow 0
		.amdhsa_exception_fp_ieee_inexact 0
		.amdhsa_exception_int_div_zero 0
	.end_amdhsa_kernel
	.section	.text._ZN2at6native12_GLOBAL__N_125multi_tensor_apply_kernelINS1_18TensorListMetadataILi1EEENS1_14UnaryOpFunctorIN3c107complexIdEELi1ELi1ELi0EEEJNS0_7SigmoidIS8_EEEEEvT_T0_DpT1_,"axG",@progbits,_ZN2at6native12_GLOBAL__N_125multi_tensor_apply_kernelINS1_18TensorListMetadataILi1EEENS1_14UnaryOpFunctorIN3c107complexIdEELi1ELi1ELi0EEEJNS0_7SigmoidIS8_EEEEEvT_T0_DpT1_,comdat
.Lfunc_end254:
	.size	_ZN2at6native12_GLOBAL__N_125multi_tensor_apply_kernelINS1_18TensorListMetadataILi1EEENS1_14UnaryOpFunctorIN3c107complexIdEELi1ELi1ELi0EEEJNS0_7SigmoidIS8_EEEEEvT_T0_DpT1_, .Lfunc_end254-_ZN2at6native12_GLOBAL__N_125multi_tensor_apply_kernelINS1_18TensorListMetadataILi1EEENS1_14UnaryOpFunctorIN3c107complexIdEELi1ELi1ELi0EEEJNS0_7SigmoidIS8_EEEEEvT_T0_DpT1_
                                        ; -- End function
	.section	.AMDGPU.csdata,"",@progbits
; Kernel info:
; codeLenInByte = 61708
; NumSgprs: 100
; NumVgprs: 83
; NumAgprs: 0
; TotalNumVgprs: 83
; ScratchSize: 0
; MemoryBound: 1
; FloatMode: 240
; IeeeMode: 1
; LDSByteSize: 0 bytes/workgroup (compile time only)
; SGPRBlocks: 12
; VGPRBlocks: 10
; NumSGPRsForWavesPerEU: 100
; NumVGPRsForWavesPerEU: 83
; AccumOffset: 84
; Occupancy: 5
; WaveLimiterHint : 0
; COMPUTE_PGM_RSRC2:SCRATCH_EN: 0
; COMPUTE_PGM_RSRC2:USER_SGPR: 6
; COMPUTE_PGM_RSRC2:TRAP_HANDLER: 0
; COMPUTE_PGM_RSRC2:TGID_X_EN: 1
; COMPUTE_PGM_RSRC2:TGID_Y_EN: 0
; COMPUTE_PGM_RSRC2:TGID_Z_EN: 0
; COMPUTE_PGM_RSRC2:TIDIG_COMP_CNT: 0
; COMPUTE_PGM_RSRC3_GFX90A:ACCUM_OFFSET: 20
; COMPUTE_PGM_RSRC3_GFX90A:TG_SPLIT: 0
	.section	.text._ZN2at6native12_GLOBAL__N_125multi_tensor_apply_kernelINS1_18TensorListMetadataILi1EEENS1_14UnaryOpFunctorIN3c107complexIfEELi1ELi1ELi0EEEJNS0_7SigmoidIS8_EEEEEvT_T0_DpT1_,"axG",@progbits,_ZN2at6native12_GLOBAL__N_125multi_tensor_apply_kernelINS1_18TensorListMetadataILi1EEENS1_14UnaryOpFunctorIN3c107complexIfEELi1ELi1ELi0EEEJNS0_7SigmoidIS8_EEEEEvT_T0_DpT1_,comdat
	.globl	_ZN2at6native12_GLOBAL__N_125multi_tensor_apply_kernelINS1_18TensorListMetadataILi1EEENS1_14UnaryOpFunctorIN3c107complexIfEELi1ELi1ELi0EEEJNS0_7SigmoidIS8_EEEEEvT_T0_DpT1_ ; -- Begin function _ZN2at6native12_GLOBAL__N_125multi_tensor_apply_kernelINS1_18TensorListMetadataILi1EEENS1_14UnaryOpFunctorIN3c107complexIfEELi1ELi1ELi0EEEJNS0_7SigmoidIS8_EEEEEvT_T0_DpT1_
	.p2align	8
	.type	_ZN2at6native12_GLOBAL__N_125multi_tensor_apply_kernelINS1_18TensorListMetadataILi1EEENS1_14UnaryOpFunctorIN3c107complexIfEELi1ELi1ELi0EEEJNS0_7SigmoidIS8_EEEEEvT_T0_DpT1_,@function
_ZN2at6native12_GLOBAL__N_125multi_tensor_apply_kernelINS1_18TensorListMetadataILi1EEENS1_14UnaryOpFunctorIN3c107complexIfEELi1ELi1ELi0EEEJNS0_7SigmoidIS8_EEEEEvT_T0_DpT1_: ; @_ZN2at6native12_GLOBAL__N_125multi_tensor_apply_kernelINS1_18TensorListMetadataILi1EEENS1_14UnaryOpFunctorIN3c107complexIfEELi1ELi1ELi0EEEJNS0_7SigmoidIS8_EEEEEvT_T0_DpT1_
; %bb.0:
	v_mov_b32_e32 v1, s6
	global_load_ubyte v1, v1, s[4:5] offset:1760
	s_add_u32 s0, s4, s6
	s_mul_hi_u32 s1, s6, 3
	s_mul_i32 s6, s6, 3
	s_addc_u32 s2, s5, 0
	s_add_u32 s0, s0, s6
	s_addc_u32 s1, s2, s1
	s_load_dword s0, s[0:1], 0x820
	s_mov_b32 s7, 0
	s_waitcnt vmcnt(0)
	v_readfirstlane_b32 s1, v1
	s_lshl_b32 s1, s1, 3
	s_load_dwordx2 s[20:21], s[4:5], s1 offset:0x0
	s_load_dwordx2 s[16:17], s[4:5], 0xd30
	s_load_dwordx2 s[2:3], s[4:5], s1 offset:0x370
	s_waitcnt lgkmcnt(0)
	s_ashr_i32 s1, s0, 31
	s_lshl_b64 s[22:23], s[0:1], 19
	s_add_u32 s33, s20, s22
	s_addc_u32 s44, s21, s23
	s_lshl_b64 s[0:1], s[0:1], 16
	s_and_b32 s6, s33, 31
	s_sub_u32 s18, s2, s0
	s_subb_u32 s19, s3, s1
	s_and_b32 s0, s2, 3
	s_mov_b32 s1, s7
	s_or_b64 s[0:1], s[6:7], s[0:1]
	s_cmp_eq_u64 s[0:1], 0
	s_cbranch_scc1 .LBB255_229
; %bb.1:
	v_cmp_lt_i64_e64 s[0:1], s[18:19], 1
	s_and_b64 vcc, exec, s[0:1]
	s_cbranch_vccnz .LBB255_228
; %bb.2:
	s_load_dword s0, s[4:5], 0xd44
	v_mov_b32_e32 v4, 0x10000
	v_mov_b32_e32 v5, 0
	;; [unrolled: 1-line block ×3, first 2 shown]
	v_cmp_lt_u64_e32 vcc, s[18:19], v[4:5]
	s_waitcnt lgkmcnt(0)
	s_and_b32 s2, s0, 0xffff
	s_mul_i32 s6, s2, 3
	s_and_b64 s[0:1], vcc, exec
	v_lshlrev_b32_e32 v4, 3, v0
	v_mov_b32_e32 v5, v3
	v_add_co_u32_e32 v1, vcc, s6, v0
	v_mad_u64_u32 v[6:7], s[0:1], s2, 24, v[4:5]
	v_addc_co_u32_e64 v5, s[0:1], 0, 0, vcc
	s_cselect_b32 s25, s19, 0
	s_cselect_b32 s24, s18, 0x10000
	s_lshl_b32 s0, s2, 4
	s_lshl_b32 s3, s2, 1
	v_add_co_u32_e32 v9, vcc, s0, v4
	v_addc_co_u32_e64 v20, s[0:1], 0, 0, vcc
	v_add_co_u32_e32 v21, vcc, s3, v0
	v_addc_co_u32_e64 v22, s[0:1], 0, 0, vcc
	v_add_co_u32_e32 v23, vcc, s2, v0
	s_lshl_b32 s45, s2, 2
	s_mov_b32 s26, s17
	s_mov_b32 s27, s16
	s_lshl_b32 s46, s2, 5
	v_addc_co_u32_e64 v24, s[0:1], 0, 0, vcc
	v_lshlrev_b32_e32 v8, 3, v23
	s_mov_b64 s[28:29], 0
	s_brev_b32 s47, 1
	s_mov_b32 s48, 0x7f800000
	s_mov_b32 s49, 0x8e8e5c
	s_brev_b32 s50, 18
	s_mov_b32 s51, 0xfe5163ab
	s_mov_b32 s52, 0x3c439041
	;; [unrolled: 1-line block ×13, first 2 shown]
	v_mov_b32_e32 v25, 0xbe2aaa9d
	v_mov_b32_e32 v26, 0x3d2aabf7
	;; [unrolled: 1-line block ×3, first 2 shown]
	s_movk_i32 s64, 0x1f8
	s_mov_b32 s65, 0x3fb8aa3b
	s_mov_b32 s66, 0xc2ce8ed0
	;; [unrolled: 1-line block ×3, first 2 shown]
	v_not_b32_e32 v28, 63
	v_not_b32_e32 v29, 31
	v_mov_b32_e32 v30, 0x7f800000
	v_mov_b32_e32 v31, 0x7fc00000
	s_branch .LBB255_4
.LBB255_3:                              ;   in Loop: Header=BB255_4 Depth=1
	s_or_b64 exec, exec, s[0:1]
	s_add_u32 s28, s28, s45
	s_addc_u32 s29, s29, 0
	v_pk_mov_b32 v[10:11], s[18:19], s[18:19] op_sel:[0,1]
	v_cmp_ge_i64_e32 vcc, s[28:29], v[10:11]
	v_mov_b32_e32 v10, 0xffff
	v_mov_b32_e32 v11, 0
	v_cmp_gt_u64_e64 s[0:1], s[28:29], v[10:11]
	s_or_b64 s[0:1], vcc, s[0:1]
	s_add_u32 s33, s33, s46
	s_addc_u32 s44, s44, 0
	s_and_b64 vcc, exec, s[0:1]
	s_cbranch_vccnz .LBB255_228
.LBB255_4:                              ; =>This Inner Loop Header: Depth=1
	v_mov_b32_e32 v2, s29
	v_add_co_u32_e32 v10, vcc, s28, v0
	v_addc_co_u32_e32 v11, vcc, 0, v2, vcc
	v_cmp_gt_u64_e64 s[0:1], s[24:25], v[10:11]
	v_mov_b32_e32 v12, 0
	v_mov_b32_e32 v13, 0
	s_and_saveexec_b64 s[2:3], s[0:1]
	s_cbranch_execz .LBB255_6
; %bb.5:                                ;   in Loop: Header=BB255_4 Depth=1
	v_mov_b32_e32 v2, s44
	v_add_co_u32_e32 v10, vcc, s33, v4
	v_addc_co_u32_e32 v11, vcc, 0, v2, vcc
	global_load_dwordx2 v[12:13], v[10:11], off
.LBB255_6:                              ;   in Loop: Header=BB255_4 Depth=1
	s_or_b64 exec, exec, s[2:3]
	v_mov_b32_e32 v2, s29
	v_add_co_u32_e32 v10, vcc, s28, v23
	v_addc_co_u32_e32 v11, vcc, v24, v2, vcc
	v_cmp_gt_u64_e64 s[2:3], s[24:25], v[10:11]
	v_mov_b32_e32 v14, 0
	v_mov_b32_e32 v16, 0
	;; [unrolled: 1-line block ×3, first 2 shown]
	s_and_saveexec_b64 s[6:7], s[2:3]
	s_cbranch_execz .LBB255_8
; %bb.7:                                ;   in Loop: Header=BB255_4 Depth=1
	v_mov_b32_e32 v2, s44
	v_add_co_u32_e32 v10, vcc, s33, v8
	v_addc_co_u32_e32 v11, vcc, 0, v2, vcc
	global_load_dwordx2 v[16:17], v[10:11], off
.LBB255_8:                              ;   in Loop: Header=BB255_4 Depth=1
	s_or_b64 exec, exec, s[6:7]
	v_mov_b32_e32 v2, s29
	v_add_co_u32_e32 v10, vcc, s28, v21
	v_addc_co_u32_e32 v11, vcc, v22, v2, vcc
	v_cmp_gt_u64_e64 s[6:7], s[24:25], v[10:11]
	v_mov_b32_e32 v15, 0
	s_and_saveexec_b64 s[8:9], s[6:7]
	s_cbranch_execz .LBB255_10
; %bb.9:                                ;   in Loop: Header=BB255_4 Depth=1
	v_mov_b32_e32 v2, s44
	v_add_co_u32_e32 v10, vcc, s33, v9
	v_addc_co_u32_e32 v11, vcc, v2, v20, vcc
	global_load_dwordx2 v[14:15], v[10:11], off
.LBB255_10:                             ;   in Loop: Header=BB255_4 Depth=1
	s_or_b64 exec, exec, s[8:9]
	v_mov_b32_e32 v2, s29
	v_add_co_u32_e32 v10, vcc, s28, v1
	v_addc_co_u32_e32 v11, vcc, v5, v2, vcc
	v_cmp_gt_u64_e64 s[8:9], s[24:25], v[10:11]
	v_mov_b32_e32 v10, 0
	v_mov_b32_e32 v11, v10
	s_and_saveexec_b64 s[10:11], s[8:9]
	s_cbranch_execz .LBB255_12
; %bb.11:                               ;   in Loop: Header=BB255_4 Depth=1
	v_mov_b32_e32 v2, s44
	v_add_co_u32_e32 v10, vcc, s33, v6
	v_addc_co_u32_e32 v11, vcc, v2, v7, vcc
	global_load_dwordx2 v[10:11], v[10:11], off
.LBB255_12:                             ;   in Loop: Header=BB255_4 Depth=1
	s_or_b64 exec, exec, s[10:11]
	s_waitcnt vmcnt(0)
	v_and_b32_e32 v19, 0x7fffffff, v13
	v_xor_b32_e32 v18, 0x80000000, v13
	v_cmp_ne_u32_e32 vcc, 0, v19
                                        ; implicit-def: $vgpr2
	s_and_saveexec_b64 s[10:11], vcc
	s_xor_b64 s[30:31], exec, s[10:11]
	s_cbranch_execz .LBB255_54
; %bb.13:                               ;   in Loop: Header=BB255_4 Depth=1
	v_and_b32_e32 v33, 0x7fffffff, v12
	v_cmp_ne_u32_e32 vcc, 0, v33
                                        ; implicit-def: $vgpr2
	s_and_saveexec_b64 s[10:11], vcc
	s_xor_b64 s[34:35], exec, s[10:11]
	s_cbranch_execz .LBB255_43
; %bb.14:                               ;   in Loop: Header=BB255_4 Depth=1
	v_xor_b32_e32 v32, 0x80000000, v12
	v_cmp_gt_u32_e32 vcc, s48, v19
                                        ; implicit-def: $vgpr2
	s_and_saveexec_b64 s[10:11], vcc
	s_xor_b64 s[36:37], exec, s[10:11]
	s_cbranch_execz .LBB255_36
; %bb.15:                               ;   in Loop: Header=BB255_4 Depth=1
	v_add_u32_e32 v2, 0xbd4e8de8, v32
	v_cmp_lt_u32_e32 vcc, s49, v2
                                        ; implicit-def: $vgpr2
	s_and_saveexec_b64 s[10:11], vcc
	s_xor_b64 s[38:39], exec, s[10:11]
	s_cbranch_execz .LBB255_25
; %bb.16:                               ;   in Loop: Header=BB255_4 Depth=1
	v_cmp_nlt_f32_e64 s[40:41], |v13|, s50
                                        ; implicit-def: $vgpr32
                                        ; implicit-def: $vgpr33
	s_and_saveexec_b64 s[10:11], s[40:41]
	s_xor_b64 s[42:43], exec, s[10:11]
	s_cbranch_execz .LBB255_18
; %bb.17:                               ;   in Loop: Header=BB255_4 Depth=1
	v_lshrrev_b32_e32 v2, 23, v19
	v_add_u32_e32 v2, 0xffffff88, v2
	v_cmp_lt_u32_e32 vcc, 63, v2
	v_cndmask_b32_e32 v32, 0, v28, vcc
	v_add_u32_e32 v2, v32, v2
	v_cmp_lt_u32_e64 s[10:11], 31, v2
	v_cndmask_b32_e64 v32, 0, v29, s[10:11]
	v_add_u32_e32 v2, v32, v2
	v_cmp_lt_u32_e64 s[12:13], 31, v2
	v_cndmask_b32_e64 v32, 0, v29, s[12:13]
	v_add_u32_e32 v46, v32, v2
	v_and_b32_e32 v2, 0x7fffff, v19
	v_or_b32_e32 v44, 0x800000, v2
	v_mad_u64_u32 v[32:33], s[14:15], v44, s51, 0
	v_mov_b32_e32 v2, v33
	v_mad_u64_u32 v[34:35], s[14:15], v44, s52, v[2:3]
	v_mov_b32_e32 v2, v35
	;; [unrolled: 2-line block ×6, first 2 shown]
	v_mad_u64_u32 v[44:45], s[14:15], v44, s57, v[2:3]
	v_cndmask_b32_e32 v33, v42, v38, vcc
	v_cndmask_b32_e32 v2, v44, v40, vcc
	;; [unrolled: 1-line block ×3, first 2 shown]
	v_cndmask_b32_e64 v35, v2, v33, s[10:11]
	v_cndmask_b32_e64 v2, v37, v2, s[10:11]
	v_cndmask_b32_e32 v37, v40, v36, vcc
	v_cndmask_b32_e64 v33, v33, v37, s[10:11]
	v_cndmask_b32_e32 v34, v38, v34, vcc
	v_cndmask_b32_e64 v2, v2, v35, s[12:13]
	v_cndmask_b32_e64 v35, v35, v33, s[12:13]
	v_sub_u32_e32 v39, 32, v46
	v_cndmask_b32_e64 v37, v37, v34, s[10:11]
	v_alignbit_b32 v40, v2, v35, v39
	v_cmp_eq_u32_e64 s[14:15], 0, v46
	v_cndmask_b32_e64 v33, v33, v37, s[12:13]
	v_cndmask_b32_e32 v32, v36, v32, vcc
	v_cndmask_b32_e64 v2, v40, v2, s[14:15]
	v_alignbit_b32 v38, v35, v33, v39
	v_cndmask_b32_e64 v32, v34, v32, s[10:11]
	v_cndmask_b32_e64 v35, v38, v35, s[14:15]
	v_bfe_u32 v41, v2, 29, 1
	v_cndmask_b32_e64 v32, v37, v32, s[12:13]
	v_alignbit_b32 v38, v2, v35, 30
	v_sub_u32_e32 v42, 0, v41
	v_alignbit_b32 v34, v33, v32, v39
	v_xor_b32_e32 v43, v38, v42
	v_cndmask_b32_e64 v33, v34, v33, s[14:15]
	v_alignbit_b32 v34, v35, v33, 30
	v_ffbh_u32_e32 v35, v43
	v_add_u32_e32 v35, 1, v35
	v_cmp_ne_u32_e32 vcc, v38, v42
	v_cndmask_b32_e32 v35, 33, v35, vcc
	v_alignbit_b32 v32, v33, v32, 30
	v_xor_b32_e32 v34, v34, v42
	v_sub_u32_e32 v36, 32, v35
	v_xor_b32_e32 v32, v32, v42
	v_alignbit_b32 v37, v43, v34, v36
	v_alignbit_b32 v32, v34, v32, v36
	;; [unrolled: 1-line block ×3, first 2 shown]
	v_ffbh_u32_e32 v34, v33
	v_min_u32_e32 v34, 32, v34
	v_lshrrev_b32_e32 v40, 29, v2
	v_sub_u32_e32 v36, 31, v34
	v_alignbit_b32 v32, v33, v32, v36
	v_lshlrev_b32_e32 v33, 31, v40
	v_or_b32_e32 v36, 0x33800000, v33
	v_add_lshl_u32 v34, v34, v35, 23
	v_lshrrev_b32_e32 v32, 9, v32
	v_sub_u32_e32 v34, v36, v34
	v_or_b32_e32 v32, v34, v32
	v_alignbit_b32 v34, v35, v37, 9
	v_or_b32_e32 v33, v34, v33
	v_xor_b32_e32 v33, 1.0, v33
	v_mul_f32_e32 v34, 0x3fc90fda, v33
	v_fma_f32 v35, v33, s58, -v34
	v_fmac_f32_e32 v35, 0x33a22168, v33
	v_fmac_f32_e32 v35, 0x3fc90fda, v32
	v_lshrrev_b32_e32 v2, 30, v2
	v_add_f32_e32 v33, v34, v35
	v_add_u32_e32 v32, v41, v2
	s_andn2_saveexec_b64 s[10:11], s[42:43]
	s_branch .LBB255_19
.LBB255_18:                             ;   in Loop: Header=BB255_4 Depth=1
	s_andn2_saveexec_b64 s[10:11], s[42:43]
.LBB255_19:                             ;   in Loop: Header=BB255_4 Depth=1
	v_mul_f32_e64 v2, |v13|, s59
	v_rndne_f32_e32 v2, v2
	v_cvt_i32_f32_e32 v32, v2
	v_fma_f32 v33, v2, s60, |v13|
	v_fmac_f32_e32 v33, 0xb3a22168, v2
	v_fmac_f32_e32 v33, 0xa7c234c4, v2
; %bb.20:                               ;   in Loop: Header=BB255_4 Depth=1
	s_or_b64 exec, exec, s[10:11]
                                        ; implicit-def: $vgpr34
                                        ; implicit-def: $vgpr35
	s_and_saveexec_b64 s[10:11], s[40:41]
	s_xor_b64 s[40:41], exec, s[10:11]
	s_cbranch_execz .LBB255_22
; %bb.21:                               ;   in Loop: Header=BB255_4 Depth=1
	v_lshrrev_b32_e32 v2, 23, v19
	v_add_u32_e32 v2, 0xffffff88, v2
	v_cmp_lt_u32_e32 vcc, 63, v2
	v_cndmask_b32_e32 v34, 0, v28, vcc
	v_add_u32_e32 v2, v34, v2
	v_cmp_lt_u32_e64 s[10:11], 31, v2
	v_cndmask_b32_e64 v34, 0, v29, s[10:11]
	v_add_u32_e32 v2, v34, v2
	v_cmp_lt_u32_e64 s[12:13], 31, v2
	v_cndmask_b32_e64 v34, 0, v29, s[12:13]
	v_add_u32_e32 v48, v34, v2
	v_and_b32_e32 v2, 0x7fffff, v19
	v_or_b32_e32 v46, 0x800000, v2
	v_mad_u64_u32 v[34:35], s[14:15], v46, s51, 0
	v_mov_b32_e32 v2, v35
	v_mad_u64_u32 v[36:37], s[14:15], v46, s52, v[2:3]
	v_mov_b32_e32 v2, v37
	;; [unrolled: 2-line block ×6, first 2 shown]
	v_mad_u64_u32 v[46:47], s[14:15], v46, s57, v[2:3]
	v_cndmask_b32_e32 v35, v44, v40, vcc
	v_cndmask_b32_e32 v2, v46, v42, vcc
	;; [unrolled: 1-line block ×3, first 2 shown]
	v_cndmask_b32_e64 v37, v2, v35, s[10:11]
	v_cndmask_b32_e64 v2, v39, v2, s[10:11]
	v_cndmask_b32_e32 v39, v42, v38, vcc
	v_cndmask_b32_e64 v35, v35, v39, s[10:11]
	v_cndmask_b32_e32 v36, v40, v36, vcc
	v_cndmask_b32_e64 v2, v2, v37, s[12:13]
	v_cndmask_b32_e64 v37, v37, v35, s[12:13]
	v_sub_u32_e32 v41, 32, v48
	v_cndmask_b32_e64 v39, v39, v36, s[10:11]
	v_alignbit_b32 v42, v2, v37, v41
	v_cmp_eq_u32_e64 s[14:15], 0, v48
	v_cndmask_b32_e64 v35, v35, v39, s[12:13]
	v_cndmask_b32_e32 v34, v38, v34, vcc
	v_cndmask_b32_e64 v2, v42, v2, s[14:15]
	v_alignbit_b32 v40, v37, v35, v41
	v_cndmask_b32_e64 v34, v36, v34, s[10:11]
	v_cndmask_b32_e64 v37, v40, v37, s[14:15]
	v_bfe_u32 v43, v2, 29, 1
	v_cndmask_b32_e64 v34, v39, v34, s[12:13]
	v_alignbit_b32 v40, v2, v37, 30
	v_sub_u32_e32 v44, 0, v43
	v_alignbit_b32 v36, v35, v34, v41
	v_xor_b32_e32 v45, v40, v44
	v_cndmask_b32_e64 v35, v36, v35, s[14:15]
	v_alignbit_b32 v36, v37, v35, 30
	v_ffbh_u32_e32 v37, v45
	v_add_u32_e32 v37, 1, v37
	v_cmp_ne_u32_e32 vcc, v40, v44
	v_cndmask_b32_e32 v37, 33, v37, vcc
	v_alignbit_b32 v34, v35, v34, 30
	v_xor_b32_e32 v36, v36, v44
	v_sub_u32_e32 v38, 32, v37
	v_xor_b32_e32 v34, v34, v44
	v_alignbit_b32 v39, v45, v36, v38
	v_alignbit_b32 v34, v36, v34, v38
	;; [unrolled: 1-line block ×3, first 2 shown]
	v_ffbh_u32_e32 v36, v35
	v_min_u32_e32 v36, 32, v36
	v_lshrrev_b32_e32 v42, 29, v2
	v_sub_u32_e32 v38, 31, v36
	v_alignbit_b32 v34, v35, v34, v38
	v_lshlrev_b32_e32 v35, 31, v42
	v_or_b32_e32 v38, 0x33800000, v35
	v_add_lshl_u32 v36, v36, v37, 23
	v_lshrrev_b32_e32 v34, 9, v34
	v_sub_u32_e32 v36, v38, v36
	v_or_b32_e32 v34, v36, v34
	v_alignbit_b32 v36, v37, v39, 9
	v_or_b32_e32 v35, v36, v35
	v_xor_b32_e32 v35, 1.0, v35
	v_mul_f32_e32 v36, 0x3fc90fda, v35
	v_fma_f32 v37, v35, s58, -v36
	v_fmac_f32_e32 v37, 0x33a22168, v35
	v_fmac_f32_e32 v37, 0x3fc90fda, v34
	v_lshrrev_b32_e32 v2, 30, v2
	v_add_f32_e32 v35, v36, v37
	v_add_u32_e32 v34, v43, v2
	s_andn2_saveexec_b64 s[10:11], s[40:41]
	s_cbranch_execnz .LBB255_23
	s_branch .LBB255_24
.LBB255_22:                             ;   in Loop: Header=BB255_4 Depth=1
	s_andn2_saveexec_b64 s[10:11], s[40:41]
.LBB255_23:                             ;   in Loop: Header=BB255_4 Depth=1
	v_mul_f32_e64 v2, |v13|, s59
	v_rndne_f32_e32 v2, v2
	v_cvt_i32_f32_e32 v34, v2
	v_fma_f32 v35, v2, s60, |v13|
	v_fmac_f32_e32 v35, 0xb3a22168, v2
	v_fmac_f32_e32 v35, 0xa7c234c4, v2
.LBB255_24:                             ;   in Loop: Header=BB255_4 Depth=1
	s_or_b64 exec, exec, s[10:11]
	v_mul_f32_e32 v2, 0xbfb8aa3b, v12
	v_rndne_f32_e32 v36, v2
	v_sub_f32_e32 v37, v2, v36
	v_fma_f32 v2, v12, s61, -v2
	v_fmac_f32_e32 v2, 0xb2a5705f, v12
	v_add_f32_e32 v2, v37, v2
	v_cvt_i32_f32_e32 v36, v36
	v_exp_f32_e32 v2, v2
	v_cmp_nlt_f32_e32 vcc, s62, v12
	v_ldexp_f32 v2, v2, v36
	v_cndmask_b32_e32 v2, 0, v2, vcc
	v_cmp_ngt_f32_e32 vcc, s63, v12
	v_cndmask_b32_e32 v12, v30, v2, vcc
	v_mul_f32_e32 v2, v33, v33
	v_mov_b32_e32 v36, 0x3c0881c4
	v_fmac_f32_e32 v36, 0xb94c1982, v2
	v_fma_f32 v36, v2, v36, v25
	v_mul_f32_e32 v36, v2, v36
	v_fmac_f32_e32 v33, v33, v36
	v_mov_b32_e32 v36, 0xbab64f3b
	v_fmac_f32_e32 v36, 0x37d75334, v2
	v_fma_f32 v36, v2, v36, v26
	v_fma_f32 v36, v2, v36, v27
	v_fma_f32 v2, v2, v36, 1.0
	v_and_b32_e32 v36, 1, v32
	v_cmp_eq_u32_e32 vcc, 0, v36
	v_lshlrev_b32_e32 v32, 30, v32
	v_cndmask_b32_e64 v2, -v33, v2, vcc
	v_and_b32_e32 v32, 0x80000000, v32
	v_xor_b32_e32 v2, v32, v2
	v_cmp_class_f32_e64 vcc, v13, s64
	v_mul_f32_e32 v13, v35, v35
	v_mov_b32_e32 v32, 0x3c0881c4
	v_fmac_f32_e32 v32, 0xb94c1982, v13
	v_fma_f32 v32, v13, v32, v25
	v_mul_f32_e32 v32, v13, v32
	v_fmac_f32_e32 v35, v35, v32
	v_mov_b32_e32 v32, 0xbab64f3b
	v_fmac_f32_e32 v32, 0x37d75334, v13
	v_fma_f32 v32, v13, v32, v26
	v_fma_f32 v32, v13, v32, v27
	v_fma_f32 v13, v13, v32, 1.0
	v_and_b32_e32 v32, 1, v34
	v_cmp_eq_u32_e64 s[10:11], 0, v32
	v_lshlrev_b32_e32 v32, 30, v34
	v_cndmask_b32_e64 v13, v13, v35, s[10:11]
	v_and_or_b32 v19, v32, s47, v19
	v_xor_b32_e32 v13, v19, v13
	v_xor_b32_e32 v13, v13, v18
	v_cndmask_b32_e32 v2, v31, v2, vcc
	v_cndmask_b32_e32 v13, v31, v13, vcc
	v_mul_f32_e32 v2, v12, v2
	v_mul_f32_e32 v18, v12, v13
                                        ; implicit-def: $vgpr13
                                        ; implicit-def: $vgpr19
.LBB255_25:                             ;   in Loop: Header=BB255_4 Depth=1
	s_andn2_saveexec_b64 s[38:39], s[38:39]
	s_cbranch_execz .LBB255_28
; %bb.26:                               ;   in Loop: Header=BB255_4 Depth=1
	v_cmp_nlt_f32_e64 s[40:41], |v13|, s50
                                        ; implicit-def: $vgpr33
                                        ; implicit-def: $vgpr32
	s_and_saveexec_b64 s[10:11], s[40:41]
	s_xor_b64 s[42:43], exec, s[10:11]
	s_cbranch_execz .LBB255_29
; %bb.27:                               ;   in Loop: Header=BB255_4 Depth=1
	v_lshrrev_b32_e32 v2, 23, v19
	v_add_u32_e32 v2, 0xffffff88, v2
	v_cmp_lt_u32_e32 vcc, 63, v2
	v_cndmask_b32_e32 v32, 0, v28, vcc
	v_add_u32_e32 v2, v32, v2
	v_cmp_lt_u32_e64 s[10:11], 31, v2
	v_cndmask_b32_e64 v32, 0, v29, s[10:11]
	v_add_u32_e32 v2, v32, v2
	v_cmp_lt_u32_e64 s[12:13], 31, v2
	v_cndmask_b32_e64 v32, 0, v29, s[12:13]
	v_add_u32_e32 v46, v32, v2
	v_and_b32_e32 v2, 0x7fffff, v19
	v_or_b32_e32 v44, 0x800000, v2
	v_mad_u64_u32 v[32:33], s[14:15], v44, s51, 0
	v_mov_b32_e32 v2, v33
	v_mad_u64_u32 v[34:35], s[14:15], v44, s52, v[2:3]
	v_mov_b32_e32 v2, v35
	v_mad_u64_u32 v[36:37], s[14:15], v44, s53, v[2:3]
	v_mov_b32_e32 v2, v37
	v_mad_u64_u32 v[38:39], s[14:15], v44, s54, v[2:3]
	v_mov_b32_e32 v2, v39
	v_mad_u64_u32 v[40:41], s[14:15], v44, s55, v[2:3]
	v_mov_b32_e32 v2, v41
	v_mad_u64_u32 v[42:43], s[14:15], v44, s56, v[2:3]
	v_mov_b32_e32 v2, v43
	v_mad_u64_u32 v[44:45], s[14:15], v44, s57, v[2:3]
	v_cndmask_b32_e32 v33, v42, v38, vcc
	v_cndmask_b32_e32 v2, v44, v40, vcc
	;; [unrolled: 1-line block ×3, first 2 shown]
	v_cndmask_b32_e64 v35, v2, v33, s[10:11]
	v_cndmask_b32_e64 v2, v37, v2, s[10:11]
	v_cndmask_b32_e32 v37, v40, v36, vcc
	v_cndmask_b32_e64 v33, v33, v37, s[10:11]
	v_cndmask_b32_e32 v34, v38, v34, vcc
	v_cndmask_b32_e64 v2, v2, v35, s[12:13]
	v_cndmask_b32_e64 v35, v35, v33, s[12:13]
	v_sub_u32_e32 v39, 32, v46
	v_cndmask_b32_e64 v37, v37, v34, s[10:11]
	v_alignbit_b32 v40, v2, v35, v39
	v_cmp_eq_u32_e64 s[14:15], 0, v46
	v_cndmask_b32_e64 v33, v33, v37, s[12:13]
	v_cndmask_b32_e32 v32, v36, v32, vcc
	v_cndmask_b32_e64 v2, v40, v2, s[14:15]
	v_alignbit_b32 v38, v35, v33, v39
	v_cndmask_b32_e64 v32, v34, v32, s[10:11]
	v_cndmask_b32_e64 v35, v38, v35, s[14:15]
	v_bfe_u32 v41, v2, 29, 1
	v_cndmask_b32_e64 v32, v37, v32, s[12:13]
	v_alignbit_b32 v38, v2, v35, 30
	v_sub_u32_e32 v42, 0, v41
	v_alignbit_b32 v34, v33, v32, v39
	v_xor_b32_e32 v43, v38, v42
	v_cndmask_b32_e64 v33, v34, v33, s[14:15]
	v_alignbit_b32 v34, v35, v33, 30
	v_ffbh_u32_e32 v35, v43
	v_add_u32_e32 v35, 1, v35
	v_cmp_ne_u32_e32 vcc, v38, v42
	v_cndmask_b32_e32 v35, 33, v35, vcc
	v_alignbit_b32 v32, v33, v32, 30
	v_xor_b32_e32 v34, v34, v42
	v_sub_u32_e32 v36, 32, v35
	v_xor_b32_e32 v32, v32, v42
	v_alignbit_b32 v37, v43, v34, v36
	v_alignbit_b32 v32, v34, v32, v36
	;; [unrolled: 1-line block ×3, first 2 shown]
	v_ffbh_u32_e32 v34, v33
	v_min_u32_e32 v34, 32, v34
	v_lshrrev_b32_e32 v40, 29, v2
	v_sub_u32_e32 v36, 31, v34
	v_alignbit_b32 v32, v33, v32, v36
	v_lshlrev_b32_e32 v33, 31, v40
	v_or_b32_e32 v36, 0x33800000, v33
	v_add_lshl_u32 v34, v34, v35, 23
	v_lshrrev_b32_e32 v32, 9, v32
	v_sub_u32_e32 v34, v36, v34
	v_or_b32_e32 v32, v34, v32
	v_alignbit_b32 v34, v35, v37, 9
	v_or_b32_e32 v33, v34, v33
	v_xor_b32_e32 v33, 1.0, v33
	v_mul_f32_e32 v34, 0x3fc90fda, v33
	v_fma_f32 v35, v33, s58, -v34
	v_fmac_f32_e32 v35, 0x33a22168, v33
	v_fmac_f32_e32 v35, 0x3fc90fda, v32
	v_lshrrev_b32_e32 v2, 30, v2
	v_add_f32_e32 v32, v34, v35
	v_add_u32_e32 v33, v41, v2
	s_andn2_saveexec_b64 s[10:11], s[42:43]
	s_branch .LBB255_30
.LBB255_28:                             ;   in Loop: Header=BB255_4 Depth=1
	s_or_b64 exec, exec, s[38:39]
                                        ; implicit-def: $vgpr32
                                        ; implicit-def: $vgpr12
                                        ; implicit-def: $vgpr33
	s_andn2_saveexec_b64 s[10:11], s[36:37]
	s_cbranch_execnz .LBB255_37
	s_branch .LBB255_42
.LBB255_29:                             ;   in Loop: Header=BB255_4 Depth=1
	s_andn2_saveexec_b64 s[10:11], s[42:43]
.LBB255_30:                             ;   in Loop: Header=BB255_4 Depth=1
	v_mul_f32_e64 v2, |v13|, s59
	v_rndne_f32_e32 v2, v2
	v_cvt_i32_f32_e32 v33, v2
	v_fma_f32 v32, v2, s60, |v13|
	v_fmac_f32_e32 v32, 0xb3a22168, v2
	v_fmac_f32_e32 v32, 0xa7c234c4, v2
; %bb.31:                               ;   in Loop: Header=BB255_4 Depth=1
	s_or_b64 exec, exec, s[10:11]
                                        ; implicit-def: $vgpr34
                                        ; implicit-def: $vgpr35
	s_and_saveexec_b64 s[10:11], s[40:41]
	s_xor_b64 s[40:41], exec, s[10:11]
	s_cbranch_execz .LBB255_33
; %bb.32:                               ;   in Loop: Header=BB255_4 Depth=1
	v_lshrrev_b32_e32 v2, 23, v19
	v_add_u32_e32 v2, 0xffffff88, v2
	v_cmp_lt_u32_e32 vcc, 63, v2
	v_cndmask_b32_e32 v34, 0, v28, vcc
	v_add_u32_e32 v2, v34, v2
	v_cmp_lt_u32_e64 s[10:11], 31, v2
	v_cndmask_b32_e64 v34, 0, v29, s[10:11]
	v_add_u32_e32 v2, v34, v2
	v_cmp_lt_u32_e64 s[12:13], 31, v2
	v_cndmask_b32_e64 v34, 0, v29, s[12:13]
	v_add_u32_e32 v48, v34, v2
	v_and_b32_e32 v2, 0x7fffff, v19
	v_or_b32_e32 v46, 0x800000, v2
	v_mad_u64_u32 v[34:35], s[14:15], v46, s51, 0
	v_mov_b32_e32 v2, v35
	v_mad_u64_u32 v[36:37], s[14:15], v46, s52, v[2:3]
	v_mov_b32_e32 v2, v37
	v_mad_u64_u32 v[38:39], s[14:15], v46, s53, v[2:3]
	v_mov_b32_e32 v2, v39
	v_mad_u64_u32 v[40:41], s[14:15], v46, s54, v[2:3]
	v_mov_b32_e32 v2, v41
	v_mad_u64_u32 v[42:43], s[14:15], v46, s55, v[2:3]
	v_mov_b32_e32 v2, v43
	v_mad_u64_u32 v[44:45], s[14:15], v46, s56, v[2:3]
	v_mov_b32_e32 v2, v45
	v_mad_u64_u32 v[46:47], s[14:15], v46, s57, v[2:3]
	v_cndmask_b32_e32 v35, v44, v40, vcc
	v_cndmask_b32_e32 v2, v46, v42, vcc
	;; [unrolled: 1-line block ×3, first 2 shown]
	v_cndmask_b32_e64 v37, v2, v35, s[10:11]
	v_cndmask_b32_e64 v2, v39, v2, s[10:11]
	v_cndmask_b32_e32 v39, v42, v38, vcc
	v_cndmask_b32_e64 v35, v35, v39, s[10:11]
	v_cndmask_b32_e32 v36, v40, v36, vcc
	v_cndmask_b32_e64 v2, v2, v37, s[12:13]
	v_cndmask_b32_e64 v37, v37, v35, s[12:13]
	v_sub_u32_e32 v41, 32, v48
	v_cndmask_b32_e64 v39, v39, v36, s[10:11]
	v_alignbit_b32 v42, v2, v37, v41
	v_cmp_eq_u32_e64 s[14:15], 0, v48
	v_cndmask_b32_e64 v35, v35, v39, s[12:13]
	v_cndmask_b32_e32 v34, v38, v34, vcc
	v_cndmask_b32_e64 v2, v42, v2, s[14:15]
	v_alignbit_b32 v40, v37, v35, v41
	v_cndmask_b32_e64 v34, v36, v34, s[10:11]
	v_cndmask_b32_e64 v37, v40, v37, s[14:15]
	v_bfe_u32 v43, v2, 29, 1
	v_cndmask_b32_e64 v34, v39, v34, s[12:13]
	v_alignbit_b32 v40, v2, v37, 30
	v_sub_u32_e32 v44, 0, v43
	v_alignbit_b32 v36, v35, v34, v41
	v_xor_b32_e32 v45, v40, v44
	v_cndmask_b32_e64 v35, v36, v35, s[14:15]
	v_alignbit_b32 v36, v37, v35, 30
	v_ffbh_u32_e32 v37, v45
	v_add_u32_e32 v37, 1, v37
	v_cmp_ne_u32_e32 vcc, v40, v44
	v_cndmask_b32_e32 v37, 33, v37, vcc
	v_alignbit_b32 v34, v35, v34, 30
	v_xor_b32_e32 v36, v36, v44
	v_sub_u32_e32 v38, 32, v37
	v_xor_b32_e32 v34, v34, v44
	v_alignbit_b32 v39, v45, v36, v38
	v_alignbit_b32 v34, v36, v34, v38
	;; [unrolled: 1-line block ×3, first 2 shown]
	v_ffbh_u32_e32 v36, v35
	v_min_u32_e32 v36, 32, v36
	v_lshrrev_b32_e32 v42, 29, v2
	v_sub_u32_e32 v38, 31, v36
	v_alignbit_b32 v34, v35, v34, v38
	v_lshlrev_b32_e32 v35, 31, v42
	v_or_b32_e32 v38, 0x33800000, v35
	v_add_lshl_u32 v36, v36, v37, 23
	v_lshrrev_b32_e32 v34, 9, v34
	v_sub_u32_e32 v36, v38, v36
	v_or_b32_e32 v34, v36, v34
	v_alignbit_b32 v36, v37, v39, 9
	v_or_b32_e32 v35, v36, v35
	v_xor_b32_e32 v35, 1.0, v35
	v_mul_f32_e32 v36, 0x3fc90fda, v35
	v_fma_f32 v37, v35, s58, -v36
	v_fmac_f32_e32 v37, 0x33a22168, v35
	v_fmac_f32_e32 v37, 0x3fc90fda, v34
	v_lshrrev_b32_e32 v2, 30, v2
	v_add_f32_e32 v35, v36, v37
	v_add_u32_e32 v34, v43, v2
	s_andn2_saveexec_b64 s[10:11], s[40:41]
	s_cbranch_execnz .LBB255_34
	s_branch .LBB255_35
.LBB255_33:                             ;   in Loop: Header=BB255_4 Depth=1
	s_andn2_saveexec_b64 s[10:11], s[40:41]
.LBB255_34:                             ;   in Loop: Header=BB255_4 Depth=1
	v_mul_f32_e64 v2, |v13|, s59
	v_rndne_f32_e32 v2, v2
	v_cvt_i32_f32_e32 v34, v2
	v_fma_f32 v35, v2, s60, |v13|
	v_fmac_f32_e32 v35, 0xb3a22168, v2
	v_fmac_f32_e32 v35, 0xa7c234c4, v2
.LBB255_35:                             ;   in Loop: Header=BB255_4 Depth=1
	s_or_b64 exec, exec, s[10:11]
	v_mul_f32_e32 v36, v32, v32
	v_mov_b32_e32 v37, 0xbab64f3b
	v_fmac_f32_e32 v37, 0x37d75334, v36
	v_mov_b32_e32 v38, 0x3c0881c4
	v_fma_f32 v37, v36, v37, v26
	v_fmac_f32_e32 v38, 0xb94c1982, v36
	v_fma_f32 v37, v36, v37, v27
	v_fma_f32 v38, v36, v38, v25
	v_lshlrev_b32_e32 v2, 30, v33
	v_and_b32_e32 v33, 1, v33
	v_fma_f32 v37, v36, v37, 1.0
	v_mul_f32_e32 v36, v36, v38
	v_sub_f32_e32 v12, 0xc322e3bc, v12
	v_fmac_f32_e32 v32, v32, v36
	v_cmp_eq_u32_e32 vcc, 0, v33
	v_mul_f32_e32 v33, 0x3fb8aa3b, v12
	v_cndmask_b32_e64 v32, -v32, v37, vcc
	v_fma_f32 v36, v12, s65, -v33
	v_rndne_f32_e32 v37, v33
	v_fmac_f32_e32 v36, 0x32a5705f, v12
	v_sub_f32_e32 v33, v33, v37
	v_add_f32_e32 v33, v33, v36
	v_exp_f32_e32 v33, v33
	v_cvt_i32_f32_e32 v36, v37
	v_cmp_class_f32_e64 vcc, v13, s64
	v_cmp_ngt_f32_e64 s[10:11], s66, v12
	v_and_b32_e32 v2, 0x80000000, v2
	v_ldexp_f32 v13, v33, v36
	v_cndmask_b32_e64 v13, 0, v13, s[10:11]
	v_cmp_nlt_f32_e64 s[10:11], s67, v12
	v_cndmask_b32_e64 v12, v30, v13, s[10:11]
	v_and_b32_e32 v13, 0x7fffff, v12
	v_lshrrev_b32_e32 v12, 23, v12
	v_subrev_u32_e32 v12, 19, v12
	v_xor_b32_e32 v2, v2, v32
	v_lshrrev_b16_e32 v32, 15, v12
	v_add_u16_e32 v32, v12, v32
	v_ashrrev_i16_e32 v32, 1, v32
	v_bfe_i32 v32, v32, 0, 16
	v_lshl_add_u32 v33, v32, 23, 1.0
	v_sub_u32_e32 v12, v12, v32
	v_mul_f32_e32 v32, v35, v35
	v_mov_b32_e32 v36, 0x3c0881c4
	v_fmac_f32_e32 v36, 0xb94c1982, v32
	v_fma_f32 v36, v32, v36, v25
	v_mul_f32_e32 v36, v32, v36
	v_fmac_f32_e32 v35, v35, v36
	v_mov_b32_e32 v36, 0xbab64f3b
	v_fmac_f32_e32 v36, 0x37d75334, v32
	v_fma_f32 v36, v32, v36, v26
	v_fma_f32 v36, v32, v36, v27
	v_fma_f32 v32, v32, v36, 1.0
	v_and_b32_e32 v36, 1, v34
	v_cmp_eq_u32_e64 s[10:11], 0, v36
	v_lshlrev_b32_e32 v34, 30, v34
	v_cndmask_b32_e64 v32, v32, v35, s[10:11]
	v_and_or_b32 v19, v34, s47, v19
	v_xor_b32_e32 v19, v19, v32
	v_xor_b32_e32 v18, v19, v18
	v_cndmask_b32_e32 v2, v31, v2, vcc
	v_or_b32_e32 v13, 0x7f000000, v13
	v_cndmask_b32_e32 v18, v31, v18, vcc
	v_mul_f32_e32 v2, v2, v13
	v_mul_f32_e32 v13, v18, v13
	;; [unrolled: 1-line block ×3, first 2 shown]
	v_lshl_add_u32 v12, v12, 23, 1.0
	v_mul_f32_e32 v13, v13, v33
	v_mul_f32_e32 v2, v2, v12
	v_mul_f32_e32 v18, v13, v12
	s_or_b64 exec, exec, s[38:39]
                                        ; implicit-def: $vgpr32
                                        ; implicit-def: $vgpr12
                                        ; implicit-def: $vgpr33
.LBB255_36:                             ;   in Loop: Header=BB255_4 Depth=1
	s_andn2_saveexec_b64 s[10:11], s[36:37]
	s_cbranch_execz .LBB255_42
.LBB255_37:                             ;   in Loop: Header=BB255_4 Depth=1
	v_cmp_ne_u32_e32 vcc, s48, v33
	v_sub_f32_e32 v18, v13, v13
	s_and_saveexec_b64 s[12:13], vcc
	s_xor_b64 s[12:13], exec, s[12:13]
; %bb.38:                               ;   in Loop: Header=BB255_4 Depth=1
                                        ; implicit-def: $vgpr32
                                        ; implicit-def: $vgpr12
; %bb.39:                               ;   in Loop: Header=BB255_4 Depth=1
	s_or_saveexec_b64 s[12:13], s[12:13]
	v_mov_b32_e32 v2, v18
	s_xor_b64 exec, exec, s[12:13]
; %bb.40:                               ;   in Loop: Header=BB255_4 Depth=1
	v_cmp_lt_i32_e32 vcc, -1, v32
	v_cndmask_b32_e64 v2, 0, -v12, vcc
	v_cndmask_b32_e32 v18, 0, v18, vcc
; %bb.41:                               ;   in Loop: Header=BB255_4 Depth=1
	s_or_b64 exec, exec, s[12:13]
.LBB255_42:                             ;   in Loop: Header=BB255_4 Depth=1
	s_or_b64 exec, exec, s[10:11]
                                        ; implicit-def: $vgpr13
                                        ; implicit-def: $vgpr19
.LBB255_43:                             ;   in Loop: Header=BB255_4 Depth=1
	s_andn2_saveexec_b64 s[34:35], s[34:35]
	s_cbranch_execz .LBB255_53
; %bb.44:                               ;   in Loop: Header=BB255_4 Depth=1
	v_lshrrev_b32_e32 v2, 23, v19
	v_and_b32_e32 v12, 0x7fffff, v19
	v_cmp_nlt_f32_e64 s[36:37], |v13|, s50
	v_add_u32_e32 v34, 0xffffff88, v2
	v_or_b32_e32 v33, 0x800000, v12
                                        ; implicit-def: $vgpr12
                                        ; implicit-def: $vgpr32
	s_and_saveexec_b64 s[10:11], s[36:37]
	s_xor_b64 s[38:39], exec, s[10:11]
	s_cbranch_execz .LBB255_46
; %bb.45:                               ;   in Loop: Header=BB255_4 Depth=1
	v_cmp_lt_u32_e32 vcc, 63, v34
	v_cndmask_b32_e32 v2, 0, v28, vcc
	v_add_u32_e32 v2, v2, v34
	v_cmp_lt_u32_e64 s[10:11], 31, v2
	v_cndmask_b32_e64 v12, 0, v29, s[10:11]
	v_add_u32_e32 v2, v12, v2
	v_cmp_lt_u32_e64 s[12:13], 31, v2
	v_cndmask_b32_e64 v12, 0, v29, s[12:13]
	v_mad_u64_u32 v[36:37], s[14:15], v33, s51, 0
	v_add_u32_e32 v12, v12, v2
	v_mov_b32_e32 v2, v37
	v_mad_u64_u32 v[38:39], s[14:15], v33, s52, v[2:3]
	v_mov_b32_e32 v2, v39
	v_mad_u64_u32 v[40:41], s[14:15], v33, s53, v[2:3]
	;; [unrolled: 2-line block ×6, first 2 shown]
	v_cndmask_b32_e32 v32, v46, v42, vcc
	v_cndmask_b32_e32 v2, v48, v44, vcc
	v_cndmask_b32_e32 v37, v49, v46, vcc
	v_cndmask_b32_e64 v35, v2, v32, s[10:11]
	v_cndmask_b32_e64 v2, v37, v2, s[10:11]
	v_cndmask_b32_e32 v37, v44, v40, vcc
	v_cndmask_b32_e64 v32, v32, v37, s[10:11]
	v_sub_u32_e32 v39, 32, v12
	v_cmp_eq_u32_e64 s[14:15], 0, v12
	v_cndmask_b32_e32 v12, v42, v38, vcc
	v_cndmask_b32_e64 v2, v2, v35, s[12:13]
	v_cndmask_b32_e64 v35, v35, v32, s[12:13]
	;; [unrolled: 1-line block ×3, first 2 shown]
	v_alignbit_b32 v41, v2, v35, v39
	v_cndmask_b32_e64 v32, v32, v37, s[12:13]
	v_cndmask_b32_e64 v2, v41, v2, s[14:15]
	v_alignbit_b32 v38, v35, v32, v39
	v_cndmask_b32_e32 v36, v40, v36, vcc
	v_cndmask_b32_e64 v35, v38, v35, s[14:15]
	v_bfe_u32 v42, v2, 29, 1
	v_cndmask_b32_e64 v12, v12, v36, s[10:11]
	v_alignbit_b32 v38, v2, v35, 30
	v_sub_u32_e32 v43, 0, v42
	v_cndmask_b32_e64 v12, v37, v12, s[12:13]
	v_xor_b32_e32 v44, v38, v43
	v_alignbit_b32 v36, v32, v12, v39
	v_cndmask_b32_e64 v32, v36, v32, s[14:15]
	v_ffbh_u32_e32 v36, v44
	v_add_u32_e32 v36, 1, v36
	v_cmp_ne_u32_e32 vcc, v38, v43
	v_alignbit_b32 v35, v35, v32, 30
	v_cndmask_b32_e32 v36, 33, v36, vcc
	v_alignbit_b32 v12, v32, v12, 30
	v_xor_b32_e32 v35, v35, v43
	v_sub_u32_e32 v37, 32, v36
	v_xor_b32_e32 v12, v12, v43
	v_alignbit_b32 v38, v44, v35, v37
	v_alignbit_b32 v12, v35, v12, v37
	;; [unrolled: 1-line block ×3, first 2 shown]
	v_ffbh_u32_e32 v35, v32
	v_min_u32_e32 v35, 32, v35
	v_lshrrev_b32_e32 v41, 29, v2
	v_sub_u32_e32 v37, 31, v35
	v_alignbit_b32 v12, v32, v12, v37
	v_lshlrev_b32_e32 v32, 31, v41
	v_or_b32_e32 v37, 0x33800000, v32
	v_add_lshl_u32 v35, v35, v36, 23
	v_lshrrev_b32_e32 v12, 9, v12
	v_sub_u32_e32 v35, v37, v35
	v_or_b32_e32 v12, v35, v12
	v_alignbit_b32 v35, v36, v38, 9
	v_or_b32_e32 v32, v35, v32
	v_xor_b32_e32 v32, 1.0, v32
	v_mul_f32_e32 v35, 0x3fc90fda, v32
	v_fma_f32 v36, v32, s58, -v35
	v_fmac_f32_e32 v36, 0x33a22168, v32
	v_fmac_f32_e32 v36, 0x3fc90fda, v12
	v_lshrrev_b32_e32 v2, 30, v2
	v_add_f32_e32 v32, v35, v36
	v_add_u32_e32 v12, v42, v2
.LBB255_46:                             ;   in Loop: Header=BB255_4 Depth=1
	s_or_saveexec_b64 s[10:11], s[38:39]
	v_mul_f32_e64 v2, |v13|, s59
	v_rndne_f32_e32 v2, v2
	s_xor_b64 exec, exec, s[10:11]
; %bb.47:                               ;   in Loop: Header=BB255_4 Depth=1
	v_cvt_i32_f32_e32 v12, v2
	v_fma_f32 v32, v2, s60, |v13|
	v_fmac_f32_e32 v32, 0xb3a22168, v2
	v_fmac_f32_e32 v32, 0xa7c234c4, v2
; %bb.48:                               ;   in Loop: Header=BB255_4 Depth=1
	s_or_b64 exec, exec, s[10:11]
                                        ; implicit-def: $vgpr35
                                        ; implicit-def: $vgpr36
	s_and_saveexec_b64 s[10:11], s[36:37]
	s_xor_b64 s[36:37], exec, s[10:11]
	s_cbranch_execz .LBB255_50
; %bb.49:                               ;   in Loop: Header=BB255_4 Depth=1
	v_cmp_lt_u32_e32 vcc, 63, v34
	v_cndmask_b32_e32 v2, 0, v28, vcc
	v_add_u32_e32 v2, v2, v34
	v_cmp_lt_u32_e64 s[10:11], 31, v2
	v_cndmask_b32_e64 v34, 0, v29, s[10:11]
	v_add_u32_e32 v2, v34, v2
	v_cmp_lt_u32_e64 s[12:13], 31, v2
	v_cndmask_b32_e64 v34, 0, v29, s[12:13]
	v_add_u32_e32 v48, v34, v2
	v_mad_u64_u32 v[34:35], s[14:15], v33, s51, 0
	v_mov_b32_e32 v2, v35
	v_mad_u64_u32 v[36:37], s[14:15], v33, s52, v[2:3]
	v_mov_b32_e32 v2, v37
	;; [unrolled: 2-line block ×6, first 2 shown]
	v_mad_u64_u32 v[46:47], s[14:15], v33, s57, v[2:3]
	v_cndmask_b32_e32 v35, v44, v40, vcc
	v_cndmask_b32_e32 v2, v46, v42, vcc
	v_cndmask_b32_e32 v37, v47, v44, vcc
	v_cndmask_b32_e64 v33, v2, v35, s[10:11]
	v_cndmask_b32_e64 v2, v37, v2, s[10:11]
	v_cndmask_b32_e32 v37, v42, v38, vcc
	v_cndmask_b32_e64 v35, v35, v37, s[10:11]
	v_cndmask_b32_e32 v36, v40, v36, vcc
	v_cndmask_b32_e64 v2, v2, v33, s[12:13]
	v_cndmask_b32_e64 v33, v33, v35, s[12:13]
	v_sub_u32_e32 v39, 32, v48
	v_cndmask_b32_e64 v37, v37, v36, s[10:11]
	v_alignbit_b32 v41, v2, v33, v39
	v_cmp_eq_u32_e64 s[14:15], 0, v48
	v_cndmask_b32_e64 v35, v35, v37, s[12:13]
	v_cndmask_b32_e64 v2, v41, v2, s[14:15]
	v_alignbit_b32 v40, v33, v35, v39
	v_cndmask_b32_e32 v34, v38, v34, vcc
	v_cndmask_b32_e64 v33, v40, v33, s[14:15]
	v_bfe_u32 v42, v2, 29, 1
	v_cndmask_b32_e64 v34, v36, v34, s[10:11]
	v_alignbit_b32 v40, v2, v33, 30
	v_sub_u32_e32 v43, 0, v42
	v_cndmask_b32_e64 v34, v37, v34, s[12:13]
	v_xor_b32_e32 v44, v40, v43
	v_alignbit_b32 v36, v35, v34, v39
	v_cndmask_b32_e64 v35, v36, v35, s[14:15]
	v_ffbh_u32_e32 v36, v44
	v_add_u32_e32 v36, 1, v36
	v_cmp_ne_u32_e32 vcc, v40, v43
	v_alignbit_b32 v33, v33, v35, 30
	v_cndmask_b32_e32 v36, 33, v36, vcc
	v_alignbit_b32 v34, v35, v34, 30
	v_xor_b32_e32 v33, v33, v43
	v_sub_u32_e32 v37, 32, v36
	v_xor_b32_e32 v34, v34, v43
	v_alignbit_b32 v38, v44, v33, v37
	v_alignbit_b32 v33, v33, v34, v37
	;; [unrolled: 1-line block ×3, first 2 shown]
	v_ffbh_u32_e32 v35, v34
	v_min_u32_e32 v35, 32, v35
	v_lshrrev_b32_e32 v41, 29, v2
	v_sub_u32_e32 v37, 31, v35
	v_alignbit_b32 v33, v34, v33, v37
	v_lshlrev_b32_e32 v34, 31, v41
	v_or_b32_e32 v37, 0x33800000, v34
	v_add_lshl_u32 v35, v35, v36, 23
	v_lshrrev_b32_e32 v33, 9, v33
	v_sub_u32_e32 v35, v37, v35
	v_or_b32_e32 v33, v35, v33
	v_alignbit_b32 v35, v36, v38, 9
	v_or_b32_e32 v34, v35, v34
	v_xor_b32_e32 v34, 1.0, v34
	v_mul_f32_e32 v35, 0x3fc90fda, v34
	v_fma_f32 v36, v34, s58, -v35
	v_fmac_f32_e32 v36, 0x33a22168, v34
	v_fmac_f32_e32 v36, 0x3fc90fda, v33
	v_lshrrev_b32_e32 v2, 30, v2
	v_add_f32_e32 v36, v35, v36
	v_add_u32_e32 v35, v42, v2
                                        ; implicit-def: $vgpr2
	s_andn2_saveexec_b64 s[10:11], s[36:37]
	s_cbranch_execnz .LBB255_51
	s_branch .LBB255_52
.LBB255_50:                             ;   in Loop: Header=BB255_4 Depth=1
	s_andn2_saveexec_b64 s[10:11], s[36:37]
.LBB255_51:                             ;   in Loop: Header=BB255_4 Depth=1
	v_cvt_i32_f32_e32 v35, v2
	v_fma_f32 v36, v2, s60, |v13|
	v_fmac_f32_e32 v36, 0xb3a22168, v2
	v_fmac_f32_e32 v36, 0xa7c234c4, v2
.LBB255_52:                             ;   in Loop: Header=BB255_4 Depth=1
	s_or_b64 exec, exec, s[10:11]
	v_mul_f32_e32 v2, v32, v32
	v_mov_b32_e32 v33, 0x3c0881c4
	v_fmac_f32_e32 v33, 0xb94c1982, v2
	v_fma_f32 v33, v2, v33, v25
	v_mul_f32_e32 v33, v2, v33
	v_fmac_f32_e32 v32, v32, v33
	v_mov_b32_e32 v33, 0xbab64f3b
	v_fmac_f32_e32 v33, 0x37d75334, v2
	v_fma_f32 v33, v2, v33, v26
	v_fma_f32 v33, v2, v33, v27
	v_fma_f32 v2, v2, v33, 1.0
	v_and_b32_e32 v33, 1, v12
	v_cmp_eq_u32_e32 vcc, 0, v33
	v_lshlrev_b32_e32 v12, 30, v12
	v_cndmask_b32_e64 v2, -v32, v2, vcc
	v_and_b32_e32 v12, 0x80000000, v12
	v_xor_b32_e32 v2, v12, v2
	v_cmp_class_f32_e64 vcc, v13, s64
	v_mul_f32_e32 v12, v36, v36
	v_mov_b32_e32 v13, 0x3c0881c4
	v_fmac_f32_e32 v13, 0xb94c1982, v12
	v_fma_f32 v13, v12, v13, v25
	v_mul_f32_e32 v13, v12, v13
	v_fmac_f32_e32 v36, v36, v13
	v_mov_b32_e32 v13, 0xbab64f3b
	v_fmac_f32_e32 v13, 0x37d75334, v12
	v_fma_f32 v13, v12, v13, v26
	v_fma_f32 v13, v12, v13, v27
	v_fma_f32 v12, v12, v13, 1.0
	v_and_b32_e32 v13, 1, v35
	v_cmp_eq_u32_e64 s[10:11], 0, v13
	v_lshlrev_b32_e32 v13, 30, v35
	v_cndmask_b32_e64 v12, v12, v36, s[10:11]
	v_and_or_b32 v13, v13, s47, v19
	v_xor_b32_e32 v12, v13, v12
	v_xor_b32_e32 v12, v12, v18
	v_cndmask_b32_e32 v2, v31, v2, vcc
	v_cndmask_b32_e32 v18, v31, v12, vcc
.LBB255_53:                             ;   in Loop: Header=BB255_4 Depth=1
	s_or_b64 exec, exec, s[34:35]
                                        ; implicit-def: $vgpr12
.LBB255_54:                             ;   in Loop: Header=BB255_4 Depth=1
	s_andn2_saveexec_b64 s[10:11], s[30:31]
	s_cbranch_execz .LBB255_56
; %bb.55:                               ;   in Loop: Header=BB255_4 Depth=1
	v_mul_f32_e32 v2, 0xbfb8aa3b, v12
	v_rndne_f32_e32 v13, v2
	v_sub_f32_e32 v19, v2, v13
	v_fma_f32 v2, v12, s61, -v2
	v_fmac_f32_e32 v2, 0xb2a5705f, v12
	v_add_f32_e32 v2, v19, v2
	v_cvt_i32_f32_e32 v13, v13
	v_exp_f32_e32 v2, v2
	v_cmp_nlt_f32_e32 vcc, s62, v12
	v_ldexp_f32 v2, v2, v13
	v_cndmask_b32_e32 v2, 0, v2, vcc
	v_cmp_ngt_f32_e32 vcc, s63, v12
	v_cndmask_b32_e32 v2, v30, v2, vcc
.LBB255_56:                             ;   in Loop: Header=BB255_4 Depth=1
	s_or_b64 exec, exec, s[10:11]
	v_add_f32_e32 v19, s16, v2
	v_add_f32_e32 v2, s17, v18
	v_cmp_gt_f32_e32 vcc, 0, v19
	v_cndmask_b32_e64 v32, v19, -v19, vcc
	v_cmp_gt_f32_e32 vcc, 0, v2
	v_cndmask_b32_e64 v18, v2, -v2, vcc
	v_cmp_ge_f32_e32 vcc, v32, v18
                                        ; implicit-def: $vgpr13
	s_and_saveexec_b64 s[10:11], vcc
	s_xor_b64 s[12:13], exec, s[10:11]
	s_cbranch_execz .LBB255_62
; %bb.57:                               ;   in Loop: Header=BB255_4 Depth=1
	v_cmp_neq_f32_e32 vcc, 0, v19
	v_cmp_neq_f32_e64 s[10:11], 0, v2
	s_or_b64 s[10:11], vcc, s[10:11]
                                        ; implicit-def: $vgpr13
	s_and_saveexec_b64 s[14:15], s[10:11]
	s_xor_b64 s[10:11], exec, s[14:15]
	s_cbranch_execz .LBB255_59
; %bb.58:                               ;   in Loop: Header=BB255_4 Depth=1
	v_div_scale_f32 v12, s[14:15], v19, v19, v2
	v_rcp_f32_e32 v13, v12
	v_div_scale_f32 v18, vcc, v2, v19, v2
	v_fma_f32 v32, -v12, v13, 1.0
	v_fmac_f32_e32 v13, v32, v13
	v_mul_f32_e32 v32, v18, v13
	v_fma_f32 v33, -v12, v32, v18
	v_fmac_f32_e32 v32, v33, v13
	v_fma_f32 v12, -v12, v32, v18
	v_div_fmas_f32 v12, v12, v13, v32
	v_div_fixup_f32 v13, v12, v19, v2
	v_fmac_f32_e32 v19, v2, v13
	v_div_scale_f32 v2, s[14:15], v19, v19, 1.0
	v_rcp_f32_e32 v12, v2
	v_fma_f32 v18, -v2, v12, 1.0
	v_fmac_f32_e32 v12, v18, v12
	v_div_scale_f32 v18, vcc, 1.0, v19, 1.0
	v_mul_f32_e32 v32, v18, v12
	v_fma_f32 v33, -v2, v32, v18
	v_fmac_f32_e32 v32, v33, v12
	v_fma_f32 v2, -v2, v32, v18
	v_div_fmas_f32 v2, v2, v12, v32
	v_mov_b32_e32 v12, s16
	v_mov_b32_e32 v18, s17
	v_div_fixup_f32 v2, v2, v19, 1.0
	v_fma_f32 v12, s17, v13, v12
	v_fma_f32 v13, -v13, s16, v18
	v_mul_f32_e32 v12, v12, v2
	v_mul_f32_e32 v13, v13, v2
                                        ; implicit-def: $vgpr32
                                        ; implicit-def: $vgpr18
.LBB255_59:                             ;   in Loop: Header=BB255_4 Depth=1
	s_andn2_saveexec_b64 s[10:11], s[10:11]
	s_cbranch_execz .LBB255_61
; %bb.60:                               ;   in Loop: Header=BB255_4 Depth=1
	v_div_scale_f32 v2, s[14:15], v32, v32, s16
	v_rcp_f32_e32 v12, v2
	v_div_scale_f32 v13, vcc, s16, v32, s16
	v_fma_f32 v19, -v2, v12, 1.0
	v_fmac_f32_e32 v12, v19, v12
	v_mul_f32_e32 v19, v13, v12
	v_fma_f32 v33, -v2, v19, v13
	v_fmac_f32_e32 v19, v33, v12
	v_fma_f32 v2, -v2, v19, v13
	v_div_scale_f32 v13, s[14:15], v18, v18, s17
	v_rcp_f32_e32 v33, v13
	v_div_fmas_f32 v2, v2, v12, v19
	v_div_fixup_f32 v12, v2, v32, s16
	v_fma_f32 v2, -v13, v33, 1.0
	v_fmac_f32_e32 v33, v2, v33
	v_div_scale_f32 v2, vcc, s17, v18, s17
	v_mul_f32_e32 v19, v2, v33
	v_fma_f32 v32, -v13, v19, v2
	v_fmac_f32_e32 v19, v32, v33
	v_fma_f32 v2, -v13, v19, v2
	v_div_fmas_f32 v2, v2, v33, v19
	v_div_fixup_f32 v13, v2, v18, s17
.LBB255_61:                             ;   in Loop: Header=BB255_4 Depth=1
	s_or_b64 exec, exec, s[10:11]
                                        ; implicit-def: $vgpr2
                                        ; implicit-def: $vgpr19
.LBB255_62:                             ;   in Loop: Header=BB255_4 Depth=1
	s_andn2_saveexec_b64 s[10:11], s[12:13]
	s_cbranch_execz .LBB255_64
; %bb.63:                               ;   in Loop: Header=BB255_4 Depth=1
	v_div_scale_f32 v12, s[12:13], v2, v2, v19
	v_rcp_f32_e32 v13, v12
	v_div_scale_f32 v18, vcc, v19, v2, v19
	v_fma_f32 v32, -v12, v13, 1.0
	v_fmac_f32_e32 v13, v32, v13
	v_mul_f32_e32 v32, v18, v13
	v_fma_f32 v33, -v12, v32, v18
	v_fmac_f32_e32 v32, v33, v13
	v_fma_f32 v12, -v12, v32, v18
	v_div_fmas_f32 v12, v12, v13, v32
	v_div_fixup_f32 v13, v12, v2, v19
	v_fmac_f32_e32 v2, v19, v13
	v_div_scale_f32 v12, s[12:13], v2, v2, 1.0
	v_rcp_f32_e32 v18, v12
	v_fma_f32 v19, -v12, v18, 1.0
	v_fmac_f32_e32 v18, v19, v18
	v_div_scale_f32 v19, vcc, 1.0, v2, 1.0
	v_mul_f32_e32 v32, v19, v18
	v_fma_f32 v33, -v12, v32, v19
	v_fmac_f32_e32 v32, v33, v18
	v_fma_f32 v12, -v12, v32, v19
	v_div_fmas_f32 v12, v12, v18, v32
	v_div_fixup_f32 v2, v12, v2, 1.0
	v_mov_b32_e32 v12, s17
	v_mov_b32_e32 v18, s16
	v_fma_f32 v12, s16, v13, v12
	v_fma_f32 v13, v13, s17, -v18
	v_mul_f32_e32 v12, v12, v2
	v_mul_f32_e32 v13, v13, v2
.LBB255_64:                             ;   in Loop: Header=BB255_4 Depth=1
	s_or_b64 exec, exec, s[10:11]
	v_and_b32_e32 v19, 0x7fffffff, v17
	v_xor_b32_e32 v18, 0x80000000, v17
	v_cmp_ne_u32_e32 vcc, 0, v19
                                        ; implicit-def: $vgpr2
	s_and_saveexec_b64 s[10:11], vcc
	s_xor_b64 s[30:31], exec, s[10:11]
	s_cbranch_execz .LBB255_106
; %bb.65:                               ;   in Loop: Header=BB255_4 Depth=1
	v_and_b32_e32 v33, 0x7fffffff, v16
	v_cmp_ne_u32_e32 vcc, 0, v33
                                        ; implicit-def: $vgpr2
	s_and_saveexec_b64 s[10:11], vcc
	s_xor_b64 s[34:35], exec, s[10:11]
	s_cbranch_execz .LBB255_95
; %bb.66:                               ;   in Loop: Header=BB255_4 Depth=1
	v_xor_b32_e32 v32, 0x80000000, v16
	v_cmp_gt_u32_e32 vcc, s48, v19
                                        ; implicit-def: $vgpr2
	s_and_saveexec_b64 s[10:11], vcc
	s_xor_b64 s[36:37], exec, s[10:11]
	s_cbranch_execz .LBB255_88
; %bb.67:                               ;   in Loop: Header=BB255_4 Depth=1
	v_add_u32_e32 v2, 0xbd4e8de8, v32
	v_cmp_lt_u32_e32 vcc, s49, v2
                                        ; implicit-def: $vgpr2
	s_and_saveexec_b64 s[10:11], vcc
	s_xor_b64 s[38:39], exec, s[10:11]
	s_cbranch_execz .LBB255_77
; %bb.68:                               ;   in Loop: Header=BB255_4 Depth=1
	v_cmp_nlt_f32_e64 s[40:41], |v17|, s50
                                        ; implicit-def: $vgpr32
                                        ; implicit-def: $vgpr33
	s_and_saveexec_b64 s[10:11], s[40:41]
	s_xor_b64 s[42:43], exec, s[10:11]
	s_cbranch_execz .LBB255_70
; %bb.69:                               ;   in Loop: Header=BB255_4 Depth=1
	v_lshrrev_b32_e32 v2, 23, v19
	v_add_u32_e32 v2, 0xffffff88, v2
	v_cmp_lt_u32_e32 vcc, 63, v2
	v_cndmask_b32_e32 v32, 0, v28, vcc
	v_add_u32_e32 v2, v32, v2
	v_cmp_lt_u32_e64 s[10:11], 31, v2
	v_cndmask_b32_e64 v32, 0, v29, s[10:11]
	v_add_u32_e32 v2, v32, v2
	v_cmp_lt_u32_e64 s[12:13], 31, v2
	v_cndmask_b32_e64 v32, 0, v29, s[12:13]
	v_add_u32_e32 v46, v32, v2
	v_and_b32_e32 v2, 0x7fffff, v19
	v_or_b32_e32 v44, 0x800000, v2
	v_mad_u64_u32 v[32:33], s[14:15], v44, s51, 0
	v_mov_b32_e32 v2, v33
	v_mad_u64_u32 v[34:35], s[14:15], v44, s52, v[2:3]
	v_mov_b32_e32 v2, v35
	;; [unrolled: 2-line block ×6, first 2 shown]
	v_mad_u64_u32 v[44:45], s[14:15], v44, s57, v[2:3]
	v_cndmask_b32_e32 v33, v42, v38, vcc
	v_cndmask_b32_e32 v2, v44, v40, vcc
	;; [unrolled: 1-line block ×3, first 2 shown]
	v_cndmask_b32_e64 v35, v2, v33, s[10:11]
	v_cndmask_b32_e64 v2, v37, v2, s[10:11]
	v_cndmask_b32_e32 v37, v40, v36, vcc
	v_cndmask_b32_e64 v33, v33, v37, s[10:11]
	v_cndmask_b32_e32 v34, v38, v34, vcc
	v_cndmask_b32_e64 v2, v2, v35, s[12:13]
	v_cndmask_b32_e64 v35, v35, v33, s[12:13]
	v_sub_u32_e32 v39, 32, v46
	v_cndmask_b32_e64 v37, v37, v34, s[10:11]
	v_alignbit_b32 v40, v2, v35, v39
	v_cmp_eq_u32_e64 s[14:15], 0, v46
	v_cndmask_b32_e64 v33, v33, v37, s[12:13]
	v_cndmask_b32_e32 v32, v36, v32, vcc
	v_cndmask_b32_e64 v2, v40, v2, s[14:15]
	v_alignbit_b32 v38, v35, v33, v39
	v_cndmask_b32_e64 v32, v34, v32, s[10:11]
	v_cndmask_b32_e64 v35, v38, v35, s[14:15]
	v_bfe_u32 v41, v2, 29, 1
	v_cndmask_b32_e64 v32, v37, v32, s[12:13]
	v_alignbit_b32 v38, v2, v35, 30
	v_sub_u32_e32 v42, 0, v41
	v_alignbit_b32 v34, v33, v32, v39
	v_xor_b32_e32 v43, v38, v42
	v_cndmask_b32_e64 v33, v34, v33, s[14:15]
	v_alignbit_b32 v34, v35, v33, 30
	v_ffbh_u32_e32 v35, v43
	v_add_u32_e32 v35, 1, v35
	v_cmp_ne_u32_e32 vcc, v38, v42
	v_cndmask_b32_e32 v35, 33, v35, vcc
	v_alignbit_b32 v32, v33, v32, 30
	v_xor_b32_e32 v34, v34, v42
	v_sub_u32_e32 v36, 32, v35
	v_xor_b32_e32 v32, v32, v42
	v_alignbit_b32 v37, v43, v34, v36
	v_alignbit_b32 v32, v34, v32, v36
	;; [unrolled: 1-line block ×3, first 2 shown]
	v_ffbh_u32_e32 v34, v33
	v_min_u32_e32 v34, 32, v34
	v_lshrrev_b32_e32 v40, 29, v2
	v_sub_u32_e32 v36, 31, v34
	v_alignbit_b32 v32, v33, v32, v36
	v_lshlrev_b32_e32 v33, 31, v40
	v_or_b32_e32 v36, 0x33800000, v33
	v_add_lshl_u32 v34, v34, v35, 23
	v_lshrrev_b32_e32 v32, 9, v32
	v_sub_u32_e32 v34, v36, v34
	v_or_b32_e32 v32, v34, v32
	v_alignbit_b32 v34, v35, v37, 9
	v_or_b32_e32 v33, v34, v33
	v_xor_b32_e32 v33, 1.0, v33
	v_mul_f32_e32 v34, 0x3fc90fda, v33
	v_fma_f32 v35, v33, s58, -v34
	v_fmac_f32_e32 v35, 0x33a22168, v33
	v_fmac_f32_e32 v35, 0x3fc90fda, v32
	v_lshrrev_b32_e32 v2, 30, v2
	v_add_f32_e32 v33, v34, v35
	v_add_u32_e32 v32, v41, v2
	s_andn2_saveexec_b64 s[10:11], s[42:43]
	s_branch .LBB255_71
.LBB255_70:                             ;   in Loop: Header=BB255_4 Depth=1
	s_andn2_saveexec_b64 s[10:11], s[42:43]
.LBB255_71:                             ;   in Loop: Header=BB255_4 Depth=1
	v_mul_f32_e64 v2, |v17|, s59
	v_rndne_f32_e32 v2, v2
	v_cvt_i32_f32_e32 v32, v2
	v_fma_f32 v33, v2, s60, |v17|
	v_fmac_f32_e32 v33, 0xb3a22168, v2
	v_fmac_f32_e32 v33, 0xa7c234c4, v2
; %bb.72:                               ;   in Loop: Header=BB255_4 Depth=1
	s_or_b64 exec, exec, s[10:11]
                                        ; implicit-def: $vgpr34
                                        ; implicit-def: $vgpr35
	s_and_saveexec_b64 s[10:11], s[40:41]
	s_xor_b64 s[40:41], exec, s[10:11]
	s_cbranch_execz .LBB255_74
; %bb.73:                               ;   in Loop: Header=BB255_4 Depth=1
	v_lshrrev_b32_e32 v2, 23, v19
	v_add_u32_e32 v2, 0xffffff88, v2
	v_cmp_lt_u32_e32 vcc, 63, v2
	v_cndmask_b32_e32 v34, 0, v28, vcc
	v_add_u32_e32 v2, v34, v2
	v_cmp_lt_u32_e64 s[10:11], 31, v2
	v_cndmask_b32_e64 v34, 0, v29, s[10:11]
	v_add_u32_e32 v2, v34, v2
	v_cmp_lt_u32_e64 s[12:13], 31, v2
	v_cndmask_b32_e64 v34, 0, v29, s[12:13]
	v_add_u32_e32 v48, v34, v2
	v_and_b32_e32 v2, 0x7fffff, v19
	v_or_b32_e32 v46, 0x800000, v2
	v_mad_u64_u32 v[34:35], s[14:15], v46, s51, 0
	v_mov_b32_e32 v2, v35
	v_mad_u64_u32 v[36:37], s[14:15], v46, s52, v[2:3]
	v_mov_b32_e32 v2, v37
	;; [unrolled: 2-line block ×6, first 2 shown]
	v_mad_u64_u32 v[46:47], s[14:15], v46, s57, v[2:3]
	v_cndmask_b32_e32 v35, v44, v40, vcc
	v_cndmask_b32_e32 v2, v46, v42, vcc
	;; [unrolled: 1-line block ×3, first 2 shown]
	v_cndmask_b32_e64 v37, v2, v35, s[10:11]
	v_cndmask_b32_e64 v2, v39, v2, s[10:11]
	v_cndmask_b32_e32 v39, v42, v38, vcc
	v_cndmask_b32_e64 v35, v35, v39, s[10:11]
	v_cndmask_b32_e32 v36, v40, v36, vcc
	v_cndmask_b32_e64 v2, v2, v37, s[12:13]
	v_cndmask_b32_e64 v37, v37, v35, s[12:13]
	v_sub_u32_e32 v41, 32, v48
	v_cndmask_b32_e64 v39, v39, v36, s[10:11]
	v_alignbit_b32 v42, v2, v37, v41
	v_cmp_eq_u32_e64 s[14:15], 0, v48
	v_cndmask_b32_e64 v35, v35, v39, s[12:13]
	v_cndmask_b32_e32 v34, v38, v34, vcc
	v_cndmask_b32_e64 v2, v42, v2, s[14:15]
	v_alignbit_b32 v40, v37, v35, v41
	v_cndmask_b32_e64 v34, v36, v34, s[10:11]
	v_cndmask_b32_e64 v37, v40, v37, s[14:15]
	v_bfe_u32 v43, v2, 29, 1
	v_cndmask_b32_e64 v34, v39, v34, s[12:13]
	v_alignbit_b32 v40, v2, v37, 30
	v_sub_u32_e32 v44, 0, v43
	v_alignbit_b32 v36, v35, v34, v41
	v_xor_b32_e32 v45, v40, v44
	v_cndmask_b32_e64 v35, v36, v35, s[14:15]
	v_alignbit_b32 v36, v37, v35, 30
	v_ffbh_u32_e32 v37, v45
	v_add_u32_e32 v37, 1, v37
	v_cmp_ne_u32_e32 vcc, v40, v44
	v_cndmask_b32_e32 v37, 33, v37, vcc
	v_alignbit_b32 v34, v35, v34, 30
	v_xor_b32_e32 v36, v36, v44
	v_sub_u32_e32 v38, 32, v37
	v_xor_b32_e32 v34, v34, v44
	v_alignbit_b32 v39, v45, v36, v38
	v_alignbit_b32 v34, v36, v34, v38
	;; [unrolled: 1-line block ×3, first 2 shown]
	v_ffbh_u32_e32 v36, v35
	v_min_u32_e32 v36, 32, v36
	v_lshrrev_b32_e32 v42, 29, v2
	v_sub_u32_e32 v38, 31, v36
	v_alignbit_b32 v34, v35, v34, v38
	v_lshlrev_b32_e32 v35, 31, v42
	v_or_b32_e32 v38, 0x33800000, v35
	v_add_lshl_u32 v36, v36, v37, 23
	v_lshrrev_b32_e32 v34, 9, v34
	v_sub_u32_e32 v36, v38, v36
	v_or_b32_e32 v34, v36, v34
	v_alignbit_b32 v36, v37, v39, 9
	v_or_b32_e32 v35, v36, v35
	v_xor_b32_e32 v35, 1.0, v35
	v_mul_f32_e32 v36, 0x3fc90fda, v35
	v_fma_f32 v37, v35, s58, -v36
	v_fmac_f32_e32 v37, 0x33a22168, v35
	v_fmac_f32_e32 v37, 0x3fc90fda, v34
	v_lshrrev_b32_e32 v2, 30, v2
	v_add_f32_e32 v35, v36, v37
	v_add_u32_e32 v34, v43, v2
	s_andn2_saveexec_b64 s[10:11], s[40:41]
	s_cbranch_execnz .LBB255_75
	s_branch .LBB255_76
.LBB255_74:                             ;   in Loop: Header=BB255_4 Depth=1
	s_andn2_saveexec_b64 s[10:11], s[40:41]
.LBB255_75:                             ;   in Loop: Header=BB255_4 Depth=1
	v_mul_f32_e64 v2, |v17|, s59
	v_rndne_f32_e32 v2, v2
	v_cvt_i32_f32_e32 v34, v2
	v_fma_f32 v35, v2, s60, |v17|
	v_fmac_f32_e32 v35, 0xb3a22168, v2
	v_fmac_f32_e32 v35, 0xa7c234c4, v2
.LBB255_76:                             ;   in Loop: Header=BB255_4 Depth=1
	s_or_b64 exec, exec, s[10:11]
	v_mul_f32_e32 v2, 0xbfb8aa3b, v16
	v_rndne_f32_e32 v36, v2
	v_sub_f32_e32 v37, v2, v36
	v_fma_f32 v2, v16, s61, -v2
	v_fmac_f32_e32 v2, 0xb2a5705f, v16
	v_add_f32_e32 v2, v37, v2
	v_cvt_i32_f32_e32 v36, v36
	v_exp_f32_e32 v2, v2
	v_cmp_nlt_f32_e32 vcc, s62, v16
	v_ldexp_f32 v2, v2, v36
	v_cndmask_b32_e32 v2, 0, v2, vcc
	v_cmp_ngt_f32_e32 vcc, s63, v16
	v_cndmask_b32_e32 v16, v30, v2, vcc
	v_mul_f32_e32 v2, v33, v33
	v_mov_b32_e32 v36, 0x3c0881c4
	v_fmac_f32_e32 v36, 0xb94c1982, v2
	v_fma_f32 v36, v2, v36, v25
	v_mul_f32_e32 v36, v2, v36
	v_fmac_f32_e32 v33, v33, v36
	v_mov_b32_e32 v36, 0xbab64f3b
	v_fmac_f32_e32 v36, 0x37d75334, v2
	v_fma_f32 v36, v2, v36, v26
	v_fma_f32 v36, v2, v36, v27
	v_fma_f32 v2, v2, v36, 1.0
	v_and_b32_e32 v36, 1, v32
	v_cmp_eq_u32_e32 vcc, 0, v36
	v_lshlrev_b32_e32 v32, 30, v32
	v_cndmask_b32_e64 v2, -v33, v2, vcc
	v_and_b32_e32 v32, 0x80000000, v32
	v_xor_b32_e32 v2, v32, v2
	v_cmp_class_f32_e64 vcc, v17, s64
	v_mul_f32_e32 v17, v35, v35
	v_mov_b32_e32 v32, 0x3c0881c4
	v_fmac_f32_e32 v32, 0xb94c1982, v17
	v_fma_f32 v32, v17, v32, v25
	v_mul_f32_e32 v32, v17, v32
	v_fmac_f32_e32 v35, v35, v32
	v_mov_b32_e32 v32, 0xbab64f3b
	v_fmac_f32_e32 v32, 0x37d75334, v17
	v_fma_f32 v32, v17, v32, v26
	v_fma_f32 v32, v17, v32, v27
	v_fma_f32 v17, v17, v32, 1.0
	v_and_b32_e32 v32, 1, v34
	v_cmp_eq_u32_e64 s[10:11], 0, v32
	v_lshlrev_b32_e32 v32, 30, v34
	v_cndmask_b32_e64 v17, v17, v35, s[10:11]
	v_and_or_b32 v19, v32, s47, v19
	v_xor_b32_e32 v17, v19, v17
	v_xor_b32_e32 v17, v17, v18
	v_cndmask_b32_e32 v2, v31, v2, vcc
	v_cndmask_b32_e32 v17, v31, v17, vcc
	v_mul_f32_e32 v2, v16, v2
	v_mul_f32_e32 v18, v16, v17
                                        ; implicit-def: $vgpr17
                                        ; implicit-def: $vgpr19
.LBB255_77:                             ;   in Loop: Header=BB255_4 Depth=1
	s_andn2_saveexec_b64 s[38:39], s[38:39]
	s_cbranch_execz .LBB255_87
; %bb.78:                               ;   in Loop: Header=BB255_4 Depth=1
	v_cmp_nlt_f32_e64 s[40:41], |v17|, s50
                                        ; implicit-def: $vgpr33
                                        ; implicit-def: $vgpr32
	s_and_saveexec_b64 s[10:11], s[40:41]
	s_xor_b64 s[42:43], exec, s[10:11]
	s_cbranch_execz .LBB255_80
; %bb.79:                               ;   in Loop: Header=BB255_4 Depth=1
	v_lshrrev_b32_e32 v2, 23, v19
	v_add_u32_e32 v2, 0xffffff88, v2
	v_cmp_lt_u32_e32 vcc, 63, v2
	v_cndmask_b32_e32 v32, 0, v28, vcc
	v_add_u32_e32 v2, v32, v2
	v_cmp_lt_u32_e64 s[10:11], 31, v2
	v_cndmask_b32_e64 v32, 0, v29, s[10:11]
	v_add_u32_e32 v2, v32, v2
	v_cmp_lt_u32_e64 s[12:13], 31, v2
	v_cndmask_b32_e64 v32, 0, v29, s[12:13]
	v_add_u32_e32 v46, v32, v2
	v_and_b32_e32 v2, 0x7fffff, v19
	v_or_b32_e32 v44, 0x800000, v2
	v_mad_u64_u32 v[32:33], s[14:15], v44, s51, 0
	v_mov_b32_e32 v2, v33
	v_mad_u64_u32 v[34:35], s[14:15], v44, s52, v[2:3]
	v_mov_b32_e32 v2, v35
	;; [unrolled: 2-line block ×6, first 2 shown]
	v_mad_u64_u32 v[44:45], s[14:15], v44, s57, v[2:3]
	v_cndmask_b32_e32 v33, v42, v38, vcc
	v_cndmask_b32_e32 v2, v44, v40, vcc
	;; [unrolled: 1-line block ×3, first 2 shown]
	v_cndmask_b32_e64 v35, v2, v33, s[10:11]
	v_cndmask_b32_e64 v2, v37, v2, s[10:11]
	v_cndmask_b32_e32 v37, v40, v36, vcc
	v_cndmask_b32_e64 v33, v33, v37, s[10:11]
	v_cndmask_b32_e32 v34, v38, v34, vcc
	v_cndmask_b32_e64 v2, v2, v35, s[12:13]
	v_cndmask_b32_e64 v35, v35, v33, s[12:13]
	v_sub_u32_e32 v39, 32, v46
	v_cndmask_b32_e64 v37, v37, v34, s[10:11]
	v_alignbit_b32 v40, v2, v35, v39
	v_cmp_eq_u32_e64 s[14:15], 0, v46
	v_cndmask_b32_e64 v33, v33, v37, s[12:13]
	v_cndmask_b32_e32 v32, v36, v32, vcc
	v_cndmask_b32_e64 v2, v40, v2, s[14:15]
	v_alignbit_b32 v38, v35, v33, v39
	v_cndmask_b32_e64 v32, v34, v32, s[10:11]
	v_cndmask_b32_e64 v35, v38, v35, s[14:15]
	v_bfe_u32 v41, v2, 29, 1
	v_cndmask_b32_e64 v32, v37, v32, s[12:13]
	v_alignbit_b32 v38, v2, v35, 30
	v_sub_u32_e32 v42, 0, v41
	v_alignbit_b32 v34, v33, v32, v39
	v_xor_b32_e32 v43, v38, v42
	v_cndmask_b32_e64 v33, v34, v33, s[14:15]
	v_alignbit_b32 v34, v35, v33, 30
	v_ffbh_u32_e32 v35, v43
	v_add_u32_e32 v35, 1, v35
	v_cmp_ne_u32_e32 vcc, v38, v42
	v_cndmask_b32_e32 v35, 33, v35, vcc
	v_alignbit_b32 v32, v33, v32, 30
	v_xor_b32_e32 v34, v34, v42
	v_sub_u32_e32 v36, 32, v35
	v_xor_b32_e32 v32, v32, v42
	v_alignbit_b32 v37, v43, v34, v36
	v_alignbit_b32 v32, v34, v32, v36
	;; [unrolled: 1-line block ×3, first 2 shown]
	v_ffbh_u32_e32 v34, v33
	v_min_u32_e32 v34, 32, v34
	v_lshrrev_b32_e32 v40, 29, v2
	v_sub_u32_e32 v36, 31, v34
	v_alignbit_b32 v32, v33, v32, v36
	v_lshlrev_b32_e32 v33, 31, v40
	v_or_b32_e32 v36, 0x33800000, v33
	v_add_lshl_u32 v34, v34, v35, 23
	v_lshrrev_b32_e32 v32, 9, v32
	v_sub_u32_e32 v34, v36, v34
	v_or_b32_e32 v32, v34, v32
	v_alignbit_b32 v34, v35, v37, 9
	v_or_b32_e32 v33, v34, v33
	v_xor_b32_e32 v33, 1.0, v33
	v_mul_f32_e32 v34, 0x3fc90fda, v33
	v_fma_f32 v35, v33, s58, -v34
	v_fmac_f32_e32 v35, 0x33a22168, v33
	v_fmac_f32_e32 v35, 0x3fc90fda, v32
	v_lshrrev_b32_e32 v2, 30, v2
	v_add_f32_e32 v32, v34, v35
	v_add_u32_e32 v33, v41, v2
	s_andn2_saveexec_b64 s[10:11], s[42:43]
	s_branch .LBB255_81
.LBB255_80:                             ;   in Loop: Header=BB255_4 Depth=1
	s_andn2_saveexec_b64 s[10:11], s[42:43]
.LBB255_81:                             ;   in Loop: Header=BB255_4 Depth=1
	v_mul_f32_e64 v2, |v17|, s59
	v_rndne_f32_e32 v2, v2
	v_cvt_i32_f32_e32 v33, v2
	v_fma_f32 v32, v2, s60, |v17|
	v_fmac_f32_e32 v32, 0xb3a22168, v2
	v_fmac_f32_e32 v32, 0xa7c234c4, v2
; %bb.82:                               ;   in Loop: Header=BB255_4 Depth=1
	s_or_b64 exec, exec, s[10:11]
                                        ; implicit-def: $vgpr34
                                        ; implicit-def: $vgpr35
	s_and_saveexec_b64 s[10:11], s[40:41]
	s_xor_b64 s[40:41], exec, s[10:11]
	s_cbranch_execz .LBB255_84
; %bb.83:                               ;   in Loop: Header=BB255_4 Depth=1
	v_lshrrev_b32_e32 v2, 23, v19
	v_add_u32_e32 v2, 0xffffff88, v2
	v_cmp_lt_u32_e32 vcc, 63, v2
	v_cndmask_b32_e32 v34, 0, v28, vcc
	v_add_u32_e32 v2, v34, v2
	v_cmp_lt_u32_e64 s[10:11], 31, v2
	v_cndmask_b32_e64 v34, 0, v29, s[10:11]
	v_add_u32_e32 v2, v34, v2
	v_cmp_lt_u32_e64 s[12:13], 31, v2
	v_cndmask_b32_e64 v34, 0, v29, s[12:13]
	v_add_u32_e32 v48, v34, v2
	v_and_b32_e32 v2, 0x7fffff, v19
	v_or_b32_e32 v46, 0x800000, v2
	v_mad_u64_u32 v[34:35], s[14:15], v46, s51, 0
	v_mov_b32_e32 v2, v35
	v_mad_u64_u32 v[36:37], s[14:15], v46, s52, v[2:3]
	v_mov_b32_e32 v2, v37
	;; [unrolled: 2-line block ×6, first 2 shown]
	v_mad_u64_u32 v[46:47], s[14:15], v46, s57, v[2:3]
	v_cndmask_b32_e32 v35, v44, v40, vcc
	v_cndmask_b32_e32 v2, v46, v42, vcc
	;; [unrolled: 1-line block ×3, first 2 shown]
	v_cndmask_b32_e64 v37, v2, v35, s[10:11]
	v_cndmask_b32_e64 v2, v39, v2, s[10:11]
	v_cndmask_b32_e32 v39, v42, v38, vcc
	v_cndmask_b32_e64 v35, v35, v39, s[10:11]
	v_cndmask_b32_e32 v36, v40, v36, vcc
	v_cndmask_b32_e64 v2, v2, v37, s[12:13]
	v_cndmask_b32_e64 v37, v37, v35, s[12:13]
	v_sub_u32_e32 v41, 32, v48
	v_cndmask_b32_e64 v39, v39, v36, s[10:11]
	v_alignbit_b32 v42, v2, v37, v41
	v_cmp_eq_u32_e64 s[14:15], 0, v48
	v_cndmask_b32_e64 v35, v35, v39, s[12:13]
	v_cndmask_b32_e32 v34, v38, v34, vcc
	v_cndmask_b32_e64 v2, v42, v2, s[14:15]
	v_alignbit_b32 v40, v37, v35, v41
	v_cndmask_b32_e64 v34, v36, v34, s[10:11]
	v_cndmask_b32_e64 v37, v40, v37, s[14:15]
	v_bfe_u32 v43, v2, 29, 1
	v_cndmask_b32_e64 v34, v39, v34, s[12:13]
	v_alignbit_b32 v40, v2, v37, 30
	v_sub_u32_e32 v44, 0, v43
	v_alignbit_b32 v36, v35, v34, v41
	v_xor_b32_e32 v45, v40, v44
	v_cndmask_b32_e64 v35, v36, v35, s[14:15]
	v_alignbit_b32 v36, v37, v35, 30
	v_ffbh_u32_e32 v37, v45
	v_add_u32_e32 v37, 1, v37
	v_cmp_ne_u32_e32 vcc, v40, v44
	v_cndmask_b32_e32 v37, 33, v37, vcc
	v_alignbit_b32 v34, v35, v34, 30
	v_xor_b32_e32 v36, v36, v44
	v_sub_u32_e32 v38, 32, v37
	v_xor_b32_e32 v34, v34, v44
	v_alignbit_b32 v39, v45, v36, v38
	v_alignbit_b32 v34, v36, v34, v38
	;; [unrolled: 1-line block ×3, first 2 shown]
	v_ffbh_u32_e32 v36, v35
	v_min_u32_e32 v36, 32, v36
	v_lshrrev_b32_e32 v42, 29, v2
	v_sub_u32_e32 v38, 31, v36
	v_alignbit_b32 v34, v35, v34, v38
	v_lshlrev_b32_e32 v35, 31, v42
	v_or_b32_e32 v38, 0x33800000, v35
	v_add_lshl_u32 v36, v36, v37, 23
	v_lshrrev_b32_e32 v34, 9, v34
	v_sub_u32_e32 v36, v38, v36
	v_or_b32_e32 v34, v36, v34
	v_alignbit_b32 v36, v37, v39, 9
	v_or_b32_e32 v35, v36, v35
	v_xor_b32_e32 v35, 1.0, v35
	v_mul_f32_e32 v36, 0x3fc90fda, v35
	v_fma_f32 v37, v35, s58, -v36
	v_fmac_f32_e32 v37, 0x33a22168, v35
	v_fmac_f32_e32 v37, 0x3fc90fda, v34
	v_lshrrev_b32_e32 v2, 30, v2
	v_add_f32_e32 v35, v36, v37
	v_add_u32_e32 v34, v43, v2
	s_andn2_saveexec_b64 s[10:11], s[40:41]
	s_cbranch_execnz .LBB255_85
	s_branch .LBB255_86
.LBB255_84:                             ;   in Loop: Header=BB255_4 Depth=1
	s_andn2_saveexec_b64 s[10:11], s[40:41]
.LBB255_85:                             ;   in Loop: Header=BB255_4 Depth=1
	v_mul_f32_e64 v2, |v17|, s59
	v_rndne_f32_e32 v2, v2
	v_cvt_i32_f32_e32 v34, v2
	v_fma_f32 v35, v2, s60, |v17|
	v_fmac_f32_e32 v35, 0xb3a22168, v2
	v_fmac_f32_e32 v35, 0xa7c234c4, v2
.LBB255_86:                             ;   in Loop: Header=BB255_4 Depth=1
	s_or_b64 exec, exec, s[10:11]
	v_mul_f32_e32 v36, v32, v32
	v_mov_b32_e32 v37, 0xbab64f3b
	v_fmac_f32_e32 v37, 0x37d75334, v36
	v_mov_b32_e32 v38, 0x3c0881c4
	v_fma_f32 v37, v36, v37, v26
	v_fmac_f32_e32 v38, 0xb94c1982, v36
	v_fma_f32 v37, v36, v37, v27
	v_fma_f32 v38, v36, v38, v25
	v_lshlrev_b32_e32 v2, 30, v33
	v_and_b32_e32 v33, 1, v33
	v_fma_f32 v37, v36, v37, 1.0
	v_mul_f32_e32 v36, v36, v38
	v_sub_f32_e32 v16, 0xc322e3bc, v16
	v_fmac_f32_e32 v32, v32, v36
	v_cmp_eq_u32_e32 vcc, 0, v33
	v_mul_f32_e32 v33, 0x3fb8aa3b, v16
	v_cndmask_b32_e64 v32, -v32, v37, vcc
	v_fma_f32 v36, v16, s65, -v33
	v_rndne_f32_e32 v37, v33
	v_fmac_f32_e32 v36, 0x32a5705f, v16
	v_sub_f32_e32 v33, v33, v37
	v_add_f32_e32 v33, v33, v36
	v_exp_f32_e32 v33, v33
	v_cvt_i32_f32_e32 v36, v37
	v_cmp_class_f32_e64 vcc, v17, s64
	v_cmp_ngt_f32_e64 s[10:11], s66, v16
	v_and_b32_e32 v2, 0x80000000, v2
	v_ldexp_f32 v17, v33, v36
	v_cndmask_b32_e64 v17, 0, v17, s[10:11]
	v_cmp_nlt_f32_e64 s[10:11], s67, v16
	v_cndmask_b32_e64 v16, v30, v17, s[10:11]
	v_and_b32_e32 v17, 0x7fffff, v16
	v_lshrrev_b32_e32 v16, 23, v16
	v_subrev_u32_e32 v16, 19, v16
	v_xor_b32_e32 v2, v2, v32
	v_lshrrev_b16_e32 v32, 15, v16
	v_add_u16_e32 v32, v16, v32
	v_ashrrev_i16_e32 v32, 1, v32
	v_bfe_i32 v32, v32, 0, 16
	v_lshl_add_u32 v33, v32, 23, 1.0
	v_sub_u32_e32 v16, v16, v32
	v_mul_f32_e32 v32, v35, v35
	v_mov_b32_e32 v36, 0x3c0881c4
	v_fmac_f32_e32 v36, 0xb94c1982, v32
	v_fma_f32 v36, v32, v36, v25
	v_mul_f32_e32 v36, v32, v36
	v_fmac_f32_e32 v35, v35, v36
	v_mov_b32_e32 v36, 0xbab64f3b
	v_fmac_f32_e32 v36, 0x37d75334, v32
	v_fma_f32 v36, v32, v36, v26
	v_fma_f32 v36, v32, v36, v27
	v_fma_f32 v32, v32, v36, 1.0
	v_and_b32_e32 v36, 1, v34
	v_cmp_eq_u32_e64 s[10:11], 0, v36
	v_lshlrev_b32_e32 v34, 30, v34
	v_cndmask_b32_e64 v32, v32, v35, s[10:11]
	v_and_or_b32 v19, v34, s47, v19
	v_xor_b32_e32 v19, v19, v32
	v_xor_b32_e32 v18, v19, v18
	v_cndmask_b32_e32 v2, v31, v2, vcc
	v_or_b32_e32 v17, 0x7f000000, v17
	v_cndmask_b32_e32 v18, v31, v18, vcc
	v_mul_f32_e32 v2, v2, v17
	v_mul_f32_e32 v17, v18, v17
	;; [unrolled: 1-line block ×3, first 2 shown]
	v_lshl_add_u32 v16, v16, 23, 1.0
	v_mul_f32_e32 v17, v17, v33
	v_mul_f32_e32 v2, v2, v16
	;; [unrolled: 1-line block ×3, first 2 shown]
.LBB255_87:                             ;   in Loop: Header=BB255_4 Depth=1
	s_or_b64 exec, exec, s[38:39]
                                        ; implicit-def: $vgpr32
                                        ; implicit-def: $vgpr16
                                        ; implicit-def: $vgpr33
.LBB255_88:                             ;   in Loop: Header=BB255_4 Depth=1
	s_andn2_saveexec_b64 s[10:11], s[36:37]
	s_cbranch_execz .LBB255_94
; %bb.89:                               ;   in Loop: Header=BB255_4 Depth=1
	v_cmp_ne_u32_e32 vcc, s48, v33
	v_sub_f32_e32 v18, v17, v17
	s_and_saveexec_b64 s[12:13], vcc
	s_xor_b64 s[12:13], exec, s[12:13]
; %bb.90:                               ;   in Loop: Header=BB255_4 Depth=1
                                        ; implicit-def: $vgpr32
                                        ; implicit-def: $vgpr16
; %bb.91:                               ;   in Loop: Header=BB255_4 Depth=1
	s_or_saveexec_b64 s[12:13], s[12:13]
	v_mov_b32_e32 v2, v18
	s_xor_b64 exec, exec, s[12:13]
; %bb.92:                               ;   in Loop: Header=BB255_4 Depth=1
	v_cmp_lt_i32_e32 vcc, -1, v32
	v_cndmask_b32_e64 v2, 0, -v16, vcc
	v_cndmask_b32_e32 v18, 0, v18, vcc
; %bb.93:                               ;   in Loop: Header=BB255_4 Depth=1
	s_or_b64 exec, exec, s[12:13]
.LBB255_94:                             ;   in Loop: Header=BB255_4 Depth=1
	s_or_b64 exec, exec, s[10:11]
                                        ; implicit-def: $vgpr17
                                        ; implicit-def: $vgpr19
.LBB255_95:                             ;   in Loop: Header=BB255_4 Depth=1
	s_andn2_saveexec_b64 s[34:35], s[34:35]
	s_cbranch_execz .LBB255_105
; %bb.96:                               ;   in Loop: Header=BB255_4 Depth=1
	v_lshrrev_b32_e32 v2, 23, v19
	v_and_b32_e32 v16, 0x7fffff, v19
	v_cmp_nlt_f32_e64 s[36:37], |v17|, s50
	v_add_u32_e32 v34, 0xffffff88, v2
	v_or_b32_e32 v33, 0x800000, v16
                                        ; implicit-def: $vgpr16
                                        ; implicit-def: $vgpr32
	s_and_saveexec_b64 s[10:11], s[36:37]
	s_xor_b64 s[38:39], exec, s[10:11]
	s_cbranch_execz .LBB255_98
; %bb.97:                               ;   in Loop: Header=BB255_4 Depth=1
	v_cmp_lt_u32_e32 vcc, 63, v34
	v_cndmask_b32_e32 v2, 0, v28, vcc
	v_add_u32_e32 v2, v2, v34
	v_cmp_lt_u32_e64 s[10:11], 31, v2
	v_cndmask_b32_e64 v16, 0, v29, s[10:11]
	v_add_u32_e32 v2, v16, v2
	v_cmp_lt_u32_e64 s[12:13], 31, v2
	v_cndmask_b32_e64 v16, 0, v29, s[12:13]
	v_mad_u64_u32 v[36:37], s[14:15], v33, s51, 0
	v_add_u32_e32 v16, v16, v2
	v_mov_b32_e32 v2, v37
	v_mad_u64_u32 v[38:39], s[14:15], v33, s52, v[2:3]
	v_mov_b32_e32 v2, v39
	v_mad_u64_u32 v[40:41], s[14:15], v33, s53, v[2:3]
	;; [unrolled: 2-line block ×6, first 2 shown]
	v_cndmask_b32_e32 v32, v46, v42, vcc
	v_cndmask_b32_e32 v2, v48, v44, vcc
	v_cndmask_b32_e32 v37, v49, v46, vcc
	v_cndmask_b32_e64 v35, v2, v32, s[10:11]
	v_cndmask_b32_e64 v2, v37, v2, s[10:11]
	v_cndmask_b32_e32 v37, v44, v40, vcc
	v_cndmask_b32_e64 v32, v32, v37, s[10:11]
	v_sub_u32_e32 v39, 32, v16
	v_cmp_eq_u32_e64 s[14:15], 0, v16
	v_cndmask_b32_e32 v16, v42, v38, vcc
	v_cndmask_b32_e64 v2, v2, v35, s[12:13]
	v_cndmask_b32_e64 v35, v35, v32, s[12:13]
	;; [unrolled: 1-line block ×3, first 2 shown]
	v_alignbit_b32 v41, v2, v35, v39
	v_cndmask_b32_e64 v32, v32, v37, s[12:13]
	v_cndmask_b32_e64 v2, v41, v2, s[14:15]
	v_alignbit_b32 v38, v35, v32, v39
	v_cndmask_b32_e32 v36, v40, v36, vcc
	v_cndmask_b32_e64 v35, v38, v35, s[14:15]
	v_bfe_u32 v42, v2, 29, 1
	v_cndmask_b32_e64 v16, v16, v36, s[10:11]
	v_alignbit_b32 v38, v2, v35, 30
	v_sub_u32_e32 v43, 0, v42
	v_cndmask_b32_e64 v16, v37, v16, s[12:13]
	v_xor_b32_e32 v44, v38, v43
	v_alignbit_b32 v36, v32, v16, v39
	v_cndmask_b32_e64 v32, v36, v32, s[14:15]
	v_ffbh_u32_e32 v36, v44
	v_add_u32_e32 v36, 1, v36
	v_cmp_ne_u32_e32 vcc, v38, v43
	v_alignbit_b32 v35, v35, v32, 30
	v_cndmask_b32_e32 v36, 33, v36, vcc
	v_alignbit_b32 v16, v32, v16, 30
	v_xor_b32_e32 v35, v35, v43
	v_sub_u32_e32 v37, 32, v36
	v_xor_b32_e32 v16, v16, v43
	v_alignbit_b32 v38, v44, v35, v37
	v_alignbit_b32 v16, v35, v16, v37
	;; [unrolled: 1-line block ×3, first 2 shown]
	v_ffbh_u32_e32 v35, v32
	v_min_u32_e32 v35, 32, v35
	v_lshrrev_b32_e32 v41, 29, v2
	v_sub_u32_e32 v37, 31, v35
	v_alignbit_b32 v16, v32, v16, v37
	v_lshlrev_b32_e32 v32, 31, v41
	v_or_b32_e32 v37, 0x33800000, v32
	v_add_lshl_u32 v35, v35, v36, 23
	v_lshrrev_b32_e32 v16, 9, v16
	v_sub_u32_e32 v35, v37, v35
	v_or_b32_e32 v16, v35, v16
	v_alignbit_b32 v35, v36, v38, 9
	v_or_b32_e32 v32, v35, v32
	v_xor_b32_e32 v32, 1.0, v32
	v_mul_f32_e32 v35, 0x3fc90fda, v32
	v_fma_f32 v36, v32, s58, -v35
	v_fmac_f32_e32 v36, 0x33a22168, v32
	v_fmac_f32_e32 v36, 0x3fc90fda, v16
	v_lshrrev_b32_e32 v2, 30, v2
	v_add_f32_e32 v32, v35, v36
	v_add_u32_e32 v16, v42, v2
.LBB255_98:                             ;   in Loop: Header=BB255_4 Depth=1
	s_or_saveexec_b64 s[10:11], s[38:39]
	v_mul_f32_e64 v2, |v17|, s59
	v_rndne_f32_e32 v2, v2
	s_xor_b64 exec, exec, s[10:11]
; %bb.99:                               ;   in Loop: Header=BB255_4 Depth=1
	v_cvt_i32_f32_e32 v16, v2
	v_fma_f32 v32, v2, s60, |v17|
	v_fmac_f32_e32 v32, 0xb3a22168, v2
	v_fmac_f32_e32 v32, 0xa7c234c4, v2
; %bb.100:                              ;   in Loop: Header=BB255_4 Depth=1
	s_or_b64 exec, exec, s[10:11]
                                        ; implicit-def: $vgpr35
                                        ; implicit-def: $vgpr36
	s_and_saveexec_b64 s[10:11], s[36:37]
	s_xor_b64 s[36:37], exec, s[10:11]
	s_cbranch_execz .LBB255_102
; %bb.101:                              ;   in Loop: Header=BB255_4 Depth=1
	v_cmp_lt_u32_e32 vcc, 63, v34
	v_cndmask_b32_e32 v2, 0, v28, vcc
	v_add_u32_e32 v2, v2, v34
	v_cmp_lt_u32_e64 s[10:11], 31, v2
	v_cndmask_b32_e64 v34, 0, v29, s[10:11]
	v_add_u32_e32 v2, v34, v2
	v_cmp_lt_u32_e64 s[12:13], 31, v2
	v_cndmask_b32_e64 v34, 0, v29, s[12:13]
	v_add_u32_e32 v48, v34, v2
	v_mad_u64_u32 v[34:35], s[14:15], v33, s51, 0
	v_mov_b32_e32 v2, v35
	v_mad_u64_u32 v[36:37], s[14:15], v33, s52, v[2:3]
	v_mov_b32_e32 v2, v37
	;; [unrolled: 2-line block ×6, first 2 shown]
	v_mad_u64_u32 v[46:47], s[14:15], v33, s57, v[2:3]
	v_cndmask_b32_e32 v35, v44, v40, vcc
	v_cndmask_b32_e32 v2, v46, v42, vcc
	;; [unrolled: 1-line block ×3, first 2 shown]
	v_cndmask_b32_e64 v33, v2, v35, s[10:11]
	v_cndmask_b32_e64 v2, v37, v2, s[10:11]
	v_cndmask_b32_e32 v37, v42, v38, vcc
	v_cndmask_b32_e64 v35, v35, v37, s[10:11]
	v_cndmask_b32_e32 v36, v40, v36, vcc
	v_cndmask_b32_e64 v2, v2, v33, s[12:13]
	v_cndmask_b32_e64 v33, v33, v35, s[12:13]
	v_sub_u32_e32 v39, 32, v48
	v_cndmask_b32_e64 v37, v37, v36, s[10:11]
	v_alignbit_b32 v41, v2, v33, v39
	v_cmp_eq_u32_e64 s[14:15], 0, v48
	v_cndmask_b32_e64 v35, v35, v37, s[12:13]
	v_cndmask_b32_e64 v2, v41, v2, s[14:15]
	v_alignbit_b32 v40, v33, v35, v39
	v_cndmask_b32_e32 v34, v38, v34, vcc
	v_cndmask_b32_e64 v33, v40, v33, s[14:15]
	v_bfe_u32 v42, v2, 29, 1
	v_cndmask_b32_e64 v34, v36, v34, s[10:11]
	v_alignbit_b32 v40, v2, v33, 30
	v_sub_u32_e32 v43, 0, v42
	v_cndmask_b32_e64 v34, v37, v34, s[12:13]
	v_xor_b32_e32 v44, v40, v43
	v_alignbit_b32 v36, v35, v34, v39
	v_cndmask_b32_e64 v35, v36, v35, s[14:15]
	v_ffbh_u32_e32 v36, v44
	v_add_u32_e32 v36, 1, v36
	v_cmp_ne_u32_e32 vcc, v40, v43
	v_alignbit_b32 v33, v33, v35, 30
	v_cndmask_b32_e32 v36, 33, v36, vcc
	v_alignbit_b32 v34, v35, v34, 30
	v_xor_b32_e32 v33, v33, v43
	v_sub_u32_e32 v37, 32, v36
	v_xor_b32_e32 v34, v34, v43
	v_alignbit_b32 v38, v44, v33, v37
	v_alignbit_b32 v33, v33, v34, v37
	v_alignbit_b32 v34, v38, v33, 9
	v_ffbh_u32_e32 v35, v34
	v_min_u32_e32 v35, 32, v35
	v_lshrrev_b32_e32 v41, 29, v2
	v_sub_u32_e32 v37, 31, v35
	v_alignbit_b32 v33, v34, v33, v37
	v_lshlrev_b32_e32 v34, 31, v41
	v_or_b32_e32 v37, 0x33800000, v34
	v_add_lshl_u32 v35, v35, v36, 23
	v_lshrrev_b32_e32 v33, 9, v33
	v_sub_u32_e32 v35, v37, v35
	v_or_b32_e32 v33, v35, v33
	v_alignbit_b32 v35, v36, v38, 9
	v_or_b32_e32 v34, v35, v34
	v_xor_b32_e32 v34, 1.0, v34
	v_mul_f32_e32 v35, 0x3fc90fda, v34
	v_fma_f32 v36, v34, s58, -v35
	v_fmac_f32_e32 v36, 0x33a22168, v34
	v_fmac_f32_e32 v36, 0x3fc90fda, v33
	v_lshrrev_b32_e32 v2, 30, v2
	v_add_f32_e32 v36, v35, v36
	v_add_u32_e32 v35, v42, v2
                                        ; implicit-def: $vgpr2
	s_andn2_saveexec_b64 s[10:11], s[36:37]
	s_cbranch_execnz .LBB255_103
	s_branch .LBB255_104
.LBB255_102:                            ;   in Loop: Header=BB255_4 Depth=1
	s_andn2_saveexec_b64 s[10:11], s[36:37]
.LBB255_103:                            ;   in Loop: Header=BB255_4 Depth=1
	v_cvt_i32_f32_e32 v35, v2
	v_fma_f32 v36, v2, s60, |v17|
	v_fmac_f32_e32 v36, 0xb3a22168, v2
	v_fmac_f32_e32 v36, 0xa7c234c4, v2
.LBB255_104:                            ;   in Loop: Header=BB255_4 Depth=1
	s_or_b64 exec, exec, s[10:11]
	v_mul_f32_e32 v2, v32, v32
	v_mov_b32_e32 v33, 0x3c0881c4
	v_fmac_f32_e32 v33, 0xb94c1982, v2
	v_fma_f32 v33, v2, v33, v25
	v_mul_f32_e32 v33, v2, v33
	v_fmac_f32_e32 v32, v32, v33
	v_mov_b32_e32 v33, 0xbab64f3b
	v_fmac_f32_e32 v33, 0x37d75334, v2
	v_fma_f32 v33, v2, v33, v26
	v_fma_f32 v33, v2, v33, v27
	v_fma_f32 v2, v2, v33, 1.0
	v_and_b32_e32 v33, 1, v16
	v_cmp_eq_u32_e32 vcc, 0, v33
	v_lshlrev_b32_e32 v16, 30, v16
	v_cndmask_b32_e64 v2, -v32, v2, vcc
	v_and_b32_e32 v16, 0x80000000, v16
	v_xor_b32_e32 v2, v16, v2
	v_cmp_class_f32_e64 vcc, v17, s64
	v_mul_f32_e32 v16, v36, v36
	v_mov_b32_e32 v17, 0x3c0881c4
	v_fmac_f32_e32 v17, 0xb94c1982, v16
	v_fma_f32 v17, v16, v17, v25
	v_mul_f32_e32 v17, v16, v17
	v_fmac_f32_e32 v36, v36, v17
	v_mov_b32_e32 v17, 0xbab64f3b
	v_fmac_f32_e32 v17, 0x37d75334, v16
	v_fma_f32 v17, v16, v17, v26
	v_fma_f32 v17, v16, v17, v27
	v_fma_f32 v16, v16, v17, 1.0
	v_and_b32_e32 v17, 1, v35
	v_cmp_eq_u32_e64 s[10:11], 0, v17
	v_lshlrev_b32_e32 v17, 30, v35
	v_cndmask_b32_e64 v16, v16, v36, s[10:11]
	v_and_or_b32 v17, v17, s47, v19
	v_xor_b32_e32 v16, v17, v16
	v_xor_b32_e32 v16, v16, v18
	v_cndmask_b32_e32 v2, v31, v2, vcc
	v_cndmask_b32_e32 v18, v31, v16, vcc
.LBB255_105:                            ;   in Loop: Header=BB255_4 Depth=1
	s_or_b64 exec, exec, s[34:35]
                                        ; implicit-def: $vgpr16
.LBB255_106:                            ;   in Loop: Header=BB255_4 Depth=1
	s_andn2_saveexec_b64 s[10:11], s[30:31]
	s_cbranch_execz .LBB255_108
; %bb.107:                              ;   in Loop: Header=BB255_4 Depth=1
	v_mul_f32_e32 v2, 0xbfb8aa3b, v16
	v_rndne_f32_e32 v17, v2
	v_sub_f32_e32 v19, v2, v17
	v_fma_f32 v2, v16, s61, -v2
	v_fmac_f32_e32 v2, 0xb2a5705f, v16
	v_add_f32_e32 v2, v19, v2
	v_cvt_i32_f32_e32 v17, v17
	v_exp_f32_e32 v2, v2
	v_cmp_nlt_f32_e32 vcc, s62, v16
	v_ldexp_f32 v2, v2, v17
	v_cndmask_b32_e32 v2, 0, v2, vcc
	v_cmp_ngt_f32_e32 vcc, s63, v16
	v_cndmask_b32_e32 v2, v30, v2, vcc
.LBB255_108:                            ;   in Loop: Header=BB255_4 Depth=1
	s_or_b64 exec, exec, s[10:11]
	v_add_f32_e32 v19, s16, v2
	v_add_f32_e32 v2, s17, v18
	v_cmp_gt_f32_e32 vcc, 0, v19
	v_cndmask_b32_e64 v32, v19, -v19, vcc
	v_cmp_gt_f32_e32 vcc, 0, v2
	v_cndmask_b32_e64 v18, v2, -v2, vcc
	v_cmp_ge_f32_e32 vcc, v32, v18
                                        ; implicit-def: $vgpr17
	s_and_saveexec_b64 s[10:11], vcc
	s_xor_b64 s[12:13], exec, s[10:11]
	s_cbranch_execz .LBB255_114
; %bb.109:                              ;   in Loop: Header=BB255_4 Depth=1
	v_cmp_neq_f32_e32 vcc, 0, v19
	v_cmp_neq_f32_e64 s[10:11], 0, v2
	s_or_b64 s[10:11], vcc, s[10:11]
                                        ; implicit-def: $vgpr17
	s_and_saveexec_b64 s[14:15], s[10:11]
	s_xor_b64 s[10:11], exec, s[14:15]
	s_cbranch_execz .LBB255_111
; %bb.110:                              ;   in Loop: Header=BB255_4 Depth=1
	v_div_scale_f32 v16, s[14:15], v19, v19, v2
	v_rcp_f32_e32 v17, v16
	v_div_scale_f32 v18, vcc, v2, v19, v2
	v_fma_f32 v32, -v16, v17, 1.0
	v_fmac_f32_e32 v17, v32, v17
	v_mul_f32_e32 v32, v18, v17
	v_fma_f32 v33, -v16, v32, v18
	v_fmac_f32_e32 v32, v33, v17
	v_fma_f32 v16, -v16, v32, v18
	v_div_fmas_f32 v16, v16, v17, v32
	v_div_fixup_f32 v17, v16, v19, v2
	v_fmac_f32_e32 v19, v2, v17
	v_div_scale_f32 v2, s[14:15], v19, v19, 1.0
	v_rcp_f32_e32 v16, v2
	v_fma_f32 v18, -v2, v16, 1.0
	v_fmac_f32_e32 v16, v18, v16
	v_div_scale_f32 v18, vcc, 1.0, v19, 1.0
	v_mul_f32_e32 v32, v18, v16
	v_fma_f32 v33, -v2, v32, v18
	v_fmac_f32_e32 v32, v33, v16
	v_fma_f32 v2, -v2, v32, v18
	v_div_fmas_f32 v2, v2, v16, v32
	v_mov_b32_e32 v16, s16
	v_mov_b32_e32 v18, s17
	v_div_fixup_f32 v2, v2, v19, 1.0
	v_fma_f32 v16, s17, v17, v16
	v_fma_f32 v17, -v17, s16, v18
	v_mul_f32_e32 v16, v16, v2
	v_mul_f32_e32 v17, v17, v2
                                        ; implicit-def: $vgpr32
                                        ; implicit-def: $vgpr18
.LBB255_111:                            ;   in Loop: Header=BB255_4 Depth=1
	s_andn2_saveexec_b64 s[10:11], s[10:11]
	s_cbranch_execz .LBB255_113
; %bb.112:                              ;   in Loop: Header=BB255_4 Depth=1
	v_div_scale_f32 v2, s[14:15], v32, v32, s16
	v_rcp_f32_e32 v16, v2
	v_div_scale_f32 v17, vcc, s16, v32, s16
	v_fma_f32 v19, -v2, v16, 1.0
	v_fmac_f32_e32 v16, v19, v16
	v_mul_f32_e32 v19, v17, v16
	v_fma_f32 v33, -v2, v19, v17
	v_fmac_f32_e32 v19, v33, v16
	v_fma_f32 v2, -v2, v19, v17
	v_div_scale_f32 v17, s[14:15], v18, v18, s17
	v_rcp_f32_e32 v33, v17
	v_div_fmas_f32 v2, v2, v16, v19
	v_div_fixup_f32 v16, v2, v32, s16
	v_fma_f32 v2, -v17, v33, 1.0
	v_fmac_f32_e32 v33, v2, v33
	v_div_scale_f32 v2, vcc, s17, v18, s17
	v_mul_f32_e32 v19, v2, v33
	v_fma_f32 v32, -v17, v19, v2
	v_fmac_f32_e32 v19, v32, v33
	v_fma_f32 v2, -v17, v19, v2
	v_div_fmas_f32 v2, v2, v33, v19
	v_div_fixup_f32 v17, v2, v18, s17
.LBB255_113:                            ;   in Loop: Header=BB255_4 Depth=1
	s_or_b64 exec, exec, s[10:11]
                                        ; implicit-def: $vgpr2
                                        ; implicit-def: $vgpr19
.LBB255_114:                            ;   in Loop: Header=BB255_4 Depth=1
	s_andn2_saveexec_b64 s[10:11], s[12:13]
	s_cbranch_execz .LBB255_116
; %bb.115:                              ;   in Loop: Header=BB255_4 Depth=1
	v_div_scale_f32 v16, s[12:13], v2, v2, v19
	v_rcp_f32_e32 v17, v16
	v_div_scale_f32 v18, vcc, v19, v2, v19
	v_fma_f32 v32, -v16, v17, 1.0
	v_fmac_f32_e32 v17, v32, v17
	v_mul_f32_e32 v32, v18, v17
	v_fma_f32 v33, -v16, v32, v18
	v_fmac_f32_e32 v32, v33, v17
	v_fma_f32 v16, -v16, v32, v18
	v_div_fmas_f32 v16, v16, v17, v32
	v_div_fixup_f32 v17, v16, v2, v19
	v_fmac_f32_e32 v2, v19, v17
	v_div_scale_f32 v16, s[12:13], v2, v2, 1.0
	v_rcp_f32_e32 v18, v16
	v_fma_f32 v19, -v16, v18, 1.0
	v_fmac_f32_e32 v18, v19, v18
	v_div_scale_f32 v19, vcc, 1.0, v2, 1.0
	v_mul_f32_e32 v32, v19, v18
	v_fma_f32 v33, -v16, v32, v19
	v_fmac_f32_e32 v32, v33, v18
	v_fma_f32 v16, -v16, v32, v19
	v_div_fmas_f32 v16, v16, v18, v32
	v_div_fixup_f32 v2, v16, v2, 1.0
	v_mov_b32_e32 v16, s17
	v_mov_b32_e32 v18, s16
	v_fma_f32 v16, s16, v17, v16
	v_fma_f32 v17, v17, s17, -v18
	v_mul_f32_e32 v16, v16, v2
	v_mul_f32_e32 v17, v17, v2
.LBB255_116:                            ;   in Loop: Header=BB255_4 Depth=1
	s_or_b64 exec, exec, s[10:11]
	v_and_b32_e32 v19, 0x7fffffff, v15
	v_xor_b32_e32 v18, 0x80000000, v15
	v_cmp_ne_u32_e32 vcc, 0, v19
                                        ; implicit-def: $vgpr2
	s_and_saveexec_b64 s[10:11], vcc
	s_xor_b64 s[30:31], exec, s[10:11]
	s_cbranch_execz .LBB255_158
; %bb.117:                              ;   in Loop: Header=BB255_4 Depth=1
	v_and_b32_e32 v33, 0x7fffffff, v14
	v_cmp_ne_u32_e32 vcc, 0, v33
                                        ; implicit-def: $vgpr2
	s_and_saveexec_b64 s[10:11], vcc
	s_xor_b64 s[34:35], exec, s[10:11]
	s_cbranch_execz .LBB255_147
; %bb.118:                              ;   in Loop: Header=BB255_4 Depth=1
	v_xor_b32_e32 v32, 0x80000000, v14
	v_cmp_gt_u32_e32 vcc, s48, v19
                                        ; implicit-def: $vgpr2
	s_and_saveexec_b64 s[10:11], vcc
	s_xor_b64 s[36:37], exec, s[10:11]
	s_cbranch_execz .LBB255_140
; %bb.119:                              ;   in Loop: Header=BB255_4 Depth=1
	v_add_u32_e32 v2, 0xbd4e8de8, v32
	v_cmp_lt_u32_e32 vcc, s49, v2
                                        ; implicit-def: $vgpr2
	s_and_saveexec_b64 s[10:11], vcc
	s_xor_b64 s[38:39], exec, s[10:11]
	s_cbranch_execz .LBB255_129
; %bb.120:                              ;   in Loop: Header=BB255_4 Depth=1
	v_cmp_nlt_f32_e64 s[40:41], |v15|, s50
                                        ; implicit-def: $vgpr32
                                        ; implicit-def: $vgpr33
	s_and_saveexec_b64 s[10:11], s[40:41]
	s_xor_b64 s[42:43], exec, s[10:11]
	s_cbranch_execz .LBB255_122
; %bb.121:                              ;   in Loop: Header=BB255_4 Depth=1
	v_lshrrev_b32_e32 v2, 23, v19
	v_add_u32_e32 v2, 0xffffff88, v2
	v_cmp_lt_u32_e32 vcc, 63, v2
	v_cndmask_b32_e32 v32, 0, v28, vcc
	v_add_u32_e32 v2, v32, v2
	v_cmp_lt_u32_e64 s[10:11], 31, v2
	v_cndmask_b32_e64 v32, 0, v29, s[10:11]
	v_add_u32_e32 v2, v32, v2
	v_cmp_lt_u32_e64 s[12:13], 31, v2
	v_cndmask_b32_e64 v32, 0, v29, s[12:13]
	v_add_u32_e32 v46, v32, v2
	v_and_b32_e32 v2, 0x7fffff, v19
	v_or_b32_e32 v44, 0x800000, v2
	v_mad_u64_u32 v[32:33], s[14:15], v44, s51, 0
	v_mov_b32_e32 v2, v33
	v_mad_u64_u32 v[34:35], s[14:15], v44, s52, v[2:3]
	v_mov_b32_e32 v2, v35
	;; [unrolled: 2-line block ×6, first 2 shown]
	v_mad_u64_u32 v[44:45], s[14:15], v44, s57, v[2:3]
	v_cndmask_b32_e32 v33, v42, v38, vcc
	v_cndmask_b32_e32 v2, v44, v40, vcc
	;; [unrolled: 1-line block ×3, first 2 shown]
	v_cndmask_b32_e64 v35, v2, v33, s[10:11]
	v_cndmask_b32_e64 v2, v37, v2, s[10:11]
	v_cndmask_b32_e32 v37, v40, v36, vcc
	v_cndmask_b32_e64 v33, v33, v37, s[10:11]
	v_cndmask_b32_e32 v34, v38, v34, vcc
	v_cndmask_b32_e64 v2, v2, v35, s[12:13]
	v_cndmask_b32_e64 v35, v35, v33, s[12:13]
	v_sub_u32_e32 v39, 32, v46
	v_cndmask_b32_e64 v37, v37, v34, s[10:11]
	v_alignbit_b32 v40, v2, v35, v39
	v_cmp_eq_u32_e64 s[14:15], 0, v46
	v_cndmask_b32_e64 v33, v33, v37, s[12:13]
	v_cndmask_b32_e32 v32, v36, v32, vcc
	v_cndmask_b32_e64 v2, v40, v2, s[14:15]
	v_alignbit_b32 v38, v35, v33, v39
	v_cndmask_b32_e64 v32, v34, v32, s[10:11]
	v_cndmask_b32_e64 v35, v38, v35, s[14:15]
	v_bfe_u32 v41, v2, 29, 1
	v_cndmask_b32_e64 v32, v37, v32, s[12:13]
	v_alignbit_b32 v38, v2, v35, 30
	v_sub_u32_e32 v42, 0, v41
	v_alignbit_b32 v34, v33, v32, v39
	v_xor_b32_e32 v43, v38, v42
	v_cndmask_b32_e64 v33, v34, v33, s[14:15]
	v_alignbit_b32 v34, v35, v33, 30
	v_ffbh_u32_e32 v35, v43
	v_add_u32_e32 v35, 1, v35
	v_cmp_ne_u32_e32 vcc, v38, v42
	v_cndmask_b32_e32 v35, 33, v35, vcc
	v_alignbit_b32 v32, v33, v32, 30
	v_xor_b32_e32 v34, v34, v42
	v_sub_u32_e32 v36, 32, v35
	v_xor_b32_e32 v32, v32, v42
	v_alignbit_b32 v37, v43, v34, v36
	v_alignbit_b32 v32, v34, v32, v36
	;; [unrolled: 1-line block ×3, first 2 shown]
	v_ffbh_u32_e32 v34, v33
	v_min_u32_e32 v34, 32, v34
	v_lshrrev_b32_e32 v40, 29, v2
	v_sub_u32_e32 v36, 31, v34
	v_alignbit_b32 v32, v33, v32, v36
	v_lshlrev_b32_e32 v33, 31, v40
	v_or_b32_e32 v36, 0x33800000, v33
	v_add_lshl_u32 v34, v34, v35, 23
	v_lshrrev_b32_e32 v32, 9, v32
	v_sub_u32_e32 v34, v36, v34
	v_or_b32_e32 v32, v34, v32
	v_alignbit_b32 v34, v35, v37, 9
	v_or_b32_e32 v33, v34, v33
	v_xor_b32_e32 v33, 1.0, v33
	v_mul_f32_e32 v34, 0x3fc90fda, v33
	v_fma_f32 v35, v33, s58, -v34
	v_fmac_f32_e32 v35, 0x33a22168, v33
	v_fmac_f32_e32 v35, 0x3fc90fda, v32
	v_lshrrev_b32_e32 v2, 30, v2
	v_add_f32_e32 v33, v34, v35
	v_add_u32_e32 v32, v41, v2
	s_andn2_saveexec_b64 s[10:11], s[42:43]
	s_branch .LBB255_123
.LBB255_122:                            ;   in Loop: Header=BB255_4 Depth=1
	s_andn2_saveexec_b64 s[10:11], s[42:43]
.LBB255_123:                            ;   in Loop: Header=BB255_4 Depth=1
	v_mul_f32_e64 v2, |v15|, s59
	v_rndne_f32_e32 v2, v2
	v_cvt_i32_f32_e32 v32, v2
	v_fma_f32 v33, v2, s60, |v15|
	v_fmac_f32_e32 v33, 0xb3a22168, v2
	v_fmac_f32_e32 v33, 0xa7c234c4, v2
; %bb.124:                              ;   in Loop: Header=BB255_4 Depth=1
	s_or_b64 exec, exec, s[10:11]
                                        ; implicit-def: $vgpr34
                                        ; implicit-def: $vgpr35
	s_and_saveexec_b64 s[10:11], s[40:41]
	s_xor_b64 s[40:41], exec, s[10:11]
	s_cbranch_execz .LBB255_126
; %bb.125:                              ;   in Loop: Header=BB255_4 Depth=1
	v_lshrrev_b32_e32 v2, 23, v19
	v_add_u32_e32 v2, 0xffffff88, v2
	v_cmp_lt_u32_e32 vcc, 63, v2
	v_cndmask_b32_e32 v34, 0, v28, vcc
	v_add_u32_e32 v2, v34, v2
	v_cmp_lt_u32_e64 s[10:11], 31, v2
	v_cndmask_b32_e64 v34, 0, v29, s[10:11]
	v_add_u32_e32 v2, v34, v2
	v_cmp_lt_u32_e64 s[12:13], 31, v2
	v_cndmask_b32_e64 v34, 0, v29, s[12:13]
	v_add_u32_e32 v48, v34, v2
	v_and_b32_e32 v2, 0x7fffff, v19
	v_or_b32_e32 v46, 0x800000, v2
	v_mad_u64_u32 v[34:35], s[14:15], v46, s51, 0
	v_mov_b32_e32 v2, v35
	v_mad_u64_u32 v[36:37], s[14:15], v46, s52, v[2:3]
	v_mov_b32_e32 v2, v37
	;; [unrolled: 2-line block ×6, first 2 shown]
	v_mad_u64_u32 v[46:47], s[14:15], v46, s57, v[2:3]
	v_cndmask_b32_e32 v35, v44, v40, vcc
	v_cndmask_b32_e32 v2, v46, v42, vcc
	;; [unrolled: 1-line block ×3, first 2 shown]
	v_cndmask_b32_e64 v37, v2, v35, s[10:11]
	v_cndmask_b32_e64 v2, v39, v2, s[10:11]
	v_cndmask_b32_e32 v39, v42, v38, vcc
	v_cndmask_b32_e64 v35, v35, v39, s[10:11]
	v_cndmask_b32_e32 v36, v40, v36, vcc
	v_cndmask_b32_e64 v2, v2, v37, s[12:13]
	v_cndmask_b32_e64 v37, v37, v35, s[12:13]
	v_sub_u32_e32 v41, 32, v48
	v_cndmask_b32_e64 v39, v39, v36, s[10:11]
	v_alignbit_b32 v42, v2, v37, v41
	v_cmp_eq_u32_e64 s[14:15], 0, v48
	v_cndmask_b32_e64 v35, v35, v39, s[12:13]
	v_cndmask_b32_e32 v34, v38, v34, vcc
	v_cndmask_b32_e64 v2, v42, v2, s[14:15]
	v_alignbit_b32 v40, v37, v35, v41
	v_cndmask_b32_e64 v34, v36, v34, s[10:11]
	v_cndmask_b32_e64 v37, v40, v37, s[14:15]
	v_bfe_u32 v43, v2, 29, 1
	v_cndmask_b32_e64 v34, v39, v34, s[12:13]
	v_alignbit_b32 v40, v2, v37, 30
	v_sub_u32_e32 v44, 0, v43
	v_alignbit_b32 v36, v35, v34, v41
	v_xor_b32_e32 v45, v40, v44
	v_cndmask_b32_e64 v35, v36, v35, s[14:15]
	v_alignbit_b32 v36, v37, v35, 30
	v_ffbh_u32_e32 v37, v45
	v_add_u32_e32 v37, 1, v37
	v_cmp_ne_u32_e32 vcc, v40, v44
	v_cndmask_b32_e32 v37, 33, v37, vcc
	v_alignbit_b32 v34, v35, v34, 30
	v_xor_b32_e32 v36, v36, v44
	v_sub_u32_e32 v38, 32, v37
	v_xor_b32_e32 v34, v34, v44
	v_alignbit_b32 v39, v45, v36, v38
	v_alignbit_b32 v34, v36, v34, v38
	;; [unrolled: 1-line block ×3, first 2 shown]
	v_ffbh_u32_e32 v36, v35
	v_min_u32_e32 v36, 32, v36
	v_lshrrev_b32_e32 v42, 29, v2
	v_sub_u32_e32 v38, 31, v36
	v_alignbit_b32 v34, v35, v34, v38
	v_lshlrev_b32_e32 v35, 31, v42
	v_or_b32_e32 v38, 0x33800000, v35
	v_add_lshl_u32 v36, v36, v37, 23
	v_lshrrev_b32_e32 v34, 9, v34
	v_sub_u32_e32 v36, v38, v36
	v_or_b32_e32 v34, v36, v34
	v_alignbit_b32 v36, v37, v39, 9
	v_or_b32_e32 v35, v36, v35
	v_xor_b32_e32 v35, 1.0, v35
	v_mul_f32_e32 v36, 0x3fc90fda, v35
	v_fma_f32 v37, v35, s58, -v36
	v_fmac_f32_e32 v37, 0x33a22168, v35
	v_fmac_f32_e32 v37, 0x3fc90fda, v34
	v_lshrrev_b32_e32 v2, 30, v2
	v_add_f32_e32 v35, v36, v37
	v_add_u32_e32 v34, v43, v2
	s_andn2_saveexec_b64 s[10:11], s[40:41]
	s_cbranch_execnz .LBB255_127
	s_branch .LBB255_128
.LBB255_126:                            ;   in Loop: Header=BB255_4 Depth=1
	s_andn2_saveexec_b64 s[10:11], s[40:41]
.LBB255_127:                            ;   in Loop: Header=BB255_4 Depth=1
	v_mul_f32_e64 v2, |v15|, s59
	v_rndne_f32_e32 v2, v2
	v_cvt_i32_f32_e32 v34, v2
	v_fma_f32 v35, v2, s60, |v15|
	v_fmac_f32_e32 v35, 0xb3a22168, v2
	v_fmac_f32_e32 v35, 0xa7c234c4, v2
.LBB255_128:                            ;   in Loop: Header=BB255_4 Depth=1
	s_or_b64 exec, exec, s[10:11]
	v_mul_f32_e32 v2, 0xbfb8aa3b, v14
	v_rndne_f32_e32 v36, v2
	v_sub_f32_e32 v37, v2, v36
	v_fma_f32 v2, v14, s61, -v2
	v_fmac_f32_e32 v2, 0xb2a5705f, v14
	v_add_f32_e32 v2, v37, v2
	v_cvt_i32_f32_e32 v36, v36
	v_exp_f32_e32 v2, v2
	v_cmp_nlt_f32_e32 vcc, s62, v14
	v_ldexp_f32 v2, v2, v36
	v_cndmask_b32_e32 v2, 0, v2, vcc
	v_cmp_ngt_f32_e32 vcc, s63, v14
	v_cndmask_b32_e32 v14, v30, v2, vcc
	v_mul_f32_e32 v2, v33, v33
	v_mov_b32_e32 v36, 0x3c0881c4
	v_fmac_f32_e32 v36, 0xb94c1982, v2
	v_fma_f32 v36, v2, v36, v25
	v_mul_f32_e32 v36, v2, v36
	v_fmac_f32_e32 v33, v33, v36
	v_mov_b32_e32 v36, 0xbab64f3b
	v_fmac_f32_e32 v36, 0x37d75334, v2
	v_fma_f32 v36, v2, v36, v26
	v_fma_f32 v36, v2, v36, v27
	v_fma_f32 v2, v2, v36, 1.0
	v_and_b32_e32 v36, 1, v32
	v_cmp_eq_u32_e32 vcc, 0, v36
	v_lshlrev_b32_e32 v32, 30, v32
	v_cndmask_b32_e64 v2, -v33, v2, vcc
	v_and_b32_e32 v32, 0x80000000, v32
	v_xor_b32_e32 v2, v32, v2
	v_cmp_class_f32_e64 vcc, v15, s64
	v_mul_f32_e32 v15, v35, v35
	v_mov_b32_e32 v32, 0x3c0881c4
	v_fmac_f32_e32 v32, 0xb94c1982, v15
	v_fma_f32 v32, v15, v32, v25
	v_mul_f32_e32 v32, v15, v32
	v_fmac_f32_e32 v35, v35, v32
	v_mov_b32_e32 v32, 0xbab64f3b
	v_fmac_f32_e32 v32, 0x37d75334, v15
	v_fma_f32 v32, v15, v32, v26
	v_fma_f32 v32, v15, v32, v27
	v_fma_f32 v15, v15, v32, 1.0
	v_and_b32_e32 v32, 1, v34
	v_cmp_eq_u32_e64 s[10:11], 0, v32
	v_lshlrev_b32_e32 v32, 30, v34
	v_cndmask_b32_e64 v15, v15, v35, s[10:11]
	v_and_or_b32 v19, v32, s47, v19
	v_xor_b32_e32 v15, v19, v15
	v_xor_b32_e32 v15, v15, v18
	v_cndmask_b32_e32 v2, v31, v2, vcc
	v_cndmask_b32_e32 v15, v31, v15, vcc
	v_mul_f32_e32 v2, v14, v2
	v_mul_f32_e32 v18, v14, v15
                                        ; implicit-def: $vgpr15
                                        ; implicit-def: $vgpr19
.LBB255_129:                            ;   in Loop: Header=BB255_4 Depth=1
	s_andn2_saveexec_b64 s[38:39], s[38:39]
	s_cbranch_execz .LBB255_139
; %bb.130:                              ;   in Loop: Header=BB255_4 Depth=1
	v_cmp_nlt_f32_e64 s[40:41], |v15|, s50
                                        ; implicit-def: $vgpr33
                                        ; implicit-def: $vgpr32
	s_and_saveexec_b64 s[10:11], s[40:41]
	s_xor_b64 s[42:43], exec, s[10:11]
	s_cbranch_execz .LBB255_132
; %bb.131:                              ;   in Loop: Header=BB255_4 Depth=1
	v_lshrrev_b32_e32 v2, 23, v19
	v_add_u32_e32 v2, 0xffffff88, v2
	v_cmp_lt_u32_e32 vcc, 63, v2
	v_cndmask_b32_e32 v32, 0, v28, vcc
	v_add_u32_e32 v2, v32, v2
	v_cmp_lt_u32_e64 s[10:11], 31, v2
	v_cndmask_b32_e64 v32, 0, v29, s[10:11]
	v_add_u32_e32 v2, v32, v2
	v_cmp_lt_u32_e64 s[12:13], 31, v2
	v_cndmask_b32_e64 v32, 0, v29, s[12:13]
	v_add_u32_e32 v46, v32, v2
	v_and_b32_e32 v2, 0x7fffff, v19
	v_or_b32_e32 v44, 0x800000, v2
	v_mad_u64_u32 v[32:33], s[14:15], v44, s51, 0
	v_mov_b32_e32 v2, v33
	v_mad_u64_u32 v[34:35], s[14:15], v44, s52, v[2:3]
	v_mov_b32_e32 v2, v35
	;; [unrolled: 2-line block ×6, first 2 shown]
	v_mad_u64_u32 v[44:45], s[14:15], v44, s57, v[2:3]
	v_cndmask_b32_e32 v33, v42, v38, vcc
	v_cndmask_b32_e32 v2, v44, v40, vcc
	;; [unrolled: 1-line block ×3, first 2 shown]
	v_cndmask_b32_e64 v35, v2, v33, s[10:11]
	v_cndmask_b32_e64 v2, v37, v2, s[10:11]
	v_cndmask_b32_e32 v37, v40, v36, vcc
	v_cndmask_b32_e64 v33, v33, v37, s[10:11]
	v_cndmask_b32_e32 v34, v38, v34, vcc
	v_cndmask_b32_e64 v2, v2, v35, s[12:13]
	v_cndmask_b32_e64 v35, v35, v33, s[12:13]
	v_sub_u32_e32 v39, 32, v46
	v_cndmask_b32_e64 v37, v37, v34, s[10:11]
	v_alignbit_b32 v40, v2, v35, v39
	v_cmp_eq_u32_e64 s[14:15], 0, v46
	v_cndmask_b32_e64 v33, v33, v37, s[12:13]
	v_cndmask_b32_e32 v32, v36, v32, vcc
	v_cndmask_b32_e64 v2, v40, v2, s[14:15]
	v_alignbit_b32 v38, v35, v33, v39
	v_cndmask_b32_e64 v32, v34, v32, s[10:11]
	v_cndmask_b32_e64 v35, v38, v35, s[14:15]
	v_bfe_u32 v41, v2, 29, 1
	v_cndmask_b32_e64 v32, v37, v32, s[12:13]
	v_alignbit_b32 v38, v2, v35, 30
	v_sub_u32_e32 v42, 0, v41
	v_alignbit_b32 v34, v33, v32, v39
	v_xor_b32_e32 v43, v38, v42
	v_cndmask_b32_e64 v33, v34, v33, s[14:15]
	v_alignbit_b32 v34, v35, v33, 30
	v_ffbh_u32_e32 v35, v43
	v_add_u32_e32 v35, 1, v35
	v_cmp_ne_u32_e32 vcc, v38, v42
	v_cndmask_b32_e32 v35, 33, v35, vcc
	v_alignbit_b32 v32, v33, v32, 30
	v_xor_b32_e32 v34, v34, v42
	v_sub_u32_e32 v36, 32, v35
	v_xor_b32_e32 v32, v32, v42
	v_alignbit_b32 v37, v43, v34, v36
	v_alignbit_b32 v32, v34, v32, v36
	v_alignbit_b32 v33, v37, v32, 9
	v_ffbh_u32_e32 v34, v33
	v_min_u32_e32 v34, 32, v34
	v_lshrrev_b32_e32 v40, 29, v2
	v_sub_u32_e32 v36, 31, v34
	v_alignbit_b32 v32, v33, v32, v36
	v_lshlrev_b32_e32 v33, 31, v40
	v_or_b32_e32 v36, 0x33800000, v33
	v_add_lshl_u32 v34, v34, v35, 23
	v_lshrrev_b32_e32 v32, 9, v32
	v_sub_u32_e32 v34, v36, v34
	v_or_b32_e32 v32, v34, v32
	v_alignbit_b32 v34, v35, v37, 9
	v_or_b32_e32 v33, v34, v33
	v_xor_b32_e32 v33, 1.0, v33
	v_mul_f32_e32 v34, 0x3fc90fda, v33
	v_fma_f32 v35, v33, s58, -v34
	v_fmac_f32_e32 v35, 0x33a22168, v33
	v_fmac_f32_e32 v35, 0x3fc90fda, v32
	v_lshrrev_b32_e32 v2, 30, v2
	v_add_f32_e32 v32, v34, v35
	v_add_u32_e32 v33, v41, v2
	s_andn2_saveexec_b64 s[10:11], s[42:43]
	s_branch .LBB255_133
.LBB255_132:                            ;   in Loop: Header=BB255_4 Depth=1
	s_andn2_saveexec_b64 s[10:11], s[42:43]
.LBB255_133:                            ;   in Loop: Header=BB255_4 Depth=1
	v_mul_f32_e64 v2, |v15|, s59
	v_rndne_f32_e32 v2, v2
	v_cvt_i32_f32_e32 v33, v2
	v_fma_f32 v32, v2, s60, |v15|
	v_fmac_f32_e32 v32, 0xb3a22168, v2
	v_fmac_f32_e32 v32, 0xa7c234c4, v2
; %bb.134:                              ;   in Loop: Header=BB255_4 Depth=1
	s_or_b64 exec, exec, s[10:11]
                                        ; implicit-def: $vgpr34
                                        ; implicit-def: $vgpr35
	s_and_saveexec_b64 s[10:11], s[40:41]
	s_xor_b64 s[40:41], exec, s[10:11]
	s_cbranch_execz .LBB255_136
; %bb.135:                              ;   in Loop: Header=BB255_4 Depth=1
	v_lshrrev_b32_e32 v2, 23, v19
	v_add_u32_e32 v2, 0xffffff88, v2
	v_cmp_lt_u32_e32 vcc, 63, v2
	v_cndmask_b32_e32 v34, 0, v28, vcc
	v_add_u32_e32 v2, v34, v2
	v_cmp_lt_u32_e64 s[10:11], 31, v2
	v_cndmask_b32_e64 v34, 0, v29, s[10:11]
	v_add_u32_e32 v2, v34, v2
	v_cmp_lt_u32_e64 s[12:13], 31, v2
	v_cndmask_b32_e64 v34, 0, v29, s[12:13]
	v_add_u32_e32 v48, v34, v2
	v_and_b32_e32 v2, 0x7fffff, v19
	v_or_b32_e32 v46, 0x800000, v2
	v_mad_u64_u32 v[34:35], s[14:15], v46, s51, 0
	v_mov_b32_e32 v2, v35
	v_mad_u64_u32 v[36:37], s[14:15], v46, s52, v[2:3]
	v_mov_b32_e32 v2, v37
	;; [unrolled: 2-line block ×6, first 2 shown]
	v_mad_u64_u32 v[46:47], s[14:15], v46, s57, v[2:3]
	v_cndmask_b32_e32 v35, v44, v40, vcc
	v_cndmask_b32_e32 v2, v46, v42, vcc
	;; [unrolled: 1-line block ×3, first 2 shown]
	v_cndmask_b32_e64 v37, v2, v35, s[10:11]
	v_cndmask_b32_e64 v2, v39, v2, s[10:11]
	v_cndmask_b32_e32 v39, v42, v38, vcc
	v_cndmask_b32_e64 v35, v35, v39, s[10:11]
	v_cndmask_b32_e32 v36, v40, v36, vcc
	v_cndmask_b32_e64 v2, v2, v37, s[12:13]
	v_cndmask_b32_e64 v37, v37, v35, s[12:13]
	v_sub_u32_e32 v41, 32, v48
	v_cndmask_b32_e64 v39, v39, v36, s[10:11]
	v_alignbit_b32 v42, v2, v37, v41
	v_cmp_eq_u32_e64 s[14:15], 0, v48
	v_cndmask_b32_e64 v35, v35, v39, s[12:13]
	v_cndmask_b32_e32 v34, v38, v34, vcc
	v_cndmask_b32_e64 v2, v42, v2, s[14:15]
	v_alignbit_b32 v40, v37, v35, v41
	v_cndmask_b32_e64 v34, v36, v34, s[10:11]
	v_cndmask_b32_e64 v37, v40, v37, s[14:15]
	v_bfe_u32 v43, v2, 29, 1
	v_cndmask_b32_e64 v34, v39, v34, s[12:13]
	v_alignbit_b32 v40, v2, v37, 30
	v_sub_u32_e32 v44, 0, v43
	v_alignbit_b32 v36, v35, v34, v41
	v_xor_b32_e32 v45, v40, v44
	v_cndmask_b32_e64 v35, v36, v35, s[14:15]
	v_alignbit_b32 v36, v37, v35, 30
	v_ffbh_u32_e32 v37, v45
	v_add_u32_e32 v37, 1, v37
	v_cmp_ne_u32_e32 vcc, v40, v44
	v_cndmask_b32_e32 v37, 33, v37, vcc
	v_alignbit_b32 v34, v35, v34, 30
	v_xor_b32_e32 v36, v36, v44
	v_sub_u32_e32 v38, 32, v37
	v_xor_b32_e32 v34, v34, v44
	v_alignbit_b32 v39, v45, v36, v38
	v_alignbit_b32 v34, v36, v34, v38
	;; [unrolled: 1-line block ×3, first 2 shown]
	v_ffbh_u32_e32 v36, v35
	v_min_u32_e32 v36, 32, v36
	v_lshrrev_b32_e32 v42, 29, v2
	v_sub_u32_e32 v38, 31, v36
	v_alignbit_b32 v34, v35, v34, v38
	v_lshlrev_b32_e32 v35, 31, v42
	v_or_b32_e32 v38, 0x33800000, v35
	v_add_lshl_u32 v36, v36, v37, 23
	v_lshrrev_b32_e32 v34, 9, v34
	v_sub_u32_e32 v36, v38, v36
	v_or_b32_e32 v34, v36, v34
	v_alignbit_b32 v36, v37, v39, 9
	v_or_b32_e32 v35, v36, v35
	v_xor_b32_e32 v35, 1.0, v35
	v_mul_f32_e32 v36, 0x3fc90fda, v35
	v_fma_f32 v37, v35, s58, -v36
	v_fmac_f32_e32 v37, 0x33a22168, v35
	v_fmac_f32_e32 v37, 0x3fc90fda, v34
	v_lshrrev_b32_e32 v2, 30, v2
	v_add_f32_e32 v35, v36, v37
	v_add_u32_e32 v34, v43, v2
	s_andn2_saveexec_b64 s[10:11], s[40:41]
	s_cbranch_execnz .LBB255_137
	s_branch .LBB255_138
.LBB255_136:                            ;   in Loop: Header=BB255_4 Depth=1
	s_andn2_saveexec_b64 s[10:11], s[40:41]
.LBB255_137:                            ;   in Loop: Header=BB255_4 Depth=1
	v_mul_f32_e64 v2, |v15|, s59
	v_rndne_f32_e32 v2, v2
	v_cvt_i32_f32_e32 v34, v2
	v_fma_f32 v35, v2, s60, |v15|
	v_fmac_f32_e32 v35, 0xb3a22168, v2
	v_fmac_f32_e32 v35, 0xa7c234c4, v2
.LBB255_138:                            ;   in Loop: Header=BB255_4 Depth=1
	s_or_b64 exec, exec, s[10:11]
	v_mul_f32_e32 v36, v32, v32
	v_mov_b32_e32 v37, 0xbab64f3b
	v_fmac_f32_e32 v37, 0x37d75334, v36
	v_mov_b32_e32 v38, 0x3c0881c4
	v_fma_f32 v37, v36, v37, v26
	v_fmac_f32_e32 v38, 0xb94c1982, v36
	v_fma_f32 v37, v36, v37, v27
	v_fma_f32 v38, v36, v38, v25
	v_lshlrev_b32_e32 v2, 30, v33
	v_and_b32_e32 v33, 1, v33
	v_fma_f32 v37, v36, v37, 1.0
	v_mul_f32_e32 v36, v36, v38
	v_sub_f32_e32 v14, 0xc322e3bc, v14
	v_fmac_f32_e32 v32, v32, v36
	v_cmp_eq_u32_e32 vcc, 0, v33
	v_mul_f32_e32 v33, 0x3fb8aa3b, v14
	v_cndmask_b32_e64 v32, -v32, v37, vcc
	v_fma_f32 v36, v14, s65, -v33
	v_rndne_f32_e32 v37, v33
	v_fmac_f32_e32 v36, 0x32a5705f, v14
	v_sub_f32_e32 v33, v33, v37
	v_add_f32_e32 v33, v33, v36
	v_exp_f32_e32 v33, v33
	v_cvt_i32_f32_e32 v36, v37
	v_cmp_class_f32_e64 vcc, v15, s64
	v_cmp_ngt_f32_e64 s[10:11], s66, v14
	v_and_b32_e32 v2, 0x80000000, v2
	v_ldexp_f32 v15, v33, v36
	v_cndmask_b32_e64 v15, 0, v15, s[10:11]
	v_cmp_nlt_f32_e64 s[10:11], s67, v14
	v_cndmask_b32_e64 v14, v30, v15, s[10:11]
	v_and_b32_e32 v15, 0x7fffff, v14
	v_lshrrev_b32_e32 v14, 23, v14
	v_subrev_u32_e32 v14, 19, v14
	v_xor_b32_e32 v2, v2, v32
	v_lshrrev_b16_e32 v32, 15, v14
	v_add_u16_e32 v32, v14, v32
	v_ashrrev_i16_e32 v32, 1, v32
	v_bfe_i32 v32, v32, 0, 16
	v_lshl_add_u32 v33, v32, 23, 1.0
	v_sub_u32_e32 v14, v14, v32
	v_mul_f32_e32 v32, v35, v35
	v_mov_b32_e32 v36, 0x3c0881c4
	v_fmac_f32_e32 v36, 0xb94c1982, v32
	v_fma_f32 v36, v32, v36, v25
	v_mul_f32_e32 v36, v32, v36
	v_fmac_f32_e32 v35, v35, v36
	v_mov_b32_e32 v36, 0xbab64f3b
	v_fmac_f32_e32 v36, 0x37d75334, v32
	v_fma_f32 v36, v32, v36, v26
	v_fma_f32 v36, v32, v36, v27
	v_fma_f32 v32, v32, v36, 1.0
	v_and_b32_e32 v36, 1, v34
	v_cmp_eq_u32_e64 s[10:11], 0, v36
	v_lshlrev_b32_e32 v34, 30, v34
	v_cndmask_b32_e64 v32, v32, v35, s[10:11]
	v_and_or_b32 v19, v34, s47, v19
	v_xor_b32_e32 v19, v19, v32
	v_xor_b32_e32 v18, v19, v18
	v_cndmask_b32_e32 v2, v31, v2, vcc
	v_or_b32_e32 v15, 0x7f000000, v15
	v_cndmask_b32_e32 v18, v31, v18, vcc
	v_mul_f32_e32 v2, v2, v15
	v_mul_f32_e32 v15, v18, v15
	;; [unrolled: 1-line block ×3, first 2 shown]
	v_lshl_add_u32 v14, v14, 23, 1.0
	v_mul_f32_e32 v15, v15, v33
	v_mul_f32_e32 v2, v2, v14
	;; [unrolled: 1-line block ×3, first 2 shown]
.LBB255_139:                            ;   in Loop: Header=BB255_4 Depth=1
	s_or_b64 exec, exec, s[38:39]
                                        ; implicit-def: $vgpr32
                                        ; implicit-def: $vgpr14
                                        ; implicit-def: $vgpr33
.LBB255_140:                            ;   in Loop: Header=BB255_4 Depth=1
	s_andn2_saveexec_b64 s[10:11], s[36:37]
	s_cbranch_execz .LBB255_146
; %bb.141:                              ;   in Loop: Header=BB255_4 Depth=1
	v_cmp_ne_u32_e32 vcc, s48, v33
	v_sub_f32_e32 v18, v15, v15
	s_and_saveexec_b64 s[12:13], vcc
	s_xor_b64 s[12:13], exec, s[12:13]
; %bb.142:                              ;   in Loop: Header=BB255_4 Depth=1
                                        ; implicit-def: $vgpr32
                                        ; implicit-def: $vgpr14
; %bb.143:                              ;   in Loop: Header=BB255_4 Depth=1
	s_or_saveexec_b64 s[12:13], s[12:13]
	v_mov_b32_e32 v2, v18
	s_xor_b64 exec, exec, s[12:13]
; %bb.144:                              ;   in Loop: Header=BB255_4 Depth=1
	v_cmp_lt_i32_e32 vcc, -1, v32
	v_cndmask_b32_e64 v2, 0, -v14, vcc
	v_cndmask_b32_e32 v18, 0, v18, vcc
; %bb.145:                              ;   in Loop: Header=BB255_4 Depth=1
	s_or_b64 exec, exec, s[12:13]
.LBB255_146:                            ;   in Loop: Header=BB255_4 Depth=1
	s_or_b64 exec, exec, s[10:11]
                                        ; implicit-def: $vgpr15
                                        ; implicit-def: $vgpr19
.LBB255_147:                            ;   in Loop: Header=BB255_4 Depth=1
	s_andn2_saveexec_b64 s[34:35], s[34:35]
	s_cbranch_execz .LBB255_157
; %bb.148:                              ;   in Loop: Header=BB255_4 Depth=1
	v_lshrrev_b32_e32 v2, 23, v19
	v_and_b32_e32 v14, 0x7fffff, v19
	v_cmp_nlt_f32_e64 s[36:37], |v15|, s50
	v_add_u32_e32 v34, 0xffffff88, v2
	v_or_b32_e32 v33, 0x800000, v14
                                        ; implicit-def: $vgpr14
                                        ; implicit-def: $vgpr32
	s_and_saveexec_b64 s[10:11], s[36:37]
	s_xor_b64 s[38:39], exec, s[10:11]
	s_cbranch_execz .LBB255_150
; %bb.149:                              ;   in Loop: Header=BB255_4 Depth=1
	v_cmp_lt_u32_e32 vcc, 63, v34
	v_cndmask_b32_e32 v2, 0, v28, vcc
	v_add_u32_e32 v2, v2, v34
	v_cmp_lt_u32_e64 s[10:11], 31, v2
	v_cndmask_b32_e64 v14, 0, v29, s[10:11]
	v_add_u32_e32 v2, v14, v2
	v_cmp_lt_u32_e64 s[12:13], 31, v2
	v_cndmask_b32_e64 v14, 0, v29, s[12:13]
	v_mad_u64_u32 v[36:37], s[14:15], v33, s51, 0
	v_add_u32_e32 v14, v14, v2
	v_mov_b32_e32 v2, v37
	v_mad_u64_u32 v[38:39], s[14:15], v33, s52, v[2:3]
	v_mov_b32_e32 v2, v39
	v_mad_u64_u32 v[40:41], s[14:15], v33, s53, v[2:3]
	;; [unrolled: 2-line block ×6, first 2 shown]
	v_cndmask_b32_e32 v32, v46, v42, vcc
	v_cndmask_b32_e32 v2, v48, v44, vcc
	v_cndmask_b32_e32 v37, v49, v46, vcc
	v_cndmask_b32_e64 v35, v2, v32, s[10:11]
	v_cndmask_b32_e64 v2, v37, v2, s[10:11]
	v_cndmask_b32_e32 v37, v44, v40, vcc
	v_cndmask_b32_e64 v32, v32, v37, s[10:11]
	v_sub_u32_e32 v39, 32, v14
	v_cmp_eq_u32_e64 s[14:15], 0, v14
	v_cndmask_b32_e32 v14, v42, v38, vcc
	v_cndmask_b32_e64 v2, v2, v35, s[12:13]
	v_cndmask_b32_e64 v35, v35, v32, s[12:13]
	;; [unrolled: 1-line block ×3, first 2 shown]
	v_alignbit_b32 v41, v2, v35, v39
	v_cndmask_b32_e64 v32, v32, v37, s[12:13]
	v_cndmask_b32_e64 v2, v41, v2, s[14:15]
	v_alignbit_b32 v38, v35, v32, v39
	v_cndmask_b32_e32 v36, v40, v36, vcc
	v_cndmask_b32_e64 v35, v38, v35, s[14:15]
	v_bfe_u32 v42, v2, 29, 1
	v_cndmask_b32_e64 v14, v14, v36, s[10:11]
	v_alignbit_b32 v38, v2, v35, 30
	v_sub_u32_e32 v43, 0, v42
	v_cndmask_b32_e64 v14, v37, v14, s[12:13]
	v_xor_b32_e32 v44, v38, v43
	v_alignbit_b32 v36, v32, v14, v39
	v_cndmask_b32_e64 v32, v36, v32, s[14:15]
	v_ffbh_u32_e32 v36, v44
	v_add_u32_e32 v36, 1, v36
	v_cmp_ne_u32_e32 vcc, v38, v43
	v_alignbit_b32 v35, v35, v32, 30
	v_cndmask_b32_e32 v36, 33, v36, vcc
	v_alignbit_b32 v14, v32, v14, 30
	v_xor_b32_e32 v35, v35, v43
	v_sub_u32_e32 v37, 32, v36
	v_xor_b32_e32 v14, v14, v43
	v_alignbit_b32 v38, v44, v35, v37
	v_alignbit_b32 v14, v35, v14, v37
	;; [unrolled: 1-line block ×3, first 2 shown]
	v_ffbh_u32_e32 v35, v32
	v_min_u32_e32 v35, 32, v35
	v_lshrrev_b32_e32 v41, 29, v2
	v_sub_u32_e32 v37, 31, v35
	v_alignbit_b32 v14, v32, v14, v37
	v_lshlrev_b32_e32 v32, 31, v41
	v_or_b32_e32 v37, 0x33800000, v32
	v_add_lshl_u32 v35, v35, v36, 23
	v_lshrrev_b32_e32 v14, 9, v14
	v_sub_u32_e32 v35, v37, v35
	v_or_b32_e32 v14, v35, v14
	v_alignbit_b32 v35, v36, v38, 9
	v_or_b32_e32 v32, v35, v32
	v_xor_b32_e32 v32, 1.0, v32
	v_mul_f32_e32 v35, 0x3fc90fda, v32
	v_fma_f32 v36, v32, s58, -v35
	v_fmac_f32_e32 v36, 0x33a22168, v32
	v_fmac_f32_e32 v36, 0x3fc90fda, v14
	v_lshrrev_b32_e32 v2, 30, v2
	v_add_f32_e32 v32, v35, v36
	v_add_u32_e32 v14, v42, v2
.LBB255_150:                            ;   in Loop: Header=BB255_4 Depth=1
	s_or_saveexec_b64 s[10:11], s[38:39]
	v_mul_f32_e64 v2, |v15|, s59
	v_rndne_f32_e32 v2, v2
	s_xor_b64 exec, exec, s[10:11]
; %bb.151:                              ;   in Loop: Header=BB255_4 Depth=1
	v_cvt_i32_f32_e32 v14, v2
	v_fma_f32 v32, v2, s60, |v15|
	v_fmac_f32_e32 v32, 0xb3a22168, v2
	v_fmac_f32_e32 v32, 0xa7c234c4, v2
; %bb.152:                              ;   in Loop: Header=BB255_4 Depth=1
	s_or_b64 exec, exec, s[10:11]
                                        ; implicit-def: $vgpr35
                                        ; implicit-def: $vgpr36
	s_and_saveexec_b64 s[10:11], s[36:37]
	s_xor_b64 s[36:37], exec, s[10:11]
	s_cbranch_execz .LBB255_154
; %bb.153:                              ;   in Loop: Header=BB255_4 Depth=1
	v_cmp_lt_u32_e32 vcc, 63, v34
	v_cndmask_b32_e32 v2, 0, v28, vcc
	v_add_u32_e32 v2, v2, v34
	v_cmp_lt_u32_e64 s[10:11], 31, v2
	v_cndmask_b32_e64 v34, 0, v29, s[10:11]
	v_add_u32_e32 v2, v34, v2
	v_cmp_lt_u32_e64 s[12:13], 31, v2
	v_cndmask_b32_e64 v34, 0, v29, s[12:13]
	v_add_u32_e32 v48, v34, v2
	v_mad_u64_u32 v[34:35], s[14:15], v33, s51, 0
	v_mov_b32_e32 v2, v35
	v_mad_u64_u32 v[36:37], s[14:15], v33, s52, v[2:3]
	v_mov_b32_e32 v2, v37
	;; [unrolled: 2-line block ×6, first 2 shown]
	v_mad_u64_u32 v[46:47], s[14:15], v33, s57, v[2:3]
	v_cndmask_b32_e32 v35, v44, v40, vcc
	v_cndmask_b32_e32 v2, v46, v42, vcc
	;; [unrolled: 1-line block ×3, first 2 shown]
	v_cndmask_b32_e64 v33, v2, v35, s[10:11]
	v_cndmask_b32_e64 v2, v37, v2, s[10:11]
	v_cndmask_b32_e32 v37, v42, v38, vcc
	v_cndmask_b32_e64 v35, v35, v37, s[10:11]
	v_cndmask_b32_e32 v36, v40, v36, vcc
	v_cndmask_b32_e64 v2, v2, v33, s[12:13]
	v_cndmask_b32_e64 v33, v33, v35, s[12:13]
	v_sub_u32_e32 v39, 32, v48
	v_cndmask_b32_e64 v37, v37, v36, s[10:11]
	v_alignbit_b32 v41, v2, v33, v39
	v_cmp_eq_u32_e64 s[14:15], 0, v48
	v_cndmask_b32_e64 v35, v35, v37, s[12:13]
	v_cndmask_b32_e64 v2, v41, v2, s[14:15]
	v_alignbit_b32 v40, v33, v35, v39
	v_cndmask_b32_e32 v34, v38, v34, vcc
	v_cndmask_b32_e64 v33, v40, v33, s[14:15]
	v_bfe_u32 v42, v2, 29, 1
	v_cndmask_b32_e64 v34, v36, v34, s[10:11]
	v_alignbit_b32 v40, v2, v33, 30
	v_sub_u32_e32 v43, 0, v42
	v_cndmask_b32_e64 v34, v37, v34, s[12:13]
	v_xor_b32_e32 v44, v40, v43
	v_alignbit_b32 v36, v35, v34, v39
	v_cndmask_b32_e64 v35, v36, v35, s[14:15]
	v_ffbh_u32_e32 v36, v44
	v_add_u32_e32 v36, 1, v36
	v_cmp_ne_u32_e32 vcc, v40, v43
	v_alignbit_b32 v33, v33, v35, 30
	v_cndmask_b32_e32 v36, 33, v36, vcc
	v_alignbit_b32 v34, v35, v34, 30
	v_xor_b32_e32 v33, v33, v43
	v_sub_u32_e32 v37, 32, v36
	v_xor_b32_e32 v34, v34, v43
	v_alignbit_b32 v38, v44, v33, v37
	v_alignbit_b32 v33, v33, v34, v37
	;; [unrolled: 1-line block ×3, first 2 shown]
	v_ffbh_u32_e32 v35, v34
	v_min_u32_e32 v35, 32, v35
	v_lshrrev_b32_e32 v41, 29, v2
	v_sub_u32_e32 v37, 31, v35
	v_alignbit_b32 v33, v34, v33, v37
	v_lshlrev_b32_e32 v34, 31, v41
	v_or_b32_e32 v37, 0x33800000, v34
	v_add_lshl_u32 v35, v35, v36, 23
	v_lshrrev_b32_e32 v33, 9, v33
	v_sub_u32_e32 v35, v37, v35
	v_or_b32_e32 v33, v35, v33
	v_alignbit_b32 v35, v36, v38, 9
	v_or_b32_e32 v34, v35, v34
	v_xor_b32_e32 v34, 1.0, v34
	v_mul_f32_e32 v35, 0x3fc90fda, v34
	v_fma_f32 v36, v34, s58, -v35
	v_fmac_f32_e32 v36, 0x33a22168, v34
	v_fmac_f32_e32 v36, 0x3fc90fda, v33
	v_lshrrev_b32_e32 v2, 30, v2
	v_add_f32_e32 v36, v35, v36
	v_add_u32_e32 v35, v42, v2
                                        ; implicit-def: $vgpr2
	s_andn2_saveexec_b64 s[10:11], s[36:37]
	s_cbranch_execnz .LBB255_155
	s_branch .LBB255_156
.LBB255_154:                            ;   in Loop: Header=BB255_4 Depth=1
	s_andn2_saveexec_b64 s[10:11], s[36:37]
.LBB255_155:                            ;   in Loop: Header=BB255_4 Depth=1
	v_cvt_i32_f32_e32 v35, v2
	v_fma_f32 v36, v2, s60, |v15|
	v_fmac_f32_e32 v36, 0xb3a22168, v2
	v_fmac_f32_e32 v36, 0xa7c234c4, v2
.LBB255_156:                            ;   in Loop: Header=BB255_4 Depth=1
	s_or_b64 exec, exec, s[10:11]
	v_mul_f32_e32 v2, v32, v32
	v_mov_b32_e32 v33, 0x3c0881c4
	v_fmac_f32_e32 v33, 0xb94c1982, v2
	v_fma_f32 v33, v2, v33, v25
	v_mul_f32_e32 v33, v2, v33
	v_fmac_f32_e32 v32, v32, v33
	v_mov_b32_e32 v33, 0xbab64f3b
	v_fmac_f32_e32 v33, 0x37d75334, v2
	v_fma_f32 v33, v2, v33, v26
	v_fma_f32 v33, v2, v33, v27
	v_fma_f32 v2, v2, v33, 1.0
	v_and_b32_e32 v33, 1, v14
	v_cmp_eq_u32_e32 vcc, 0, v33
	v_lshlrev_b32_e32 v14, 30, v14
	v_cndmask_b32_e64 v2, -v32, v2, vcc
	v_and_b32_e32 v14, 0x80000000, v14
	v_xor_b32_e32 v2, v14, v2
	v_cmp_class_f32_e64 vcc, v15, s64
	v_mul_f32_e32 v14, v36, v36
	v_mov_b32_e32 v15, 0x3c0881c4
	v_fmac_f32_e32 v15, 0xb94c1982, v14
	v_fma_f32 v15, v14, v15, v25
	v_mul_f32_e32 v15, v14, v15
	v_fmac_f32_e32 v36, v36, v15
	v_mov_b32_e32 v15, 0xbab64f3b
	v_fmac_f32_e32 v15, 0x37d75334, v14
	v_fma_f32 v15, v14, v15, v26
	v_fma_f32 v15, v14, v15, v27
	v_fma_f32 v14, v14, v15, 1.0
	v_and_b32_e32 v15, 1, v35
	v_cmp_eq_u32_e64 s[10:11], 0, v15
	v_lshlrev_b32_e32 v15, 30, v35
	v_cndmask_b32_e64 v14, v14, v36, s[10:11]
	v_and_or_b32 v15, v15, s47, v19
	v_xor_b32_e32 v14, v15, v14
	v_xor_b32_e32 v14, v14, v18
	v_cndmask_b32_e32 v2, v31, v2, vcc
	v_cndmask_b32_e32 v18, v31, v14, vcc
.LBB255_157:                            ;   in Loop: Header=BB255_4 Depth=1
	s_or_b64 exec, exec, s[34:35]
                                        ; implicit-def: $vgpr14
.LBB255_158:                            ;   in Loop: Header=BB255_4 Depth=1
	s_andn2_saveexec_b64 s[10:11], s[30:31]
	s_cbranch_execz .LBB255_160
; %bb.159:                              ;   in Loop: Header=BB255_4 Depth=1
	v_mul_f32_e32 v2, 0xbfb8aa3b, v14
	v_rndne_f32_e32 v15, v2
	v_sub_f32_e32 v19, v2, v15
	v_fma_f32 v2, v14, s61, -v2
	v_fmac_f32_e32 v2, 0xb2a5705f, v14
	v_add_f32_e32 v2, v19, v2
	v_cvt_i32_f32_e32 v15, v15
	v_exp_f32_e32 v2, v2
	v_cmp_nlt_f32_e32 vcc, s62, v14
	v_ldexp_f32 v2, v2, v15
	v_cndmask_b32_e32 v2, 0, v2, vcc
	v_cmp_ngt_f32_e32 vcc, s63, v14
	v_cndmask_b32_e32 v2, v30, v2, vcc
.LBB255_160:                            ;   in Loop: Header=BB255_4 Depth=1
	s_or_b64 exec, exec, s[10:11]
	v_add_f32_e32 v19, s16, v2
	v_add_f32_e32 v2, s17, v18
	v_cmp_gt_f32_e32 vcc, 0, v19
	v_cndmask_b32_e64 v32, v19, -v19, vcc
	v_cmp_gt_f32_e32 vcc, 0, v2
	v_cndmask_b32_e64 v18, v2, -v2, vcc
	v_cmp_ge_f32_e32 vcc, v32, v18
                                        ; implicit-def: $vgpr15
	s_and_saveexec_b64 s[10:11], vcc
	s_xor_b64 s[12:13], exec, s[10:11]
	s_cbranch_execz .LBB255_166
; %bb.161:                              ;   in Loop: Header=BB255_4 Depth=1
	v_cmp_neq_f32_e32 vcc, 0, v19
	v_cmp_neq_f32_e64 s[10:11], 0, v2
	s_or_b64 s[10:11], vcc, s[10:11]
                                        ; implicit-def: $vgpr15
	s_and_saveexec_b64 s[14:15], s[10:11]
	s_xor_b64 s[10:11], exec, s[14:15]
	s_cbranch_execz .LBB255_163
; %bb.162:                              ;   in Loop: Header=BB255_4 Depth=1
	v_div_scale_f32 v14, s[14:15], v19, v19, v2
	v_rcp_f32_e32 v15, v14
	v_div_scale_f32 v18, vcc, v2, v19, v2
	v_fma_f32 v32, -v14, v15, 1.0
	v_fmac_f32_e32 v15, v32, v15
	v_mul_f32_e32 v32, v18, v15
	v_fma_f32 v33, -v14, v32, v18
	v_fmac_f32_e32 v32, v33, v15
	v_fma_f32 v14, -v14, v32, v18
	v_div_fmas_f32 v14, v14, v15, v32
	v_div_fixup_f32 v15, v14, v19, v2
	v_fmac_f32_e32 v19, v2, v15
	v_div_scale_f32 v2, s[14:15], v19, v19, 1.0
	v_rcp_f32_e32 v14, v2
	v_fma_f32 v18, -v2, v14, 1.0
	v_fmac_f32_e32 v14, v18, v14
	v_div_scale_f32 v18, vcc, 1.0, v19, 1.0
	v_mul_f32_e32 v32, v18, v14
	v_fma_f32 v33, -v2, v32, v18
	v_fmac_f32_e32 v32, v33, v14
	v_fma_f32 v2, -v2, v32, v18
	v_div_fmas_f32 v2, v2, v14, v32
	v_mov_b32_e32 v14, s16
	v_mov_b32_e32 v18, s17
	v_div_fixup_f32 v2, v2, v19, 1.0
	v_fma_f32 v14, s17, v15, v14
	v_fma_f32 v15, -v15, s16, v18
	v_mul_f32_e32 v14, v14, v2
	v_mul_f32_e32 v15, v15, v2
                                        ; implicit-def: $vgpr32
                                        ; implicit-def: $vgpr18
.LBB255_163:                            ;   in Loop: Header=BB255_4 Depth=1
	s_andn2_saveexec_b64 s[10:11], s[10:11]
	s_cbranch_execz .LBB255_165
; %bb.164:                              ;   in Loop: Header=BB255_4 Depth=1
	v_div_scale_f32 v2, s[14:15], v32, v32, s16
	v_rcp_f32_e32 v14, v2
	v_div_scale_f32 v15, vcc, s16, v32, s16
	v_fma_f32 v19, -v2, v14, 1.0
	v_fmac_f32_e32 v14, v19, v14
	v_mul_f32_e32 v19, v15, v14
	v_fma_f32 v33, -v2, v19, v15
	v_fmac_f32_e32 v19, v33, v14
	v_fma_f32 v2, -v2, v19, v15
	v_div_scale_f32 v15, s[14:15], v18, v18, s17
	v_rcp_f32_e32 v33, v15
	v_div_fmas_f32 v2, v2, v14, v19
	v_div_fixup_f32 v14, v2, v32, s16
	v_fma_f32 v2, -v15, v33, 1.0
	v_fmac_f32_e32 v33, v2, v33
	v_div_scale_f32 v2, vcc, s17, v18, s17
	v_mul_f32_e32 v19, v2, v33
	v_fma_f32 v32, -v15, v19, v2
	v_fmac_f32_e32 v19, v32, v33
	v_fma_f32 v2, -v15, v19, v2
	v_div_fmas_f32 v2, v2, v33, v19
	v_div_fixup_f32 v15, v2, v18, s17
.LBB255_165:                            ;   in Loop: Header=BB255_4 Depth=1
	s_or_b64 exec, exec, s[10:11]
                                        ; implicit-def: $vgpr2
                                        ; implicit-def: $vgpr19
.LBB255_166:                            ;   in Loop: Header=BB255_4 Depth=1
	s_andn2_saveexec_b64 s[10:11], s[12:13]
	s_cbranch_execz .LBB255_168
; %bb.167:                              ;   in Loop: Header=BB255_4 Depth=1
	v_div_scale_f32 v14, s[12:13], v2, v2, v19
	v_rcp_f32_e32 v15, v14
	v_div_scale_f32 v18, vcc, v19, v2, v19
	v_fma_f32 v32, -v14, v15, 1.0
	v_fmac_f32_e32 v15, v32, v15
	v_mul_f32_e32 v32, v18, v15
	v_fma_f32 v33, -v14, v32, v18
	v_fmac_f32_e32 v32, v33, v15
	v_fma_f32 v14, -v14, v32, v18
	v_div_fmas_f32 v14, v14, v15, v32
	v_div_fixup_f32 v15, v14, v2, v19
	v_fmac_f32_e32 v2, v19, v15
	v_div_scale_f32 v14, s[12:13], v2, v2, 1.0
	v_rcp_f32_e32 v18, v14
	v_fma_f32 v19, -v14, v18, 1.0
	v_fmac_f32_e32 v18, v19, v18
	v_div_scale_f32 v19, vcc, 1.0, v2, 1.0
	v_mul_f32_e32 v32, v19, v18
	v_fma_f32 v33, -v14, v32, v19
	v_fmac_f32_e32 v32, v33, v18
	v_fma_f32 v14, -v14, v32, v19
	v_div_fmas_f32 v14, v14, v18, v32
	v_div_fixup_f32 v2, v14, v2, 1.0
	v_mov_b32_e32 v14, s17
	v_mov_b32_e32 v18, s16
	v_fma_f32 v14, s16, v15, v14
	v_fma_f32 v15, v15, s17, -v18
	v_mul_f32_e32 v14, v14, v2
	v_mul_f32_e32 v15, v15, v2
.LBB255_168:                            ;   in Loop: Header=BB255_4 Depth=1
	s_or_b64 exec, exec, s[10:11]
	v_and_b32_e32 v32, 0x7fffffff, v11
	v_xor_b32_e32 v19, 0x80000000, v11
	v_cmp_ne_u32_e32 vcc, 0, v32
	s_and_saveexec_b64 s[10:11], vcc
	s_xor_b64 s[30:31], exec, s[10:11]
	s_cbranch_execz .LBB255_210
; %bb.169:                              ;   in Loop: Header=BB255_4 Depth=1
	v_and_b32_e32 v33, 0x7fffffff, v10
	v_cmp_ne_u32_e32 vcc, 0, v33
	s_and_saveexec_b64 s[10:11], vcc
	s_xor_b64 s[34:35], exec, s[10:11]
	s_cbranch_execz .LBB255_199
; %bb.170:                              ;   in Loop: Header=BB255_4 Depth=1
	v_xor_b32_e32 v2, 0x80000000, v10
	v_cmp_gt_u32_e32 vcc, s48, v32
	s_and_saveexec_b64 s[10:11], vcc
	s_xor_b64 s[36:37], exec, s[10:11]
	s_cbranch_execz .LBB255_192
; %bb.171:                              ;   in Loop: Header=BB255_4 Depth=1
	v_add_u32_e32 v2, 0xbd4e8de8, v2
	v_cmp_lt_u32_e32 vcc, s49, v2
	s_and_saveexec_b64 s[10:11], vcc
	s_xor_b64 s[38:39], exec, s[10:11]
	s_cbranch_execz .LBB255_181
; %bb.172:                              ;   in Loop: Header=BB255_4 Depth=1
	v_cmp_nlt_f32_e64 s[40:41], |v11|, s50
                                        ; implicit-def: $vgpr18
                                        ; implicit-def: $vgpr33
	s_and_saveexec_b64 s[10:11], s[40:41]
	s_xor_b64 s[42:43], exec, s[10:11]
	s_cbranch_execz .LBB255_174
; %bb.173:                              ;   in Loop: Header=BB255_4 Depth=1
	v_lshrrev_b32_e32 v2, 23, v32
	v_add_u32_e32 v2, 0xffffff88, v2
	v_cmp_lt_u32_e32 vcc, 63, v2
	v_cndmask_b32_e32 v18, 0, v28, vcc
	v_add_u32_e32 v2, v18, v2
	v_cmp_lt_u32_e64 s[10:11], 31, v2
	v_cndmask_b32_e64 v18, 0, v29, s[10:11]
	v_add_u32_e32 v2, v18, v2
	v_cmp_lt_u32_e64 s[12:13], 31, v2
	v_cndmask_b32_e64 v18, 0, v29, s[12:13]
	v_add_u32_e32 v18, v18, v2
	v_and_b32_e32 v2, 0x7fffff, v32
	v_or_b32_e32 v33, 0x800000, v2
	v_mad_u64_u32 v[34:35], s[14:15], v33, s51, 0
	v_mov_b32_e32 v2, v35
	v_mad_u64_u32 v[36:37], s[14:15], v33, s52, v[2:3]
	v_mov_b32_e32 v2, v37
	;; [unrolled: 2-line block ×6, first 2 shown]
	v_mad_u64_u32 v[46:47], s[14:15], v33, s57, v[2:3]
	v_cndmask_b32_e32 v35, v44, v40, vcc
	v_cndmask_b32_e32 v2, v46, v42, vcc
	;; [unrolled: 1-line block ×3, first 2 shown]
	v_cndmask_b32_e64 v33, v2, v35, s[10:11]
	v_cndmask_b32_e64 v2, v37, v2, s[10:11]
	v_cndmask_b32_e32 v37, v42, v38, vcc
	v_cndmask_b32_e64 v35, v35, v37, s[10:11]
	v_sub_u32_e32 v39, 32, v18
	v_cmp_eq_u32_e64 s[14:15], 0, v18
	v_cndmask_b32_e32 v18, v40, v36, vcc
	v_cndmask_b32_e64 v2, v2, v33, s[12:13]
	v_cndmask_b32_e64 v33, v33, v35, s[12:13]
	;; [unrolled: 1-line block ×3, first 2 shown]
	v_alignbit_b32 v41, v2, v33, v39
	v_cndmask_b32_e64 v35, v35, v36, s[12:13]
	v_cndmask_b32_e64 v2, v41, v2, s[14:15]
	v_alignbit_b32 v37, v33, v35, v39
	v_cndmask_b32_e32 v34, v38, v34, vcc
	v_cndmask_b32_e64 v33, v37, v33, s[14:15]
	v_bfe_u32 v41, v2, 29, 1
	v_cndmask_b32_e64 v18, v18, v34, s[10:11]
	v_alignbit_b32 v37, v2, v33, 30
	v_sub_u32_e32 v42, 0, v41
	v_cndmask_b32_e64 v18, v36, v18, s[12:13]
	v_xor_b32_e32 v43, v37, v42
	v_alignbit_b32 v34, v35, v18, v39
	v_cndmask_b32_e64 v34, v34, v35, s[14:15]
	v_ffbh_u32_e32 v35, v43
	v_add_u32_e32 v35, 1, v35
	v_cmp_ne_u32_e32 vcc, v37, v42
	v_alignbit_b32 v33, v33, v34, 30
	v_cndmask_b32_e32 v35, 33, v35, vcc
	v_alignbit_b32 v18, v34, v18, 30
	v_xor_b32_e32 v33, v33, v42
	v_sub_u32_e32 v36, 32, v35
	v_xor_b32_e32 v18, v18, v42
	v_alignbit_b32 v37, v43, v33, v36
	v_alignbit_b32 v18, v33, v18, v36
	;; [unrolled: 1-line block ×3, first 2 shown]
	v_ffbh_u32_e32 v34, v33
	v_min_u32_e32 v34, 32, v34
	v_lshrrev_b32_e32 v40, 29, v2
	v_sub_u32_e32 v36, 31, v34
	v_alignbit_b32 v18, v33, v18, v36
	v_lshlrev_b32_e32 v33, 31, v40
	v_or_b32_e32 v36, 0x33800000, v33
	v_add_lshl_u32 v34, v34, v35, 23
	v_lshrrev_b32_e32 v18, 9, v18
	v_sub_u32_e32 v34, v36, v34
	v_or_b32_e32 v18, v34, v18
	v_alignbit_b32 v34, v35, v37, 9
	v_or_b32_e32 v33, v34, v33
	v_xor_b32_e32 v33, 1.0, v33
	v_mul_f32_e32 v34, 0x3fc90fda, v33
	v_fma_f32 v35, v33, s58, -v34
	v_fmac_f32_e32 v35, 0x33a22168, v33
	v_fmac_f32_e32 v35, 0x3fc90fda, v18
	v_lshrrev_b32_e32 v2, 30, v2
	v_add_f32_e32 v33, v34, v35
	v_add_u32_e32 v18, v41, v2
	s_andn2_saveexec_b64 s[10:11], s[42:43]
	s_branch .LBB255_175
.LBB255_174:                            ;   in Loop: Header=BB255_4 Depth=1
	s_andn2_saveexec_b64 s[10:11], s[42:43]
.LBB255_175:                            ;   in Loop: Header=BB255_4 Depth=1
	v_mul_f32_e64 v2, |v11|, s59
	v_rndne_f32_e32 v2, v2
	v_cvt_i32_f32_e32 v18, v2
	v_fma_f32 v33, v2, s60, |v11|
	v_fmac_f32_e32 v33, 0xb3a22168, v2
	v_fmac_f32_e32 v33, 0xa7c234c4, v2
; %bb.176:                              ;   in Loop: Header=BB255_4 Depth=1
	s_or_b64 exec, exec, s[10:11]
                                        ; implicit-def: $vgpr2
                                        ; implicit-def: $vgpr34
	s_and_saveexec_b64 s[10:11], s[40:41]
	s_xor_b64 s[40:41], exec, s[10:11]
	s_cbranch_execz .LBB255_178
; %bb.177:                              ;   in Loop: Header=BB255_4 Depth=1
	v_lshrrev_b32_e32 v2, 23, v32
	v_add_u32_e32 v2, 0xffffff88, v2
	v_cmp_lt_u32_e32 vcc, 63, v2
	v_cndmask_b32_e32 v34, 0, v28, vcc
	v_add_u32_e32 v2, v34, v2
	v_cmp_lt_u32_e64 s[10:11], 31, v2
	v_cndmask_b32_e64 v34, 0, v29, s[10:11]
	v_add_u32_e32 v2, v34, v2
	v_cmp_lt_u32_e64 s[12:13], 31, v2
	v_cndmask_b32_e64 v34, 0, v29, s[12:13]
	v_add_u32_e32 v48, v34, v2
	v_and_b32_e32 v2, 0x7fffff, v32
	v_or_b32_e32 v46, 0x800000, v2
	v_mad_u64_u32 v[34:35], s[14:15], v46, s51, 0
	v_mov_b32_e32 v2, v35
	v_mad_u64_u32 v[36:37], s[14:15], v46, s52, v[2:3]
	v_mov_b32_e32 v2, v37
	;; [unrolled: 2-line block ×6, first 2 shown]
	v_mad_u64_u32 v[46:47], s[14:15], v46, s57, v[2:3]
	v_cndmask_b32_e32 v35, v44, v40, vcc
	v_cndmask_b32_e32 v2, v46, v42, vcc
	;; [unrolled: 1-line block ×3, first 2 shown]
	v_cndmask_b32_e64 v37, v2, v35, s[10:11]
	v_cndmask_b32_e64 v2, v39, v2, s[10:11]
	v_cndmask_b32_e32 v39, v42, v38, vcc
	v_cndmask_b32_e64 v35, v35, v39, s[10:11]
	v_cndmask_b32_e32 v36, v40, v36, vcc
	v_cndmask_b32_e64 v2, v2, v37, s[12:13]
	v_cndmask_b32_e64 v37, v37, v35, s[12:13]
	v_sub_u32_e32 v41, 32, v48
	v_cndmask_b32_e64 v39, v39, v36, s[10:11]
	v_alignbit_b32 v42, v2, v37, v41
	v_cmp_eq_u32_e64 s[14:15], 0, v48
	v_cndmask_b32_e64 v35, v35, v39, s[12:13]
	v_cndmask_b32_e32 v34, v38, v34, vcc
	v_cndmask_b32_e64 v2, v42, v2, s[14:15]
	v_alignbit_b32 v40, v37, v35, v41
	v_cndmask_b32_e64 v34, v36, v34, s[10:11]
	v_cndmask_b32_e64 v37, v40, v37, s[14:15]
	v_bfe_u32 v43, v2, 29, 1
	v_cndmask_b32_e64 v34, v39, v34, s[12:13]
	v_alignbit_b32 v40, v2, v37, 30
	v_sub_u32_e32 v44, 0, v43
	v_alignbit_b32 v36, v35, v34, v41
	v_xor_b32_e32 v45, v40, v44
	v_cndmask_b32_e64 v35, v36, v35, s[14:15]
	v_alignbit_b32 v36, v37, v35, 30
	v_ffbh_u32_e32 v37, v45
	v_add_u32_e32 v37, 1, v37
	v_cmp_ne_u32_e32 vcc, v40, v44
	v_cndmask_b32_e32 v37, 33, v37, vcc
	v_alignbit_b32 v34, v35, v34, 30
	v_xor_b32_e32 v36, v36, v44
	v_sub_u32_e32 v38, 32, v37
	v_xor_b32_e32 v34, v34, v44
	v_alignbit_b32 v39, v45, v36, v38
	v_alignbit_b32 v34, v36, v34, v38
	;; [unrolled: 1-line block ×3, first 2 shown]
	v_ffbh_u32_e32 v36, v35
	v_min_u32_e32 v36, 32, v36
	v_lshrrev_b32_e32 v42, 29, v2
	v_sub_u32_e32 v38, 31, v36
	v_alignbit_b32 v34, v35, v34, v38
	v_lshlrev_b32_e32 v35, 31, v42
	v_or_b32_e32 v38, 0x33800000, v35
	v_add_lshl_u32 v36, v36, v37, 23
	v_lshrrev_b32_e32 v34, 9, v34
	v_sub_u32_e32 v36, v38, v36
	v_or_b32_e32 v34, v36, v34
	v_alignbit_b32 v36, v37, v39, 9
	v_or_b32_e32 v35, v36, v35
	v_xor_b32_e32 v35, 1.0, v35
	v_mul_f32_e32 v36, 0x3fc90fda, v35
	v_fma_f32 v37, v35, s58, -v36
	v_fmac_f32_e32 v37, 0x33a22168, v35
	v_fmac_f32_e32 v37, 0x3fc90fda, v34
	v_lshrrev_b32_e32 v2, 30, v2
	v_add_f32_e32 v34, v36, v37
	v_add_u32_e32 v2, v43, v2
	s_andn2_saveexec_b64 s[10:11], s[40:41]
	s_cbranch_execnz .LBB255_179
	s_branch .LBB255_180
.LBB255_178:                            ;   in Loop: Header=BB255_4 Depth=1
	s_andn2_saveexec_b64 s[10:11], s[40:41]
.LBB255_179:                            ;   in Loop: Header=BB255_4 Depth=1
	v_mul_f32_e64 v2, |v11|, s59
	v_rndne_f32_e32 v35, v2
	v_cvt_i32_f32_e32 v2, v35
	v_fma_f32 v34, v35, s60, |v11|
	v_fmac_f32_e32 v34, 0xb3a22168, v35
	v_fmac_f32_e32 v34, 0xa7c234c4, v35
.LBB255_180:                            ;   in Loop: Header=BB255_4 Depth=1
	s_or_b64 exec, exec, s[10:11]
	v_mul_f32_e32 v35, 0xbfb8aa3b, v10
	v_rndne_f32_e32 v36, v35
	v_sub_f32_e32 v37, v35, v36
	v_fma_f32 v35, v10, s61, -v35
	v_fmac_f32_e32 v35, 0xb2a5705f, v10
	v_add_f32_e32 v35, v37, v35
	v_cvt_i32_f32_e32 v36, v36
	v_exp_f32_e32 v35, v35
	v_cmp_nlt_f32_e32 vcc, s62, v10
	v_ldexp_f32 v35, v35, v36
	v_cndmask_b32_e32 v35, 0, v35, vcc
	v_cmp_ngt_f32_e32 vcc, s63, v10
	v_cndmask_b32_e32 v10, v30, v35, vcc
	v_mul_f32_e32 v35, v33, v33
	v_mov_b32_e32 v36, 0x3c0881c4
	v_fmac_f32_e32 v36, 0xb94c1982, v35
	v_fma_f32 v36, v35, v36, v25
	v_mul_f32_e32 v36, v35, v36
	v_fmac_f32_e32 v33, v33, v36
	v_mov_b32_e32 v36, 0xbab64f3b
	v_fmac_f32_e32 v36, 0x37d75334, v35
	v_fma_f32 v36, v35, v36, v26
	v_fma_f32 v36, v35, v36, v27
	v_fma_f32 v35, v35, v36, 1.0
	v_and_b32_e32 v36, 1, v18
	v_cmp_eq_u32_e32 vcc, 0, v36
	v_lshlrev_b32_e32 v18, 30, v18
	v_cndmask_b32_e64 v33, -v33, v35, vcc
	v_and_b32_e32 v18, 0x80000000, v18
	v_xor_b32_e32 v18, v18, v33
	v_cmp_class_f32_e64 vcc, v11, s64
	v_cndmask_b32_e32 v11, v31, v18, vcc
	v_mul_f32_e32 v18, v10, v11
	v_mul_f32_e32 v11, v34, v34
	v_mov_b32_e32 v33, 0x3c0881c4
	v_fmac_f32_e32 v33, 0xb94c1982, v11
	v_fma_f32 v33, v11, v33, v25
	v_mul_f32_e32 v33, v11, v33
	v_fmac_f32_e32 v34, v34, v33
	v_mov_b32_e32 v33, 0xbab64f3b
	v_fmac_f32_e32 v33, 0x37d75334, v11
	v_fma_f32 v33, v11, v33, v26
	v_fma_f32 v33, v11, v33, v27
	v_fma_f32 v11, v11, v33, 1.0
	v_and_b32_e32 v33, 1, v2
	v_cmp_eq_u32_e64 s[10:11], 0, v33
	v_lshlrev_b32_e32 v2, 30, v2
	v_cndmask_b32_e64 v11, v11, v34, s[10:11]
	v_and_or_b32 v2, v2, s47, v32
	v_xor_b32_e32 v2, v2, v11
	v_xor_b32_e32 v2, v2, v19
	v_cndmask_b32_e32 v2, v31, v2, vcc
	v_mul_f32_e32 v19, v10, v2
                                        ; implicit-def: $vgpr11
                                        ; implicit-def: $vgpr32
.LBB255_181:                            ;   in Loop: Header=BB255_4 Depth=1
	s_andn2_saveexec_b64 s[38:39], s[38:39]
	s_cbranch_execz .LBB255_191
; %bb.182:                              ;   in Loop: Header=BB255_4 Depth=1
	v_cmp_nlt_f32_e64 s[40:41], |v11|, s50
                                        ; implicit-def: $vgpr33
                                        ; implicit-def: $vgpr18
	s_and_saveexec_b64 s[10:11], s[40:41]
	s_xor_b64 s[42:43], exec, s[10:11]
	s_cbranch_execz .LBB255_184
; %bb.183:                              ;   in Loop: Header=BB255_4 Depth=1
	v_lshrrev_b32_e32 v2, 23, v32
	v_add_u32_e32 v2, 0xffffff88, v2
	v_cmp_lt_u32_e32 vcc, 63, v2
	v_cndmask_b32_e32 v18, 0, v28, vcc
	v_add_u32_e32 v2, v18, v2
	v_cmp_lt_u32_e64 s[10:11], 31, v2
	v_cndmask_b32_e64 v18, 0, v29, s[10:11]
	v_add_u32_e32 v2, v18, v2
	v_cmp_lt_u32_e64 s[12:13], 31, v2
	v_cndmask_b32_e64 v18, 0, v29, s[12:13]
	v_add_u32_e32 v18, v18, v2
	v_and_b32_e32 v2, 0x7fffff, v32
	v_or_b32_e32 v33, 0x800000, v2
	v_mad_u64_u32 v[34:35], s[14:15], v33, s51, 0
	v_mov_b32_e32 v2, v35
	v_mad_u64_u32 v[36:37], s[14:15], v33, s52, v[2:3]
	v_mov_b32_e32 v2, v37
	;; [unrolled: 2-line block ×6, first 2 shown]
	v_mad_u64_u32 v[46:47], s[14:15], v33, s57, v[2:3]
	v_cndmask_b32_e32 v35, v44, v40, vcc
	v_cndmask_b32_e32 v2, v46, v42, vcc
	;; [unrolled: 1-line block ×3, first 2 shown]
	v_cndmask_b32_e64 v33, v2, v35, s[10:11]
	v_cndmask_b32_e64 v2, v37, v2, s[10:11]
	v_cndmask_b32_e32 v37, v42, v38, vcc
	v_cndmask_b32_e64 v35, v35, v37, s[10:11]
	v_sub_u32_e32 v39, 32, v18
	v_cmp_eq_u32_e64 s[14:15], 0, v18
	v_cndmask_b32_e32 v18, v40, v36, vcc
	v_cndmask_b32_e64 v2, v2, v33, s[12:13]
	v_cndmask_b32_e64 v33, v33, v35, s[12:13]
	;; [unrolled: 1-line block ×3, first 2 shown]
	v_alignbit_b32 v41, v2, v33, v39
	v_cndmask_b32_e64 v35, v35, v36, s[12:13]
	v_cndmask_b32_e64 v2, v41, v2, s[14:15]
	v_alignbit_b32 v37, v33, v35, v39
	v_cndmask_b32_e32 v34, v38, v34, vcc
	v_cndmask_b32_e64 v33, v37, v33, s[14:15]
	v_bfe_u32 v41, v2, 29, 1
	v_cndmask_b32_e64 v18, v18, v34, s[10:11]
	v_alignbit_b32 v37, v2, v33, 30
	v_sub_u32_e32 v42, 0, v41
	v_cndmask_b32_e64 v18, v36, v18, s[12:13]
	v_xor_b32_e32 v43, v37, v42
	v_alignbit_b32 v34, v35, v18, v39
	v_cndmask_b32_e64 v34, v34, v35, s[14:15]
	v_ffbh_u32_e32 v35, v43
	v_add_u32_e32 v35, 1, v35
	v_cmp_ne_u32_e32 vcc, v37, v42
	v_alignbit_b32 v33, v33, v34, 30
	v_cndmask_b32_e32 v35, 33, v35, vcc
	v_alignbit_b32 v18, v34, v18, 30
	v_xor_b32_e32 v33, v33, v42
	v_sub_u32_e32 v36, 32, v35
	v_xor_b32_e32 v18, v18, v42
	v_alignbit_b32 v37, v43, v33, v36
	v_alignbit_b32 v18, v33, v18, v36
	;; [unrolled: 1-line block ×3, first 2 shown]
	v_ffbh_u32_e32 v34, v33
	v_min_u32_e32 v34, 32, v34
	v_lshrrev_b32_e32 v40, 29, v2
	v_sub_u32_e32 v36, 31, v34
	v_alignbit_b32 v18, v33, v18, v36
	v_lshlrev_b32_e32 v33, 31, v40
	v_or_b32_e32 v36, 0x33800000, v33
	v_add_lshl_u32 v34, v34, v35, 23
	v_lshrrev_b32_e32 v18, 9, v18
	v_sub_u32_e32 v34, v36, v34
	v_or_b32_e32 v18, v34, v18
	v_alignbit_b32 v34, v35, v37, 9
	v_or_b32_e32 v33, v34, v33
	v_xor_b32_e32 v33, 1.0, v33
	v_mul_f32_e32 v34, 0x3fc90fda, v33
	v_fma_f32 v35, v33, s58, -v34
	v_fmac_f32_e32 v35, 0x33a22168, v33
	v_fmac_f32_e32 v35, 0x3fc90fda, v18
	v_lshrrev_b32_e32 v2, 30, v2
	v_add_f32_e32 v18, v34, v35
	v_add_u32_e32 v33, v41, v2
	s_andn2_saveexec_b64 s[10:11], s[42:43]
	s_branch .LBB255_185
.LBB255_184:                            ;   in Loop: Header=BB255_4 Depth=1
	s_andn2_saveexec_b64 s[10:11], s[42:43]
.LBB255_185:                            ;   in Loop: Header=BB255_4 Depth=1
	v_mul_f32_e64 v2, |v11|, s59
	v_rndne_f32_e32 v2, v2
	v_cvt_i32_f32_e32 v33, v2
	v_fma_f32 v18, v2, s60, |v11|
	v_fmac_f32_e32 v18, 0xb3a22168, v2
	v_fmac_f32_e32 v18, 0xa7c234c4, v2
; %bb.186:                              ;   in Loop: Header=BB255_4 Depth=1
	s_or_b64 exec, exec, s[10:11]
                                        ; implicit-def: $vgpr2
                                        ; implicit-def: $vgpr34
	s_and_saveexec_b64 s[10:11], s[40:41]
	s_xor_b64 s[40:41], exec, s[10:11]
	s_cbranch_execz .LBB255_188
; %bb.187:                              ;   in Loop: Header=BB255_4 Depth=1
	v_lshrrev_b32_e32 v2, 23, v32
	v_add_u32_e32 v2, 0xffffff88, v2
	v_cmp_lt_u32_e32 vcc, 63, v2
	v_cndmask_b32_e32 v34, 0, v28, vcc
	v_add_u32_e32 v2, v34, v2
	v_cmp_lt_u32_e64 s[10:11], 31, v2
	v_cndmask_b32_e64 v34, 0, v29, s[10:11]
	v_add_u32_e32 v2, v34, v2
	v_cmp_lt_u32_e64 s[12:13], 31, v2
	v_cndmask_b32_e64 v34, 0, v29, s[12:13]
	v_add_u32_e32 v48, v34, v2
	v_and_b32_e32 v2, 0x7fffff, v32
	v_or_b32_e32 v46, 0x800000, v2
	v_mad_u64_u32 v[34:35], s[14:15], v46, s51, 0
	v_mov_b32_e32 v2, v35
	v_mad_u64_u32 v[36:37], s[14:15], v46, s52, v[2:3]
	v_mov_b32_e32 v2, v37
	;; [unrolled: 2-line block ×6, first 2 shown]
	v_mad_u64_u32 v[46:47], s[14:15], v46, s57, v[2:3]
	v_cndmask_b32_e32 v35, v44, v40, vcc
	v_cndmask_b32_e32 v2, v46, v42, vcc
	;; [unrolled: 1-line block ×3, first 2 shown]
	v_cndmask_b32_e64 v37, v2, v35, s[10:11]
	v_cndmask_b32_e64 v2, v39, v2, s[10:11]
	v_cndmask_b32_e32 v39, v42, v38, vcc
	v_cndmask_b32_e64 v35, v35, v39, s[10:11]
	v_cndmask_b32_e32 v36, v40, v36, vcc
	v_cndmask_b32_e64 v2, v2, v37, s[12:13]
	v_cndmask_b32_e64 v37, v37, v35, s[12:13]
	v_sub_u32_e32 v41, 32, v48
	v_cndmask_b32_e64 v39, v39, v36, s[10:11]
	v_alignbit_b32 v42, v2, v37, v41
	v_cmp_eq_u32_e64 s[14:15], 0, v48
	v_cndmask_b32_e64 v35, v35, v39, s[12:13]
	v_cndmask_b32_e32 v34, v38, v34, vcc
	v_cndmask_b32_e64 v2, v42, v2, s[14:15]
	v_alignbit_b32 v40, v37, v35, v41
	v_cndmask_b32_e64 v34, v36, v34, s[10:11]
	v_cndmask_b32_e64 v37, v40, v37, s[14:15]
	v_bfe_u32 v43, v2, 29, 1
	v_cndmask_b32_e64 v34, v39, v34, s[12:13]
	v_alignbit_b32 v40, v2, v37, 30
	v_sub_u32_e32 v44, 0, v43
	v_alignbit_b32 v36, v35, v34, v41
	v_xor_b32_e32 v45, v40, v44
	v_cndmask_b32_e64 v35, v36, v35, s[14:15]
	v_alignbit_b32 v36, v37, v35, 30
	v_ffbh_u32_e32 v37, v45
	v_add_u32_e32 v37, 1, v37
	v_cmp_ne_u32_e32 vcc, v40, v44
	v_cndmask_b32_e32 v37, 33, v37, vcc
	v_alignbit_b32 v34, v35, v34, 30
	v_xor_b32_e32 v36, v36, v44
	v_sub_u32_e32 v38, 32, v37
	v_xor_b32_e32 v34, v34, v44
	v_alignbit_b32 v39, v45, v36, v38
	v_alignbit_b32 v34, v36, v34, v38
	;; [unrolled: 1-line block ×3, first 2 shown]
	v_ffbh_u32_e32 v36, v35
	v_min_u32_e32 v36, 32, v36
	v_lshrrev_b32_e32 v42, 29, v2
	v_sub_u32_e32 v38, 31, v36
	v_alignbit_b32 v34, v35, v34, v38
	v_lshlrev_b32_e32 v35, 31, v42
	v_or_b32_e32 v38, 0x33800000, v35
	v_add_lshl_u32 v36, v36, v37, 23
	v_lshrrev_b32_e32 v34, 9, v34
	v_sub_u32_e32 v36, v38, v36
	v_or_b32_e32 v34, v36, v34
	v_alignbit_b32 v36, v37, v39, 9
	v_or_b32_e32 v35, v36, v35
	v_xor_b32_e32 v35, 1.0, v35
	v_mul_f32_e32 v36, 0x3fc90fda, v35
	v_fma_f32 v37, v35, s58, -v36
	v_fmac_f32_e32 v37, 0x33a22168, v35
	v_fmac_f32_e32 v37, 0x3fc90fda, v34
	v_lshrrev_b32_e32 v2, 30, v2
	v_add_f32_e32 v34, v36, v37
	v_add_u32_e32 v2, v43, v2
	s_andn2_saveexec_b64 s[10:11], s[40:41]
	s_cbranch_execnz .LBB255_189
	s_branch .LBB255_190
.LBB255_188:                            ;   in Loop: Header=BB255_4 Depth=1
	s_andn2_saveexec_b64 s[10:11], s[40:41]
.LBB255_189:                            ;   in Loop: Header=BB255_4 Depth=1
	v_mul_f32_e64 v2, |v11|, s59
	v_rndne_f32_e32 v35, v2
	v_cvt_i32_f32_e32 v2, v35
	v_fma_f32 v34, v35, s60, |v11|
	v_fmac_f32_e32 v34, 0xb3a22168, v35
	v_fmac_f32_e32 v34, 0xa7c234c4, v35
.LBB255_190:                            ;   in Loop: Header=BB255_4 Depth=1
	s_or_b64 exec, exec, s[10:11]
	v_mul_f32_e32 v36, v18, v18
	v_mov_b32_e32 v37, 0xbab64f3b
	v_fmac_f32_e32 v37, 0x37d75334, v36
	v_mov_b32_e32 v38, 0x3c0881c4
	v_fma_f32 v37, v36, v37, v26
	v_fmac_f32_e32 v38, 0xb94c1982, v36
	v_fma_f32 v37, v36, v37, v27
	v_fma_f32 v38, v36, v38, v25
	v_fma_f32 v37, v36, v37, 1.0
	v_mul_f32_e32 v36, v36, v38
	v_sub_f32_e32 v10, 0xc322e3bc, v10
	v_fmac_f32_e32 v18, v18, v36
	v_mul_f32_e32 v36, 0x3fb8aa3b, v10
	v_fma_f32 v38, v10, s65, -v36
	v_rndne_f32_e32 v39, v36
	v_fmac_f32_e32 v38, 0x32a5705f, v10
	v_sub_f32_e32 v36, v36, v39
	v_add_f32_e32 v36, v36, v38
	v_exp_f32_e32 v36, v36
	v_cvt_i32_f32_e32 v38, v39
	v_lshlrev_b32_e32 v35, 30, v33
	v_and_b32_e32 v33, 1, v33
	v_cmp_eq_u32_e32 vcc, 0, v33
	v_and_b32_e32 v35, 0x80000000, v35
	v_cndmask_b32_e64 v18, -v18, v37, vcc
	v_xor_b32_e32 v33, v35, v18
	v_ldexp_f32 v18, v36, v38
	v_cmp_ngt_f32_e32 vcc, s66, v10
	v_cndmask_b32_e32 v18, 0, v18, vcc
	v_cmp_nlt_f32_e32 vcc, s67, v10
	v_cndmask_b32_e32 v18, v30, v18, vcc
	v_and_b32_e32 v10, 0x7fffff, v18
	v_lshrrev_b32_e32 v18, 23, v18
	v_subrev_u32_e32 v35, 19, v18
	v_lshrrev_b16_e32 v18, 15, v35
	v_add_u16_e32 v18, v35, v18
	v_ashrrev_i16_e32 v18, 1, v18
	v_bfe_i32 v36, v18, 0, 16
	v_sub_u32_e32 v35, v35, v36
	v_lshl_add_u32 v18, v36, 23, 1.0
	v_lshl_add_u32 v36, v35, 23, 1.0
	v_mul_f32_e32 v35, v34, v34
	v_mov_b32_e32 v37, 0x3c0881c4
	v_fmac_f32_e32 v37, 0xb94c1982, v35
	v_fma_f32 v37, v35, v37, v25
	v_mul_f32_e32 v37, v35, v37
	v_fmac_f32_e32 v34, v34, v37
	v_mov_b32_e32 v37, 0xbab64f3b
	v_fmac_f32_e32 v37, 0x37d75334, v35
	v_fma_f32 v37, v35, v37, v26
	v_fma_f32 v37, v35, v37, v27
	v_fma_f32 v35, v35, v37, 1.0
	v_and_b32_e32 v37, 1, v2
	v_cmp_eq_u32_e32 vcc, 0, v37
	v_lshlrev_b32_e32 v2, 30, v2
	v_cndmask_b32_e32 v34, v35, v34, vcc
	v_and_or_b32 v2, v2, s47, v32
	v_xor_b32_e32 v2, v2, v34
	v_xor_b32_e32 v2, v2, v19
	v_cmp_class_f32_e64 vcc, v11, s64
	v_or_b32_e32 v10, 0x7f000000, v10
	v_cndmask_b32_e32 v32, v31, v33, vcc
	v_cndmask_b32_e32 v33, v31, v2, vcc
	v_pk_mul_f32 v[10:11], v[32:33], v[10:11] op_sel_hi:[1,0]
	v_pk_mul_f32 v[10:11], v[10:11], v[18:19] op_sel_hi:[1,0]
	;; [unrolled: 1-line block ×3, first 2 shown]
.LBB255_191:                            ;   in Loop: Header=BB255_4 Depth=1
	s_or_b64 exec, exec, s[38:39]
                                        ; implicit-def: $vgpr2
                                        ; implicit-def: $vgpr10
                                        ; implicit-def: $vgpr33
.LBB255_192:                            ;   in Loop: Header=BB255_4 Depth=1
	s_andn2_saveexec_b64 s[10:11], s[36:37]
	s_cbranch_execz .LBB255_198
; %bb.193:                              ;   in Loop: Header=BB255_4 Depth=1
	v_cmp_ne_u32_e32 vcc, s48, v33
                                        ; implicit-def: $vgpr19
	s_and_saveexec_b64 s[12:13], vcc
	s_xor_b64 s[12:13], exec, s[12:13]
; %bb.194:                              ;   in Loop: Header=BB255_4 Depth=1
	v_sub_f32_e32 v19, v11, v11
	v_mov_b32_e32 v18, v19
                                        ; implicit-def: $vgpr2
                                        ; implicit-def: $vgpr10_vgpr11
; %bb.195:                              ;   in Loop: Header=BB255_4 Depth=1
	s_andn2_saveexec_b64 s[12:13], s[12:13]
; %bb.196:                              ;   in Loop: Header=BB255_4 Depth=1
	v_pk_add_f32 v[18:19], v[10:11], v[10:11] neg_lo:[0,1] neg_hi:[0,1]
	v_cmp_lt_i32_e32 vcc, -1, v2
	v_cndmask_b32_e64 v18, 0, -v10, vcc
	v_cndmask_b32_e32 v19, 0, v19, vcc
; %bb.197:                              ;   in Loop: Header=BB255_4 Depth=1
	s_or_b64 exec, exec, s[12:13]
.LBB255_198:                            ;   in Loop: Header=BB255_4 Depth=1
	s_or_b64 exec, exec, s[10:11]
                                        ; implicit-def: $vgpr11
                                        ; implicit-def: $vgpr32
.LBB255_199:                            ;   in Loop: Header=BB255_4 Depth=1
	s_andn2_saveexec_b64 s[34:35], s[34:35]
	s_cbranch_execz .LBB255_209
; %bb.200:                              ;   in Loop: Header=BB255_4 Depth=1
	v_lshrrev_b32_e32 v2, 23, v32
	v_and_b32_e32 v10, 0x7fffff, v32
	v_cmp_nlt_f32_e64 s[36:37], |v11|, s50
	v_add_u32_e32 v34, 0xffffff88, v2
	v_or_b32_e32 v33, 0x800000, v10
                                        ; implicit-def: $vgpr10
                                        ; implicit-def: $vgpr18
	s_and_saveexec_b64 s[10:11], s[36:37]
	s_xor_b64 s[38:39], exec, s[10:11]
	s_cbranch_execz .LBB255_202
; %bb.201:                              ;   in Loop: Header=BB255_4 Depth=1
	v_cmp_lt_u32_e32 vcc, 63, v34
	v_cndmask_b32_e32 v2, 0, v28, vcc
	v_add_u32_e32 v2, v2, v34
	v_cmp_lt_u32_e64 s[10:11], 31, v2
	v_cndmask_b32_e64 v10, 0, v29, s[10:11]
	v_add_u32_e32 v2, v10, v2
	v_cmp_lt_u32_e64 s[12:13], 31, v2
	v_cndmask_b32_e64 v10, 0, v29, s[12:13]
	v_mad_u64_u32 v[36:37], s[14:15], v33, s51, 0
	v_add_u32_e32 v10, v10, v2
	v_mov_b32_e32 v2, v37
	v_mad_u64_u32 v[38:39], s[14:15], v33, s52, v[2:3]
	v_mov_b32_e32 v2, v39
	v_mad_u64_u32 v[40:41], s[14:15], v33, s53, v[2:3]
	;; [unrolled: 2-line block ×6, first 2 shown]
	v_cndmask_b32_e32 v18, v46, v42, vcc
	v_cndmask_b32_e32 v2, v48, v44, vcc
	;; [unrolled: 1-line block ×3, first 2 shown]
	v_cndmask_b32_e64 v35, v2, v18, s[10:11]
	v_cndmask_b32_e64 v2, v37, v2, s[10:11]
	v_cndmask_b32_e32 v37, v44, v40, vcc
	v_cndmask_b32_e64 v18, v18, v37, s[10:11]
	v_sub_u32_e32 v39, 32, v10
	v_cmp_eq_u32_e64 s[14:15], 0, v10
	v_cndmask_b32_e32 v10, v42, v38, vcc
	v_cndmask_b32_e64 v2, v2, v35, s[12:13]
	v_cndmask_b32_e64 v35, v35, v18, s[12:13]
	;; [unrolled: 1-line block ×3, first 2 shown]
	v_alignbit_b32 v41, v2, v35, v39
	v_cndmask_b32_e64 v18, v18, v37, s[12:13]
	v_cndmask_b32_e64 v2, v41, v2, s[14:15]
	v_alignbit_b32 v38, v35, v18, v39
	v_cndmask_b32_e32 v36, v40, v36, vcc
	v_cndmask_b32_e64 v35, v38, v35, s[14:15]
	v_bfe_u32 v42, v2, 29, 1
	v_cndmask_b32_e64 v10, v10, v36, s[10:11]
	v_alignbit_b32 v38, v2, v35, 30
	v_sub_u32_e32 v43, 0, v42
	v_cndmask_b32_e64 v10, v37, v10, s[12:13]
	v_xor_b32_e32 v44, v38, v43
	v_alignbit_b32 v36, v18, v10, v39
	v_cndmask_b32_e64 v18, v36, v18, s[14:15]
	v_ffbh_u32_e32 v36, v44
	v_add_u32_e32 v36, 1, v36
	v_cmp_ne_u32_e32 vcc, v38, v43
	v_alignbit_b32 v35, v35, v18, 30
	v_cndmask_b32_e32 v36, 33, v36, vcc
	v_alignbit_b32 v10, v18, v10, 30
	v_xor_b32_e32 v35, v35, v43
	v_sub_u32_e32 v37, 32, v36
	v_xor_b32_e32 v10, v10, v43
	v_alignbit_b32 v38, v44, v35, v37
	v_alignbit_b32 v10, v35, v10, v37
	;; [unrolled: 1-line block ×3, first 2 shown]
	v_ffbh_u32_e32 v35, v18
	v_min_u32_e32 v35, 32, v35
	v_lshrrev_b32_e32 v41, 29, v2
	v_sub_u32_e32 v37, 31, v35
	v_alignbit_b32 v10, v18, v10, v37
	v_lshlrev_b32_e32 v18, 31, v41
	v_or_b32_e32 v37, 0x33800000, v18
	v_add_lshl_u32 v35, v35, v36, 23
	v_lshrrev_b32_e32 v10, 9, v10
	v_sub_u32_e32 v35, v37, v35
	v_or_b32_e32 v10, v35, v10
	v_alignbit_b32 v35, v36, v38, 9
	v_or_b32_e32 v18, v35, v18
	v_xor_b32_e32 v18, 1.0, v18
	v_mul_f32_e32 v35, 0x3fc90fda, v18
	v_fma_f32 v36, v18, s58, -v35
	v_fmac_f32_e32 v36, 0x33a22168, v18
	v_fmac_f32_e32 v36, 0x3fc90fda, v10
	v_lshrrev_b32_e32 v2, 30, v2
	v_add_f32_e32 v18, v35, v36
	v_add_u32_e32 v10, v42, v2
.LBB255_202:                            ;   in Loop: Header=BB255_4 Depth=1
	s_or_saveexec_b64 s[10:11], s[38:39]
	v_mul_f32_e64 v2, |v11|, s59
	v_rndne_f32_e32 v36, v2
	s_xor_b64 exec, exec, s[10:11]
; %bb.203:                              ;   in Loop: Header=BB255_4 Depth=1
	v_cvt_i32_f32_e32 v10, v36
	v_fma_f32 v18, v36, s60, |v11|
	v_fmac_f32_e32 v18, 0xb3a22168, v36
	v_fmac_f32_e32 v18, 0xa7c234c4, v36
; %bb.204:                              ;   in Loop: Header=BB255_4 Depth=1
	s_or_b64 exec, exec, s[10:11]
                                        ; implicit-def: $vgpr2
                                        ; implicit-def: $vgpr35
	s_and_saveexec_b64 s[10:11], s[36:37]
	s_xor_b64 s[36:37], exec, s[10:11]
	s_cbranch_execz .LBB255_206
; %bb.205:                              ;   in Loop: Header=BB255_4 Depth=1
	v_cmp_lt_u32_e32 vcc, 63, v34
	v_cndmask_b32_e32 v2, 0, v28, vcc
	v_add_u32_e32 v2, v2, v34
	v_cmp_lt_u32_e64 s[10:11], 31, v2
	v_cndmask_b32_e64 v34, 0, v29, s[10:11]
	v_add_u32_e32 v2, v34, v2
	v_cmp_lt_u32_e64 s[12:13], 31, v2
	v_cndmask_b32_e64 v34, 0, v29, s[12:13]
	v_add_u32_e32 v48, v34, v2
	v_mad_u64_u32 v[34:35], s[14:15], v33, s51, 0
	v_mov_b32_e32 v2, v35
	v_mad_u64_u32 v[36:37], s[14:15], v33, s52, v[2:3]
	v_mov_b32_e32 v2, v37
	;; [unrolled: 2-line block ×6, first 2 shown]
	v_mad_u64_u32 v[46:47], s[14:15], v33, s57, v[2:3]
	v_cndmask_b32_e32 v35, v44, v40, vcc
	v_cndmask_b32_e32 v2, v46, v42, vcc
	;; [unrolled: 1-line block ×3, first 2 shown]
	v_cndmask_b32_e64 v33, v2, v35, s[10:11]
	v_cndmask_b32_e64 v2, v37, v2, s[10:11]
	v_cndmask_b32_e32 v37, v42, v38, vcc
	v_cndmask_b32_e64 v35, v35, v37, s[10:11]
	v_cndmask_b32_e32 v36, v40, v36, vcc
	v_cndmask_b32_e64 v2, v2, v33, s[12:13]
	v_cndmask_b32_e64 v33, v33, v35, s[12:13]
	v_sub_u32_e32 v39, 32, v48
	v_cndmask_b32_e64 v37, v37, v36, s[10:11]
	v_alignbit_b32 v41, v2, v33, v39
	v_cmp_eq_u32_e64 s[14:15], 0, v48
	v_cndmask_b32_e64 v35, v35, v37, s[12:13]
	v_cndmask_b32_e64 v2, v41, v2, s[14:15]
	v_alignbit_b32 v40, v33, v35, v39
	v_cndmask_b32_e32 v34, v38, v34, vcc
	v_cndmask_b32_e64 v33, v40, v33, s[14:15]
	v_bfe_u32 v42, v2, 29, 1
	v_cndmask_b32_e64 v34, v36, v34, s[10:11]
	v_alignbit_b32 v40, v2, v33, 30
	v_sub_u32_e32 v43, 0, v42
	v_cndmask_b32_e64 v34, v37, v34, s[12:13]
	v_xor_b32_e32 v44, v40, v43
	v_alignbit_b32 v36, v35, v34, v39
	v_cndmask_b32_e64 v35, v36, v35, s[14:15]
	v_ffbh_u32_e32 v36, v44
	v_add_u32_e32 v36, 1, v36
	v_cmp_ne_u32_e32 vcc, v40, v43
	v_alignbit_b32 v33, v33, v35, 30
	v_cndmask_b32_e32 v36, 33, v36, vcc
	v_alignbit_b32 v34, v35, v34, 30
	v_xor_b32_e32 v33, v33, v43
	v_sub_u32_e32 v37, 32, v36
	v_xor_b32_e32 v34, v34, v43
	v_alignbit_b32 v38, v44, v33, v37
	v_alignbit_b32 v33, v33, v34, v37
	v_alignbit_b32 v34, v38, v33, 9
	v_ffbh_u32_e32 v35, v34
	v_min_u32_e32 v35, 32, v35
	v_lshrrev_b32_e32 v41, 29, v2
	v_sub_u32_e32 v37, 31, v35
	v_alignbit_b32 v33, v34, v33, v37
	v_lshlrev_b32_e32 v34, 31, v41
	v_or_b32_e32 v37, 0x33800000, v34
	v_add_lshl_u32 v35, v35, v36, 23
	v_lshrrev_b32_e32 v33, 9, v33
	v_sub_u32_e32 v35, v37, v35
	v_or_b32_e32 v33, v35, v33
	v_alignbit_b32 v35, v36, v38, 9
	v_or_b32_e32 v34, v35, v34
	v_xor_b32_e32 v34, 1.0, v34
	v_mul_f32_e32 v35, 0x3fc90fda, v34
	v_fma_f32 v36, v34, s58, -v35
	v_fmac_f32_e32 v36, 0x33a22168, v34
	v_fmac_f32_e32 v36, 0x3fc90fda, v33
	v_lshrrev_b32_e32 v2, 30, v2
	v_add_f32_e32 v35, v35, v36
	v_add_u32_e32 v2, v42, v2
                                        ; implicit-def: $vgpr36
	s_andn2_saveexec_b64 s[10:11], s[36:37]
	s_cbranch_execnz .LBB255_207
	s_branch .LBB255_208
.LBB255_206:                            ;   in Loop: Header=BB255_4 Depth=1
	s_andn2_saveexec_b64 s[10:11], s[36:37]
.LBB255_207:                            ;   in Loop: Header=BB255_4 Depth=1
	v_cvt_i32_f32_e32 v2, v36
	v_fma_f32 v35, v36, s60, |v11|
	v_fmac_f32_e32 v35, 0xb3a22168, v36
	v_fmac_f32_e32 v35, 0xa7c234c4, v36
.LBB255_208:                            ;   in Loop: Header=BB255_4 Depth=1
	s_or_b64 exec, exec, s[10:11]
	v_mul_f32_e32 v33, v18, v18
	v_mov_b32_e32 v34, 0x3c0881c4
	v_fmac_f32_e32 v34, 0xb94c1982, v33
	v_fma_f32 v34, v33, v34, v25
	v_mul_f32_e32 v34, v33, v34
	v_fmac_f32_e32 v18, v18, v34
	v_mov_b32_e32 v34, 0xbab64f3b
	v_fmac_f32_e32 v34, 0x37d75334, v33
	v_fma_f32 v34, v33, v34, v26
	v_fma_f32 v34, v33, v34, v27
	v_fma_f32 v33, v33, v34, 1.0
	v_and_b32_e32 v34, 1, v10
	v_cmp_eq_u32_e32 vcc, 0, v34
	v_lshlrev_b32_e32 v10, 30, v10
	v_cndmask_b32_e64 v18, -v18, v33, vcc
	v_and_b32_e32 v10, 0x80000000, v10
	v_xor_b32_e32 v10, v10, v18
	v_cmp_class_f32_e64 vcc, v11, s64
	v_cndmask_b32_e32 v18, v31, v10, vcc
	v_mul_f32_e32 v10, v35, v35
	v_mov_b32_e32 v11, 0x3c0881c4
	v_fmac_f32_e32 v11, 0xb94c1982, v10
	v_fma_f32 v11, v10, v11, v25
	v_mul_f32_e32 v11, v10, v11
	v_fmac_f32_e32 v35, v35, v11
	v_mov_b32_e32 v11, 0xbab64f3b
	v_fmac_f32_e32 v11, 0x37d75334, v10
	v_fma_f32 v11, v10, v11, v26
	v_fma_f32 v11, v10, v11, v27
	v_fma_f32 v10, v10, v11, 1.0
	v_and_b32_e32 v11, 1, v2
	v_cmp_eq_u32_e64 s[10:11], 0, v11
	v_lshlrev_b32_e32 v2, 30, v2
	v_cndmask_b32_e64 v10, v10, v35, s[10:11]
	v_and_or_b32 v2, v2, s47, v32
	v_xor_b32_e32 v2, v2, v10
	v_xor_b32_e32 v2, v2, v19
	v_cndmask_b32_e32 v19, v31, v2, vcc
.LBB255_209:                            ;   in Loop: Header=BB255_4 Depth=1
	s_or_b64 exec, exec, s[34:35]
                                        ; implicit-def: $vgpr10
.LBB255_210:                            ;   in Loop: Header=BB255_4 Depth=1
	s_andn2_saveexec_b64 s[10:11], s[30:31]
	s_cbranch_execz .LBB255_212
; %bb.211:                              ;   in Loop: Header=BB255_4 Depth=1
	v_mul_f32_e32 v2, 0xbfb8aa3b, v10
	v_rndne_f32_e32 v11, v2
	v_sub_f32_e32 v18, v2, v11
	v_fma_f32 v2, v10, s61, -v2
	v_fmac_f32_e32 v2, 0xb2a5705f, v10
	v_add_f32_e32 v2, v18, v2
	v_cvt_i32_f32_e32 v11, v11
	v_exp_f32_e32 v2, v2
	v_cmp_nlt_f32_e32 vcc, s62, v10
	v_ldexp_f32 v2, v2, v11
	v_cndmask_b32_e32 v2, 0, v2, vcc
	v_cmp_ngt_f32_e32 vcc, s63, v10
	v_cndmask_b32_e32 v18, v30, v2, vcc
.LBB255_212:                            ;   in Loop: Header=BB255_4 Depth=1
	s_or_b64 exec, exec, s[10:11]
	v_pk_add_f32 v[18:19], v[18:19], s[16:17]
	v_cmp_gt_f32_e32 vcc, 0, v19
	v_cndmask_b32_e64 v32, v19, -v19, vcc
	v_cmp_gt_f32_e32 vcc, 0, v18
	v_cndmask_b32_e64 v2, v18, -v18, vcc
	v_cmp_ge_f32_e32 vcc, v2, v32
                                        ; implicit-def: $vgpr10_vgpr11
	s_and_saveexec_b64 s[10:11], vcc
	s_xor_b64 s[12:13], exec, s[10:11]
	s_cbranch_execz .LBB255_222
; %bb.213:                              ;   in Loop: Header=BB255_4 Depth=1
	v_cmp_neq_f32_e32 vcc, 0, v18
	v_cmp_neq_f32_e64 s[10:11], 0, v19
	s_or_b64 s[10:11], vcc, s[10:11]
                                        ; implicit-def: $vgpr10_vgpr11
	s_and_saveexec_b64 s[14:15], s[10:11]
	s_xor_b64 s[10:11], exec, s[14:15]
	s_cbranch_execz .LBB255_215
; %bb.214:                              ;   in Loop: Header=BB255_4 Depth=1
	v_div_scale_f32 v2, s[14:15], v18, v18, v19
	v_rcp_f32_e32 v10, v2
	v_div_scale_f32 v11, vcc, v19, v18, v19
	v_fma_f32 v32, -v2, v10, 1.0
	v_fmac_f32_e32 v10, v32, v10
	v_mul_f32_e32 v32, v11, v10
	v_fma_f32 v33, -v2, v32, v11
	v_fmac_f32_e32 v32, v33, v10
	v_fma_f32 v2, -v2, v32, v11
	v_div_fmas_f32 v2, v2, v10, v32
	v_div_fixup_f32 v2, v2, v18, v19
	v_fmac_f32_e32 v18, v19, v2
	v_div_scale_f32 v10, s[14:15], v18, v18, 1.0
	v_rcp_f32_e32 v11, v10
	v_fma_f32 v19, -v10, v11, 1.0
	v_fmac_f32_e32 v11, v19, v11
	v_div_scale_f32 v19, vcc, 1.0, v18, 1.0
	v_mul_f32_e32 v32, v19, v11
	v_fma_f32 v33, -v10, v32, v19
	v_fmac_f32_e32 v32, v33, v11
	v_fma_f32 v10, -v10, v32, v19
	v_div_fmas_f32 v10, v10, v11, v32
	v_div_fixup_f32 v10, v10, v18, 1.0
	v_pk_mul_f32 v[18:19], v[2:3], s[16:17] op_sel_hi:[0,1]
	v_pk_add_f32 v[32:33], v[18:19], s[16:17] op_sel:[1,0] op_sel_hi:[0,1]
	v_pk_add_f32 v[18:19], s[16:17], v[18:19] op_sel:[0,1] op_sel_hi:[1,0] neg_lo:[0,1] neg_hi:[0,1]
	v_mov_b32_e32 v33, v19
	v_pk_mul_f32 v[10:11], v[32:33], v[10:11] op_sel_hi:[1,0]
                                        ; implicit-def: $vgpr32
                                        ; implicit-def: $vgpr2
.LBB255_215:                            ;   in Loop: Header=BB255_4 Depth=1
	s_andn2_saveexec_b64 s[10:11], s[10:11]
	s_cbranch_execz .LBB255_217
; %bb.216:                              ;   in Loop: Header=BB255_4 Depth=1
	v_div_scale_f32 v10, s[14:15], v32, v32, s17
	v_rcp_f32_e32 v11, v10
	v_div_scale_f32 v18, vcc, s17, v32, s17
	v_fma_f32 v19, -v10, v11, 1.0
	v_fmac_f32_e32 v11, v19, v11
	v_mul_f32_e32 v19, v18, v11
	v_fma_f32 v33, -v10, v19, v18
	v_fmac_f32_e32 v19, v33, v11
	v_fma_f32 v10, -v10, v19, v18
	v_div_scale_f32 v18, s[14:15], v2, v2, s16
	v_rcp_f32_e32 v33, v18
	v_div_fmas_f32 v10, v10, v11, v19
	v_div_fixup_f32 v11, v10, v32, s17
	v_fma_f32 v10, -v18, v33, 1.0
	v_fmac_f32_e32 v33, v10, v33
	v_div_scale_f32 v10, vcc, s16, v2, s16
	v_mul_f32_e32 v19, v10, v33
	v_fma_f32 v32, -v18, v19, v10
	v_fmac_f32_e32 v19, v32, v33
	v_fma_f32 v10, -v18, v19, v10
	v_div_fmas_f32 v10, v10, v33, v19
	v_div_fixup_f32 v10, v10, v2, s16
.LBB255_217:                            ;   in Loop: Header=BB255_4 Depth=1
	s_or_b64 exec, exec, s[10:11]
                                        ; implicit-def: $vgpr18_vgpr19
	s_andn2_saveexec_b64 s[10:11], s[12:13]
	s_cbranch_execnz .LBB255_223
.LBB255_218:                            ;   in Loop: Header=BB255_4 Depth=1
	s_or_b64 exec, exec, s[10:11]
	s_and_saveexec_b64 s[10:11], s[0:1]
	s_xor_b64 s[0:1], exec, s[10:11]
	s_cbranch_execz .LBB255_224
.LBB255_219:                            ;   in Loop: Header=BB255_4 Depth=1
	v_mov_b32_e32 v2, s44
	v_add_co_u32_e32 v18, vcc, s33, v4
	v_addc_co_u32_e32 v19, vcc, 0, v2, vcc
	global_store_dwordx2 v[18:19], v[12:13], off
	s_or_b64 exec, exec, s[0:1]
	s_and_saveexec_b64 s[0:1], s[2:3]
	s_cbranch_execnz .LBB255_225
.LBB255_220:                            ;   in Loop: Header=BB255_4 Depth=1
	s_or_b64 exec, exec, s[0:1]
	s_and_saveexec_b64 s[0:1], s[6:7]
	s_cbranch_execz .LBB255_226
.LBB255_221:                            ;   in Loop: Header=BB255_4 Depth=1
	v_mov_b32_e32 v2, s44
	v_add_co_u32_e32 v12, vcc, s33, v9
	v_addc_co_u32_e32 v13, vcc, v2, v20, vcc
	global_store_dwordx2 v[12:13], v[14:15], off
	s_or_b64 exec, exec, s[0:1]
	s_and_saveexec_b64 s[0:1], s[8:9]
	s_cbranch_execz .LBB255_3
	s_branch .LBB255_227
.LBB255_222:                            ;   in Loop: Header=BB255_4 Depth=1
	s_andn2_saveexec_b64 s[10:11], s[12:13]
	s_cbranch_execz .LBB255_218
.LBB255_223:                            ;   in Loop: Header=BB255_4 Depth=1
	v_div_scale_f32 v2, s[12:13], v19, v19, v18
	v_rcp_f32_e32 v10, v2
	v_div_scale_f32 v11, vcc, v18, v19, v18
	v_fma_f32 v32, -v2, v10, 1.0
	v_fmac_f32_e32 v10, v32, v10
	v_mul_f32_e32 v32, v11, v10
	v_fma_f32 v33, -v2, v32, v11
	v_fmac_f32_e32 v32, v33, v10
	v_fma_f32 v2, -v2, v32, v11
	v_div_fmas_f32 v2, v2, v10, v32
	v_div_fixup_f32 v2, v2, v19, v18
	v_fmac_f32_e32 v19, v18, v2
	v_div_scale_f32 v10, s[12:13], v19, v19, 1.0
	v_rcp_f32_e32 v11, v10
	v_fma_f32 v18, -v10, v11, 1.0
	v_fmac_f32_e32 v11, v18, v11
	v_div_scale_f32 v18, vcc, 1.0, v19, 1.0
	v_mul_f32_e32 v32, v18, v11
	v_fma_f32 v33, -v10, v32, v18
	v_fmac_f32_e32 v32, v33, v11
	v_fma_f32 v10, -v10, v32, v18
	v_div_fmas_f32 v10, v10, v11, v32
	v_div_fixup_f32 v10, v10, v19, 1.0
	v_pk_mov_b32 v[18:19], s[26:27], s[26:27] op_sel:[0,1]
	v_pk_fma_f32 v[32:33], v[2:3], s[16:17], v[18:19]
	v_pk_fma_f32 v[18:19], v[2:3], s[16:17], v[18:19] op_sel_hi:[0,1,1] neg_lo:[0,0,1] neg_hi:[0,0,1]
	v_mov_b32_e32 v33, v19
	v_pk_mul_f32 v[10:11], v[32:33], v[10:11] op_sel_hi:[1,0]
	s_or_b64 exec, exec, s[10:11]
	s_and_saveexec_b64 s[10:11], s[0:1]
	s_xor_b64 s[0:1], exec, s[10:11]
	s_cbranch_execnz .LBB255_219
.LBB255_224:                            ;   in Loop: Header=BB255_4 Depth=1
	s_or_b64 exec, exec, s[0:1]
	s_and_saveexec_b64 s[0:1], s[2:3]
	s_cbranch_execz .LBB255_220
.LBB255_225:                            ;   in Loop: Header=BB255_4 Depth=1
	v_mov_b32_e32 v2, s44
	v_add_co_u32_e32 v12, vcc, s33, v8
	v_addc_co_u32_e32 v13, vcc, 0, v2, vcc
	global_store_dwordx2 v[12:13], v[16:17], off
	s_or_b64 exec, exec, s[0:1]
	s_and_saveexec_b64 s[0:1], s[6:7]
	s_cbranch_execnz .LBB255_221
.LBB255_226:                            ;   in Loop: Header=BB255_4 Depth=1
	s_or_b64 exec, exec, s[0:1]
	s_and_saveexec_b64 s[0:1], s[8:9]
	s_cbranch_execz .LBB255_3
.LBB255_227:                            ;   in Loop: Header=BB255_4 Depth=1
	v_mov_b32_e32 v2, s44
	v_add_co_u32_e32 v12, vcc, s33, v6
	v_addc_co_u32_e32 v13, vcc, v2, v7, vcc
	global_store_dwordx2 v[12:13], v[10:11], off
	s_branch .LBB255_3
.LBB255_228:
	s_cbranch_execz .LBB255_230
	s_branch .LBB255_441
.LBB255_229:
.LBB255_230:
	v_mov_b32_e32 v13, 0
	v_lshlrev_b32_e32 v12, 2, v0
	s_mov_b32 s28, 0
	v_cmp_gt_i64_e32 vcc, s[18:19], v[12:13]
	s_and_saveexec_b64 s[0:1], vcc
	s_cbranch_execz .LBB255_441
; %bb.231:
	s_load_dword s0, s[4:5], 0xd44
	v_lshlrev_b32_e32 v1, 5, v0
	s_mov_b32 s6, s17
	s_mov_b32 s7, s16
	;; [unrolled: 1-line block ×3, first 2 shown]
	s_waitcnt lgkmcnt(0)
	s_and_b32 s0, s0, 0xffff
	s_add_u32 s1, s20, s22
	s_addc_u32 s2, s21, s23
	v_mov_b32_e32 v2, s2
	v_add_co_u32_e32 v14, vcc, s1, v1
	v_add_lshl_u32 v12, v0, s0, 2
	v_addc_co_u32_e32 v15, vcc, 0, v2, vcc
	s_lshl_b32 s29, s0, 5
	s_lshl_b32 s30, s0, 2
	s_mov_b64 s[8:9], 0
	s_brev_b32 s33, 1
	s_mov_b32 s34, 0x7f800000
	s_mov_b32 s35, 0x8e8e5c
	s_brev_b32 s36, 18
	s_mov_b32 s37, 0xfe5163ab
	s_mov_b32 s38, 0x3c439041
	;; [unrolled: 1-line block ×13, first 2 shown]
	v_mov_b32_e32 v18, 0xbe2aaa9d
	v_mov_b32_e32 v19, 0x3d2aabf7
	;; [unrolled: 1-line block ×3, first 2 shown]
	s_movk_i32 s50, 0x1f8
	s_mov_b32 s51, 0x3fb8aa3b
	s_mov_b32 s52, 0xc2ce8ed0
	;; [unrolled: 1-line block ×3, first 2 shown]
	s_mov_b64 s[10:11], 0xffff
	v_not_b32_e32 v21, 63
	v_not_b32_e32 v22, 31
	v_mov_b32_e32 v23, 0x7f800000
	v_mov_b32_e32 v24, 0x7fc00000
	v_pk_mov_b32 v[16:17], v[12:13], v[12:13] op_sel:[0,1]
	s_branch .LBB255_233
.LBB255_232:                            ;   in Loop: Header=BB255_233 Depth=1
	s_or_b64 exec, exec, s[0:1]
	v_cmp_le_i64_e32 vcc, s[18:19], v[16:17]
	v_cmp_lt_u64_e64 s[0:1], s[10:11], v[16:17]
	global_store_dwordx4 v[14:15], v[4:7], off
	global_store_dwordx4 v[14:15], v[8:11], off offset:16
	s_or_b64 s[0:1], vcc, s[0:1]
	v_mov_b32_e32 v0, s28
	v_add_co_u32_e32 v14, vcc, s29, v14
	v_addc_co_u32_e32 v15, vcc, v15, v0, vcc
	v_mov_b32_e32 v0, s31
	s_and_b64 s[0:1], exec, s[0:1]
	v_add_co_u32_e32 v16, vcc, s30, v16
	s_or_b64 s[8:9], s[0:1], s[8:9]
	v_addc_co_u32_e32 v17, vcc, v17, v0, vcc
	s_andn2_b64 exec, exec, s[8:9]
	s_cbranch_execz .LBB255_441
.LBB255_233:                            ; =>This Inner Loop Header: Depth=1
	global_load_dwordx4 v[6:9], v[14:15], off
	global_load_dwordx4 v[0:3], v[14:15], off offset:16
	s_waitcnt vmcnt(1)
	v_and_b32_e32 v10, 0x7fffffff, v7
	v_xor_b32_e32 v5, 0x80000000, v7
	v_cmp_ne_u32_e32 vcc, 0, v10
	s_and_saveexec_b64 s[0:1], vcc
	s_xor_b64 s[12:13], exec, s[0:1]
	s_cbranch_execz .LBB255_275
; %bb.234:                              ;   in Loop: Header=BB255_233 Depth=1
	v_and_b32_e32 v12, 0x7fffffff, v6
	v_cmp_ne_u32_e32 vcc, 0, v12
	s_and_saveexec_b64 s[0:1], vcc
	s_xor_b64 s[14:15], exec, s[0:1]
	s_cbranch_execz .LBB255_264
; %bb.235:                              ;   in Loop: Header=BB255_233 Depth=1
	v_xor_b32_e32 v11, 0x80000000, v6
	v_cmp_gt_u32_e32 vcc, s34, v10
	s_and_saveexec_b64 s[0:1], vcc
	s_xor_b64 s[20:21], exec, s[0:1]
	s_cbranch_execz .LBB255_257
; %bb.236:                              ;   in Loop: Header=BB255_233 Depth=1
	v_add_u32_e32 v4, 0xbd4e8de8, v11
	v_cmp_lt_u32_e32 vcc, s35, v4
	s_and_saveexec_b64 s[0:1], vcc
	s_xor_b64 s[22:23], exec, s[0:1]
	s_cbranch_execz .LBB255_246
; %bb.237:                              ;   in Loop: Header=BB255_233 Depth=1
	v_cmp_nlt_f32_e64 s[24:25], |v7|, s36
                                        ; implicit-def: $vgpr4
                                        ; implicit-def: $vgpr11
	s_and_saveexec_b64 s[0:1], s[24:25]
	s_xor_b64 s[26:27], exec, s[0:1]
	s_cbranch_execz .LBB255_239
; %bb.238:                              ;   in Loop: Header=BB255_233 Depth=1
	v_lshrrev_b32_e32 v4, 23, v10
	v_add_u32_e32 v4, 0xffffff88, v4
	v_cmp_lt_u32_e32 vcc, 63, v4
	v_cndmask_b32_e32 v11, 0, v21, vcc
	v_add_u32_e32 v4, v11, v4
	v_cmp_lt_u32_e64 s[0:1], 31, v4
	v_cndmask_b32_e64 v11, 0, v22, s[0:1]
	v_add_u32_e32 v4, v11, v4
	v_cmp_lt_u32_e64 s[2:3], 31, v4
	v_cndmask_b32_e64 v11, 0, v22, s[2:3]
	v_add_u32_e32 v4, v11, v4
	v_and_b32_e32 v11, 0x7fffff, v10
	v_or_b32_e32 v11, 0x800000, v11
	v_mad_u64_u32 v[26:27], s[4:5], v11, s37, 0
	v_mov_b32_e32 v12, v27
	v_mad_u64_u32 v[28:29], s[4:5], v11, s38, v[12:13]
	v_mov_b32_e32 v12, v29
	;; [unrolled: 2-line block ×6, first 2 shown]
	v_mad_u64_u32 v[38:39], s[4:5], v11, s43, v[12:13]
	v_cndmask_b32_e32 v25, v36, v32, vcc
	v_cndmask_b32_e32 v11, v38, v34, vcc
	;; [unrolled: 1-line block ×3, first 2 shown]
	v_cndmask_b32_e64 v12, v11, v25, s[0:1]
	v_cndmask_b32_e64 v11, v27, v11, s[0:1]
	v_cndmask_b32_e32 v27, v34, v30, vcc
	v_cndmask_b32_e64 v25, v25, v27, s[0:1]
	v_cndmask_b32_e64 v11, v11, v12, s[2:3]
	;; [unrolled: 1-line block ×3, first 2 shown]
	v_sub_u32_e32 v29, 32, v4
	v_alignbit_b32 v31, v11, v12, v29
	v_cmp_eq_u32_e64 s[4:5], 0, v4
	v_cndmask_b32_e64 v4, v31, v11, s[4:5]
	v_cndmask_b32_e32 v11, v32, v28, vcc
	v_cndmask_b32_e64 v27, v27, v11, s[0:1]
	v_cndmask_b32_e64 v25, v25, v27, s[2:3]
	v_alignbit_b32 v28, v12, v25, v29
	v_cndmask_b32_e32 v26, v30, v26, vcc
	v_cndmask_b32_e64 v12, v28, v12, s[4:5]
	v_bfe_u32 v32, v4, 29, 1
	v_cndmask_b32_e64 v11, v11, v26, s[0:1]
	v_alignbit_b32 v28, v4, v12, 30
	v_sub_u32_e32 v33, 0, v32
	v_cndmask_b32_e64 v11, v27, v11, s[2:3]
	v_xor_b32_e32 v34, v28, v33
	v_alignbit_b32 v26, v25, v11, v29
	v_cndmask_b32_e64 v25, v26, v25, s[4:5]
	v_ffbh_u32_e32 v26, v34
	v_add_u32_e32 v26, 1, v26
	v_cmp_ne_u32_e32 vcc, v28, v33
	v_alignbit_b32 v12, v12, v25, 30
	v_cndmask_b32_e32 v26, 33, v26, vcc
	v_alignbit_b32 v11, v25, v11, 30
	v_xor_b32_e32 v12, v12, v33
	v_sub_u32_e32 v27, 32, v26
	v_xor_b32_e32 v11, v11, v33
	v_alignbit_b32 v28, v34, v12, v27
	v_alignbit_b32 v11, v12, v11, v27
	;; [unrolled: 1-line block ×3, first 2 shown]
	v_ffbh_u32_e32 v25, v12
	v_min_u32_e32 v25, 32, v25
	v_lshrrev_b32_e32 v31, 29, v4
	v_sub_u32_e32 v27, 31, v25
	v_alignbit_b32 v11, v12, v11, v27
	v_lshlrev_b32_e32 v12, 31, v31
	v_or_b32_e32 v27, 0x33800000, v12
	v_add_lshl_u32 v25, v25, v26, 23
	v_lshrrev_b32_e32 v11, 9, v11
	v_sub_u32_e32 v25, v27, v25
	v_or_b32_e32 v11, v25, v11
	v_alignbit_b32 v25, v26, v28, 9
	v_or_b32_e32 v12, v25, v12
	v_xor_b32_e32 v12, 1.0, v12
	v_mul_f32_e32 v25, 0x3fc90fda, v12
	v_fma_f32 v26, v12, s44, -v25
	v_fmac_f32_e32 v26, 0x33a22168, v12
	v_fmac_f32_e32 v26, 0x3fc90fda, v11
	v_lshrrev_b32_e32 v4, 30, v4
	v_add_f32_e32 v11, v25, v26
	v_add_u32_e32 v4, v32, v4
	s_andn2_saveexec_b64 s[0:1], s[26:27]
	s_branch .LBB255_240
.LBB255_239:                            ;   in Loop: Header=BB255_233 Depth=1
	s_andn2_saveexec_b64 s[0:1], s[26:27]
.LBB255_240:                            ;   in Loop: Header=BB255_233 Depth=1
	v_mul_f32_e64 v4, |v7|, s45
	v_rndne_f32_e32 v12, v4
	v_cvt_i32_f32_e32 v4, v12
	v_fma_f32 v11, v12, s46, |v7|
	v_fmac_f32_e32 v11, 0xb3a22168, v12
	v_fmac_f32_e32 v11, 0xa7c234c4, v12
; %bb.241:                              ;   in Loop: Header=BB255_233 Depth=1
	s_or_b64 exec, exec, s[0:1]
                                        ; implicit-def: $vgpr12
                                        ; implicit-def: $vgpr25
	s_and_saveexec_b64 s[0:1], s[24:25]
	s_xor_b64 s[24:25], exec, s[0:1]
	s_cbranch_execz .LBB255_243
; %bb.242:                              ;   in Loop: Header=BB255_233 Depth=1
	v_lshrrev_b32_e32 v12, 23, v10
	v_add_u32_e32 v12, 0xffffff88, v12
	v_cmp_lt_u32_e32 vcc, 63, v12
	v_cndmask_b32_e32 v25, 0, v21, vcc
	v_add_u32_e32 v12, v25, v12
	v_cmp_lt_u32_e64 s[0:1], 31, v12
	v_cndmask_b32_e64 v25, 0, v22, s[0:1]
	v_add_u32_e32 v12, v25, v12
	v_cmp_lt_u32_e64 s[2:3], 31, v12
	v_cndmask_b32_e64 v25, 0, v22, s[2:3]
	v_add_u32_e32 v25, v25, v12
	v_and_b32_e32 v12, 0x7fffff, v10
	v_or_b32_e32 v38, 0x800000, v12
	v_mad_u64_u32 v[26:27], s[4:5], v38, s37, 0
	v_mov_b32_e32 v12, v27
	v_mad_u64_u32 v[28:29], s[4:5], v38, s38, v[12:13]
	v_mov_b32_e32 v12, v29
	;; [unrolled: 2-line block ×6, first 2 shown]
	v_mad_u64_u32 v[38:39], s[4:5], v38, s43, v[12:13]
	v_cndmask_b32_e32 v27, v36, v32, vcc
	v_cndmask_b32_e32 v12, v38, v34, vcc
	;; [unrolled: 1-line block ×3, first 2 shown]
	v_cndmask_b32_e64 v29, v12, v27, s[0:1]
	v_cndmask_b32_e64 v12, v31, v12, s[0:1]
	v_cndmask_b32_e32 v31, v34, v30, vcc
	v_cndmask_b32_e64 v27, v27, v31, s[0:1]
	v_sub_u32_e32 v33, 32, v25
	v_cmp_eq_u32_e64 s[4:5], 0, v25
	v_cndmask_b32_e32 v25, v32, v28, vcc
	v_cndmask_b32_e64 v12, v12, v29, s[2:3]
	v_cndmask_b32_e64 v29, v29, v27, s[2:3]
	;; [unrolled: 1-line block ×3, first 2 shown]
	v_alignbit_b32 v34, v12, v29, v33
	v_cndmask_b32_e64 v27, v27, v28, s[2:3]
	v_cndmask_b32_e64 v12, v34, v12, s[4:5]
	v_alignbit_b32 v31, v29, v27, v33
	v_cndmask_b32_e64 v29, v31, v29, s[4:5]
	v_bfe_u32 v34, v12, 29, 1
	v_cndmask_b32_e32 v26, v30, v26, vcc
	v_alignbit_b32 v31, v12, v29, 30
	v_sub_u32_e32 v35, 0, v34
	v_cndmask_b32_e64 v25, v25, v26, s[0:1]
	v_xor_b32_e32 v36, v31, v35
	v_cndmask_b32_e64 v25, v28, v25, s[2:3]
	v_alignbit_b32 v26, v27, v25, v33
	v_ffbh_u32_e32 v28, v36
	v_cndmask_b32_e64 v26, v26, v27, s[4:5]
	v_add_u32_e32 v28, 1, v28
	v_cmp_ne_u32_e32 vcc, v31, v35
	v_alignbit_b32 v27, v29, v26, 30
	v_cndmask_b32_e32 v28, 33, v28, vcc
	v_alignbit_b32 v25, v26, v25, 30
	v_xor_b32_e32 v27, v27, v35
	v_sub_u32_e32 v29, 32, v28
	v_xor_b32_e32 v25, v25, v35
	v_alignbit_b32 v30, v36, v27, v29
	v_alignbit_b32 v25, v27, v25, v29
	;; [unrolled: 1-line block ×3, first 2 shown]
	v_ffbh_u32_e32 v27, v26
	v_min_u32_e32 v27, 32, v27
	v_lshrrev_b32_e32 v32, 29, v12
	v_sub_u32_e32 v29, 31, v27
	v_alignbit_b32 v25, v26, v25, v29
	v_lshlrev_b32_e32 v26, 31, v32
	v_or_b32_e32 v29, 0x33800000, v26
	v_add_lshl_u32 v27, v27, v28, 23
	v_lshrrev_b32_e32 v25, 9, v25
	v_sub_u32_e32 v27, v29, v27
	v_or_b32_e32 v25, v27, v25
	v_alignbit_b32 v27, v28, v30, 9
	v_or_b32_e32 v26, v27, v26
	v_xor_b32_e32 v26, 1.0, v26
	v_mul_f32_e32 v27, 0x3fc90fda, v26
	v_fma_f32 v28, v26, s44, -v27
	v_fmac_f32_e32 v28, 0x33a22168, v26
	v_fmac_f32_e32 v28, 0x3fc90fda, v25
	v_lshrrev_b32_e32 v12, 30, v12
	v_add_f32_e32 v25, v27, v28
	v_add_u32_e32 v12, v34, v12
	s_andn2_saveexec_b64 s[0:1], s[24:25]
	s_cbranch_execnz .LBB255_244
	s_branch .LBB255_245
.LBB255_243:                            ;   in Loop: Header=BB255_233 Depth=1
	s_andn2_saveexec_b64 s[0:1], s[24:25]
.LBB255_244:                            ;   in Loop: Header=BB255_233 Depth=1
	v_mul_f32_e64 v12, |v7|, s45
	v_rndne_f32_e32 v26, v12
	v_cvt_i32_f32_e32 v12, v26
	v_fma_f32 v25, v26, s46, |v7|
	v_fmac_f32_e32 v25, 0xb3a22168, v26
	v_fmac_f32_e32 v25, 0xa7c234c4, v26
.LBB255_245:                            ;   in Loop: Header=BB255_233 Depth=1
	s_or_b64 exec, exec, s[0:1]
	v_mul_f32_e32 v26, 0xbfb8aa3b, v6
	v_rndne_f32_e32 v27, v26
	v_sub_f32_e32 v28, v26, v27
	v_fma_f32 v26, v6, s47, -v26
	v_fmac_f32_e32 v26, 0xb2a5705f, v6
	v_add_f32_e32 v26, v28, v26
	v_cvt_i32_f32_e32 v27, v27
	v_exp_f32_e32 v26, v26
	v_mov_b32_e32 v28, 0x3c0881c4
	v_cmp_nlt_f32_e32 vcc, s48, v6
	v_ldexp_f32 v26, v26, v27
	v_mul_f32_e32 v27, v11, v11
	v_fmac_f32_e32 v28, 0xb94c1982, v27
	v_fma_f32 v28, v27, v28, v18
	v_mul_f32_e32 v28, v27, v28
	v_fmac_f32_e32 v11, v11, v28
	v_mov_b32_e32 v28, 0xbab64f3b
	v_fmac_f32_e32 v28, 0x37d75334, v27
	v_fma_f32 v28, v27, v28, v19
	v_fma_f32 v28, v27, v28, v20
	v_cndmask_b32_e32 v26, 0, v26, vcc
	v_cmp_ngt_f32_e32 vcc, s49, v6
	v_fma_f32 v27, v27, v28, 1.0
	v_and_b32_e32 v28, 1, v4
	v_cndmask_b32_e32 v26, v23, v26, vcc
	v_cmp_eq_u32_e32 vcc, 0, v28
	v_lshlrev_b32_e32 v4, 30, v4
	v_cndmask_b32_e64 v11, -v11, v27, vcc
	v_and_b32_e32 v4, 0x80000000, v4
	v_xor_b32_e32 v4, v4, v11
	v_mul_f32_e32 v11, v25, v25
	v_mov_b32_e32 v27, 0x3c0881c4
	v_fmac_f32_e32 v27, 0xb94c1982, v11
	v_fma_f32 v27, v11, v27, v18
	v_mul_f32_e32 v27, v11, v27
	v_fmac_f32_e32 v25, v25, v27
	v_mov_b32_e32 v27, 0xbab64f3b
	v_fmac_f32_e32 v27, 0x37d75334, v11
	v_fma_f32 v27, v11, v27, v19
	v_fma_f32 v27, v11, v27, v20
	v_fma_f32 v11, v11, v27, 1.0
	v_and_b32_e32 v27, 1, v12
	v_cmp_eq_u32_e64 s[0:1], 0, v27
	v_lshlrev_b32_e32 v12, 30, v12
	v_cndmask_b32_e64 v11, v11, v25, s[0:1]
	v_and_or_b32 v10, v12, s33, v10
	v_xor_b32_e32 v10, v10, v11
	v_cmp_class_f32_e64 vcc, v7, s50
	v_xor_b32_e32 v5, v10, v5
	v_cndmask_b32_e32 v4, v24, v4, vcc
	v_cndmask_b32_e32 v5, v24, v5, vcc
	v_mul_f32_e32 v4, v26, v4
	v_mul_f32_e32 v5, v26, v5
                                        ; implicit-def: $vgpr10
.LBB255_246:                            ;   in Loop: Header=BB255_233 Depth=1
	s_andn2_saveexec_b64 s[22:23], s[22:23]
	s_cbranch_execz .LBB255_249
; %bb.247:                              ;   in Loop: Header=BB255_233 Depth=1
	v_cmp_nlt_f32_e64 s[24:25], |v7|, s36
                                        ; implicit-def: $vgpr11
                                        ; implicit-def: $vgpr4
	s_and_saveexec_b64 s[0:1], s[24:25]
	s_xor_b64 s[26:27], exec, s[0:1]
	s_cbranch_execz .LBB255_250
; %bb.248:                              ;   in Loop: Header=BB255_233 Depth=1
	v_lshrrev_b32_e32 v4, 23, v10
	v_add_u32_e32 v4, 0xffffff88, v4
	v_cmp_lt_u32_e32 vcc, 63, v4
	v_cndmask_b32_e32 v11, 0, v21, vcc
	v_add_u32_e32 v4, v11, v4
	v_cmp_lt_u32_e64 s[0:1], 31, v4
	v_cndmask_b32_e64 v11, 0, v22, s[0:1]
	v_add_u32_e32 v4, v11, v4
	v_cmp_lt_u32_e64 s[2:3], 31, v4
	v_cndmask_b32_e64 v11, 0, v22, s[2:3]
	v_add_u32_e32 v4, v11, v4
	v_and_b32_e32 v11, 0x7fffff, v10
	v_or_b32_e32 v11, 0x800000, v11
	v_mad_u64_u32 v[26:27], s[4:5], v11, s37, 0
	v_mov_b32_e32 v12, v27
	v_mad_u64_u32 v[28:29], s[4:5], v11, s38, v[12:13]
	v_mov_b32_e32 v12, v29
	;; [unrolled: 2-line block ×6, first 2 shown]
	v_mad_u64_u32 v[38:39], s[4:5], v11, s43, v[12:13]
	v_cndmask_b32_e32 v25, v36, v32, vcc
	v_cndmask_b32_e32 v11, v38, v34, vcc
	;; [unrolled: 1-line block ×3, first 2 shown]
	v_cndmask_b32_e64 v12, v11, v25, s[0:1]
	v_cndmask_b32_e64 v11, v27, v11, s[0:1]
	v_cndmask_b32_e32 v27, v34, v30, vcc
	v_cndmask_b32_e64 v25, v25, v27, s[0:1]
	v_sub_u32_e32 v29, 32, v4
	v_cmp_eq_u32_e64 s[4:5], 0, v4
	v_cndmask_b32_e32 v4, v32, v28, vcc
	v_cndmask_b32_e64 v11, v11, v12, s[2:3]
	v_cndmask_b32_e64 v12, v12, v25, s[2:3]
	;; [unrolled: 1-line block ×3, first 2 shown]
	v_alignbit_b32 v31, v11, v12, v29
	v_cndmask_b32_e64 v25, v25, v27, s[2:3]
	v_cndmask_b32_e64 v11, v31, v11, s[4:5]
	v_alignbit_b32 v28, v12, v25, v29
	v_cndmask_b32_e32 v26, v30, v26, vcc
	v_cndmask_b32_e64 v12, v28, v12, s[4:5]
	v_bfe_u32 v32, v11, 29, 1
	v_cndmask_b32_e64 v4, v4, v26, s[0:1]
	v_alignbit_b32 v28, v11, v12, 30
	v_sub_u32_e32 v33, 0, v32
	v_cndmask_b32_e64 v4, v27, v4, s[2:3]
	v_xor_b32_e32 v34, v28, v33
	v_alignbit_b32 v26, v25, v4, v29
	v_cndmask_b32_e64 v25, v26, v25, s[4:5]
	v_ffbh_u32_e32 v26, v34
	v_add_u32_e32 v26, 1, v26
	v_cmp_ne_u32_e32 vcc, v28, v33
	v_alignbit_b32 v12, v12, v25, 30
	v_cndmask_b32_e32 v26, 33, v26, vcc
	v_alignbit_b32 v4, v25, v4, 30
	v_xor_b32_e32 v12, v12, v33
	v_sub_u32_e32 v27, 32, v26
	v_xor_b32_e32 v4, v4, v33
	v_alignbit_b32 v28, v34, v12, v27
	v_alignbit_b32 v4, v12, v4, v27
	;; [unrolled: 1-line block ×3, first 2 shown]
	v_ffbh_u32_e32 v25, v12
	v_min_u32_e32 v25, 32, v25
	v_lshrrev_b32_e32 v31, 29, v11
	v_sub_u32_e32 v27, 31, v25
	v_alignbit_b32 v4, v12, v4, v27
	v_lshlrev_b32_e32 v12, 31, v31
	v_or_b32_e32 v27, 0x33800000, v12
	v_add_lshl_u32 v25, v25, v26, 23
	v_lshrrev_b32_e32 v4, 9, v4
	v_sub_u32_e32 v25, v27, v25
	v_or_b32_e32 v4, v25, v4
	v_alignbit_b32 v25, v26, v28, 9
	v_or_b32_e32 v12, v25, v12
	v_xor_b32_e32 v12, 1.0, v12
	v_mul_f32_e32 v25, 0x3fc90fda, v12
	v_fma_f32 v26, v12, s44, -v25
	v_fmac_f32_e32 v26, 0x33a22168, v12
	v_fmac_f32_e32 v26, 0x3fc90fda, v4
	v_lshrrev_b32_e32 v11, 30, v11
	v_add_f32_e32 v4, v25, v26
	v_add_u32_e32 v11, v32, v11
	s_andn2_saveexec_b64 s[0:1], s[26:27]
	s_branch .LBB255_251
.LBB255_249:                            ;   in Loop: Header=BB255_233 Depth=1
	s_or_b64 exec, exec, s[22:23]
                                        ; implicit-def: $vgpr11
                                        ; implicit-def: $vgpr12
	s_andn2_saveexec_b64 s[0:1], s[20:21]
	s_cbranch_execnz .LBB255_258
	s_branch .LBB255_263
.LBB255_250:                            ;   in Loop: Header=BB255_233 Depth=1
	s_andn2_saveexec_b64 s[0:1], s[26:27]
.LBB255_251:                            ;   in Loop: Header=BB255_233 Depth=1
	v_mul_f32_e64 v4, |v7|, s45
	v_rndne_f32_e32 v12, v4
	v_cvt_i32_f32_e32 v11, v12
	v_fma_f32 v4, v12, s46, |v7|
	v_fmac_f32_e32 v4, 0xb3a22168, v12
	v_fmac_f32_e32 v4, 0xa7c234c4, v12
; %bb.252:                              ;   in Loop: Header=BB255_233 Depth=1
	s_or_b64 exec, exec, s[0:1]
                                        ; implicit-def: $vgpr12
                                        ; implicit-def: $vgpr25
	s_and_saveexec_b64 s[0:1], s[24:25]
	s_xor_b64 s[24:25], exec, s[0:1]
	s_cbranch_execz .LBB255_254
; %bb.253:                              ;   in Loop: Header=BB255_233 Depth=1
	v_lshrrev_b32_e32 v12, 23, v10
	v_add_u32_e32 v12, 0xffffff88, v12
	v_cmp_lt_u32_e32 vcc, 63, v12
	v_cndmask_b32_e32 v25, 0, v21, vcc
	v_add_u32_e32 v12, v25, v12
	v_cmp_lt_u32_e64 s[0:1], 31, v12
	v_cndmask_b32_e64 v25, 0, v22, s[0:1]
	v_add_u32_e32 v12, v25, v12
	v_cmp_lt_u32_e64 s[2:3], 31, v12
	v_cndmask_b32_e64 v25, 0, v22, s[2:3]
	v_add_u32_e32 v25, v25, v12
	v_and_b32_e32 v12, 0x7fffff, v10
	v_or_b32_e32 v38, 0x800000, v12
	v_mad_u64_u32 v[26:27], s[4:5], v38, s37, 0
	v_mov_b32_e32 v12, v27
	v_mad_u64_u32 v[28:29], s[4:5], v38, s38, v[12:13]
	v_mov_b32_e32 v12, v29
	;; [unrolled: 2-line block ×6, first 2 shown]
	v_mad_u64_u32 v[38:39], s[4:5], v38, s43, v[12:13]
	v_cndmask_b32_e32 v27, v36, v32, vcc
	v_cndmask_b32_e32 v12, v38, v34, vcc
	v_cndmask_b32_e32 v31, v39, v36, vcc
	v_cndmask_b32_e64 v29, v12, v27, s[0:1]
	v_cndmask_b32_e64 v12, v31, v12, s[0:1]
	v_cndmask_b32_e32 v31, v34, v30, vcc
	v_cndmask_b32_e64 v27, v27, v31, s[0:1]
	v_sub_u32_e32 v33, 32, v25
	v_cmp_eq_u32_e64 s[4:5], 0, v25
	v_cndmask_b32_e32 v25, v32, v28, vcc
	v_cndmask_b32_e64 v12, v12, v29, s[2:3]
	v_cndmask_b32_e64 v29, v29, v27, s[2:3]
	;; [unrolled: 1-line block ×3, first 2 shown]
	v_alignbit_b32 v34, v12, v29, v33
	v_cndmask_b32_e64 v27, v27, v28, s[2:3]
	v_cndmask_b32_e64 v12, v34, v12, s[4:5]
	v_alignbit_b32 v31, v29, v27, v33
	v_cndmask_b32_e64 v29, v31, v29, s[4:5]
	v_bfe_u32 v34, v12, 29, 1
	v_cndmask_b32_e32 v26, v30, v26, vcc
	v_alignbit_b32 v31, v12, v29, 30
	v_sub_u32_e32 v35, 0, v34
	v_cndmask_b32_e64 v25, v25, v26, s[0:1]
	v_xor_b32_e32 v36, v31, v35
	v_cndmask_b32_e64 v25, v28, v25, s[2:3]
	v_alignbit_b32 v26, v27, v25, v33
	v_ffbh_u32_e32 v28, v36
	v_cndmask_b32_e64 v26, v26, v27, s[4:5]
	v_add_u32_e32 v28, 1, v28
	v_cmp_ne_u32_e32 vcc, v31, v35
	v_alignbit_b32 v27, v29, v26, 30
	v_cndmask_b32_e32 v28, 33, v28, vcc
	v_alignbit_b32 v25, v26, v25, 30
	v_xor_b32_e32 v27, v27, v35
	v_sub_u32_e32 v29, 32, v28
	v_xor_b32_e32 v25, v25, v35
	v_alignbit_b32 v30, v36, v27, v29
	v_alignbit_b32 v25, v27, v25, v29
	;; [unrolled: 1-line block ×3, first 2 shown]
	v_ffbh_u32_e32 v27, v26
	v_min_u32_e32 v27, 32, v27
	v_lshrrev_b32_e32 v32, 29, v12
	v_sub_u32_e32 v29, 31, v27
	v_alignbit_b32 v25, v26, v25, v29
	v_lshlrev_b32_e32 v26, 31, v32
	v_or_b32_e32 v29, 0x33800000, v26
	v_add_lshl_u32 v27, v27, v28, 23
	v_lshrrev_b32_e32 v25, 9, v25
	v_sub_u32_e32 v27, v29, v27
	v_or_b32_e32 v25, v27, v25
	v_alignbit_b32 v27, v28, v30, 9
	v_or_b32_e32 v26, v27, v26
	v_xor_b32_e32 v26, 1.0, v26
	v_mul_f32_e32 v27, 0x3fc90fda, v26
	v_fma_f32 v28, v26, s44, -v27
	v_fmac_f32_e32 v28, 0x33a22168, v26
	v_fmac_f32_e32 v28, 0x3fc90fda, v25
	v_lshrrev_b32_e32 v12, 30, v12
	v_add_f32_e32 v25, v27, v28
	v_add_u32_e32 v12, v34, v12
	s_andn2_saveexec_b64 s[0:1], s[24:25]
	s_cbranch_execnz .LBB255_255
	s_branch .LBB255_256
.LBB255_254:                            ;   in Loop: Header=BB255_233 Depth=1
	s_andn2_saveexec_b64 s[0:1], s[24:25]
.LBB255_255:                            ;   in Loop: Header=BB255_233 Depth=1
	v_mul_f32_e64 v12, |v7|, s45
	v_rndne_f32_e32 v26, v12
	v_cvt_i32_f32_e32 v12, v26
	v_fma_f32 v25, v26, s46, |v7|
	v_fmac_f32_e32 v25, 0xb3a22168, v26
	v_fmac_f32_e32 v25, 0xa7c234c4, v26
.LBB255_256:                            ;   in Loop: Header=BB255_233 Depth=1
	s_or_b64 exec, exec, s[0:1]
	v_mul_f32_e32 v27, v4, v4
	v_mov_b32_e32 v28, 0xbab64f3b
	v_fmac_f32_e32 v28, 0x37d75334, v27
	v_mov_b32_e32 v29, 0x3c0881c4
	v_fma_f32 v28, v27, v28, v19
	v_fmac_f32_e32 v29, 0xb94c1982, v27
	v_fma_f32 v28, v27, v28, v20
	v_fma_f32 v29, v27, v29, v18
	v_fma_f32 v28, v27, v28, 1.0
	v_mul_f32_e32 v27, v27, v29
	v_fmac_f32_e32 v4, v4, v27
	v_sub_f32_e32 v27, 0xc322e3bc, v6
	v_mul_f32_e32 v29, 0x3fb8aa3b, v27
	v_fma_f32 v30, v27, s51, -v29
	v_rndne_f32_e32 v31, v29
	v_fmac_f32_e32 v30, 0x32a5705f, v27
	v_sub_f32_e32 v29, v29, v31
	v_add_f32_e32 v29, v29, v30
	v_exp_f32_e32 v29, v29
	v_cvt_i32_f32_e32 v30, v31
	v_lshlrev_b32_e32 v26, 30, v11
	v_and_b32_e32 v11, 1, v11
	v_cmp_eq_u32_e32 vcc, 0, v11
	v_and_b32_e32 v26, 0x80000000, v26
	v_cndmask_b32_e64 v4, -v4, v28, vcc
	v_xor_b32_e32 v11, v26, v4
	v_ldexp_f32 v4, v29, v30
	v_cmp_ngt_f32_e32 vcc, s52, v27
	v_cndmask_b32_e32 v4, 0, v4, vcc
	v_cmp_nlt_f32_e32 vcc, s53, v27
	v_cndmask_b32_e32 v26, v23, v4, vcc
	v_and_b32_e32 v4, 0x7fffff, v26
	v_lshrrev_b32_e32 v26, 23, v26
	v_subrev_u32_e32 v27, 19, v26
	v_lshrrev_b16_e32 v26, 15, v27
	v_add_u16_e32 v26, v27, v26
	v_ashrrev_i16_e32 v26, 1, v26
	v_bfe_i32 v28, v26, 0, 16
	v_sub_u32_e32 v27, v27, v28
	v_lshl_add_u32 v26, v28, 23, 1.0
	v_lshl_add_u32 v28, v27, 23, 1.0
	v_mul_f32_e32 v27, v25, v25
	v_mov_b32_e32 v29, 0x3c0881c4
	v_fmac_f32_e32 v29, 0xb94c1982, v27
	v_fma_f32 v29, v27, v29, v18
	v_mul_f32_e32 v29, v27, v29
	v_fmac_f32_e32 v25, v25, v29
	v_mov_b32_e32 v29, 0xbab64f3b
	v_fmac_f32_e32 v29, 0x37d75334, v27
	v_fma_f32 v29, v27, v29, v19
	v_fma_f32 v29, v27, v29, v20
	v_fma_f32 v27, v27, v29, 1.0
	v_and_b32_e32 v29, 1, v12
	v_cmp_eq_u32_e32 vcc, 0, v29
	v_lshlrev_b32_e32 v12, 30, v12
	v_cndmask_b32_e32 v25, v27, v25, vcc
	v_and_or_b32 v10, v12, s33, v10
	v_xor_b32_e32 v10, v10, v25
	v_xor_b32_e32 v5, v10, v5
	v_cmp_class_f32_e64 vcc, v7, s50
	v_or_b32_e32 v4, 0x7f000000, v4
	v_cndmask_b32_e32 v10, v24, v11, vcc
	v_cndmask_b32_e32 v11, v24, v5, vcc
	v_pk_mul_f32 v[4:5], v[10:11], v[4:5] op_sel_hi:[1,0]
	v_pk_mul_f32 v[4:5], v[4:5], v[26:27] op_sel_hi:[1,0]
	;; [unrolled: 1-line block ×3, first 2 shown]
	s_or_b64 exec, exec, s[22:23]
                                        ; implicit-def: $vgpr11
                                        ; implicit-def: $vgpr12
.LBB255_257:                            ;   in Loop: Header=BB255_233 Depth=1
	s_andn2_saveexec_b64 s[0:1], s[20:21]
	s_cbranch_execz .LBB255_263
.LBB255_258:                            ;   in Loop: Header=BB255_233 Depth=1
	v_cmp_ne_u32_e32 vcc, s34, v12
	v_sub_f32_e32 v5, v7, v7
	s_and_saveexec_b64 s[2:3], vcc
	s_xor_b64 s[2:3], exec, s[2:3]
; %bb.259:                              ;   in Loop: Header=BB255_233 Depth=1
                                        ; implicit-def: $vgpr11
; %bb.260:                              ;   in Loop: Header=BB255_233 Depth=1
	s_or_saveexec_b64 s[2:3], s[2:3]
	v_mov_b32_e32 v4, v5
	s_xor_b64 exec, exec, s[2:3]
; %bb.261:                              ;   in Loop: Header=BB255_233 Depth=1
	v_cmp_lt_i32_e32 vcc, -1, v11
	v_cndmask_b32_e64 v4, 0, -v6, vcc
	v_cndmask_b32_e32 v5, 0, v5, vcc
; %bb.262:                              ;   in Loop: Header=BB255_233 Depth=1
	s_or_b64 exec, exec, s[2:3]
.LBB255_263:                            ;   in Loop: Header=BB255_233 Depth=1
	s_or_b64 exec, exec, s[0:1]
                                        ; implicit-def: $vgpr10
.LBB255_264:                            ;   in Loop: Header=BB255_233 Depth=1
	s_andn2_saveexec_b64 s[14:15], s[14:15]
	s_cbranch_execz .LBB255_274
; %bb.265:                              ;   in Loop: Header=BB255_233 Depth=1
	v_cmp_nlt_f32_e64 s[20:21], |v7|, s36
                                        ; implicit-def: $vgpr4
                                        ; implicit-def: $vgpr11
	s_and_saveexec_b64 s[0:1], s[20:21]
	s_xor_b64 s[22:23], exec, s[0:1]
	s_cbranch_execz .LBB255_267
; %bb.266:                              ;   in Loop: Header=BB255_233 Depth=1
	v_lshrrev_b32_e32 v4, 23, v10
	v_add_u32_e32 v4, 0xffffff88, v4
	v_cmp_lt_u32_e32 vcc, 63, v4
	v_cndmask_b32_e32 v11, 0, v21, vcc
	v_add_u32_e32 v4, v11, v4
	v_cmp_lt_u32_e64 s[0:1], 31, v4
	v_cndmask_b32_e64 v11, 0, v22, s[0:1]
	v_add_u32_e32 v4, v11, v4
	v_cmp_lt_u32_e64 s[2:3], 31, v4
	v_cndmask_b32_e64 v11, 0, v22, s[2:3]
	v_add_u32_e32 v4, v11, v4
	v_and_b32_e32 v11, 0x7fffff, v10
	v_or_b32_e32 v11, 0x800000, v11
	v_mad_u64_u32 v[26:27], s[4:5], v11, s37, 0
	v_mov_b32_e32 v12, v27
	v_mad_u64_u32 v[28:29], s[4:5], v11, s38, v[12:13]
	v_mov_b32_e32 v12, v29
	v_mad_u64_u32 v[30:31], s[4:5], v11, s39, v[12:13]
	v_mov_b32_e32 v12, v31
	v_mad_u64_u32 v[32:33], s[4:5], v11, s40, v[12:13]
	v_mov_b32_e32 v12, v33
	v_mad_u64_u32 v[34:35], s[4:5], v11, s41, v[12:13]
	v_mov_b32_e32 v12, v35
	v_mad_u64_u32 v[36:37], s[4:5], v11, s42, v[12:13]
	v_mov_b32_e32 v12, v37
	v_mad_u64_u32 v[38:39], s[4:5], v11, s43, v[12:13]
	v_cndmask_b32_e32 v25, v36, v32, vcc
	v_cndmask_b32_e32 v11, v38, v34, vcc
	;; [unrolled: 1-line block ×3, first 2 shown]
	v_cndmask_b32_e64 v12, v11, v25, s[0:1]
	v_cndmask_b32_e64 v11, v27, v11, s[0:1]
	v_cndmask_b32_e32 v27, v34, v30, vcc
	v_cndmask_b32_e64 v25, v25, v27, s[0:1]
	v_cndmask_b32_e64 v11, v11, v12, s[2:3]
	;; [unrolled: 1-line block ×3, first 2 shown]
	v_sub_u32_e32 v29, 32, v4
	v_alignbit_b32 v31, v11, v12, v29
	v_cmp_eq_u32_e64 s[4:5], 0, v4
	v_cndmask_b32_e64 v4, v31, v11, s[4:5]
	v_cndmask_b32_e32 v11, v32, v28, vcc
	v_cndmask_b32_e64 v27, v27, v11, s[0:1]
	v_cndmask_b32_e64 v25, v25, v27, s[2:3]
	v_alignbit_b32 v28, v12, v25, v29
	v_cndmask_b32_e32 v26, v30, v26, vcc
	v_cndmask_b32_e64 v12, v28, v12, s[4:5]
	v_bfe_u32 v32, v4, 29, 1
	v_cndmask_b32_e64 v11, v11, v26, s[0:1]
	v_alignbit_b32 v28, v4, v12, 30
	v_sub_u32_e32 v33, 0, v32
	v_cndmask_b32_e64 v11, v27, v11, s[2:3]
	v_xor_b32_e32 v34, v28, v33
	v_alignbit_b32 v26, v25, v11, v29
	v_cndmask_b32_e64 v25, v26, v25, s[4:5]
	v_ffbh_u32_e32 v26, v34
	v_add_u32_e32 v26, 1, v26
	v_cmp_ne_u32_e32 vcc, v28, v33
	v_alignbit_b32 v12, v12, v25, 30
	v_cndmask_b32_e32 v26, 33, v26, vcc
	v_alignbit_b32 v11, v25, v11, 30
	v_xor_b32_e32 v12, v12, v33
	v_sub_u32_e32 v27, 32, v26
	v_xor_b32_e32 v11, v11, v33
	v_alignbit_b32 v28, v34, v12, v27
	v_alignbit_b32 v11, v12, v11, v27
	;; [unrolled: 1-line block ×3, first 2 shown]
	v_ffbh_u32_e32 v25, v12
	v_min_u32_e32 v25, 32, v25
	v_lshrrev_b32_e32 v31, 29, v4
	v_sub_u32_e32 v27, 31, v25
	v_alignbit_b32 v11, v12, v11, v27
	v_lshlrev_b32_e32 v12, 31, v31
	v_or_b32_e32 v27, 0x33800000, v12
	v_add_lshl_u32 v25, v25, v26, 23
	v_lshrrev_b32_e32 v11, 9, v11
	v_sub_u32_e32 v25, v27, v25
	v_or_b32_e32 v11, v25, v11
	v_alignbit_b32 v25, v26, v28, 9
	v_or_b32_e32 v12, v25, v12
	v_xor_b32_e32 v12, 1.0, v12
	v_mul_f32_e32 v25, 0x3fc90fda, v12
	v_fma_f32 v26, v12, s44, -v25
	v_fmac_f32_e32 v26, 0x33a22168, v12
	v_fmac_f32_e32 v26, 0x3fc90fda, v11
	v_lshrrev_b32_e32 v4, 30, v4
	v_add_f32_e32 v11, v25, v26
	v_add_u32_e32 v4, v32, v4
	s_andn2_saveexec_b64 s[0:1], s[22:23]
	s_branch .LBB255_268
.LBB255_267:                            ;   in Loop: Header=BB255_233 Depth=1
	s_andn2_saveexec_b64 s[0:1], s[22:23]
.LBB255_268:                            ;   in Loop: Header=BB255_233 Depth=1
	v_mul_f32_e64 v4, |v7|, s45
	v_rndne_f32_e32 v12, v4
	v_cvt_i32_f32_e32 v4, v12
	v_fma_f32 v11, v12, s46, |v7|
	v_fmac_f32_e32 v11, 0xb3a22168, v12
	v_fmac_f32_e32 v11, 0xa7c234c4, v12
; %bb.269:                              ;   in Loop: Header=BB255_233 Depth=1
	s_or_b64 exec, exec, s[0:1]
                                        ; implicit-def: $vgpr12
                                        ; implicit-def: $vgpr25
	s_and_saveexec_b64 s[0:1], s[20:21]
	s_xor_b64 s[20:21], exec, s[0:1]
	s_cbranch_execz .LBB255_271
; %bb.270:                              ;   in Loop: Header=BB255_233 Depth=1
	v_lshrrev_b32_e32 v12, 23, v10
	v_add_u32_e32 v12, 0xffffff88, v12
	v_cmp_lt_u32_e32 vcc, 63, v12
	v_cndmask_b32_e32 v25, 0, v21, vcc
	v_add_u32_e32 v12, v25, v12
	v_cmp_lt_u32_e64 s[0:1], 31, v12
	v_cndmask_b32_e64 v25, 0, v22, s[0:1]
	v_add_u32_e32 v12, v25, v12
	v_cmp_lt_u32_e64 s[2:3], 31, v12
	v_cndmask_b32_e64 v25, 0, v22, s[2:3]
	v_add_u32_e32 v25, v25, v12
	v_and_b32_e32 v12, 0x7fffff, v10
	v_or_b32_e32 v38, 0x800000, v12
	v_mad_u64_u32 v[26:27], s[4:5], v38, s37, 0
	v_mov_b32_e32 v12, v27
	v_mad_u64_u32 v[28:29], s[4:5], v38, s38, v[12:13]
	v_mov_b32_e32 v12, v29
	;; [unrolled: 2-line block ×6, first 2 shown]
	v_mad_u64_u32 v[38:39], s[4:5], v38, s43, v[12:13]
	v_cndmask_b32_e32 v27, v36, v32, vcc
	v_cndmask_b32_e32 v12, v38, v34, vcc
	;; [unrolled: 1-line block ×3, first 2 shown]
	v_cndmask_b32_e64 v29, v12, v27, s[0:1]
	v_cndmask_b32_e64 v12, v31, v12, s[0:1]
	v_cndmask_b32_e32 v31, v34, v30, vcc
	v_cndmask_b32_e64 v27, v27, v31, s[0:1]
	v_sub_u32_e32 v33, 32, v25
	v_cmp_eq_u32_e64 s[4:5], 0, v25
	v_cndmask_b32_e32 v25, v32, v28, vcc
	v_cndmask_b32_e64 v12, v12, v29, s[2:3]
	v_cndmask_b32_e64 v29, v29, v27, s[2:3]
	;; [unrolled: 1-line block ×3, first 2 shown]
	v_alignbit_b32 v34, v12, v29, v33
	v_cndmask_b32_e64 v27, v27, v28, s[2:3]
	v_cndmask_b32_e64 v12, v34, v12, s[4:5]
	v_alignbit_b32 v31, v29, v27, v33
	v_cndmask_b32_e64 v29, v31, v29, s[4:5]
	v_bfe_u32 v34, v12, 29, 1
	v_cndmask_b32_e32 v26, v30, v26, vcc
	v_alignbit_b32 v31, v12, v29, 30
	v_sub_u32_e32 v35, 0, v34
	v_cndmask_b32_e64 v25, v25, v26, s[0:1]
	v_xor_b32_e32 v36, v31, v35
	v_cndmask_b32_e64 v25, v28, v25, s[2:3]
	v_alignbit_b32 v26, v27, v25, v33
	v_ffbh_u32_e32 v28, v36
	v_cndmask_b32_e64 v26, v26, v27, s[4:5]
	v_add_u32_e32 v28, 1, v28
	v_cmp_ne_u32_e32 vcc, v31, v35
	v_alignbit_b32 v27, v29, v26, 30
	v_cndmask_b32_e32 v28, 33, v28, vcc
	v_alignbit_b32 v25, v26, v25, 30
	v_xor_b32_e32 v27, v27, v35
	v_sub_u32_e32 v29, 32, v28
	v_xor_b32_e32 v25, v25, v35
	v_alignbit_b32 v30, v36, v27, v29
	v_alignbit_b32 v25, v27, v25, v29
	;; [unrolled: 1-line block ×3, first 2 shown]
	v_ffbh_u32_e32 v27, v26
	v_min_u32_e32 v27, 32, v27
	v_lshrrev_b32_e32 v32, 29, v12
	v_sub_u32_e32 v29, 31, v27
	v_alignbit_b32 v25, v26, v25, v29
	v_lshlrev_b32_e32 v26, 31, v32
	v_or_b32_e32 v29, 0x33800000, v26
	v_add_lshl_u32 v27, v27, v28, 23
	v_lshrrev_b32_e32 v25, 9, v25
	v_sub_u32_e32 v27, v29, v27
	v_or_b32_e32 v25, v27, v25
	v_alignbit_b32 v27, v28, v30, 9
	v_or_b32_e32 v26, v27, v26
	v_xor_b32_e32 v26, 1.0, v26
	v_mul_f32_e32 v27, 0x3fc90fda, v26
	v_fma_f32 v28, v26, s44, -v27
	v_fmac_f32_e32 v28, 0x33a22168, v26
	v_fmac_f32_e32 v28, 0x3fc90fda, v25
	v_lshrrev_b32_e32 v12, 30, v12
	v_add_f32_e32 v25, v27, v28
	v_add_u32_e32 v12, v34, v12
	s_andn2_saveexec_b64 s[0:1], s[20:21]
	s_cbranch_execnz .LBB255_272
	s_branch .LBB255_273
.LBB255_271:                            ;   in Loop: Header=BB255_233 Depth=1
	s_andn2_saveexec_b64 s[0:1], s[20:21]
.LBB255_272:                            ;   in Loop: Header=BB255_233 Depth=1
	v_mul_f32_e64 v12, |v7|, s45
	v_rndne_f32_e32 v26, v12
	v_cvt_i32_f32_e32 v12, v26
	v_fma_f32 v25, v26, s46, |v7|
	v_fmac_f32_e32 v25, 0xb3a22168, v26
	v_fmac_f32_e32 v25, 0xa7c234c4, v26
.LBB255_273:                            ;   in Loop: Header=BB255_233 Depth=1
	s_or_b64 exec, exec, s[0:1]
	v_mul_f32_e32 v26, v11, v11
	v_mov_b32_e32 v27, 0x3c0881c4
	v_fmac_f32_e32 v27, 0xb94c1982, v26
	v_fma_f32 v27, v26, v27, v18
	v_mul_f32_e32 v27, v26, v27
	v_fmac_f32_e32 v11, v11, v27
	v_mov_b32_e32 v27, 0xbab64f3b
	v_fmac_f32_e32 v27, 0x37d75334, v26
	v_fma_f32 v27, v26, v27, v19
	v_fma_f32 v27, v26, v27, v20
	v_fma_f32 v26, v26, v27, 1.0
	v_and_b32_e32 v27, 1, v4
	v_cmp_eq_u32_e32 vcc, 0, v27
	v_lshlrev_b32_e32 v4, 30, v4
	v_cndmask_b32_e64 v11, -v11, v26, vcc
	v_and_b32_e32 v4, 0x80000000, v4
	v_xor_b32_e32 v4, v4, v11
	v_cmp_class_f32_e64 vcc, v7, s50
	v_mul_f32_e32 v7, v25, v25
	v_mov_b32_e32 v11, 0x3c0881c4
	v_fmac_f32_e32 v11, 0xb94c1982, v7
	v_fma_f32 v11, v7, v11, v18
	v_mul_f32_e32 v11, v7, v11
	v_fmac_f32_e32 v25, v25, v11
	v_mov_b32_e32 v11, 0xbab64f3b
	v_fmac_f32_e32 v11, 0x37d75334, v7
	v_fma_f32 v11, v7, v11, v19
	v_fma_f32 v11, v7, v11, v20
	v_fma_f32 v7, v7, v11, 1.0
	v_and_b32_e32 v11, 1, v12
	v_cmp_eq_u32_e64 s[0:1], 0, v11
	v_lshlrev_b32_e32 v11, 30, v12
	v_cndmask_b32_e64 v7, v7, v25, s[0:1]
	v_and_or_b32 v10, v11, s33, v10
	v_xor_b32_e32 v7, v10, v7
	v_xor_b32_e32 v5, v7, v5
	v_cndmask_b32_e32 v4, v24, v4, vcc
	v_cndmask_b32_e32 v5, v24, v5, vcc
.LBB255_274:                            ;   in Loop: Header=BB255_233 Depth=1
	s_or_b64 exec, exec, s[14:15]
.LBB255_275:                            ;   in Loop: Header=BB255_233 Depth=1
	s_andn2_saveexec_b64 s[0:1], s[12:13]
	s_cbranch_execz .LBB255_277
; %bb.276:                              ;   in Loop: Header=BB255_233 Depth=1
	v_mul_f32_e32 v4, 0xbfb8aa3b, v6
	v_rndne_f32_e32 v7, v4
	v_sub_f32_e32 v10, v4, v7
	v_fma_f32 v4, v6, s47, -v4
	v_fmac_f32_e32 v4, 0xb2a5705f, v6
	v_add_f32_e32 v4, v10, v4
	v_cvt_i32_f32_e32 v7, v7
	v_exp_f32_e32 v4, v4
	v_cmp_nlt_f32_e32 vcc, s48, v6
	v_ldexp_f32 v4, v4, v7
	v_cndmask_b32_e32 v4, 0, v4, vcc
	v_cmp_ngt_f32_e32 vcc, s49, v6
	v_cndmask_b32_e32 v4, v23, v4, vcc
.LBB255_277:                            ;   in Loop: Header=BB255_233 Depth=1
	s_or_b64 exec, exec, s[0:1]
	v_pk_add_f32 v[6:7], v[4:5], s[16:17]
	v_cmp_gt_f32_e32 vcc, 0, v7
	v_cndmask_b32_e64 v11, v7, -v7, vcc
	v_cmp_gt_f32_e32 vcc, 0, v6
	v_cndmask_b32_e64 v10, v6, -v6, vcc
	v_cmp_ge_f32_e32 vcc, v10, v11
                                        ; implicit-def: $vgpr4_vgpr5
	s_and_saveexec_b64 s[0:1], vcc
	s_xor_b64 s[2:3], exec, s[0:1]
	s_cbranch_execz .LBB255_283
; %bb.278:                              ;   in Loop: Header=BB255_233 Depth=1
	v_cmp_neq_f32_e32 vcc, 0, v6
	v_cmp_neq_f32_e64 s[0:1], 0, v7
	s_or_b64 s[0:1], vcc, s[0:1]
                                        ; implicit-def: $vgpr4_vgpr5
	s_and_saveexec_b64 s[4:5], s[0:1]
	s_xor_b64 s[0:1], exec, s[4:5]
	s_cbranch_execz .LBB255_280
; %bb.279:                              ;   in Loop: Header=BB255_233 Depth=1
	v_div_scale_f32 v4, s[4:5], v6, v6, v7
	v_rcp_f32_e32 v5, v4
	v_div_scale_f32 v10, vcc, v7, v6, v7
	v_fma_f32 v11, -v4, v5, 1.0
	v_fmac_f32_e32 v5, v11, v5
	v_mul_f32_e32 v11, v10, v5
	v_fma_f32 v12, -v4, v11, v10
	v_fmac_f32_e32 v11, v12, v5
	v_fma_f32 v4, -v4, v11, v10
	v_div_fmas_f32 v4, v4, v5, v11
	v_div_fixup_f32 v4, v4, v6, v7
	v_fmac_f32_e32 v6, v7, v4
	v_div_scale_f32 v5, s[4:5], v6, v6, 1.0
	v_rcp_f32_e32 v7, v5
	v_fma_f32 v10, -v5, v7, 1.0
	v_fmac_f32_e32 v7, v10, v7
	v_div_scale_f32 v10, vcc, 1.0, v6, 1.0
	v_mul_f32_e32 v11, v10, v7
	v_fma_f32 v12, -v5, v11, v10
	v_fmac_f32_e32 v11, v12, v7
	v_fma_f32 v5, -v5, v11, v10
	v_div_fmas_f32 v5, v5, v7, v11
	v_pk_mov_b32 v[10:11], s[16:17], s[16:17] op_sel:[0,1]
	v_div_fixup_f32 v6, v5, v6, 1.0
	v_pk_fma_f32 v[26:27], v[4:5], s[6:7], v[10:11]
	v_pk_fma_f32 v[4:5], v[4:5], s[6:7], v[10:11] op_sel_hi:[0,1,1] neg_lo:[1,0,0] neg_hi:[1,0,0]
	v_mov_b32_e32 v27, v5
	v_pk_mul_f32 v[4:5], v[26:27], v[6:7] op_sel_hi:[1,0]
                                        ; implicit-def: $vgpr11
                                        ; implicit-def: $vgpr10
.LBB255_280:                            ;   in Loop: Header=BB255_233 Depth=1
	s_andn2_saveexec_b64 s[0:1], s[0:1]
	s_cbranch_execz .LBB255_282
; %bb.281:                              ;   in Loop: Header=BB255_233 Depth=1
	v_div_scale_f32 v4, s[4:5], v11, v11, s17
	v_rcp_f32_e32 v5, v4
	v_div_scale_f32 v6, vcc, s17, v11, s17
	v_fma_f32 v7, -v4, v5, 1.0
	v_fmac_f32_e32 v5, v7, v5
	v_mul_f32_e32 v7, v6, v5
	v_fma_f32 v12, -v4, v7, v6
	v_fmac_f32_e32 v7, v12, v5
	v_fma_f32 v4, -v4, v7, v6
	v_div_scale_f32 v6, s[4:5], v10, v10, s16
	v_rcp_f32_e32 v12, v6
	v_div_fmas_f32 v4, v4, v5, v7
	v_div_fixup_f32 v5, v4, v11, s17
	v_fma_f32 v4, -v6, v12, 1.0
	v_fmac_f32_e32 v12, v4, v12
	v_div_scale_f32 v4, vcc, s16, v10, s16
	v_mul_f32_e32 v7, v4, v12
	v_fma_f32 v11, -v6, v7, v4
	v_fmac_f32_e32 v7, v11, v12
	v_fma_f32 v4, -v6, v7, v4
	v_div_fmas_f32 v4, v4, v12, v7
	v_div_fixup_f32 v4, v4, v10, s16
.LBB255_282:                            ;   in Loop: Header=BB255_233 Depth=1
	s_or_b64 exec, exec, s[0:1]
                                        ; implicit-def: $vgpr6_vgpr7
.LBB255_283:                            ;   in Loop: Header=BB255_233 Depth=1
	s_andn2_saveexec_b64 s[0:1], s[2:3]
	s_cbranch_execz .LBB255_285
; %bb.284:                              ;   in Loop: Header=BB255_233 Depth=1
	v_div_scale_f32 v4, s[2:3], v7, v7, v6
	v_rcp_f32_e32 v5, v4
	v_div_scale_f32 v10, vcc, v6, v7, v6
	v_fma_f32 v11, -v4, v5, 1.0
	v_fmac_f32_e32 v5, v11, v5
	v_mul_f32_e32 v11, v10, v5
	v_fma_f32 v12, -v4, v11, v10
	v_fmac_f32_e32 v11, v12, v5
	v_fma_f32 v4, -v4, v11, v10
	v_div_fmas_f32 v4, v4, v5, v11
	v_div_fixup_f32 v4, v4, v7, v6
	v_fmac_f32_e32 v7, v6, v4
	v_div_scale_f32 v5, s[2:3], v7, v7, 1.0
	v_rcp_f32_e32 v6, v5
	v_fma_f32 v10, -v5, v6, 1.0
	v_fmac_f32_e32 v6, v10, v6
	v_div_scale_f32 v10, vcc, 1.0, v7, 1.0
	v_mul_f32_e32 v11, v10, v6
	v_fma_f32 v12, -v5, v11, v10
	v_fmac_f32_e32 v11, v12, v6
	v_fma_f32 v5, -v5, v11, v10
	v_div_fmas_f32 v5, v5, v6, v11
	v_pk_mov_b32 v[10:11], s[6:7], s[6:7] op_sel:[0,1]
	v_div_fixup_f32 v6, v5, v7, 1.0
	v_pk_fma_f32 v[26:27], v[4:5], s[16:17], v[10:11]
	v_pk_fma_f32 v[4:5], v[4:5], s[16:17], v[10:11] op_sel_hi:[0,1,1] neg_lo:[0,0,1] neg_hi:[0,0,1]
	v_mov_b32_e32 v27, v5
	v_pk_mul_f32 v[4:5], v[26:27], v[6:7] op_sel_hi:[1,0]
.LBB255_285:                            ;   in Loop: Header=BB255_233 Depth=1
	s_or_b64 exec, exec, s[0:1]
	v_and_b32_e32 v6, 0x7fffffff, v9
	v_xor_b32_e32 v10, 0x80000000, v9
	v_cmp_ne_u32_e32 vcc, 0, v6
                                        ; implicit-def: $vgpr11
	s_and_saveexec_b64 s[0:1], vcc
	s_xor_b64 s[12:13], exec, s[0:1]
	s_cbranch_execz .LBB255_327
; %bb.286:                              ;   in Loop: Header=BB255_233 Depth=1
	v_and_b32_e32 v7, 0x7fffffff, v8
	v_cmp_ne_u32_e32 vcc, 0, v7
                                        ; implicit-def: $vgpr11
	s_and_saveexec_b64 s[0:1], vcc
	s_xor_b64 s[14:15], exec, s[0:1]
	s_cbranch_execz .LBB255_316
; %bb.287:                              ;   in Loop: Header=BB255_233 Depth=1
	v_xor_b32_e32 v12, 0x80000000, v8
	v_cmp_gt_u32_e32 vcc, s34, v6
                                        ; implicit-def: $vgpr11
	s_and_saveexec_b64 s[0:1], vcc
	s_xor_b64 s[20:21], exec, s[0:1]
	s_cbranch_execz .LBB255_309
; %bb.288:                              ;   in Loop: Header=BB255_233 Depth=1
	v_add_u32_e32 v7, 0xbd4e8de8, v12
	v_cmp_lt_u32_e32 vcc, s35, v7
                                        ; implicit-def: $vgpr11
	s_and_saveexec_b64 s[0:1], vcc
	s_xor_b64 s[22:23], exec, s[0:1]
	s_cbranch_execz .LBB255_298
; %bb.289:                              ;   in Loop: Header=BB255_233 Depth=1
	v_cmp_nlt_f32_e64 s[24:25], |v9|, s36
                                        ; implicit-def: $vgpr7
                                        ; implicit-def: $vgpr11
	s_and_saveexec_b64 s[0:1], s[24:25]
	s_xor_b64 s[26:27], exec, s[0:1]
	s_cbranch_execz .LBB255_291
; %bb.290:                              ;   in Loop: Header=BB255_233 Depth=1
	v_lshrrev_b32_e32 v7, 23, v6
	v_add_u32_e32 v7, 0xffffff88, v7
	v_cmp_lt_u32_e32 vcc, 63, v7
	v_cndmask_b32_e32 v11, 0, v21, vcc
	v_add_u32_e32 v7, v11, v7
	v_cmp_lt_u32_e64 s[0:1], 31, v7
	v_cndmask_b32_e64 v11, 0, v22, s[0:1]
	v_add_u32_e32 v7, v11, v7
	v_cmp_lt_u32_e64 s[2:3], 31, v7
	v_cndmask_b32_e64 v11, 0, v22, s[2:3]
	v_add_u32_e32 v7, v11, v7
	v_and_b32_e32 v11, 0x7fffff, v6
	v_or_b32_e32 v11, 0x800000, v11
	v_mad_u64_u32 v[26:27], s[4:5], v11, s37, 0
	v_mov_b32_e32 v12, v27
	v_mad_u64_u32 v[28:29], s[4:5], v11, s38, v[12:13]
	v_mov_b32_e32 v12, v29
	;; [unrolled: 2-line block ×6, first 2 shown]
	v_mad_u64_u32 v[38:39], s[4:5], v11, s43, v[12:13]
	v_cndmask_b32_e32 v25, v36, v32, vcc
	v_cndmask_b32_e32 v11, v38, v34, vcc
	;; [unrolled: 1-line block ×3, first 2 shown]
	v_cndmask_b32_e64 v12, v11, v25, s[0:1]
	v_cndmask_b32_e64 v11, v27, v11, s[0:1]
	v_cndmask_b32_e32 v27, v34, v30, vcc
	v_cndmask_b32_e64 v25, v25, v27, s[0:1]
	v_cndmask_b32_e64 v11, v11, v12, s[2:3]
	;; [unrolled: 1-line block ×3, first 2 shown]
	v_sub_u32_e32 v29, 32, v7
	v_alignbit_b32 v31, v11, v12, v29
	v_cmp_eq_u32_e64 s[4:5], 0, v7
	v_cndmask_b32_e64 v7, v31, v11, s[4:5]
	v_cndmask_b32_e32 v11, v32, v28, vcc
	v_cndmask_b32_e64 v27, v27, v11, s[0:1]
	v_cndmask_b32_e64 v25, v25, v27, s[2:3]
	v_alignbit_b32 v28, v12, v25, v29
	v_cndmask_b32_e32 v26, v30, v26, vcc
	v_cndmask_b32_e64 v12, v28, v12, s[4:5]
	v_bfe_u32 v32, v7, 29, 1
	v_cndmask_b32_e64 v11, v11, v26, s[0:1]
	v_alignbit_b32 v28, v7, v12, 30
	v_sub_u32_e32 v33, 0, v32
	v_cndmask_b32_e64 v11, v27, v11, s[2:3]
	v_xor_b32_e32 v34, v28, v33
	v_alignbit_b32 v26, v25, v11, v29
	v_cndmask_b32_e64 v25, v26, v25, s[4:5]
	v_ffbh_u32_e32 v26, v34
	v_add_u32_e32 v26, 1, v26
	v_cmp_ne_u32_e32 vcc, v28, v33
	v_alignbit_b32 v12, v12, v25, 30
	v_cndmask_b32_e32 v26, 33, v26, vcc
	v_alignbit_b32 v11, v25, v11, 30
	v_xor_b32_e32 v12, v12, v33
	v_sub_u32_e32 v27, 32, v26
	v_xor_b32_e32 v11, v11, v33
	v_alignbit_b32 v28, v34, v12, v27
	v_alignbit_b32 v11, v12, v11, v27
	;; [unrolled: 1-line block ×3, first 2 shown]
	v_ffbh_u32_e32 v25, v12
	v_min_u32_e32 v25, 32, v25
	v_lshrrev_b32_e32 v31, 29, v7
	v_sub_u32_e32 v27, 31, v25
	v_alignbit_b32 v11, v12, v11, v27
	v_lshlrev_b32_e32 v12, 31, v31
	v_or_b32_e32 v27, 0x33800000, v12
	v_add_lshl_u32 v25, v25, v26, 23
	v_lshrrev_b32_e32 v11, 9, v11
	v_sub_u32_e32 v25, v27, v25
	v_or_b32_e32 v11, v25, v11
	v_alignbit_b32 v25, v26, v28, 9
	v_or_b32_e32 v12, v25, v12
	v_xor_b32_e32 v12, 1.0, v12
	v_mul_f32_e32 v25, 0x3fc90fda, v12
	v_fma_f32 v26, v12, s44, -v25
	v_fmac_f32_e32 v26, 0x33a22168, v12
	v_fmac_f32_e32 v26, 0x3fc90fda, v11
	v_lshrrev_b32_e32 v7, 30, v7
	v_add_f32_e32 v11, v25, v26
	v_add_u32_e32 v7, v32, v7
	s_andn2_saveexec_b64 s[0:1], s[26:27]
	s_branch .LBB255_292
.LBB255_291:                            ;   in Loop: Header=BB255_233 Depth=1
	s_andn2_saveexec_b64 s[0:1], s[26:27]
.LBB255_292:                            ;   in Loop: Header=BB255_233 Depth=1
	v_mul_f32_e64 v7, |v9|, s45
	v_rndne_f32_e32 v12, v7
	v_cvt_i32_f32_e32 v7, v12
	v_fma_f32 v11, v12, s46, |v9|
	v_fmac_f32_e32 v11, 0xb3a22168, v12
	v_fmac_f32_e32 v11, 0xa7c234c4, v12
; %bb.293:                              ;   in Loop: Header=BB255_233 Depth=1
	s_or_b64 exec, exec, s[0:1]
                                        ; implicit-def: $vgpr12
                                        ; implicit-def: $vgpr25
	s_and_saveexec_b64 s[0:1], s[24:25]
	s_xor_b64 s[24:25], exec, s[0:1]
	s_cbranch_execz .LBB255_295
; %bb.294:                              ;   in Loop: Header=BB255_233 Depth=1
	v_lshrrev_b32_e32 v12, 23, v6
	v_add_u32_e32 v12, 0xffffff88, v12
	v_cmp_lt_u32_e32 vcc, 63, v12
	v_cndmask_b32_e32 v25, 0, v21, vcc
	v_add_u32_e32 v12, v25, v12
	v_cmp_lt_u32_e64 s[0:1], 31, v12
	v_cndmask_b32_e64 v25, 0, v22, s[0:1]
	v_add_u32_e32 v12, v25, v12
	v_cmp_lt_u32_e64 s[2:3], 31, v12
	v_cndmask_b32_e64 v25, 0, v22, s[2:3]
	v_add_u32_e32 v25, v25, v12
	v_and_b32_e32 v12, 0x7fffff, v6
	v_or_b32_e32 v38, 0x800000, v12
	v_mad_u64_u32 v[26:27], s[4:5], v38, s37, 0
	v_mov_b32_e32 v12, v27
	v_mad_u64_u32 v[28:29], s[4:5], v38, s38, v[12:13]
	v_mov_b32_e32 v12, v29
	;; [unrolled: 2-line block ×6, first 2 shown]
	v_mad_u64_u32 v[38:39], s[4:5], v38, s43, v[12:13]
	v_cndmask_b32_e32 v27, v36, v32, vcc
	v_cndmask_b32_e32 v12, v38, v34, vcc
	;; [unrolled: 1-line block ×3, first 2 shown]
	v_cndmask_b32_e64 v29, v12, v27, s[0:1]
	v_cndmask_b32_e64 v12, v31, v12, s[0:1]
	v_cndmask_b32_e32 v31, v34, v30, vcc
	v_cndmask_b32_e64 v27, v27, v31, s[0:1]
	v_sub_u32_e32 v33, 32, v25
	v_cmp_eq_u32_e64 s[4:5], 0, v25
	v_cndmask_b32_e32 v25, v32, v28, vcc
	v_cndmask_b32_e64 v12, v12, v29, s[2:3]
	v_cndmask_b32_e64 v29, v29, v27, s[2:3]
	;; [unrolled: 1-line block ×3, first 2 shown]
	v_alignbit_b32 v34, v12, v29, v33
	v_cndmask_b32_e64 v27, v27, v28, s[2:3]
	v_cndmask_b32_e64 v12, v34, v12, s[4:5]
	v_alignbit_b32 v31, v29, v27, v33
	v_cndmask_b32_e64 v29, v31, v29, s[4:5]
	v_bfe_u32 v34, v12, 29, 1
	v_cndmask_b32_e32 v26, v30, v26, vcc
	v_alignbit_b32 v31, v12, v29, 30
	v_sub_u32_e32 v35, 0, v34
	v_cndmask_b32_e64 v25, v25, v26, s[0:1]
	v_xor_b32_e32 v36, v31, v35
	v_cndmask_b32_e64 v25, v28, v25, s[2:3]
	v_alignbit_b32 v26, v27, v25, v33
	v_ffbh_u32_e32 v28, v36
	v_cndmask_b32_e64 v26, v26, v27, s[4:5]
	v_add_u32_e32 v28, 1, v28
	v_cmp_ne_u32_e32 vcc, v31, v35
	v_alignbit_b32 v27, v29, v26, 30
	v_cndmask_b32_e32 v28, 33, v28, vcc
	v_alignbit_b32 v25, v26, v25, 30
	v_xor_b32_e32 v27, v27, v35
	v_sub_u32_e32 v29, 32, v28
	v_xor_b32_e32 v25, v25, v35
	v_alignbit_b32 v30, v36, v27, v29
	v_alignbit_b32 v25, v27, v25, v29
	;; [unrolled: 1-line block ×3, first 2 shown]
	v_ffbh_u32_e32 v27, v26
	v_min_u32_e32 v27, 32, v27
	v_lshrrev_b32_e32 v32, 29, v12
	v_sub_u32_e32 v29, 31, v27
	v_alignbit_b32 v25, v26, v25, v29
	v_lshlrev_b32_e32 v26, 31, v32
	v_or_b32_e32 v29, 0x33800000, v26
	v_add_lshl_u32 v27, v27, v28, 23
	v_lshrrev_b32_e32 v25, 9, v25
	v_sub_u32_e32 v27, v29, v27
	v_or_b32_e32 v25, v27, v25
	v_alignbit_b32 v27, v28, v30, 9
	v_or_b32_e32 v26, v27, v26
	v_xor_b32_e32 v26, 1.0, v26
	v_mul_f32_e32 v27, 0x3fc90fda, v26
	v_fma_f32 v28, v26, s44, -v27
	v_fmac_f32_e32 v28, 0x33a22168, v26
	v_fmac_f32_e32 v28, 0x3fc90fda, v25
	v_lshrrev_b32_e32 v12, 30, v12
	v_add_f32_e32 v25, v27, v28
	v_add_u32_e32 v12, v34, v12
	s_andn2_saveexec_b64 s[0:1], s[24:25]
	s_cbranch_execnz .LBB255_296
	s_branch .LBB255_297
.LBB255_295:                            ;   in Loop: Header=BB255_233 Depth=1
	s_andn2_saveexec_b64 s[0:1], s[24:25]
.LBB255_296:                            ;   in Loop: Header=BB255_233 Depth=1
	v_mul_f32_e64 v12, |v9|, s45
	v_rndne_f32_e32 v26, v12
	v_cvt_i32_f32_e32 v12, v26
	v_fma_f32 v25, v26, s46, |v9|
	v_fmac_f32_e32 v25, 0xb3a22168, v26
	v_fmac_f32_e32 v25, 0xa7c234c4, v26
.LBB255_297:                            ;   in Loop: Header=BB255_233 Depth=1
	s_or_b64 exec, exec, s[0:1]
	v_mul_f32_e32 v26, 0xbfb8aa3b, v8
	v_rndne_f32_e32 v27, v26
	v_sub_f32_e32 v28, v26, v27
	v_fma_f32 v26, v8, s47, -v26
	v_fmac_f32_e32 v26, 0xb2a5705f, v8
	v_add_f32_e32 v26, v28, v26
	v_cvt_i32_f32_e32 v27, v27
	v_exp_f32_e32 v26, v26
	v_cmp_nlt_f32_e32 vcc, s48, v8
	v_ldexp_f32 v26, v26, v27
	v_cndmask_b32_e32 v26, 0, v26, vcc
	v_cmp_ngt_f32_e32 vcc, s49, v8
	v_cndmask_b32_e32 v8, v23, v26, vcc
	v_mul_f32_e32 v26, v11, v11
	v_mov_b32_e32 v27, 0x3c0881c4
	v_fmac_f32_e32 v27, 0xb94c1982, v26
	v_fma_f32 v27, v26, v27, v18
	v_mul_f32_e32 v27, v26, v27
	v_fmac_f32_e32 v11, v11, v27
	v_mov_b32_e32 v27, 0xbab64f3b
	v_fmac_f32_e32 v27, 0x37d75334, v26
	v_fma_f32 v27, v26, v27, v19
	v_fma_f32 v27, v26, v27, v20
	v_fma_f32 v26, v26, v27, 1.0
	v_and_b32_e32 v27, 1, v7
	v_cmp_eq_u32_e32 vcc, 0, v27
	v_lshlrev_b32_e32 v7, 30, v7
	v_cndmask_b32_e64 v11, -v11, v26, vcc
	v_and_b32_e32 v7, 0x80000000, v7
	v_xor_b32_e32 v7, v7, v11
	v_cmp_class_f32_e64 vcc, v9, s50
	v_cndmask_b32_e32 v7, v24, v7, vcc
	v_mul_f32_e32 v11, v8, v7
	v_mul_f32_e32 v7, v25, v25
	v_mov_b32_e32 v9, 0x3c0881c4
	v_fmac_f32_e32 v9, 0xb94c1982, v7
	v_fma_f32 v9, v7, v9, v18
	v_mul_f32_e32 v9, v7, v9
	v_fmac_f32_e32 v25, v25, v9
	v_mov_b32_e32 v9, 0xbab64f3b
	v_fmac_f32_e32 v9, 0x37d75334, v7
	v_fma_f32 v9, v7, v9, v19
	v_fma_f32 v9, v7, v9, v20
	v_fma_f32 v7, v7, v9, 1.0
	v_and_b32_e32 v9, 1, v12
	v_cmp_eq_u32_e64 s[0:1], 0, v9
	v_lshlrev_b32_e32 v9, 30, v12
	v_cndmask_b32_e64 v7, v7, v25, s[0:1]
	v_and_or_b32 v6, v9, s33, v6
	v_xor_b32_e32 v6, v6, v7
	v_xor_b32_e32 v6, v6, v10
	v_cndmask_b32_e32 v6, v24, v6, vcc
	v_mul_f32_e32 v10, v8, v6
                                        ; implicit-def: $vgpr6_vgpr7_vgpr8_vgpr9
                                        ; implicit-def: $vgpr6
.LBB255_298:                            ;   in Loop: Header=BB255_233 Depth=1
	s_andn2_saveexec_b64 s[22:23], s[22:23]
	s_cbranch_execz .LBB255_308
; %bb.299:                              ;   in Loop: Header=BB255_233 Depth=1
	v_cmp_nlt_f32_e64 s[24:25], |v9|, s36
                                        ; implicit-def: $vgpr11
                                        ; implicit-def: $vgpr7
	s_and_saveexec_b64 s[0:1], s[24:25]
	s_xor_b64 s[26:27], exec, s[0:1]
	s_cbranch_execz .LBB255_301
; %bb.300:                              ;   in Loop: Header=BB255_233 Depth=1
	v_lshrrev_b32_e32 v7, 23, v6
	v_add_u32_e32 v7, 0xffffff88, v7
	v_cmp_lt_u32_e32 vcc, 63, v7
	v_cndmask_b32_e32 v11, 0, v21, vcc
	v_add_u32_e32 v7, v11, v7
	v_cmp_lt_u32_e64 s[0:1], 31, v7
	v_cndmask_b32_e64 v11, 0, v22, s[0:1]
	v_add_u32_e32 v7, v11, v7
	v_cmp_lt_u32_e64 s[2:3], 31, v7
	v_cndmask_b32_e64 v11, 0, v22, s[2:3]
	v_add_u32_e32 v7, v11, v7
	v_and_b32_e32 v11, 0x7fffff, v6
	v_or_b32_e32 v11, 0x800000, v11
	v_mad_u64_u32 v[26:27], s[4:5], v11, s37, 0
	v_mov_b32_e32 v12, v27
	v_mad_u64_u32 v[28:29], s[4:5], v11, s38, v[12:13]
	v_mov_b32_e32 v12, v29
	;; [unrolled: 2-line block ×6, first 2 shown]
	v_mad_u64_u32 v[38:39], s[4:5], v11, s43, v[12:13]
	v_cndmask_b32_e32 v25, v36, v32, vcc
	v_cndmask_b32_e32 v11, v38, v34, vcc
	v_cndmask_b32_e32 v27, v39, v36, vcc
	v_cndmask_b32_e64 v12, v11, v25, s[0:1]
	v_cndmask_b32_e64 v11, v27, v11, s[0:1]
	v_cndmask_b32_e32 v27, v34, v30, vcc
	v_cndmask_b32_e64 v25, v25, v27, s[0:1]
	v_sub_u32_e32 v29, 32, v7
	v_cmp_eq_u32_e64 s[4:5], 0, v7
	v_cndmask_b32_e32 v7, v32, v28, vcc
	v_cndmask_b32_e64 v11, v11, v12, s[2:3]
	v_cndmask_b32_e64 v12, v12, v25, s[2:3]
	v_cndmask_b32_e64 v27, v27, v7, s[0:1]
	v_alignbit_b32 v31, v11, v12, v29
	v_cndmask_b32_e64 v25, v25, v27, s[2:3]
	v_cndmask_b32_e64 v11, v31, v11, s[4:5]
	v_alignbit_b32 v28, v12, v25, v29
	v_cndmask_b32_e32 v26, v30, v26, vcc
	v_cndmask_b32_e64 v12, v28, v12, s[4:5]
	v_bfe_u32 v32, v11, 29, 1
	v_cndmask_b32_e64 v7, v7, v26, s[0:1]
	v_alignbit_b32 v28, v11, v12, 30
	v_sub_u32_e32 v33, 0, v32
	v_cndmask_b32_e64 v7, v27, v7, s[2:3]
	v_xor_b32_e32 v34, v28, v33
	v_alignbit_b32 v26, v25, v7, v29
	v_cndmask_b32_e64 v25, v26, v25, s[4:5]
	v_ffbh_u32_e32 v26, v34
	v_add_u32_e32 v26, 1, v26
	v_cmp_ne_u32_e32 vcc, v28, v33
	v_alignbit_b32 v12, v12, v25, 30
	v_cndmask_b32_e32 v26, 33, v26, vcc
	v_alignbit_b32 v7, v25, v7, 30
	v_xor_b32_e32 v12, v12, v33
	v_sub_u32_e32 v27, 32, v26
	v_xor_b32_e32 v7, v7, v33
	v_alignbit_b32 v28, v34, v12, v27
	v_alignbit_b32 v7, v12, v7, v27
	;; [unrolled: 1-line block ×3, first 2 shown]
	v_ffbh_u32_e32 v25, v12
	v_min_u32_e32 v25, 32, v25
	v_lshrrev_b32_e32 v31, 29, v11
	v_sub_u32_e32 v27, 31, v25
	v_alignbit_b32 v7, v12, v7, v27
	v_lshlrev_b32_e32 v12, 31, v31
	v_or_b32_e32 v27, 0x33800000, v12
	v_add_lshl_u32 v25, v25, v26, 23
	v_lshrrev_b32_e32 v7, 9, v7
	v_sub_u32_e32 v25, v27, v25
	v_or_b32_e32 v7, v25, v7
	v_alignbit_b32 v25, v26, v28, 9
	v_or_b32_e32 v12, v25, v12
	v_xor_b32_e32 v12, 1.0, v12
	v_mul_f32_e32 v25, 0x3fc90fda, v12
	v_fma_f32 v26, v12, s44, -v25
	v_fmac_f32_e32 v26, 0x33a22168, v12
	v_fmac_f32_e32 v26, 0x3fc90fda, v7
	v_lshrrev_b32_e32 v11, 30, v11
	v_add_f32_e32 v7, v25, v26
	v_add_u32_e32 v11, v32, v11
	s_andn2_saveexec_b64 s[0:1], s[26:27]
	s_branch .LBB255_302
.LBB255_301:                            ;   in Loop: Header=BB255_233 Depth=1
	s_andn2_saveexec_b64 s[0:1], s[26:27]
.LBB255_302:                            ;   in Loop: Header=BB255_233 Depth=1
	v_mul_f32_e64 v7, |v9|, s45
	v_rndne_f32_e32 v12, v7
	v_cvt_i32_f32_e32 v11, v12
	v_fma_f32 v7, v12, s46, |v9|
	v_fmac_f32_e32 v7, 0xb3a22168, v12
	v_fmac_f32_e32 v7, 0xa7c234c4, v12
; %bb.303:                              ;   in Loop: Header=BB255_233 Depth=1
	s_or_b64 exec, exec, s[0:1]
                                        ; implicit-def: $vgpr12
                                        ; implicit-def: $vgpr25
	s_and_saveexec_b64 s[0:1], s[24:25]
	s_xor_b64 s[24:25], exec, s[0:1]
	s_cbranch_execz .LBB255_305
; %bb.304:                              ;   in Loop: Header=BB255_233 Depth=1
	v_lshrrev_b32_e32 v12, 23, v6
	v_add_u32_e32 v12, 0xffffff88, v12
	v_cmp_lt_u32_e32 vcc, 63, v12
	v_cndmask_b32_e32 v25, 0, v21, vcc
	v_add_u32_e32 v12, v25, v12
	v_cmp_lt_u32_e64 s[0:1], 31, v12
	v_cndmask_b32_e64 v25, 0, v22, s[0:1]
	v_add_u32_e32 v12, v25, v12
	v_cmp_lt_u32_e64 s[2:3], 31, v12
	v_cndmask_b32_e64 v25, 0, v22, s[2:3]
	v_add_u32_e32 v25, v25, v12
	v_and_b32_e32 v12, 0x7fffff, v6
	v_or_b32_e32 v38, 0x800000, v12
	v_mad_u64_u32 v[26:27], s[4:5], v38, s37, 0
	v_mov_b32_e32 v12, v27
	v_mad_u64_u32 v[28:29], s[4:5], v38, s38, v[12:13]
	v_mov_b32_e32 v12, v29
	;; [unrolled: 2-line block ×6, first 2 shown]
	v_mad_u64_u32 v[38:39], s[4:5], v38, s43, v[12:13]
	v_cndmask_b32_e32 v27, v36, v32, vcc
	v_cndmask_b32_e32 v12, v38, v34, vcc
	;; [unrolled: 1-line block ×3, first 2 shown]
	v_cndmask_b32_e64 v29, v12, v27, s[0:1]
	v_cndmask_b32_e64 v12, v31, v12, s[0:1]
	v_cndmask_b32_e32 v31, v34, v30, vcc
	v_cndmask_b32_e64 v27, v27, v31, s[0:1]
	v_sub_u32_e32 v33, 32, v25
	v_cmp_eq_u32_e64 s[4:5], 0, v25
	v_cndmask_b32_e32 v25, v32, v28, vcc
	v_cndmask_b32_e64 v12, v12, v29, s[2:3]
	v_cndmask_b32_e64 v29, v29, v27, s[2:3]
	;; [unrolled: 1-line block ×3, first 2 shown]
	v_alignbit_b32 v34, v12, v29, v33
	v_cndmask_b32_e64 v27, v27, v28, s[2:3]
	v_cndmask_b32_e64 v12, v34, v12, s[4:5]
	v_alignbit_b32 v31, v29, v27, v33
	v_cndmask_b32_e64 v29, v31, v29, s[4:5]
	v_bfe_u32 v34, v12, 29, 1
	v_cndmask_b32_e32 v26, v30, v26, vcc
	v_alignbit_b32 v31, v12, v29, 30
	v_sub_u32_e32 v35, 0, v34
	v_cndmask_b32_e64 v25, v25, v26, s[0:1]
	v_xor_b32_e32 v36, v31, v35
	v_cndmask_b32_e64 v25, v28, v25, s[2:3]
	v_alignbit_b32 v26, v27, v25, v33
	v_ffbh_u32_e32 v28, v36
	v_cndmask_b32_e64 v26, v26, v27, s[4:5]
	v_add_u32_e32 v28, 1, v28
	v_cmp_ne_u32_e32 vcc, v31, v35
	v_alignbit_b32 v27, v29, v26, 30
	v_cndmask_b32_e32 v28, 33, v28, vcc
	v_alignbit_b32 v25, v26, v25, 30
	v_xor_b32_e32 v27, v27, v35
	v_sub_u32_e32 v29, 32, v28
	v_xor_b32_e32 v25, v25, v35
	v_alignbit_b32 v30, v36, v27, v29
	v_alignbit_b32 v25, v27, v25, v29
	;; [unrolled: 1-line block ×3, first 2 shown]
	v_ffbh_u32_e32 v27, v26
	v_min_u32_e32 v27, 32, v27
	v_lshrrev_b32_e32 v32, 29, v12
	v_sub_u32_e32 v29, 31, v27
	v_alignbit_b32 v25, v26, v25, v29
	v_lshlrev_b32_e32 v26, 31, v32
	v_or_b32_e32 v29, 0x33800000, v26
	v_add_lshl_u32 v27, v27, v28, 23
	v_lshrrev_b32_e32 v25, 9, v25
	v_sub_u32_e32 v27, v29, v27
	v_or_b32_e32 v25, v27, v25
	v_alignbit_b32 v27, v28, v30, 9
	v_or_b32_e32 v26, v27, v26
	v_xor_b32_e32 v26, 1.0, v26
	v_mul_f32_e32 v27, 0x3fc90fda, v26
	v_fma_f32 v28, v26, s44, -v27
	v_fmac_f32_e32 v28, 0x33a22168, v26
	v_fmac_f32_e32 v28, 0x3fc90fda, v25
	v_lshrrev_b32_e32 v12, 30, v12
	v_add_f32_e32 v25, v27, v28
	v_add_u32_e32 v12, v34, v12
	s_andn2_saveexec_b64 s[0:1], s[24:25]
	s_cbranch_execnz .LBB255_306
	s_branch .LBB255_307
.LBB255_305:                            ;   in Loop: Header=BB255_233 Depth=1
	s_andn2_saveexec_b64 s[0:1], s[24:25]
.LBB255_306:                            ;   in Loop: Header=BB255_233 Depth=1
	v_mul_f32_e64 v12, |v9|, s45
	v_rndne_f32_e32 v26, v12
	v_cvt_i32_f32_e32 v12, v26
	v_fma_f32 v25, v26, s46, |v9|
	v_fmac_f32_e32 v25, 0xb3a22168, v26
	v_fmac_f32_e32 v25, 0xa7c234c4, v26
.LBB255_307:                            ;   in Loop: Header=BB255_233 Depth=1
	s_or_b64 exec, exec, s[0:1]
	v_mul_f32_e32 v27, v7, v7
	v_mov_b32_e32 v28, 0xbab64f3b
	v_fmac_f32_e32 v28, 0x37d75334, v27
	v_mov_b32_e32 v29, 0x3c0881c4
	v_fma_f32 v28, v27, v28, v19
	v_fmac_f32_e32 v29, 0xb94c1982, v27
	v_fma_f32 v28, v27, v28, v20
	v_fma_f32 v29, v27, v29, v18
	v_lshlrev_b32_e32 v26, 30, v11
	v_and_b32_e32 v11, 1, v11
	v_fma_f32 v28, v27, v28, 1.0
	v_mul_f32_e32 v27, v27, v29
	v_sub_f32_e32 v8, 0xc322e3bc, v8
	v_fmac_f32_e32 v7, v7, v27
	v_cmp_eq_u32_e32 vcc, 0, v11
	v_mul_f32_e32 v11, 0x3fb8aa3b, v8
	v_cndmask_b32_e64 v7, -v7, v28, vcc
	v_fma_f32 v27, v8, s51, -v11
	v_rndne_f32_e32 v28, v11
	v_fmac_f32_e32 v27, 0x32a5705f, v8
	v_sub_f32_e32 v11, v11, v28
	v_add_f32_e32 v11, v11, v27
	v_exp_f32_e32 v11, v11
	v_cvt_i32_f32_e32 v27, v28
	v_cmp_class_f32_e64 vcc, v9, s50
	v_cmp_ngt_f32_e64 s[0:1], s52, v8
	v_and_b32_e32 v26, 0x80000000, v26
	v_ldexp_f32 v9, v11, v27
	v_cndmask_b32_e64 v9, 0, v9, s[0:1]
	v_cmp_nlt_f32_e64 s[0:1], s53, v8
	v_cndmask_b32_e64 v8, v23, v9, s[0:1]
	v_and_b32_e32 v9, 0x7fffff, v8
	v_lshrrev_b32_e32 v8, 23, v8
	v_subrev_u32_e32 v8, 19, v8
	v_lshrrev_b16_e32 v11, 15, v8
	v_add_u16_e32 v11, v8, v11
	v_xor_b32_e32 v7, v26, v7
	v_ashrrev_i16_e32 v11, 1, v11
	v_cndmask_b32_e32 v7, v24, v7, vcc
	v_or_b32_e32 v9, 0x7f000000, v9
	v_bfe_i32 v11, v11, 0, 16
	v_mul_f32_e32 v7, v7, v9
	v_lshl_add_u32 v26, v11, 23, 1.0
	v_sub_u32_e32 v8, v8, v11
	v_mul_f32_e32 v7, v7, v26
	v_lshl_add_u32 v8, v8, 23, 1.0
	v_mul_f32_e32 v11, v7, v8
	v_mul_f32_e32 v7, v25, v25
	v_mov_b32_e32 v27, 0x3c0881c4
	v_fmac_f32_e32 v27, 0xb94c1982, v7
	v_fma_f32 v27, v7, v27, v18
	v_mul_f32_e32 v27, v7, v27
	v_fmac_f32_e32 v25, v25, v27
	v_mov_b32_e32 v27, 0xbab64f3b
	v_fmac_f32_e32 v27, 0x37d75334, v7
	v_fma_f32 v27, v7, v27, v19
	v_fma_f32 v27, v7, v27, v20
	v_fma_f32 v7, v7, v27, 1.0
	v_and_b32_e32 v27, 1, v12
	v_cmp_eq_u32_e64 s[0:1], 0, v27
	v_lshlrev_b32_e32 v12, 30, v12
	v_cndmask_b32_e64 v7, v7, v25, s[0:1]
	v_and_or_b32 v6, v12, s33, v6
	v_xor_b32_e32 v6, v6, v7
	v_xor_b32_e32 v6, v6, v10
	v_cndmask_b32_e32 v6, v24, v6, vcc
	v_mul_f32_e32 v6, v6, v9
	v_mul_f32_e32 v6, v6, v26
	;; [unrolled: 1-line block ×3, first 2 shown]
.LBB255_308:                            ;   in Loop: Header=BB255_233 Depth=1
	s_or_b64 exec, exec, s[22:23]
                                        ; implicit-def: $vgpr6_vgpr7_vgpr8_vgpr9
                                        ; implicit-def: $vgpr12
                                        ; implicit-def: $vgpr7
.LBB255_309:                            ;   in Loop: Header=BB255_233 Depth=1
	s_andn2_saveexec_b64 s[0:1], s[20:21]
	s_cbranch_execz .LBB255_315
; %bb.310:                              ;   in Loop: Header=BB255_233 Depth=1
	v_cmp_ne_u32_e32 vcc, s34, v7
	v_sub_f32_e32 v10, v9, v9
	s_and_saveexec_b64 s[2:3], vcc
	s_xor_b64 s[2:3], exec, s[2:3]
; %bb.311:                              ;   in Loop: Header=BB255_233 Depth=1
                                        ; implicit-def: $vgpr12
                                        ; implicit-def: $vgpr6_vgpr7_vgpr8_vgpr9
; %bb.312:                              ;   in Loop: Header=BB255_233 Depth=1
	s_or_saveexec_b64 s[2:3], s[2:3]
	v_mov_b32_e32 v11, v10
	s_xor_b64 exec, exec, s[2:3]
; %bb.313:                              ;   in Loop: Header=BB255_233 Depth=1
	v_cmp_lt_i32_e32 vcc, -1, v12
	v_cndmask_b32_e64 v11, 0, -v8, vcc
	v_cndmask_b32_e32 v10, 0, v10, vcc
; %bb.314:                              ;   in Loop: Header=BB255_233 Depth=1
	s_or_b64 exec, exec, s[2:3]
.LBB255_315:                            ;   in Loop: Header=BB255_233 Depth=1
	s_or_b64 exec, exec, s[0:1]
                                        ; implicit-def: $vgpr6_vgpr7_vgpr8_vgpr9
                                        ; implicit-def: $vgpr6
.LBB255_316:                            ;   in Loop: Header=BB255_233 Depth=1
	s_andn2_saveexec_b64 s[14:15], s[14:15]
	s_cbranch_execz .LBB255_326
; %bb.317:                              ;   in Loop: Header=BB255_233 Depth=1
	v_cmp_nlt_f32_e64 s[20:21], |v9|, s36
                                        ; implicit-def: $vgpr7
                                        ; implicit-def: $vgpr8
	s_and_saveexec_b64 s[0:1], s[20:21]
	s_xor_b64 s[22:23], exec, s[0:1]
	s_cbranch_execz .LBB255_319
; %bb.318:                              ;   in Loop: Header=BB255_233 Depth=1
	v_lshrrev_b32_e32 v7, 23, v6
	v_add_u32_e32 v7, 0xffffff88, v7
	v_cmp_lt_u32_e32 vcc, 63, v7
	v_cndmask_b32_e32 v8, 0, v21, vcc
	v_add_u32_e32 v7, v8, v7
	v_cmp_lt_u32_e64 s[0:1], 31, v7
	v_cndmask_b32_e64 v8, 0, v22, s[0:1]
	v_add_u32_e32 v7, v8, v7
	v_cmp_lt_u32_e64 s[2:3], 31, v7
	v_cndmask_b32_e64 v8, 0, v22, s[2:3]
	v_add_u32_e32 v7, v8, v7
	v_and_b32_e32 v8, 0x7fffff, v6
	v_or_b32_e32 v8, 0x800000, v8
	v_mad_u64_u32 v[26:27], s[4:5], v8, s37, 0
	v_mov_b32_e32 v12, v27
	v_mad_u64_u32 v[28:29], s[4:5], v8, s38, v[12:13]
	v_mov_b32_e32 v12, v29
	;; [unrolled: 2-line block ×6, first 2 shown]
	v_mad_u64_u32 v[38:39], s[4:5], v8, s43, v[12:13]
	v_cndmask_b32_e32 v11, v36, v32, vcc
	v_cndmask_b32_e32 v8, v38, v34, vcc
	;; [unrolled: 1-line block ×3, first 2 shown]
	v_cndmask_b32_e64 v12, v8, v11, s[0:1]
	v_cndmask_b32_e64 v8, v25, v8, s[0:1]
	v_cndmask_b32_e32 v25, v34, v30, vcc
	v_cndmask_b32_e64 v11, v11, v25, s[0:1]
	v_cndmask_b32_e64 v8, v8, v12, s[2:3]
	;; [unrolled: 1-line block ×3, first 2 shown]
	v_sub_u32_e32 v27, 32, v7
	v_alignbit_b32 v29, v8, v12, v27
	v_cmp_eq_u32_e64 s[4:5], 0, v7
	v_cndmask_b32_e64 v7, v29, v8, s[4:5]
	v_cndmask_b32_e32 v8, v32, v28, vcc
	v_cndmask_b32_e64 v25, v25, v8, s[0:1]
	v_cndmask_b32_e64 v11, v11, v25, s[2:3]
	v_alignbit_b32 v28, v12, v11, v27
	v_cndmask_b32_e32 v26, v30, v26, vcc
	v_cndmask_b32_e64 v12, v28, v12, s[4:5]
	v_bfe_u32 v31, v7, 29, 1
	v_cndmask_b32_e64 v8, v8, v26, s[0:1]
	v_alignbit_b32 v28, v7, v12, 30
	v_sub_u32_e32 v32, 0, v31
	v_cndmask_b32_e64 v8, v25, v8, s[2:3]
	v_xor_b32_e32 v33, v28, v32
	v_alignbit_b32 v25, v11, v8, v27
	v_cndmask_b32_e64 v11, v25, v11, s[4:5]
	v_ffbh_u32_e32 v25, v33
	v_add_u32_e32 v25, 1, v25
	v_cmp_ne_u32_e32 vcc, v28, v32
	v_alignbit_b32 v12, v12, v11, 30
	v_cndmask_b32_e32 v25, 33, v25, vcc
	v_alignbit_b32 v8, v11, v8, 30
	v_xor_b32_e32 v12, v12, v32
	v_sub_u32_e32 v26, 32, v25
	v_xor_b32_e32 v8, v8, v32
	v_alignbit_b32 v27, v33, v12, v26
	v_alignbit_b32 v8, v12, v8, v26
	;; [unrolled: 1-line block ×3, first 2 shown]
	v_ffbh_u32_e32 v12, v11
	v_min_u32_e32 v12, 32, v12
	v_lshrrev_b32_e32 v29, 29, v7
	v_sub_u32_e32 v26, 31, v12
	v_alignbit_b32 v8, v11, v8, v26
	v_lshlrev_b32_e32 v11, 31, v29
	v_or_b32_e32 v26, 0x33800000, v11
	v_add_lshl_u32 v12, v12, v25, 23
	v_lshrrev_b32_e32 v8, 9, v8
	v_sub_u32_e32 v12, v26, v12
	v_or_b32_e32 v8, v12, v8
	v_alignbit_b32 v12, v25, v27, 9
	v_or_b32_e32 v11, v12, v11
	v_xor_b32_e32 v11, 1.0, v11
	v_mul_f32_e32 v12, 0x3fc90fda, v11
	v_fma_f32 v25, v11, s44, -v12
	v_fmac_f32_e32 v25, 0x33a22168, v11
	v_fmac_f32_e32 v25, 0x3fc90fda, v8
	v_lshrrev_b32_e32 v7, 30, v7
	v_add_f32_e32 v8, v12, v25
	v_add_u32_e32 v7, v31, v7
	s_andn2_saveexec_b64 s[0:1], s[22:23]
	s_branch .LBB255_320
.LBB255_319:                            ;   in Loop: Header=BB255_233 Depth=1
	s_andn2_saveexec_b64 s[0:1], s[22:23]
.LBB255_320:                            ;   in Loop: Header=BB255_233 Depth=1
	v_mul_f32_e64 v7, |v9|, s45
	v_rndne_f32_e32 v11, v7
	v_cvt_i32_f32_e32 v7, v11
	v_fma_f32 v8, v11, s46, |v9|
	v_fmac_f32_e32 v8, 0xb3a22168, v11
	v_fmac_f32_e32 v8, 0xa7c234c4, v11
; %bb.321:                              ;   in Loop: Header=BB255_233 Depth=1
	s_or_b64 exec, exec, s[0:1]
                                        ; implicit-def: $vgpr12
                                        ; implicit-def: $vgpr25
	s_and_saveexec_b64 s[0:1], s[20:21]
	s_xor_b64 s[20:21], exec, s[0:1]
	s_cbranch_execz .LBB255_323
; %bb.322:                              ;   in Loop: Header=BB255_233 Depth=1
	v_lshrrev_b32_e32 v11, 23, v6
	v_add_u32_e32 v11, 0xffffff88, v11
	v_cmp_lt_u32_e32 vcc, 63, v11
	v_cndmask_b32_e32 v12, 0, v21, vcc
	v_add_u32_e32 v11, v12, v11
	v_cmp_lt_u32_e64 s[0:1], 31, v11
	v_cndmask_b32_e64 v12, 0, v22, s[0:1]
	v_add_u32_e32 v11, v12, v11
	v_cmp_lt_u32_e64 s[2:3], 31, v11
	v_cndmask_b32_e64 v12, 0, v22, s[2:3]
	v_add_u32_e32 v11, v12, v11
	v_and_b32_e32 v12, 0x7fffff, v6
	v_or_b32_e32 v25, 0x800000, v12
	v_mad_u64_u32 v[26:27], s[4:5], v25, s37, 0
	v_mov_b32_e32 v12, v27
	v_mad_u64_u32 v[28:29], s[4:5], v25, s38, v[12:13]
	v_mov_b32_e32 v12, v29
	;; [unrolled: 2-line block ×6, first 2 shown]
	v_mad_u64_u32 v[38:39], s[4:5], v25, s43, v[12:13]
	v_cndmask_b32_e32 v27, v36, v32, vcc
	v_cndmask_b32_e32 v12, v38, v34, vcc
	;; [unrolled: 1-line block ×3, first 2 shown]
	v_cndmask_b32_e64 v25, v12, v27, s[0:1]
	v_cndmask_b32_e64 v12, v29, v12, s[0:1]
	v_cndmask_b32_e32 v29, v34, v30, vcc
	v_cndmask_b32_e64 v27, v27, v29, s[0:1]
	v_cndmask_b32_e64 v12, v12, v25, s[2:3]
	;; [unrolled: 1-line block ×3, first 2 shown]
	v_sub_u32_e32 v31, 32, v11
	v_alignbit_b32 v33, v12, v25, v31
	v_cmp_eq_u32_e64 s[4:5], 0, v11
	v_cndmask_b32_e64 v11, v33, v12, s[4:5]
	v_cndmask_b32_e32 v12, v32, v28, vcc
	v_cndmask_b32_e64 v28, v29, v12, s[0:1]
	v_cndmask_b32_e64 v27, v27, v28, s[2:3]
	v_alignbit_b32 v29, v25, v27, v31
	v_cndmask_b32_e32 v26, v30, v26, vcc
	v_cndmask_b32_e64 v25, v29, v25, s[4:5]
	v_bfe_u32 v33, v11, 29, 1
	v_cndmask_b32_e64 v12, v12, v26, s[0:1]
	v_alignbit_b32 v29, v11, v25, 30
	v_sub_u32_e32 v34, 0, v33
	v_cndmask_b32_e64 v12, v28, v12, s[2:3]
	v_xor_b32_e32 v35, v29, v34
	v_alignbit_b32 v26, v27, v12, v31
	v_cndmask_b32_e64 v26, v26, v27, s[4:5]
	v_ffbh_u32_e32 v27, v35
	v_add_u32_e32 v27, 1, v27
	v_cmp_ne_u32_e32 vcc, v29, v34
	v_alignbit_b32 v25, v25, v26, 30
	v_cndmask_b32_e32 v27, 33, v27, vcc
	v_alignbit_b32 v12, v26, v12, 30
	v_xor_b32_e32 v25, v25, v34
	v_sub_u32_e32 v28, 32, v27
	v_xor_b32_e32 v12, v12, v34
	v_alignbit_b32 v29, v35, v25, v28
	v_alignbit_b32 v12, v25, v12, v28
	;; [unrolled: 1-line block ×3, first 2 shown]
	v_ffbh_u32_e32 v26, v25
	v_min_u32_e32 v26, 32, v26
	v_lshrrev_b32_e32 v32, 29, v11
	v_sub_u32_e32 v28, 31, v26
	v_alignbit_b32 v12, v25, v12, v28
	v_lshlrev_b32_e32 v25, 31, v32
	v_or_b32_e32 v28, 0x33800000, v25
	v_add_lshl_u32 v26, v26, v27, 23
	v_lshrrev_b32_e32 v12, 9, v12
	v_sub_u32_e32 v26, v28, v26
	v_or_b32_e32 v12, v26, v12
	v_alignbit_b32 v26, v27, v29, 9
	v_or_b32_e32 v25, v26, v25
	v_xor_b32_e32 v25, 1.0, v25
	v_mul_f32_e32 v26, 0x3fc90fda, v25
	v_fma_f32 v27, v25, s44, -v26
	v_fmac_f32_e32 v27, 0x33a22168, v25
	v_fmac_f32_e32 v27, 0x3fc90fda, v12
	v_lshrrev_b32_e32 v11, 30, v11
	v_add_f32_e32 v25, v26, v27
	v_add_u32_e32 v12, v33, v11
	s_andn2_saveexec_b64 s[0:1], s[20:21]
	s_cbranch_execnz .LBB255_324
	s_branch .LBB255_325
.LBB255_323:                            ;   in Loop: Header=BB255_233 Depth=1
	s_andn2_saveexec_b64 s[0:1], s[20:21]
.LBB255_324:                            ;   in Loop: Header=BB255_233 Depth=1
	v_mul_f32_e64 v11, |v9|, s45
	v_rndne_f32_e32 v11, v11
	v_cvt_i32_f32_e32 v12, v11
	v_fma_f32 v25, v11, s46, |v9|
	v_fmac_f32_e32 v25, 0xb3a22168, v11
	v_fmac_f32_e32 v25, 0xa7c234c4, v11
.LBB255_325:                            ;   in Loop: Header=BB255_233 Depth=1
	s_or_b64 exec, exec, s[0:1]
	v_mul_f32_e32 v11, v8, v8
	v_mov_b32_e32 v26, 0x3c0881c4
	v_fmac_f32_e32 v26, 0xb94c1982, v11
	v_fma_f32 v26, v11, v26, v18
	v_mul_f32_e32 v26, v11, v26
	v_fmac_f32_e32 v8, v8, v26
	v_mov_b32_e32 v26, 0xbab64f3b
	v_fmac_f32_e32 v26, 0x37d75334, v11
	v_fma_f32 v26, v11, v26, v19
	v_fma_f32 v26, v11, v26, v20
	v_fma_f32 v11, v11, v26, 1.0
	v_and_b32_e32 v26, 1, v7
	v_cmp_eq_u32_e32 vcc, 0, v26
	v_lshlrev_b32_e32 v7, 30, v7
	v_cndmask_b32_e64 v8, -v8, v11, vcc
	v_and_b32_e32 v7, 0x80000000, v7
	v_xor_b32_e32 v7, v7, v8
	v_cmp_class_f32_e64 vcc, v9, s50
	v_cndmask_b32_e32 v11, v24, v7, vcc
	v_mul_f32_e32 v7, v25, v25
	v_mov_b32_e32 v8, 0x3c0881c4
	v_fmac_f32_e32 v8, 0xb94c1982, v7
	v_fma_f32 v8, v7, v8, v18
	v_mul_f32_e32 v8, v7, v8
	v_fmac_f32_e32 v25, v25, v8
	v_mov_b32_e32 v8, 0xbab64f3b
	v_fmac_f32_e32 v8, 0x37d75334, v7
	v_fma_f32 v8, v7, v8, v19
	v_fma_f32 v8, v7, v8, v20
	v_fma_f32 v7, v7, v8, 1.0
	v_and_b32_e32 v8, 1, v12
	v_cmp_eq_u32_e64 s[0:1], 0, v8
	v_lshlrev_b32_e32 v8, 30, v12
	v_cndmask_b32_e64 v7, v7, v25, s[0:1]
	v_and_or_b32 v6, v8, s33, v6
	v_xor_b32_e32 v6, v6, v7
	v_xor_b32_e32 v6, v6, v10
	v_cndmask_b32_e32 v10, v24, v6, vcc
.LBB255_326:                            ;   in Loop: Header=BB255_233 Depth=1
	s_or_b64 exec, exec, s[14:15]
                                        ; implicit-def: $vgpr6_vgpr7_vgpr8_vgpr9
.LBB255_327:                            ;   in Loop: Header=BB255_233 Depth=1
	s_andn2_saveexec_b64 s[0:1], s[12:13]
	s_cbranch_execz .LBB255_329
; %bb.328:                              ;   in Loop: Header=BB255_233 Depth=1
	v_mul_f32_e32 v6, 0xbfb8aa3b, v8
	v_rndne_f32_e32 v7, v6
	v_sub_f32_e32 v9, v6, v7
	v_fma_f32 v6, v8, s47, -v6
	v_fmac_f32_e32 v6, 0xb2a5705f, v8
	v_add_f32_e32 v6, v9, v6
	v_cvt_i32_f32_e32 v7, v7
	v_exp_f32_e32 v6, v6
	v_cmp_nlt_f32_e32 vcc, s48, v8
	v_ldexp_f32 v6, v6, v7
	v_cndmask_b32_e32 v6, 0, v6, vcc
	v_cmp_ngt_f32_e32 vcc, s49, v8
	v_cndmask_b32_e32 v11, v23, v6, vcc
.LBB255_329:                            ;   in Loop: Header=BB255_233 Depth=1
	s_or_b64 exec, exec, s[0:1]
	v_add_f32_e32 v9, s16, v11
	v_add_f32_e32 v8, s17, v10
	v_cmp_gt_f32_e32 vcc, 0, v9
	v_cndmask_b32_e64 v11, v9, -v9, vcc
	v_cmp_gt_f32_e32 vcc, 0, v8
	v_cndmask_b32_e64 v10, v8, -v8, vcc
	v_cmp_ge_f32_e32 vcc, v11, v10
	s_and_saveexec_b64 s[0:1], vcc
	s_xor_b64 s[2:3], exec, s[0:1]
	s_cbranch_execz .LBB255_335
; %bb.330:                              ;   in Loop: Header=BB255_233 Depth=1
	v_cmp_neq_f32_e32 vcc, 0, v9
	v_cmp_neq_f32_e64 s[0:1], 0, v8
	s_or_b64 s[0:1], vcc, s[0:1]
	s_and_saveexec_b64 s[4:5], s[0:1]
	s_xor_b64 s[0:1], exec, s[4:5]
	s_cbranch_execz .LBB255_332
; %bb.331:                              ;   in Loop: Header=BB255_233 Depth=1
	v_div_scale_f32 v6, s[4:5], v9, v9, v8
	v_rcp_f32_e32 v7, v6
	v_div_scale_f32 v10, vcc, v8, v9, v8
	v_fma_f32 v11, -v6, v7, 1.0
	v_fmac_f32_e32 v7, v11, v7
	v_mul_f32_e32 v11, v10, v7
	v_fma_f32 v12, -v6, v11, v10
	v_fmac_f32_e32 v11, v12, v7
	v_fma_f32 v6, -v6, v11, v10
	v_div_fmas_f32 v6, v6, v7, v11
	v_div_fixup_f32 v7, v6, v9, v8
	v_fmac_f32_e32 v9, v8, v7
	v_div_scale_f32 v6, s[4:5], v9, v9, 1.0
	v_rcp_f32_e32 v8, v6
	v_fma_f32 v10, -v6, v8, 1.0
	v_fmac_f32_e32 v8, v10, v8
	v_div_scale_f32 v10, vcc, 1.0, v9, 1.0
	v_mul_f32_e32 v11, v10, v8
	v_fma_f32 v12, -v6, v11, v10
	v_fmac_f32_e32 v11, v12, v8
	v_fma_f32 v6, -v6, v11, v10
	v_div_fmas_f32 v6, v6, v8, v11
	v_div_fixup_f32 v8, v6, v9, 1.0
	v_mov_b32_e32 v6, s16
	v_mov_b32_e32 v9, s17
	v_fma_f32 v6, s17, v7, v6
	v_fma_f32 v7, -v7, s16, v9
	v_mul_f32_e32 v6, v6, v8
	v_mul_f32_e32 v7, v7, v8
                                        ; implicit-def: $vgpr11
                                        ; implicit-def: $vgpr10
.LBB255_332:                            ;   in Loop: Header=BB255_233 Depth=1
	s_andn2_saveexec_b64 s[0:1], s[0:1]
	s_cbranch_execz .LBB255_334
; %bb.333:                              ;   in Loop: Header=BB255_233 Depth=1
	v_div_scale_f32 v6, s[4:5], v11, v11, s16
	v_rcp_f32_e32 v7, v6
	v_div_scale_f32 v8, vcc, s16, v11, s16
	v_fma_f32 v9, -v6, v7, 1.0
	v_fmac_f32_e32 v7, v9, v7
	v_mul_f32_e32 v9, v8, v7
	v_fma_f32 v12, -v6, v9, v8
	v_fmac_f32_e32 v9, v12, v7
	v_fma_f32 v6, -v6, v9, v8
	v_div_scale_f32 v8, s[4:5], v10, v10, s17
	v_rcp_f32_e32 v12, v8
	v_div_fmas_f32 v6, v6, v7, v9
	v_div_fixup_f32 v6, v6, v11, s16
	v_fma_f32 v7, -v8, v12, 1.0
	v_fmac_f32_e32 v12, v7, v12
	v_div_scale_f32 v7, vcc, s17, v10, s17
	v_mul_f32_e32 v9, v7, v12
	v_fma_f32 v11, -v8, v9, v7
	v_fmac_f32_e32 v9, v11, v12
	v_fma_f32 v7, -v8, v9, v7
	v_div_fmas_f32 v7, v7, v12, v9
	v_div_fixup_f32 v7, v7, v10, s17
.LBB255_334:                            ;   in Loop: Header=BB255_233 Depth=1
	s_or_b64 exec, exec, s[0:1]
                                        ; implicit-def: $vgpr8
                                        ; implicit-def: $vgpr9
.LBB255_335:                            ;   in Loop: Header=BB255_233 Depth=1
	s_andn2_saveexec_b64 s[0:1], s[2:3]
	s_cbranch_execz .LBB255_337
; %bb.336:                              ;   in Loop: Header=BB255_233 Depth=1
	v_div_scale_f32 v6, s[2:3], v8, v8, v9
	v_rcp_f32_e32 v7, v6
	v_div_scale_f32 v10, vcc, v9, v8, v9
	v_fma_f32 v11, -v6, v7, 1.0
	v_fmac_f32_e32 v7, v11, v7
	v_mul_f32_e32 v11, v10, v7
	v_fma_f32 v12, -v6, v11, v10
	v_fmac_f32_e32 v11, v12, v7
	v_fma_f32 v6, -v6, v11, v10
	v_div_fmas_f32 v6, v6, v7, v11
	v_div_fixup_f32 v7, v6, v8, v9
	v_fmac_f32_e32 v8, v9, v7
	v_div_scale_f32 v6, s[2:3], v8, v8, 1.0
	v_rcp_f32_e32 v9, v6
	v_fma_f32 v10, -v6, v9, 1.0
	v_fmac_f32_e32 v9, v10, v9
	v_div_scale_f32 v10, vcc, 1.0, v8, 1.0
	v_mul_f32_e32 v11, v10, v9
	v_fma_f32 v12, -v6, v11, v10
	v_fmac_f32_e32 v11, v12, v9
	v_fma_f32 v6, -v6, v11, v10
	v_div_fmas_f32 v6, v6, v9, v11
	v_div_fixup_f32 v8, v6, v8, 1.0
	v_mov_b32_e32 v6, s17
	v_mov_b32_e32 v9, s16
	v_fma_f32 v6, s16, v7, v6
	v_fma_f32 v7, v7, s17, -v9
	v_mul_f32_e32 v6, v6, v8
	v_mul_f32_e32 v7, v7, v8
.LBB255_337:                            ;   in Loop: Header=BB255_233 Depth=1
	s_or_b64 exec, exec, s[0:1]
	s_waitcnt vmcnt(0)
	v_and_b32_e32 v9, 0x7fffffff, v1
	v_xor_b32_e32 v8, 0x80000000, v1
	v_cmp_ne_u32_e32 vcc, 0, v9
                                        ; implicit-def: $vgpr10
	s_and_saveexec_b64 s[0:1], vcc
	s_xor_b64 s[12:13], exec, s[0:1]
	s_cbranch_execz .LBB255_379
; %bb.338:                              ;   in Loop: Header=BB255_233 Depth=1
	v_and_b32_e32 v12, 0x7fffffff, v0
	v_cmp_ne_u32_e32 vcc, 0, v12
                                        ; implicit-def: $vgpr10
	s_and_saveexec_b64 s[0:1], vcc
	s_xor_b64 s[14:15], exec, s[0:1]
	s_cbranch_execz .LBB255_368
; %bb.339:                              ;   in Loop: Header=BB255_233 Depth=1
	v_xor_b32_e32 v11, 0x80000000, v0
	v_cmp_gt_u32_e32 vcc, s34, v9
                                        ; implicit-def: $vgpr10
	s_and_saveexec_b64 s[0:1], vcc
	s_xor_b64 s[20:21], exec, s[0:1]
	s_cbranch_execz .LBB255_361
; %bb.340:                              ;   in Loop: Header=BB255_233 Depth=1
	v_add_u32_e32 v10, 0xbd4e8de8, v11
	v_cmp_lt_u32_e32 vcc, s35, v10
                                        ; implicit-def: $vgpr10
	s_and_saveexec_b64 s[0:1], vcc
	s_xor_b64 s[22:23], exec, s[0:1]
	s_cbranch_execz .LBB255_350
; %bb.341:                              ;   in Loop: Header=BB255_233 Depth=1
	v_cmp_nlt_f32_e64 s[24:25], |v1|, s36
                                        ; implicit-def: $vgpr10
                                        ; implicit-def: $vgpr11
	s_and_saveexec_b64 s[0:1], s[24:25]
	s_xor_b64 s[26:27], exec, s[0:1]
	s_cbranch_execz .LBB255_343
; %bb.342:                              ;   in Loop: Header=BB255_233 Depth=1
	v_lshrrev_b32_e32 v10, 23, v9
	v_add_u32_e32 v10, 0xffffff88, v10
	v_cmp_lt_u32_e32 vcc, 63, v10
	v_cndmask_b32_e32 v11, 0, v21, vcc
	v_add_u32_e32 v10, v11, v10
	v_cmp_lt_u32_e64 s[0:1], 31, v10
	v_cndmask_b32_e64 v11, 0, v22, s[0:1]
	v_add_u32_e32 v10, v11, v10
	v_cmp_lt_u32_e64 s[2:3], 31, v10
	v_cndmask_b32_e64 v11, 0, v22, s[2:3]
	v_add_u32_e32 v25, v11, v10
	v_and_b32_e32 v10, 0x7fffff, v9
	v_or_b32_e32 v36, 0x800000, v10
	v_mad_u64_u32 v[10:11], s[4:5], v36, s37, 0
	v_mov_b32_e32 v12, v11
	v_mad_u64_u32 v[26:27], s[4:5], v36, s38, v[12:13]
	v_mov_b32_e32 v12, v27
	;; [unrolled: 2-line block ×6, first 2 shown]
	v_mad_u64_u32 v[36:37], s[4:5], v36, s43, v[12:13]
	v_cndmask_b32_e32 v11, v34, v30, vcc
	v_cndmask_b32_e32 v12, v36, v32, vcc
	;; [unrolled: 1-line block ×3, first 2 shown]
	v_cndmask_b32_e64 v27, v12, v11, s[0:1]
	v_cndmask_b32_e64 v12, v29, v12, s[0:1]
	v_cndmask_b32_e32 v29, v32, v28, vcc
	v_cndmask_b32_e64 v11, v11, v29, s[0:1]
	v_sub_u32_e32 v31, 32, v25
	v_cmp_eq_u32_e64 s[4:5], 0, v25
	v_cndmask_b32_e32 v25, v30, v26, vcc
	v_cndmask_b32_e64 v12, v12, v27, s[2:3]
	v_cndmask_b32_e64 v27, v27, v11, s[2:3]
	;; [unrolled: 1-line block ×3, first 2 shown]
	v_alignbit_b32 v32, v12, v27, v31
	v_cndmask_b32_e64 v11, v11, v26, s[2:3]
	v_cndmask_b32_e64 v12, v32, v12, s[4:5]
	v_alignbit_b32 v29, v27, v11, v31
	v_cndmask_b32_e64 v27, v29, v27, s[4:5]
	v_bfe_u32 v32, v12, 29, 1
	v_cndmask_b32_e32 v10, v28, v10, vcc
	v_alignbit_b32 v29, v12, v27, 30
	v_sub_u32_e32 v33, 0, v32
	v_cndmask_b32_e64 v10, v25, v10, s[0:1]
	v_xor_b32_e32 v34, v29, v33
	v_cndmask_b32_e64 v10, v26, v10, s[2:3]
	v_alignbit_b32 v25, v11, v10, v31
	v_ffbh_u32_e32 v26, v34
	v_cndmask_b32_e64 v11, v25, v11, s[4:5]
	v_add_u32_e32 v26, 1, v26
	v_cmp_ne_u32_e32 vcc, v29, v33
	v_alignbit_b32 v25, v27, v11, 30
	v_cndmask_b32_e32 v26, 33, v26, vcc
	v_alignbit_b32 v10, v11, v10, 30
	v_xor_b32_e32 v25, v25, v33
	v_sub_u32_e32 v27, 32, v26
	v_xor_b32_e32 v10, v10, v33
	v_alignbit_b32 v28, v34, v25, v27
	v_alignbit_b32 v10, v25, v10, v27
	;; [unrolled: 1-line block ×3, first 2 shown]
	v_ffbh_u32_e32 v25, v11
	v_min_u32_e32 v25, 32, v25
	v_lshrrev_b32_e32 v30, 29, v12
	v_sub_u32_e32 v27, 31, v25
	v_alignbit_b32 v10, v11, v10, v27
	v_lshlrev_b32_e32 v11, 31, v30
	v_or_b32_e32 v27, 0x33800000, v11
	v_add_lshl_u32 v25, v25, v26, 23
	v_lshrrev_b32_e32 v10, 9, v10
	v_sub_u32_e32 v25, v27, v25
	v_or_b32_e32 v10, v25, v10
	v_alignbit_b32 v25, v26, v28, 9
	v_or_b32_e32 v11, v25, v11
	v_xor_b32_e32 v11, 1.0, v11
	v_mul_f32_e32 v25, 0x3fc90fda, v11
	v_fma_f32 v26, v11, s44, -v25
	v_fmac_f32_e32 v26, 0x33a22168, v11
	v_fmac_f32_e32 v26, 0x3fc90fda, v10
	v_lshrrev_b32_e32 v10, 30, v12
	v_add_f32_e32 v11, v25, v26
	v_add_u32_e32 v10, v32, v10
	s_andn2_saveexec_b64 s[0:1], s[26:27]
	s_branch .LBB255_344
.LBB255_343:                            ;   in Loop: Header=BB255_233 Depth=1
	s_andn2_saveexec_b64 s[0:1], s[26:27]
.LBB255_344:                            ;   in Loop: Header=BB255_233 Depth=1
	v_mul_f32_e64 v10, |v1|, s45
	v_rndne_f32_e32 v12, v10
	v_cvt_i32_f32_e32 v10, v12
	v_fma_f32 v11, v12, s46, |v1|
	v_fmac_f32_e32 v11, 0xb3a22168, v12
	v_fmac_f32_e32 v11, 0xa7c234c4, v12
; %bb.345:                              ;   in Loop: Header=BB255_233 Depth=1
	s_or_b64 exec, exec, s[0:1]
                                        ; implicit-def: $vgpr12
                                        ; implicit-def: $vgpr25
	s_and_saveexec_b64 s[0:1], s[24:25]
	s_xor_b64 s[24:25], exec, s[0:1]
	s_cbranch_execz .LBB255_347
; %bb.346:                              ;   in Loop: Header=BB255_233 Depth=1
	v_lshrrev_b32_e32 v12, 23, v9
	v_add_u32_e32 v12, 0xffffff88, v12
	v_cmp_lt_u32_e32 vcc, 63, v12
	v_cndmask_b32_e32 v25, 0, v21, vcc
	v_add_u32_e32 v12, v25, v12
	v_cmp_lt_u32_e64 s[0:1], 31, v12
	v_cndmask_b32_e64 v25, 0, v22, s[0:1]
	v_add_u32_e32 v12, v25, v12
	v_cmp_lt_u32_e64 s[2:3], 31, v12
	v_cndmask_b32_e64 v25, 0, v22, s[2:3]
	v_add_u32_e32 v25, v25, v12
	v_and_b32_e32 v12, 0x7fffff, v9
	v_or_b32_e32 v38, 0x800000, v12
	v_mad_u64_u32 v[26:27], s[4:5], v38, s37, 0
	v_mov_b32_e32 v12, v27
	v_mad_u64_u32 v[28:29], s[4:5], v38, s38, v[12:13]
	v_mov_b32_e32 v12, v29
	;; [unrolled: 2-line block ×6, first 2 shown]
	v_mad_u64_u32 v[38:39], s[4:5], v38, s43, v[12:13]
	v_cndmask_b32_e32 v27, v36, v32, vcc
	v_cndmask_b32_e32 v12, v38, v34, vcc
	;; [unrolled: 1-line block ×3, first 2 shown]
	v_cndmask_b32_e64 v29, v12, v27, s[0:1]
	v_cndmask_b32_e64 v12, v31, v12, s[0:1]
	v_cndmask_b32_e32 v31, v34, v30, vcc
	v_cndmask_b32_e64 v27, v27, v31, s[0:1]
	v_sub_u32_e32 v33, 32, v25
	v_cmp_eq_u32_e64 s[4:5], 0, v25
	v_cndmask_b32_e32 v25, v32, v28, vcc
	v_cndmask_b32_e64 v12, v12, v29, s[2:3]
	v_cndmask_b32_e64 v29, v29, v27, s[2:3]
	;; [unrolled: 1-line block ×3, first 2 shown]
	v_alignbit_b32 v34, v12, v29, v33
	v_cndmask_b32_e64 v27, v27, v28, s[2:3]
	v_cndmask_b32_e64 v12, v34, v12, s[4:5]
	v_alignbit_b32 v31, v29, v27, v33
	v_cndmask_b32_e64 v29, v31, v29, s[4:5]
	v_bfe_u32 v34, v12, 29, 1
	v_cndmask_b32_e32 v26, v30, v26, vcc
	v_alignbit_b32 v31, v12, v29, 30
	v_sub_u32_e32 v35, 0, v34
	v_cndmask_b32_e64 v25, v25, v26, s[0:1]
	v_xor_b32_e32 v36, v31, v35
	v_cndmask_b32_e64 v25, v28, v25, s[2:3]
	v_alignbit_b32 v26, v27, v25, v33
	v_ffbh_u32_e32 v28, v36
	v_cndmask_b32_e64 v26, v26, v27, s[4:5]
	v_add_u32_e32 v28, 1, v28
	v_cmp_ne_u32_e32 vcc, v31, v35
	v_alignbit_b32 v27, v29, v26, 30
	v_cndmask_b32_e32 v28, 33, v28, vcc
	v_alignbit_b32 v25, v26, v25, 30
	v_xor_b32_e32 v27, v27, v35
	v_sub_u32_e32 v29, 32, v28
	v_xor_b32_e32 v25, v25, v35
	v_alignbit_b32 v30, v36, v27, v29
	v_alignbit_b32 v25, v27, v25, v29
	;; [unrolled: 1-line block ×3, first 2 shown]
	v_ffbh_u32_e32 v27, v26
	v_min_u32_e32 v27, 32, v27
	v_lshrrev_b32_e32 v32, 29, v12
	v_sub_u32_e32 v29, 31, v27
	v_alignbit_b32 v25, v26, v25, v29
	v_lshlrev_b32_e32 v26, 31, v32
	v_or_b32_e32 v29, 0x33800000, v26
	v_add_lshl_u32 v27, v27, v28, 23
	v_lshrrev_b32_e32 v25, 9, v25
	v_sub_u32_e32 v27, v29, v27
	v_or_b32_e32 v25, v27, v25
	v_alignbit_b32 v27, v28, v30, 9
	v_or_b32_e32 v26, v27, v26
	v_xor_b32_e32 v26, 1.0, v26
	v_mul_f32_e32 v27, 0x3fc90fda, v26
	v_fma_f32 v28, v26, s44, -v27
	v_fmac_f32_e32 v28, 0x33a22168, v26
	v_fmac_f32_e32 v28, 0x3fc90fda, v25
	v_lshrrev_b32_e32 v12, 30, v12
	v_add_f32_e32 v25, v27, v28
	v_add_u32_e32 v12, v34, v12
	s_andn2_saveexec_b64 s[0:1], s[24:25]
	s_cbranch_execnz .LBB255_348
	s_branch .LBB255_349
.LBB255_347:                            ;   in Loop: Header=BB255_233 Depth=1
	s_andn2_saveexec_b64 s[0:1], s[24:25]
.LBB255_348:                            ;   in Loop: Header=BB255_233 Depth=1
	v_mul_f32_e64 v12, |v1|, s45
	v_rndne_f32_e32 v26, v12
	v_cvt_i32_f32_e32 v12, v26
	v_fma_f32 v25, v26, s46, |v1|
	v_fmac_f32_e32 v25, 0xb3a22168, v26
	v_fmac_f32_e32 v25, 0xa7c234c4, v26
.LBB255_349:                            ;   in Loop: Header=BB255_233 Depth=1
	s_or_b64 exec, exec, s[0:1]
	v_mul_f32_e32 v26, 0xbfb8aa3b, v0
	v_rndne_f32_e32 v27, v26
	v_sub_f32_e32 v28, v26, v27
	v_fma_f32 v26, v0, s47, -v26
	v_fmac_f32_e32 v26, 0xb2a5705f, v0
	v_add_f32_e32 v26, v28, v26
	v_cvt_i32_f32_e32 v27, v27
	v_exp_f32_e32 v26, v26
	v_mov_b32_e32 v28, 0x3c0881c4
	v_cmp_nlt_f32_e32 vcc, s48, v0
	v_ldexp_f32 v26, v26, v27
	v_mul_f32_e32 v27, v11, v11
	v_fmac_f32_e32 v28, 0xb94c1982, v27
	v_fma_f32 v28, v27, v28, v18
	v_mul_f32_e32 v28, v27, v28
	v_fmac_f32_e32 v11, v11, v28
	v_mov_b32_e32 v28, 0xbab64f3b
	v_fmac_f32_e32 v28, 0x37d75334, v27
	v_fma_f32 v28, v27, v28, v19
	v_fma_f32 v28, v27, v28, v20
	v_cndmask_b32_e32 v26, 0, v26, vcc
	v_cmp_ngt_f32_e32 vcc, s49, v0
	v_fma_f32 v27, v27, v28, 1.0
	v_and_b32_e32 v28, 1, v10
	v_cndmask_b32_e32 v26, v23, v26, vcc
	v_cmp_eq_u32_e32 vcc, 0, v28
	v_lshlrev_b32_e32 v10, 30, v10
	v_cndmask_b32_e64 v11, -v11, v27, vcc
	v_and_b32_e32 v10, 0x80000000, v10
	v_xor_b32_e32 v10, v10, v11
	v_mul_f32_e32 v11, v25, v25
	v_mov_b32_e32 v27, 0x3c0881c4
	v_fmac_f32_e32 v27, 0xb94c1982, v11
	v_fma_f32 v27, v11, v27, v18
	v_mul_f32_e32 v27, v11, v27
	v_fmac_f32_e32 v25, v25, v27
	v_mov_b32_e32 v27, 0xbab64f3b
	v_fmac_f32_e32 v27, 0x37d75334, v11
	v_fma_f32 v27, v11, v27, v19
	v_fma_f32 v27, v11, v27, v20
	v_fma_f32 v11, v11, v27, 1.0
	v_and_b32_e32 v27, 1, v12
	v_cmp_eq_u32_e64 s[0:1], 0, v27
	v_lshlrev_b32_e32 v12, 30, v12
	v_cndmask_b32_e64 v11, v11, v25, s[0:1]
	v_and_or_b32 v9, v12, s33, v9
	v_xor_b32_e32 v9, v9, v11
	v_cmp_class_f32_e64 vcc, v1, s50
	v_xor_b32_e32 v8, v9, v8
	v_cndmask_b32_e32 v10, v24, v10, vcc
	v_cndmask_b32_e32 v8, v24, v8, vcc
	v_mul_f32_e32 v10, v26, v10
	v_mul_f32_e32 v8, v26, v8
                                        ; implicit-def: $vgpr9
.LBB255_350:                            ;   in Loop: Header=BB255_233 Depth=1
	s_andn2_saveexec_b64 s[22:23], s[22:23]
	s_cbranch_execz .LBB255_360
; %bb.351:                              ;   in Loop: Header=BB255_233 Depth=1
	v_cmp_nlt_f32_e64 s[24:25], |v1|, s36
                                        ; implicit-def: $vgpr11
                                        ; implicit-def: $vgpr10
	s_and_saveexec_b64 s[0:1], s[24:25]
	s_xor_b64 s[26:27], exec, s[0:1]
	s_cbranch_execz .LBB255_353
; %bb.352:                              ;   in Loop: Header=BB255_233 Depth=1
	v_lshrrev_b32_e32 v10, 23, v9
	v_add_u32_e32 v10, 0xffffff88, v10
	v_cmp_lt_u32_e32 vcc, 63, v10
	v_cndmask_b32_e32 v11, 0, v21, vcc
	v_add_u32_e32 v10, v11, v10
	v_cmp_lt_u32_e64 s[0:1], 31, v10
	v_cndmask_b32_e64 v11, 0, v22, s[0:1]
	v_add_u32_e32 v10, v11, v10
	v_cmp_lt_u32_e64 s[2:3], 31, v10
	v_cndmask_b32_e64 v11, 0, v22, s[2:3]
	v_add_u32_e32 v25, v11, v10
	v_and_b32_e32 v10, 0x7fffff, v9
	v_or_b32_e32 v36, 0x800000, v10
	v_mad_u64_u32 v[10:11], s[4:5], v36, s37, 0
	v_mov_b32_e32 v12, v11
	v_mad_u64_u32 v[26:27], s[4:5], v36, s38, v[12:13]
	v_mov_b32_e32 v12, v27
	;; [unrolled: 2-line block ×6, first 2 shown]
	v_mad_u64_u32 v[36:37], s[4:5], v36, s43, v[12:13]
	v_cndmask_b32_e32 v11, v34, v30, vcc
	v_cndmask_b32_e32 v12, v36, v32, vcc
	;; [unrolled: 1-line block ×3, first 2 shown]
	v_cndmask_b32_e64 v27, v12, v11, s[0:1]
	v_cndmask_b32_e64 v12, v29, v12, s[0:1]
	v_cndmask_b32_e32 v29, v32, v28, vcc
	v_cndmask_b32_e64 v11, v11, v29, s[0:1]
	v_sub_u32_e32 v31, 32, v25
	v_cmp_eq_u32_e64 s[4:5], 0, v25
	v_cndmask_b32_e32 v25, v30, v26, vcc
	v_cndmask_b32_e64 v12, v12, v27, s[2:3]
	v_cndmask_b32_e64 v27, v27, v11, s[2:3]
	;; [unrolled: 1-line block ×3, first 2 shown]
	v_alignbit_b32 v32, v12, v27, v31
	v_cndmask_b32_e64 v11, v11, v26, s[2:3]
	v_cndmask_b32_e64 v12, v32, v12, s[4:5]
	v_alignbit_b32 v29, v27, v11, v31
	v_cndmask_b32_e64 v27, v29, v27, s[4:5]
	v_bfe_u32 v32, v12, 29, 1
	v_cndmask_b32_e32 v10, v28, v10, vcc
	v_alignbit_b32 v29, v12, v27, 30
	v_sub_u32_e32 v33, 0, v32
	v_cndmask_b32_e64 v10, v25, v10, s[0:1]
	v_xor_b32_e32 v34, v29, v33
	v_cndmask_b32_e64 v10, v26, v10, s[2:3]
	v_alignbit_b32 v25, v11, v10, v31
	v_ffbh_u32_e32 v26, v34
	v_cndmask_b32_e64 v11, v25, v11, s[4:5]
	v_add_u32_e32 v26, 1, v26
	v_cmp_ne_u32_e32 vcc, v29, v33
	v_alignbit_b32 v25, v27, v11, 30
	v_cndmask_b32_e32 v26, 33, v26, vcc
	v_alignbit_b32 v10, v11, v10, 30
	v_xor_b32_e32 v25, v25, v33
	v_sub_u32_e32 v27, 32, v26
	v_xor_b32_e32 v10, v10, v33
	v_alignbit_b32 v28, v34, v25, v27
	v_alignbit_b32 v10, v25, v10, v27
	;; [unrolled: 1-line block ×3, first 2 shown]
	v_ffbh_u32_e32 v25, v11
	v_min_u32_e32 v25, 32, v25
	v_lshrrev_b32_e32 v30, 29, v12
	v_sub_u32_e32 v27, 31, v25
	v_alignbit_b32 v10, v11, v10, v27
	v_lshlrev_b32_e32 v11, 31, v30
	v_or_b32_e32 v27, 0x33800000, v11
	v_add_lshl_u32 v25, v25, v26, 23
	v_lshrrev_b32_e32 v10, 9, v10
	v_sub_u32_e32 v25, v27, v25
	v_or_b32_e32 v10, v25, v10
	v_alignbit_b32 v25, v26, v28, 9
	v_or_b32_e32 v11, v25, v11
	v_xor_b32_e32 v11, 1.0, v11
	v_mul_f32_e32 v25, 0x3fc90fda, v11
	v_fma_f32 v26, v11, s44, -v25
	v_fmac_f32_e32 v26, 0x33a22168, v11
	v_fmac_f32_e32 v26, 0x3fc90fda, v10
	v_lshrrev_b32_e32 v11, 30, v12
	v_add_f32_e32 v10, v25, v26
	v_add_u32_e32 v11, v32, v11
	s_andn2_saveexec_b64 s[0:1], s[26:27]
	s_branch .LBB255_354
.LBB255_353:                            ;   in Loop: Header=BB255_233 Depth=1
	s_andn2_saveexec_b64 s[0:1], s[26:27]
.LBB255_354:                            ;   in Loop: Header=BB255_233 Depth=1
	v_mul_f32_e64 v10, |v1|, s45
	v_rndne_f32_e32 v12, v10
	v_cvt_i32_f32_e32 v11, v12
	v_fma_f32 v10, v12, s46, |v1|
	v_fmac_f32_e32 v10, 0xb3a22168, v12
	v_fmac_f32_e32 v10, 0xa7c234c4, v12
; %bb.355:                              ;   in Loop: Header=BB255_233 Depth=1
	s_or_b64 exec, exec, s[0:1]
                                        ; implicit-def: $vgpr12
                                        ; implicit-def: $vgpr25
	s_and_saveexec_b64 s[0:1], s[24:25]
	s_xor_b64 s[24:25], exec, s[0:1]
	s_cbranch_execz .LBB255_357
; %bb.356:                              ;   in Loop: Header=BB255_233 Depth=1
	v_lshrrev_b32_e32 v12, 23, v9
	v_add_u32_e32 v12, 0xffffff88, v12
	v_cmp_lt_u32_e32 vcc, 63, v12
	v_cndmask_b32_e32 v25, 0, v21, vcc
	v_add_u32_e32 v12, v25, v12
	v_cmp_lt_u32_e64 s[0:1], 31, v12
	v_cndmask_b32_e64 v25, 0, v22, s[0:1]
	v_add_u32_e32 v12, v25, v12
	v_cmp_lt_u32_e64 s[2:3], 31, v12
	v_cndmask_b32_e64 v25, 0, v22, s[2:3]
	v_add_u32_e32 v25, v25, v12
	v_and_b32_e32 v12, 0x7fffff, v9
	v_or_b32_e32 v38, 0x800000, v12
	v_mad_u64_u32 v[26:27], s[4:5], v38, s37, 0
	v_mov_b32_e32 v12, v27
	v_mad_u64_u32 v[28:29], s[4:5], v38, s38, v[12:13]
	v_mov_b32_e32 v12, v29
	;; [unrolled: 2-line block ×6, first 2 shown]
	v_mad_u64_u32 v[38:39], s[4:5], v38, s43, v[12:13]
	v_cndmask_b32_e32 v27, v36, v32, vcc
	v_cndmask_b32_e32 v12, v38, v34, vcc
	;; [unrolled: 1-line block ×3, first 2 shown]
	v_cndmask_b32_e64 v29, v12, v27, s[0:1]
	v_cndmask_b32_e64 v12, v31, v12, s[0:1]
	v_cndmask_b32_e32 v31, v34, v30, vcc
	v_cndmask_b32_e64 v27, v27, v31, s[0:1]
	v_sub_u32_e32 v33, 32, v25
	v_cmp_eq_u32_e64 s[4:5], 0, v25
	v_cndmask_b32_e32 v25, v32, v28, vcc
	v_cndmask_b32_e64 v12, v12, v29, s[2:3]
	v_cndmask_b32_e64 v29, v29, v27, s[2:3]
	;; [unrolled: 1-line block ×3, first 2 shown]
	v_alignbit_b32 v34, v12, v29, v33
	v_cndmask_b32_e64 v27, v27, v28, s[2:3]
	v_cndmask_b32_e64 v12, v34, v12, s[4:5]
	v_alignbit_b32 v31, v29, v27, v33
	v_cndmask_b32_e64 v29, v31, v29, s[4:5]
	v_bfe_u32 v34, v12, 29, 1
	v_cndmask_b32_e32 v26, v30, v26, vcc
	v_alignbit_b32 v31, v12, v29, 30
	v_sub_u32_e32 v35, 0, v34
	v_cndmask_b32_e64 v25, v25, v26, s[0:1]
	v_xor_b32_e32 v36, v31, v35
	v_cndmask_b32_e64 v25, v28, v25, s[2:3]
	v_alignbit_b32 v26, v27, v25, v33
	v_ffbh_u32_e32 v28, v36
	v_cndmask_b32_e64 v26, v26, v27, s[4:5]
	v_add_u32_e32 v28, 1, v28
	v_cmp_ne_u32_e32 vcc, v31, v35
	v_alignbit_b32 v27, v29, v26, 30
	v_cndmask_b32_e32 v28, 33, v28, vcc
	v_alignbit_b32 v25, v26, v25, 30
	v_xor_b32_e32 v27, v27, v35
	v_sub_u32_e32 v29, 32, v28
	v_xor_b32_e32 v25, v25, v35
	v_alignbit_b32 v30, v36, v27, v29
	v_alignbit_b32 v25, v27, v25, v29
	;; [unrolled: 1-line block ×3, first 2 shown]
	v_ffbh_u32_e32 v27, v26
	v_min_u32_e32 v27, 32, v27
	v_lshrrev_b32_e32 v32, 29, v12
	v_sub_u32_e32 v29, 31, v27
	v_alignbit_b32 v25, v26, v25, v29
	v_lshlrev_b32_e32 v26, 31, v32
	v_or_b32_e32 v29, 0x33800000, v26
	v_add_lshl_u32 v27, v27, v28, 23
	v_lshrrev_b32_e32 v25, 9, v25
	v_sub_u32_e32 v27, v29, v27
	v_or_b32_e32 v25, v27, v25
	v_alignbit_b32 v27, v28, v30, 9
	v_or_b32_e32 v26, v27, v26
	v_xor_b32_e32 v26, 1.0, v26
	v_mul_f32_e32 v27, 0x3fc90fda, v26
	v_fma_f32 v28, v26, s44, -v27
	v_fmac_f32_e32 v28, 0x33a22168, v26
	v_fmac_f32_e32 v28, 0x3fc90fda, v25
	v_lshrrev_b32_e32 v12, 30, v12
	v_add_f32_e32 v25, v27, v28
	v_add_u32_e32 v12, v34, v12
	s_andn2_saveexec_b64 s[0:1], s[24:25]
	s_cbranch_execnz .LBB255_358
	s_branch .LBB255_359
.LBB255_357:                            ;   in Loop: Header=BB255_233 Depth=1
	s_andn2_saveexec_b64 s[0:1], s[24:25]
.LBB255_358:                            ;   in Loop: Header=BB255_233 Depth=1
	v_mul_f32_e64 v12, |v1|, s45
	v_rndne_f32_e32 v26, v12
	v_cvt_i32_f32_e32 v12, v26
	v_fma_f32 v25, v26, s46, |v1|
	v_fmac_f32_e32 v25, 0xb3a22168, v26
	v_fmac_f32_e32 v25, 0xa7c234c4, v26
.LBB255_359:                            ;   in Loop: Header=BB255_233 Depth=1
	s_or_b64 exec, exec, s[0:1]
	v_mul_f32_e32 v27, v10, v10
	v_mov_b32_e32 v28, 0xbab64f3b
	v_fmac_f32_e32 v28, 0x37d75334, v27
	v_mov_b32_e32 v29, 0x3c0881c4
	v_fma_f32 v28, v27, v28, v19
	v_fmac_f32_e32 v29, 0xb94c1982, v27
	v_lshlrev_b32_e32 v26, 30, v11
	v_and_b32_e32 v11, 1, v11
	v_fma_f32 v28, v27, v28, v20
	v_fma_f32 v29, v27, v29, v18
	v_fma_f32 v28, v27, v28, 1.0
	v_mul_f32_e32 v27, v27, v29
	v_cmp_eq_u32_e32 vcc, 0, v11
	v_sub_f32_e32 v11, 0xc322e3bc, v0
	v_fmac_f32_e32 v10, v10, v27
	v_mul_f32_e32 v27, 0x3fb8aa3b, v11
	v_cndmask_b32_e64 v10, -v10, v28, vcc
	v_fma_f32 v28, v11, s51, -v27
	v_rndne_f32_e32 v29, v27
	v_fmac_f32_e32 v28, 0x32a5705f, v11
	v_sub_f32_e32 v27, v27, v29
	v_add_f32_e32 v27, v27, v28
	v_exp_f32_e32 v27, v27
	v_cvt_i32_f32_e32 v28, v29
	v_and_b32_e32 v26, 0x80000000, v26
	v_xor_b32_e32 v10, v26, v10
	v_cmp_ngt_f32_e64 s[0:1], s52, v11
	v_ldexp_f32 v26, v27, v28
	v_cndmask_b32_e64 v26, 0, v26, s[0:1]
	v_cmp_nlt_f32_e64 s[0:1], s53, v11
	v_cndmask_b32_e64 v11, v23, v26, s[0:1]
	v_and_b32_e32 v26, 0x7fffff, v11
	v_lshrrev_b32_e32 v11, 23, v11
	v_subrev_u32_e32 v11, 19, v11
	v_lshrrev_b16_e32 v27, 15, v11
	v_add_u16_e32 v27, v11, v27
	v_ashrrev_i16_e32 v27, 1, v27
	v_bfe_i32 v27, v27, 0, 16
	v_lshl_add_u32 v28, v27, 23, 1.0
	v_sub_u32_e32 v11, v11, v27
	v_mul_f32_e32 v27, v25, v25
	v_mov_b32_e32 v29, 0x3c0881c4
	v_fmac_f32_e32 v29, 0xb94c1982, v27
	v_fma_f32 v29, v27, v29, v18
	v_mul_f32_e32 v29, v27, v29
	v_fmac_f32_e32 v25, v25, v29
	v_mov_b32_e32 v29, 0xbab64f3b
	v_fmac_f32_e32 v29, 0x37d75334, v27
	v_fma_f32 v29, v27, v29, v19
	v_fma_f32 v29, v27, v29, v20
	v_fma_f32 v27, v27, v29, 1.0
	v_and_b32_e32 v29, 1, v12
	v_cmp_eq_u32_e64 s[0:1], 0, v29
	v_lshlrev_b32_e32 v12, 30, v12
	v_cndmask_b32_e64 v25, v27, v25, s[0:1]
	v_and_or_b32 v9, v12, s33, v9
	v_xor_b32_e32 v9, v9, v25
	v_cmp_class_f32_e64 vcc, v1, s50
	v_xor_b32_e32 v8, v9, v8
	v_cndmask_b32_e32 v10, v24, v10, vcc
	v_or_b32_e32 v26, 0x7f000000, v26
	v_cndmask_b32_e32 v8, v24, v8, vcc
	v_mul_f32_e32 v10, v10, v26
	v_mul_f32_e32 v8, v8, v26
	;; [unrolled: 1-line block ×3, first 2 shown]
	v_lshl_add_u32 v11, v11, 23, 1.0
	v_mul_f32_e32 v8, v8, v28
	v_mul_f32_e32 v10, v10, v11
	;; [unrolled: 1-line block ×3, first 2 shown]
.LBB255_360:                            ;   in Loop: Header=BB255_233 Depth=1
	s_or_b64 exec, exec, s[22:23]
                                        ; implicit-def: $vgpr11
                                        ; implicit-def: $vgpr12
.LBB255_361:                            ;   in Loop: Header=BB255_233 Depth=1
	s_andn2_saveexec_b64 s[0:1], s[20:21]
	s_cbranch_execz .LBB255_367
; %bb.362:                              ;   in Loop: Header=BB255_233 Depth=1
	v_cmp_ne_u32_e32 vcc, s34, v12
	v_sub_f32_e32 v8, v1, v1
	s_and_saveexec_b64 s[2:3], vcc
	s_xor_b64 s[2:3], exec, s[2:3]
; %bb.363:                              ;   in Loop: Header=BB255_233 Depth=1
                                        ; implicit-def: $vgpr11
; %bb.364:                              ;   in Loop: Header=BB255_233 Depth=1
	s_or_saveexec_b64 s[2:3], s[2:3]
	v_mov_b32_e32 v10, v8
	s_xor_b64 exec, exec, s[2:3]
; %bb.365:                              ;   in Loop: Header=BB255_233 Depth=1
	v_cmp_lt_i32_e32 vcc, -1, v11
	v_cndmask_b32_e64 v10, 0, -v0, vcc
	v_cndmask_b32_e32 v8, 0, v8, vcc
; %bb.366:                              ;   in Loop: Header=BB255_233 Depth=1
	s_or_b64 exec, exec, s[2:3]
.LBB255_367:                            ;   in Loop: Header=BB255_233 Depth=1
	s_or_b64 exec, exec, s[0:1]
                                        ; implicit-def: $vgpr9
.LBB255_368:                            ;   in Loop: Header=BB255_233 Depth=1
	s_andn2_saveexec_b64 s[14:15], s[14:15]
	s_cbranch_execz .LBB255_378
; %bb.369:                              ;   in Loop: Header=BB255_233 Depth=1
	v_cmp_nlt_f32_e64 s[20:21], |v1|, s36
                                        ; implicit-def: $vgpr10
                                        ; implicit-def: $vgpr11
	s_and_saveexec_b64 s[0:1], s[20:21]
	s_xor_b64 s[22:23], exec, s[0:1]
	s_cbranch_execz .LBB255_371
; %bb.370:                              ;   in Loop: Header=BB255_233 Depth=1
	v_lshrrev_b32_e32 v10, 23, v9
	v_add_u32_e32 v10, 0xffffff88, v10
	v_cmp_lt_u32_e32 vcc, 63, v10
	v_cndmask_b32_e32 v11, 0, v21, vcc
	v_add_u32_e32 v10, v11, v10
	v_cmp_lt_u32_e64 s[0:1], 31, v10
	v_cndmask_b32_e64 v11, 0, v22, s[0:1]
	v_add_u32_e32 v10, v11, v10
	v_cmp_lt_u32_e64 s[2:3], 31, v10
	v_cndmask_b32_e64 v11, 0, v22, s[2:3]
	v_add_u32_e32 v25, v11, v10
	v_and_b32_e32 v10, 0x7fffff, v9
	v_or_b32_e32 v36, 0x800000, v10
	v_mad_u64_u32 v[10:11], s[4:5], v36, s37, 0
	v_mov_b32_e32 v12, v11
	v_mad_u64_u32 v[26:27], s[4:5], v36, s38, v[12:13]
	v_mov_b32_e32 v12, v27
	;; [unrolled: 2-line block ×6, first 2 shown]
	v_mad_u64_u32 v[36:37], s[4:5], v36, s43, v[12:13]
	v_cndmask_b32_e32 v11, v34, v30, vcc
	v_cndmask_b32_e32 v12, v36, v32, vcc
	;; [unrolled: 1-line block ×3, first 2 shown]
	v_cndmask_b32_e64 v27, v12, v11, s[0:1]
	v_cndmask_b32_e64 v12, v29, v12, s[0:1]
	v_cndmask_b32_e32 v29, v32, v28, vcc
	v_cndmask_b32_e64 v11, v11, v29, s[0:1]
	v_sub_u32_e32 v31, 32, v25
	v_cmp_eq_u32_e64 s[4:5], 0, v25
	v_cndmask_b32_e32 v25, v30, v26, vcc
	v_cndmask_b32_e64 v12, v12, v27, s[2:3]
	v_cndmask_b32_e64 v27, v27, v11, s[2:3]
	;; [unrolled: 1-line block ×3, first 2 shown]
	v_alignbit_b32 v32, v12, v27, v31
	v_cndmask_b32_e64 v11, v11, v26, s[2:3]
	v_cndmask_b32_e64 v12, v32, v12, s[4:5]
	v_alignbit_b32 v29, v27, v11, v31
	v_cndmask_b32_e64 v27, v29, v27, s[4:5]
	v_bfe_u32 v32, v12, 29, 1
	v_cndmask_b32_e32 v10, v28, v10, vcc
	v_alignbit_b32 v29, v12, v27, 30
	v_sub_u32_e32 v33, 0, v32
	v_cndmask_b32_e64 v10, v25, v10, s[0:1]
	v_xor_b32_e32 v34, v29, v33
	v_cndmask_b32_e64 v10, v26, v10, s[2:3]
	v_alignbit_b32 v25, v11, v10, v31
	v_ffbh_u32_e32 v26, v34
	v_cndmask_b32_e64 v11, v25, v11, s[4:5]
	v_add_u32_e32 v26, 1, v26
	v_cmp_ne_u32_e32 vcc, v29, v33
	v_alignbit_b32 v25, v27, v11, 30
	v_cndmask_b32_e32 v26, 33, v26, vcc
	v_alignbit_b32 v10, v11, v10, 30
	v_xor_b32_e32 v25, v25, v33
	v_sub_u32_e32 v27, 32, v26
	v_xor_b32_e32 v10, v10, v33
	v_alignbit_b32 v28, v34, v25, v27
	v_alignbit_b32 v10, v25, v10, v27
	;; [unrolled: 1-line block ×3, first 2 shown]
	v_ffbh_u32_e32 v25, v11
	v_min_u32_e32 v25, 32, v25
	v_lshrrev_b32_e32 v30, 29, v12
	v_sub_u32_e32 v27, 31, v25
	v_alignbit_b32 v10, v11, v10, v27
	v_lshlrev_b32_e32 v11, 31, v30
	v_or_b32_e32 v27, 0x33800000, v11
	v_add_lshl_u32 v25, v25, v26, 23
	v_lshrrev_b32_e32 v10, 9, v10
	v_sub_u32_e32 v25, v27, v25
	v_or_b32_e32 v10, v25, v10
	v_alignbit_b32 v25, v26, v28, 9
	v_or_b32_e32 v11, v25, v11
	v_xor_b32_e32 v11, 1.0, v11
	v_mul_f32_e32 v25, 0x3fc90fda, v11
	v_fma_f32 v26, v11, s44, -v25
	v_fmac_f32_e32 v26, 0x33a22168, v11
	v_fmac_f32_e32 v26, 0x3fc90fda, v10
	v_lshrrev_b32_e32 v10, 30, v12
	v_add_f32_e32 v11, v25, v26
	v_add_u32_e32 v10, v32, v10
	s_andn2_saveexec_b64 s[0:1], s[22:23]
	s_branch .LBB255_372
.LBB255_371:                            ;   in Loop: Header=BB255_233 Depth=1
	s_andn2_saveexec_b64 s[0:1], s[22:23]
.LBB255_372:                            ;   in Loop: Header=BB255_233 Depth=1
	v_mul_f32_e64 v10, |v1|, s45
	v_rndne_f32_e32 v12, v10
	v_cvt_i32_f32_e32 v10, v12
	v_fma_f32 v11, v12, s46, |v1|
	v_fmac_f32_e32 v11, 0xb3a22168, v12
	v_fmac_f32_e32 v11, 0xa7c234c4, v12
; %bb.373:                              ;   in Loop: Header=BB255_233 Depth=1
	s_or_b64 exec, exec, s[0:1]
                                        ; implicit-def: $vgpr12
                                        ; implicit-def: $vgpr25
	s_and_saveexec_b64 s[0:1], s[20:21]
	s_xor_b64 s[20:21], exec, s[0:1]
	s_cbranch_execz .LBB255_375
; %bb.374:                              ;   in Loop: Header=BB255_233 Depth=1
	v_lshrrev_b32_e32 v12, 23, v9
	v_add_u32_e32 v12, 0xffffff88, v12
	v_cmp_lt_u32_e32 vcc, 63, v12
	v_cndmask_b32_e32 v25, 0, v21, vcc
	v_add_u32_e32 v12, v25, v12
	v_cmp_lt_u32_e64 s[0:1], 31, v12
	v_cndmask_b32_e64 v25, 0, v22, s[0:1]
	v_add_u32_e32 v12, v25, v12
	v_cmp_lt_u32_e64 s[2:3], 31, v12
	v_cndmask_b32_e64 v25, 0, v22, s[2:3]
	v_add_u32_e32 v25, v25, v12
	v_and_b32_e32 v12, 0x7fffff, v9
	v_or_b32_e32 v38, 0x800000, v12
	v_mad_u64_u32 v[26:27], s[4:5], v38, s37, 0
	v_mov_b32_e32 v12, v27
	v_mad_u64_u32 v[28:29], s[4:5], v38, s38, v[12:13]
	v_mov_b32_e32 v12, v29
	;; [unrolled: 2-line block ×6, first 2 shown]
	v_mad_u64_u32 v[38:39], s[4:5], v38, s43, v[12:13]
	v_cndmask_b32_e32 v27, v36, v32, vcc
	v_cndmask_b32_e32 v12, v38, v34, vcc
	;; [unrolled: 1-line block ×3, first 2 shown]
	v_cndmask_b32_e64 v29, v12, v27, s[0:1]
	v_cndmask_b32_e64 v12, v31, v12, s[0:1]
	v_cndmask_b32_e32 v31, v34, v30, vcc
	v_cndmask_b32_e64 v27, v27, v31, s[0:1]
	v_sub_u32_e32 v33, 32, v25
	v_cmp_eq_u32_e64 s[4:5], 0, v25
	v_cndmask_b32_e32 v25, v32, v28, vcc
	v_cndmask_b32_e64 v12, v12, v29, s[2:3]
	v_cndmask_b32_e64 v29, v29, v27, s[2:3]
	;; [unrolled: 1-line block ×3, first 2 shown]
	v_alignbit_b32 v34, v12, v29, v33
	v_cndmask_b32_e64 v27, v27, v28, s[2:3]
	v_cndmask_b32_e64 v12, v34, v12, s[4:5]
	v_alignbit_b32 v31, v29, v27, v33
	v_cndmask_b32_e64 v29, v31, v29, s[4:5]
	v_bfe_u32 v34, v12, 29, 1
	v_cndmask_b32_e32 v26, v30, v26, vcc
	v_alignbit_b32 v31, v12, v29, 30
	v_sub_u32_e32 v35, 0, v34
	v_cndmask_b32_e64 v25, v25, v26, s[0:1]
	v_xor_b32_e32 v36, v31, v35
	v_cndmask_b32_e64 v25, v28, v25, s[2:3]
	v_alignbit_b32 v26, v27, v25, v33
	v_ffbh_u32_e32 v28, v36
	v_cndmask_b32_e64 v26, v26, v27, s[4:5]
	v_add_u32_e32 v28, 1, v28
	v_cmp_ne_u32_e32 vcc, v31, v35
	v_alignbit_b32 v27, v29, v26, 30
	v_cndmask_b32_e32 v28, 33, v28, vcc
	v_alignbit_b32 v25, v26, v25, 30
	v_xor_b32_e32 v27, v27, v35
	v_sub_u32_e32 v29, 32, v28
	v_xor_b32_e32 v25, v25, v35
	v_alignbit_b32 v30, v36, v27, v29
	v_alignbit_b32 v25, v27, v25, v29
	;; [unrolled: 1-line block ×3, first 2 shown]
	v_ffbh_u32_e32 v27, v26
	v_min_u32_e32 v27, 32, v27
	v_lshrrev_b32_e32 v32, 29, v12
	v_sub_u32_e32 v29, 31, v27
	v_alignbit_b32 v25, v26, v25, v29
	v_lshlrev_b32_e32 v26, 31, v32
	v_or_b32_e32 v29, 0x33800000, v26
	v_add_lshl_u32 v27, v27, v28, 23
	v_lshrrev_b32_e32 v25, 9, v25
	v_sub_u32_e32 v27, v29, v27
	v_or_b32_e32 v25, v27, v25
	v_alignbit_b32 v27, v28, v30, 9
	v_or_b32_e32 v26, v27, v26
	v_xor_b32_e32 v26, 1.0, v26
	v_mul_f32_e32 v27, 0x3fc90fda, v26
	v_fma_f32 v28, v26, s44, -v27
	v_fmac_f32_e32 v28, 0x33a22168, v26
	v_fmac_f32_e32 v28, 0x3fc90fda, v25
	v_lshrrev_b32_e32 v12, 30, v12
	v_add_f32_e32 v25, v27, v28
	v_add_u32_e32 v12, v34, v12
	s_andn2_saveexec_b64 s[0:1], s[20:21]
	s_cbranch_execnz .LBB255_376
	s_branch .LBB255_377
.LBB255_375:                            ;   in Loop: Header=BB255_233 Depth=1
	s_andn2_saveexec_b64 s[0:1], s[20:21]
.LBB255_376:                            ;   in Loop: Header=BB255_233 Depth=1
	v_mul_f32_e64 v12, |v1|, s45
	v_rndne_f32_e32 v26, v12
	v_cvt_i32_f32_e32 v12, v26
	v_fma_f32 v25, v26, s46, |v1|
	v_fmac_f32_e32 v25, 0xb3a22168, v26
	v_fmac_f32_e32 v25, 0xa7c234c4, v26
.LBB255_377:                            ;   in Loop: Header=BB255_233 Depth=1
	s_or_b64 exec, exec, s[0:1]
	v_mul_f32_e32 v26, v11, v11
	v_mov_b32_e32 v27, 0x3c0881c4
	v_fmac_f32_e32 v27, 0xb94c1982, v26
	v_fma_f32 v27, v26, v27, v18
	v_mul_f32_e32 v27, v26, v27
	v_fmac_f32_e32 v11, v11, v27
	v_mov_b32_e32 v27, 0xbab64f3b
	v_fmac_f32_e32 v27, 0x37d75334, v26
	v_fma_f32 v27, v26, v27, v19
	v_fma_f32 v27, v26, v27, v20
	v_fma_f32 v26, v26, v27, 1.0
	v_and_b32_e32 v27, 1, v10
	v_cmp_eq_u32_e32 vcc, 0, v27
	v_lshlrev_b32_e32 v10, 30, v10
	v_cndmask_b32_e64 v11, -v11, v26, vcc
	v_and_b32_e32 v10, 0x80000000, v10
	v_xor_b32_e32 v10, v10, v11
	v_cmp_class_f32_e64 vcc, v1, s50
	v_mul_f32_e32 v1, v25, v25
	v_mov_b32_e32 v11, 0x3c0881c4
	v_fmac_f32_e32 v11, 0xb94c1982, v1
	v_fma_f32 v11, v1, v11, v18
	v_mul_f32_e32 v11, v1, v11
	v_fmac_f32_e32 v25, v25, v11
	v_mov_b32_e32 v11, 0xbab64f3b
	v_fmac_f32_e32 v11, 0x37d75334, v1
	v_fma_f32 v11, v1, v11, v19
	v_fma_f32 v11, v1, v11, v20
	v_fma_f32 v1, v1, v11, 1.0
	v_and_b32_e32 v11, 1, v12
	v_cmp_eq_u32_e64 s[0:1], 0, v11
	v_lshlrev_b32_e32 v11, 30, v12
	v_cndmask_b32_e64 v1, v1, v25, s[0:1]
	v_and_or_b32 v9, v11, s33, v9
	v_xor_b32_e32 v1, v9, v1
	v_xor_b32_e32 v1, v1, v8
	v_cndmask_b32_e32 v10, v24, v10, vcc
	v_cndmask_b32_e32 v8, v24, v1, vcc
.LBB255_378:                            ;   in Loop: Header=BB255_233 Depth=1
	s_or_b64 exec, exec, s[14:15]
.LBB255_379:                            ;   in Loop: Header=BB255_233 Depth=1
	s_andn2_saveexec_b64 s[0:1], s[12:13]
	s_cbranch_execz .LBB255_381
; %bb.380:                              ;   in Loop: Header=BB255_233 Depth=1
	v_mul_f32_e32 v1, 0xbfb8aa3b, v0
	v_rndne_f32_e32 v9, v1
	v_sub_f32_e32 v10, v1, v9
	v_fma_f32 v1, v0, s47, -v1
	v_fmac_f32_e32 v1, 0xb2a5705f, v0
	v_add_f32_e32 v1, v10, v1
	v_cvt_i32_f32_e32 v9, v9
	v_exp_f32_e32 v1, v1
	v_cmp_nlt_f32_e32 vcc, s48, v0
	v_ldexp_f32 v1, v1, v9
	v_cndmask_b32_e32 v1, 0, v1, vcc
	v_cmp_ngt_f32_e32 vcc, s49, v0
	v_cndmask_b32_e32 v10, v23, v1, vcc
.LBB255_381:                            ;   in Loop: Header=BB255_233 Depth=1
	s_or_b64 exec, exec, s[0:1]
	v_add_f32_e32 v1, s16, v10
	v_add_f32_e32 v0, s17, v8
	v_cmp_gt_f32_e32 vcc, 0, v1
	v_cndmask_b32_e64 v11, v1, -v1, vcc
	v_cmp_gt_f32_e32 vcc, 0, v0
	v_cndmask_b32_e64 v10, v0, -v0, vcc
	v_cmp_ge_f32_e32 vcc, v11, v10
                                        ; implicit-def: $vgpr9
	s_and_saveexec_b64 s[0:1], vcc
	s_xor_b64 s[2:3], exec, s[0:1]
	s_cbranch_execz .LBB255_387
; %bb.382:                              ;   in Loop: Header=BB255_233 Depth=1
	v_cmp_neq_f32_e32 vcc, 0, v1
	v_cmp_neq_f32_e64 s[0:1], 0, v0
	s_or_b64 s[0:1], vcc, s[0:1]
                                        ; implicit-def: $vgpr9
	s_and_saveexec_b64 s[4:5], s[0:1]
	s_xor_b64 s[0:1], exec, s[4:5]
	s_cbranch_execz .LBB255_384
; %bb.383:                              ;   in Loop: Header=BB255_233 Depth=1
	v_div_scale_f32 v8, s[4:5], v1, v1, v0
	v_rcp_f32_e32 v9, v8
	v_div_scale_f32 v10, vcc, v0, v1, v0
	v_fma_f32 v11, -v8, v9, 1.0
	v_fmac_f32_e32 v9, v11, v9
	v_mul_f32_e32 v11, v10, v9
	v_fma_f32 v12, -v8, v11, v10
	v_fmac_f32_e32 v11, v12, v9
	v_fma_f32 v8, -v8, v11, v10
	v_div_fmas_f32 v8, v8, v9, v11
	v_div_fixup_f32 v9, v8, v1, v0
	v_fmac_f32_e32 v1, v0, v9
	v_div_scale_f32 v0, s[4:5], v1, v1, 1.0
	v_rcp_f32_e32 v8, v0
	v_fma_f32 v10, -v0, v8, 1.0
	v_fmac_f32_e32 v8, v10, v8
	v_div_scale_f32 v10, vcc, 1.0, v1, 1.0
	v_mul_f32_e32 v11, v10, v8
	v_fma_f32 v12, -v0, v11, v10
	v_fmac_f32_e32 v11, v12, v8
	v_fma_f32 v0, -v0, v11, v10
	v_div_fmas_f32 v0, v0, v8, v11
	v_div_fixup_f32 v0, v0, v1, 1.0
	v_mov_b32_e32 v1, s16
	v_fma_f32 v1, s17, v9, v1
	v_mul_f32_e32 v8, v1, v0
	v_mov_b32_e32 v1, s17
	v_fma_f32 v1, -v9, s16, v1
	v_mul_f32_e32 v9, v1, v0
                                        ; implicit-def: $vgpr11
                                        ; implicit-def: $vgpr10
.LBB255_384:                            ;   in Loop: Header=BB255_233 Depth=1
	s_andn2_saveexec_b64 s[0:1], s[0:1]
	s_cbranch_execz .LBB255_386
; %bb.385:                              ;   in Loop: Header=BB255_233 Depth=1
	v_div_scale_f32 v0, s[4:5], v11, v11, s16
	v_rcp_f32_e32 v1, v0
	v_div_scale_f32 v8, vcc, s16, v11, s16
	v_fma_f32 v9, -v0, v1, 1.0
	v_fmac_f32_e32 v1, v9, v1
	v_mul_f32_e32 v9, v8, v1
	v_fma_f32 v12, -v0, v9, v8
	v_fmac_f32_e32 v9, v12, v1
	v_div_scale_f32 v12, s[4:5], v10, v10, s17
	v_rcp_f32_e32 v25, v12
	v_fma_f32 v0, -v0, v9, v8
	v_div_fmas_f32 v0, v0, v1, v9
	v_div_fixup_f32 v8, v0, v11, s16
	v_fma_f32 v0, -v12, v25, 1.0
	v_fmac_f32_e32 v25, v0, v25
	v_div_scale_f32 v0, vcc, s17, v10, s17
	v_mul_f32_e32 v1, v0, v25
	v_fma_f32 v9, -v12, v1, v0
	v_fmac_f32_e32 v1, v9, v25
	v_fma_f32 v0, -v12, v1, v0
	v_div_fmas_f32 v0, v0, v25, v1
	v_div_fixup_f32 v9, v0, v10, s17
.LBB255_386:                            ;   in Loop: Header=BB255_233 Depth=1
	s_or_b64 exec, exec, s[0:1]
                                        ; implicit-def: $vgpr0
                                        ; implicit-def: $vgpr1
.LBB255_387:                            ;   in Loop: Header=BB255_233 Depth=1
	s_andn2_saveexec_b64 s[0:1], s[2:3]
	s_cbranch_execz .LBB255_389
; %bb.388:                              ;   in Loop: Header=BB255_233 Depth=1
	v_div_scale_f32 v8, s[2:3], v0, v0, v1
	v_rcp_f32_e32 v9, v8
	v_div_scale_f32 v10, vcc, v1, v0, v1
	v_fma_f32 v11, -v8, v9, 1.0
	v_fmac_f32_e32 v9, v11, v9
	v_mul_f32_e32 v11, v10, v9
	v_fma_f32 v12, -v8, v11, v10
	v_fmac_f32_e32 v11, v12, v9
	v_fma_f32 v8, -v8, v11, v10
	v_div_fmas_f32 v8, v8, v9, v11
	v_div_fixup_f32 v9, v8, v0, v1
	v_fmac_f32_e32 v0, v1, v9
	v_div_scale_f32 v1, s[2:3], v0, v0, 1.0
	v_rcp_f32_e32 v8, v1
	v_fma_f32 v10, -v1, v8, 1.0
	v_fmac_f32_e32 v8, v10, v8
	v_div_scale_f32 v10, vcc, 1.0, v0, 1.0
	v_mul_f32_e32 v11, v10, v8
	v_fma_f32 v12, -v1, v11, v10
	v_fmac_f32_e32 v11, v12, v8
	v_fma_f32 v1, -v1, v11, v10
	v_div_fmas_f32 v1, v1, v8, v11
	v_div_fixup_f32 v0, v1, v0, 1.0
	v_mov_b32_e32 v1, s17
	v_fma_f32 v1, s16, v9, v1
	v_mul_f32_e32 v8, v1, v0
	v_mov_b32_e32 v1, s16
	v_fma_f32 v1, v9, s17, -v1
	v_mul_f32_e32 v9, v1, v0
.LBB255_389:                            ;   in Loop: Header=BB255_233 Depth=1
	s_or_b64 exec, exec, s[0:1]
	v_and_b32_e32 v0, 0x7fffffff, v3
	v_xor_b32_e32 v10, 0x80000000, v3
	v_cmp_ne_u32_e32 vcc, 0, v0
                                        ; implicit-def: $vgpr11
	s_and_saveexec_b64 s[0:1], vcc
	s_xor_b64 s[12:13], exec, s[0:1]
	s_cbranch_execz .LBB255_431
; %bb.390:                              ;   in Loop: Header=BB255_233 Depth=1
	v_and_b32_e32 v1, 0x7fffffff, v2
	v_cmp_ne_u32_e32 vcc, 0, v1
                                        ; implicit-def: $vgpr11
	s_and_saveexec_b64 s[0:1], vcc
	s_xor_b64 s[14:15], exec, s[0:1]
	s_cbranch_execz .LBB255_420
; %bb.391:                              ;   in Loop: Header=BB255_233 Depth=1
	v_xor_b32_e32 v12, 0x80000000, v2
	v_cmp_gt_u32_e32 vcc, s34, v0
                                        ; implicit-def: $vgpr11
	s_and_saveexec_b64 s[0:1], vcc
	s_xor_b64 s[20:21], exec, s[0:1]
	s_cbranch_execz .LBB255_413
; %bb.392:                              ;   in Loop: Header=BB255_233 Depth=1
	v_add_u32_e32 v1, 0xbd4e8de8, v12
	v_cmp_lt_u32_e32 vcc, s35, v1
                                        ; implicit-def: $vgpr11
	s_and_saveexec_b64 s[0:1], vcc
	s_xor_b64 s[22:23], exec, s[0:1]
	s_cbranch_execz .LBB255_402
; %bb.393:                              ;   in Loop: Header=BB255_233 Depth=1
	v_cmp_nlt_f32_e64 s[24:25], |v3|, s36
                                        ; implicit-def: $vgpr1
                                        ; implicit-def: $vgpr11
	s_and_saveexec_b64 s[0:1], s[24:25]
	s_xor_b64 s[26:27], exec, s[0:1]
	s_cbranch_execz .LBB255_395
; %bb.394:                              ;   in Loop: Header=BB255_233 Depth=1
	v_lshrrev_b32_e32 v1, 23, v0
	v_add_u32_e32 v1, 0xffffff88, v1
	v_cmp_lt_u32_e32 vcc, 63, v1
	v_cndmask_b32_e32 v11, 0, v21, vcc
	v_add_u32_e32 v1, v11, v1
	v_cmp_lt_u32_e64 s[0:1], 31, v1
	v_cndmask_b32_e64 v11, 0, v22, s[0:1]
	v_add_u32_e32 v1, v11, v1
	v_cmp_lt_u32_e64 s[2:3], 31, v1
	v_cndmask_b32_e64 v11, 0, v22, s[2:3]
	v_add_u32_e32 v1, v11, v1
	v_and_b32_e32 v11, 0x7fffff, v0
	v_or_b32_e32 v11, 0x800000, v11
	v_mad_u64_u32 v[26:27], s[4:5], v11, s37, 0
	v_mov_b32_e32 v12, v27
	v_mad_u64_u32 v[28:29], s[4:5], v11, s38, v[12:13]
	v_mov_b32_e32 v12, v29
	;; [unrolled: 2-line block ×6, first 2 shown]
	v_mad_u64_u32 v[38:39], s[4:5], v11, s43, v[12:13]
	v_cndmask_b32_e32 v25, v36, v32, vcc
	v_cndmask_b32_e32 v11, v38, v34, vcc
	;; [unrolled: 1-line block ×3, first 2 shown]
	v_cndmask_b32_e64 v12, v11, v25, s[0:1]
	v_cndmask_b32_e64 v11, v27, v11, s[0:1]
	v_cndmask_b32_e32 v27, v34, v30, vcc
	v_cndmask_b32_e64 v25, v25, v27, s[0:1]
	v_cndmask_b32_e64 v11, v11, v12, s[2:3]
	v_cndmask_b32_e64 v12, v12, v25, s[2:3]
	v_sub_u32_e32 v29, 32, v1
	v_alignbit_b32 v31, v11, v12, v29
	v_cmp_eq_u32_e64 s[4:5], 0, v1
	v_cndmask_b32_e64 v1, v31, v11, s[4:5]
	v_cndmask_b32_e32 v11, v32, v28, vcc
	v_cndmask_b32_e64 v27, v27, v11, s[0:1]
	v_cndmask_b32_e64 v25, v25, v27, s[2:3]
	v_alignbit_b32 v28, v12, v25, v29
	v_cndmask_b32_e32 v26, v30, v26, vcc
	v_cndmask_b32_e64 v12, v28, v12, s[4:5]
	v_bfe_u32 v32, v1, 29, 1
	v_cndmask_b32_e64 v11, v11, v26, s[0:1]
	v_alignbit_b32 v28, v1, v12, 30
	v_sub_u32_e32 v33, 0, v32
	v_cndmask_b32_e64 v11, v27, v11, s[2:3]
	v_xor_b32_e32 v34, v28, v33
	v_alignbit_b32 v26, v25, v11, v29
	v_cndmask_b32_e64 v25, v26, v25, s[4:5]
	v_ffbh_u32_e32 v26, v34
	v_add_u32_e32 v26, 1, v26
	v_cmp_ne_u32_e32 vcc, v28, v33
	v_alignbit_b32 v12, v12, v25, 30
	v_cndmask_b32_e32 v26, 33, v26, vcc
	v_alignbit_b32 v11, v25, v11, 30
	v_xor_b32_e32 v12, v12, v33
	v_sub_u32_e32 v27, 32, v26
	v_xor_b32_e32 v11, v11, v33
	v_alignbit_b32 v28, v34, v12, v27
	v_alignbit_b32 v11, v12, v11, v27
	;; [unrolled: 1-line block ×3, first 2 shown]
	v_ffbh_u32_e32 v25, v12
	v_min_u32_e32 v25, 32, v25
	v_lshrrev_b32_e32 v31, 29, v1
	v_sub_u32_e32 v27, 31, v25
	v_alignbit_b32 v11, v12, v11, v27
	v_lshlrev_b32_e32 v12, 31, v31
	v_or_b32_e32 v27, 0x33800000, v12
	v_add_lshl_u32 v25, v25, v26, 23
	v_lshrrev_b32_e32 v11, 9, v11
	v_sub_u32_e32 v25, v27, v25
	v_or_b32_e32 v11, v25, v11
	v_alignbit_b32 v25, v26, v28, 9
	v_or_b32_e32 v12, v25, v12
	v_xor_b32_e32 v12, 1.0, v12
	v_mul_f32_e32 v25, 0x3fc90fda, v12
	v_fma_f32 v26, v12, s44, -v25
	v_fmac_f32_e32 v26, 0x33a22168, v12
	v_fmac_f32_e32 v26, 0x3fc90fda, v11
	v_lshrrev_b32_e32 v1, 30, v1
	v_add_f32_e32 v11, v25, v26
	v_add_u32_e32 v1, v32, v1
	s_andn2_saveexec_b64 s[0:1], s[26:27]
	s_branch .LBB255_396
.LBB255_395:                            ;   in Loop: Header=BB255_233 Depth=1
	s_andn2_saveexec_b64 s[0:1], s[26:27]
.LBB255_396:                            ;   in Loop: Header=BB255_233 Depth=1
	v_mul_f32_e64 v1, |v3|, s45
	v_rndne_f32_e32 v12, v1
	v_cvt_i32_f32_e32 v1, v12
	v_fma_f32 v11, v12, s46, |v3|
	v_fmac_f32_e32 v11, 0xb3a22168, v12
	v_fmac_f32_e32 v11, 0xa7c234c4, v12
; %bb.397:                              ;   in Loop: Header=BB255_233 Depth=1
	s_or_b64 exec, exec, s[0:1]
                                        ; implicit-def: $vgpr12
                                        ; implicit-def: $vgpr25
	s_and_saveexec_b64 s[0:1], s[24:25]
	s_xor_b64 s[24:25], exec, s[0:1]
	s_cbranch_execz .LBB255_399
; %bb.398:                              ;   in Loop: Header=BB255_233 Depth=1
	v_lshrrev_b32_e32 v12, 23, v0
	v_add_u32_e32 v12, 0xffffff88, v12
	v_cmp_lt_u32_e32 vcc, 63, v12
	v_cndmask_b32_e32 v25, 0, v21, vcc
	v_add_u32_e32 v12, v25, v12
	v_cmp_lt_u32_e64 s[0:1], 31, v12
	v_cndmask_b32_e64 v25, 0, v22, s[0:1]
	v_add_u32_e32 v12, v25, v12
	v_cmp_lt_u32_e64 s[2:3], 31, v12
	v_cndmask_b32_e64 v25, 0, v22, s[2:3]
	v_add_u32_e32 v25, v25, v12
	v_and_b32_e32 v12, 0x7fffff, v0
	v_or_b32_e32 v38, 0x800000, v12
	v_mad_u64_u32 v[26:27], s[4:5], v38, s37, 0
	v_mov_b32_e32 v12, v27
	v_mad_u64_u32 v[28:29], s[4:5], v38, s38, v[12:13]
	v_mov_b32_e32 v12, v29
	;; [unrolled: 2-line block ×6, first 2 shown]
	v_mad_u64_u32 v[38:39], s[4:5], v38, s43, v[12:13]
	v_cndmask_b32_e32 v27, v36, v32, vcc
	v_cndmask_b32_e32 v12, v38, v34, vcc
	;; [unrolled: 1-line block ×3, first 2 shown]
	v_cndmask_b32_e64 v29, v12, v27, s[0:1]
	v_cndmask_b32_e64 v12, v31, v12, s[0:1]
	v_cndmask_b32_e32 v31, v34, v30, vcc
	v_cndmask_b32_e64 v27, v27, v31, s[0:1]
	v_sub_u32_e32 v33, 32, v25
	v_cmp_eq_u32_e64 s[4:5], 0, v25
	v_cndmask_b32_e32 v25, v32, v28, vcc
	v_cndmask_b32_e64 v12, v12, v29, s[2:3]
	v_cndmask_b32_e64 v29, v29, v27, s[2:3]
	v_cndmask_b32_e64 v28, v31, v25, s[0:1]
	v_alignbit_b32 v34, v12, v29, v33
	v_cndmask_b32_e64 v27, v27, v28, s[2:3]
	v_cndmask_b32_e64 v12, v34, v12, s[4:5]
	v_alignbit_b32 v31, v29, v27, v33
	v_cndmask_b32_e64 v29, v31, v29, s[4:5]
	v_bfe_u32 v34, v12, 29, 1
	v_cndmask_b32_e32 v26, v30, v26, vcc
	v_alignbit_b32 v31, v12, v29, 30
	v_sub_u32_e32 v35, 0, v34
	v_cndmask_b32_e64 v25, v25, v26, s[0:1]
	v_xor_b32_e32 v36, v31, v35
	v_cndmask_b32_e64 v25, v28, v25, s[2:3]
	v_alignbit_b32 v26, v27, v25, v33
	v_ffbh_u32_e32 v28, v36
	v_cndmask_b32_e64 v26, v26, v27, s[4:5]
	v_add_u32_e32 v28, 1, v28
	v_cmp_ne_u32_e32 vcc, v31, v35
	v_alignbit_b32 v27, v29, v26, 30
	v_cndmask_b32_e32 v28, 33, v28, vcc
	v_alignbit_b32 v25, v26, v25, 30
	v_xor_b32_e32 v27, v27, v35
	v_sub_u32_e32 v29, 32, v28
	v_xor_b32_e32 v25, v25, v35
	v_alignbit_b32 v30, v36, v27, v29
	v_alignbit_b32 v25, v27, v25, v29
	;; [unrolled: 1-line block ×3, first 2 shown]
	v_ffbh_u32_e32 v27, v26
	v_min_u32_e32 v27, 32, v27
	v_lshrrev_b32_e32 v32, 29, v12
	v_sub_u32_e32 v29, 31, v27
	v_alignbit_b32 v25, v26, v25, v29
	v_lshlrev_b32_e32 v26, 31, v32
	v_or_b32_e32 v29, 0x33800000, v26
	v_add_lshl_u32 v27, v27, v28, 23
	v_lshrrev_b32_e32 v25, 9, v25
	v_sub_u32_e32 v27, v29, v27
	v_or_b32_e32 v25, v27, v25
	v_alignbit_b32 v27, v28, v30, 9
	v_or_b32_e32 v26, v27, v26
	v_xor_b32_e32 v26, 1.0, v26
	v_mul_f32_e32 v27, 0x3fc90fda, v26
	v_fma_f32 v28, v26, s44, -v27
	v_fmac_f32_e32 v28, 0x33a22168, v26
	v_fmac_f32_e32 v28, 0x3fc90fda, v25
	v_lshrrev_b32_e32 v12, 30, v12
	v_add_f32_e32 v25, v27, v28
	v_add_u32_e32 v12, v34, v12
	s_andn2_saveexec_b64 s[0:1], s[24:25]
	s_cbranch_execnz .LBB255_400
	s_branch .LBB255_401
.LBB255_399:                            ;   in Loop: Header=BB255_233 Depth=1
	s_andn2_saveexec_b64 s[0:1], s[24:25]
.LBB255_400:                            ;   in Loop: Header=BB255_233 Depth=1
	v_mul_f32_e64 v12, |v3|, s45
	v_rndne_f32_e32 v26, v12
	v_cvt_i32_f32_e32 v12, v26
	v_fma_f32 v25, v26, s46, |v3|
	v_fmac_f32_e32 v25, 0xb3a22168, v26
	v_fmac_f32_e32 v25, 0xa7c234c4, v26
.LBB255_401:                            ;   in Loop: Header=BB255_233 Depth=1
	s_or_b64 exec, exec, s[0:1]
	v_mul_f32_e32 v26, 0xbfb8aa3b, v2
	v_rndne_f32_e32 v27, v26
	v_sub_f32_e32 v28, v26, v27
	v_fma_f32 v26, v2, s47, -v26
	v_fmac_f32_e32 v26, 0xb2a5705f, v2
	v_add_f32_e32 v26, v28, v26
	v_cvt_i32_f32_e32 v27, v27
	v_exp_f32_e32 v26, v26
	v_cmp_nlt_f32_e32 vcc, s48, v2
	v_ldexp_f32 v26, v26, v27
	v_cndmask_b32_e32 v26, 0, v26, vcc
	v_cmp_ngt_f32_e32 vcc, s49, v2
	v_cndmask_b32_e32 v2, v23, v26, vcc
	v_mul_f32_e32 v26, v11, v11
	v_mov_b32_e32 v27, 0x3c0881c4
	v_fmac_f32_e32 v27, 0xb94c1982, v26
	v_fma_f32 v27, v26, v27, v18
	v_mul_f32_e32 v27, v26, v27
	v_fmac_f32_e32 v11, v11, v27
	v_mov_b32_e32 v27, 0xbab64f3b
	v_fmac_f32_e32 v27, 0x37d75334, v26
	v_fma_f32 v27, v26, v27, v19
	v_fma_f32 v27, v26, v27, v20
	v_fma_f32 v26, v26, v27, 1.0
	v_and_b32_e32 v27, 1, v1
	v_cmp_eq_u32_e32 vcc, 0, v27
	v_lshlrev_b32_e32 v1, 30, v1
	v_cndmask_b32_e64 v11, -v11, v26, vcc
	v_and_b32_e32 v1, 0x80000000, v1
	v_xor_b32_e32 v1, v1, v11
	v_cmp_class_f32_e64 vcc, v3, s50
	v_cndmask_b32_e32 v1, v24, v1, vcc
	v_mul_f32_e32 v11, v2, v1
	v_mul_f32_e32 v1, v25, v25
	v_mov_b32_e32 v3, 0x3c0881c4
	v_fmac_f32_e32 v3, 0xb94c1982, v1
	v_fma_f32 v3, v1, v3, v18
	v_mul_f32_e32 v3, v1, v3
	v_fmac_f32_e32 v25, v25, v3
	v_mov_b32_e32 v3, 0xbab64f3b
	v_fmac_f32_e32 v3, 0x37d75334, v1
	v_fma_f32 v3, v1, v3, v19
	v_fma_f32 v3, v1, v3, v20
	v_fma_f32 v1, v1, v3, 1.0
	v_and_b32_e32 v3, 1, v12
	v_cmp_eq_u32_e64 s[0:1], 0, v3
	v_lshlrev_b32_e32 v3, 30, v12
	v_cndmask_b32_e64 v1, v1, v25, s[0:1]
	v_and_or_b32 v0, v3, s33, v0
	v_xor_b32_e32 v0, v0, v1
	v_xor_b32_e32 v0, v0, v10
	v_cndmask_b32_e32 v0, v24, v0, vcc
	v_mul_f32_e32 v10, v2, v0
                                        ; implicit-def: $vgpr0_vgpr1_vgpr2_vgpr3
                                        ; implicit-def: $vgpr0
.LBB255_402:                            ;   in Loop: Header=BB255_233 Depth=1
	s_andn2_saveexec_b64 s[22:23], s[22:23]
	s_cbranch_execz .LBB255_412
; %bb.403:                              ;   in Loop: Header=BB255_233 Depth=1
	v_cmp_nlt_f32_e64 s[24:25], |v3|, s36
                                        ; implicit-def: $vgpr11
                                        ; implicit-def: $vgpr1
	s_and_saveexec_b64 s[0:1], s[24:25]
	s_xor_b64 s[26:27], exec, s[0:1]
	s_cbranch_execz .LBB255_405
; %bb.404:                              ;   in Loop: Header=BB255_233 Depth=1
	v_lshrrev_b32_e32 v1, 23, v0
	v_add_u32_e32 v1, 0xffffff88, v1
	v_cmp_lt_u32_e32 vcc, 63, v1
	v_cndmask_b32_e32 v11, 0, v21, vcc
	v_add_u32_e32 v1, v11, v1
	v_cmp_lt_u32_e64 s[0:1], 31, v1
	v_cndmask_b32_e64 v11, 0, v22, s[0:1]
	v_add_u32_e32 v1, v11, v1
	v_cmp_lt_u32_e64 s[2:3], 31, v1
	v_cndmask_b32_e64 v11, 0, v22, s[2:3]
	v_add_u32_e32 v1, v11, v1
	v_and_b32_e32 v11, 0x7fffff, v0
	v_or_b32_e32 v11, 0x800000, v11
	v_mad_u64_u32 v[26:27], s[4:5], v11, s37, 0
	v_mov_b32_e32 v12, v27
	v_mad_u64_u32 v[28:29], s[4:5], v11, s38, v[12:13]
	v_mov_b32_e32 v12, v29
	;; [unrolled: 2-line block ×6, first 2 shown]
	v_mad_u64_u32 v[38:39], s[4:5], v11, s43, v[12:13]
	v_cndmask_b32_e32 v25, v36, v32, vcc
	v_cndmask_b32_e32 v11, v38, v34, vcc
	;; [unrolled: 1-line block ×3, first 2 shown]
	v_cndmask_b32_e64 v12, v11, v25, s[0:1]
	v_cndmask_b32_e64 v11, v27, v11, s[0:1]
	v_cndmask_b32_e32 v27, v34, v30, vcc
	v_cndmask_b32_e64 v25, v25, v27, s[0:1]
	v_sub_u32_e32 v29, 32, v1
	v_cmp_eq_u32_e64 s[4:5], 0, v1
	v_cndmask_b32_e32 v1, v32, v28, vcc
	v_cndmask_b32_e64 v11, v11, v12, s[2:3]
	v_cndmask_b32_e64 v12, v12, v25, s[2:3]
	;; [unrolled: 1-line block ×3, first 2 shown]
	v_alignbit_b32 v31, v11, v12, v29
	v_cndmask_b32_e64 v25, v25, v27, s[2:3]
	v_cndmask_b32_e64 v11, v31, v11, s[4:5]
	v_alignbit_b32 v28, v12, v25, v29
	v_cndmask_b32_e32 v26, v30, v26, vcc
	v_cndmask_b32_e64 v12, v28, v12, s[4:5]
	v_bfe_u32 v32, v11, 29, 1
	v_cndmask_b32_e64 v1, v1, v26, s[0:1]
	v_alignbit_b32 v28, v11, v12, 30
	v_sub_u32_e32 v33, 0, v32
	v_cndmask_b32_e64 v1, v27, v1, s[2:3]
	v_xor_b32_e32 v34, v28, v33
	v_alignbit_b32 v26, v25, v1, v29
	v_cndmask_b32_e64 v25, v26, v25, s[4:5]
	v_ffbh_u32_e32 v26, v34
	v_add_u32_e32 v26, 1, v26
	v_cmp_ne_u32_e32 vcc, v28, v33
	v_alignbit_b32 v12, v12, v25, 30
	v_cndmask_b32_e32 v26, 33, v26, vcc
	v_alignbit_b32 v1, v25, v1, 30
	v_xor_b32_e32 v12, v12, v33
	v_sub_u32_e32 v27, 32, v26
	v_xor_b32_e32 v1, v1, v33
	v_alignbit_b32 v28, v34, v12, v27
	v_alignbit_b32 v1, v12, v1, v27
	;; [unrolled: 1-line block ×3, first 2 shown]
	v_ffbh_u32_e32 v25, v12
	v_min_u32_e32 v25, 32, v25
	v_lshrrev_b32_e32 v31, 29, v11
	v_sub_u32_e32 v27, 31, v25
	v_alignbit_b32 v1, v12, v1, v27
	v_lshlrev_b32_e32 v12, 31, v31
	v_or_b32_e32 v27, 0x33800000, v12
	v_add_lshl_u32 v25, v25, v26, 23
	v_lshrrev_b32_e32 v1, 9, v1
	v_sub_u32_e32 v25, v27, v25
	v_or_b32_e32 v1, v25, v1
	v_alignbit_b32 v25, v26, v28, 9
	v_or_b32_e32 v12, v25, v12
	v_xor_b32_e32 v12, 1.0, v12
	v_mul_f32_e32 v25, 0x3fc90fda, v12
	v_fma_f32 v26, v12, s44, -v25
	v_fmac_f32_e32 v26, 0x33a22168, v12
	v_fmac_f32_e32 v26, 0x3fc90fda, v1
	v_lshrrev_b32_e32 v11, 30, v11
	v_add_f32_e32 v1, v25, v26
	v_add_u32_e32 v11, v32, v11
	s_andn2_saveexec_b64 s[0:1], s[26:27]
	s_branch .LBB255_406
.LBB255_405:                            ;   in Loop: Header=BB255_233 Depth=1
	s_andn2_saveexec_b64 s[0:1], s[26:27]
.LBB255_406:                            ;   in Loop: Header=BB255_233 Depth=1
	v_mul_f32_e64 v1, |v3|, s45
	v_rndne_f32_e32 v12, v1
	v_cvt_i32_f32_e32 v11, v12
	v_fma_f32 v1, v12, s46, |v3|
	v_fmac_f32_e32 v1, 0xb3a22168, v12
	v_fmac_f32_e32 v1, 0xa7c234c4, v12
; %bb.407:                              ;   in Loop: Header=BB255_233 Depth=1
	s_or_b64 exec, exec, s[0:1]
                                        ; implicit-def: $vgpr12
                                        ; implicit-def: $vgpr25
	s_and_saveexec_b64 s[0:1], s[24:25]
	s_xor_b64 s[24:25], exec, s[0:1]
	s_cbranch_execz .LBB255_409
; %bb.408:                              ;   in Loop: Header=BB255_233 Depth=1
	v_lshrrev_b32_e32 v12, 23, v0
	v_add_u32_e32 v12, 0xffffff88, v12
	v_cmp_lt_u32_e32 vcc, 63, v12
	v_cndmask_b32_e32 v25, 0, v21, vcc
	v_add_u32_e32 v12, v25, v12
	v_cmp_lt_u32_e64 s[0:1], 31, v12
	v_cndmask_b32_e64 v25, 0, v22, s[0:1]
	v_add_u32_e32 v12, v25, v12
	v_cmp_lt_u32_e64 s[2:3], 31, v12
	v_cndmask_b32_e64 v25, 0, v22, s[2:3]
	v_add_u32_e32 v25, v25, v12
	v_and_b32_e32 v12, 0x7fffff, v0
	v_or_b32_e32 v38, 0x800000, v12
	v_mad_u64_u32 v[26:27], s[4:5], v38, s37, 0
	v_mov_b32_e32 v12, v27
	v_mad_u64_u32 v[28:29], s[4:5], v38, s38, v[12:13]
	v_mov_b32_e32 v12, v29
	;; [unrolled: 2-line block ×6, first 2 shown]
	v_mad_u64_u32 v[38:39], s[4:5], v38, s43, v[12:13]
	v_cndmask_b32_e32 v27, v36, v32, vcc
	v_cndmask_b32_e32 v12, v38, v34, vcc
	v_cndmask_b32_e32 v31, v39, v36, vcc
	v_cndmask_b32_e64 v29, v12, v27, s[0:1]
	v_cndmask_b32_e64 v12, v31, v12, s[0:1]
	v_cndmask_b32_e32 v31, v34, v30, vcc
	v_cndmask_b32_e64 v27, v27, v31, s[0:1]
	v_sub_u32_e32 v33, 32, v25
	v_cmp_eq_u32_e64 s[4:5], 0, v25
	v_cndmask_b32_e32 v25, v32, v28, vcc
	v_cndmask_b32_e64 v12, v12, v29, s[2:3]
	v_cndmask_b32_e64 v29, v29, v27, s[2:3]
	;; [unrolled: 1-line block ×3, first 2 shown]
	v_alignbit_b32 v34, v12, v29, v33
	v_cndmask_b32_e64 v27, v27, v28, s[2:3]
	v_cndmask_b32_e64 v12, v34, v12, s[4:5]
	v_alignbit_b32 v31, v29, v27, v33
	v_cndmask_b32_e64 v29, v31, v29, s[4:5]
	v_bfe_u32 v34, v12, 29, 1
	v_cndmask_b32_e32 v26, v30, v26, vcc
	v_alignbit_b32 v31, v12, v29, 30
	v_sub_u32_e32 v35, 0, v34
	v_cndmask_b32_e64 v25, v25, v26, s[0:1]
	v_xor_b32_e32 v36, v31, v35
	v_cndmask_b32_e64 v25, v28, v25, s[2:3]
	v_alignbit_b32 v26, v27, v25, v33
	v_ffbh_u32_e32 v28, v36
	v_cndmask_b32_e64 v26, v26, v27, s[4:5]
	v_add_u32_e32 v28, 1, v28
	v_cmp_ne_u32_e32 vcc, v31, v35
	v_alignbit_b32 v27, v29, v26, 30
	v_cndmask_b32_e32 v28, 33, v28, vcc
	v_alignbit_b32 v25, v26, v25, 30
	v_xor_b32_e32 v27, v27, v35
	v_sub_u32_e32 v29, 32, v28
	v_xor_b32_e32 v25, v25, v35
	v_alignbit_b32 v30, v36, v27, v29
	v_alignbit_b32 v25, v27, v25, v29
	;; [unrolled: 1-line block ×3, first 2 shown]
	v_ffbh_u32_e32 v27, v26
	v_min_u32_e32 v27, 32, v27
	v_lshrrev_b32_e32 v32, 29, v12
	v_sub_u32_e32 v29, 31, v27
	v_alignbit_b32 v25, v26, v25, v29
	v_lshlrev_b32_e32 v26, 31, v32
	v_or_b32_e32 v29, 0x33800000, v26
	v_add_lshl_u32 v27, v27, v28, 23
	v_lshrrev_b32_e32 v25, 9, v25
	v_sub_u32_e32 v27, v29, v27
	v_or_b32_e32 v25, v27, v25
	v_alignbit_b32 v27, v28, v30, 9
	v_or_b32_e32 v26, v27, v26
	v_xor_b32_e32 v26, 1.0, v26
	v_mul_f32_e32 v27, 0x3fc90fda, v26
	v_fma_f32 v28, v26, s44, -v27
	v_fmac_f32_e32 v28, 0x33a22168, v26
	v_fmac_f32_e32 v28, 0x3fc90fda, v25
	v_lshrrev_b32_e32 v12, 30, v12
	v_add_f32_e32 v25, v27, v28
	v_add_u32_e32 v12, v34, v12
	s_andn2_saveexec_b64 s[0:1], s[24:25]
	s_cbranch_execnz .LBB255_410
	s_branch .LBB255_411
.LBB255_409:                            ;   in Loop: Header=BB255_233 Depth=1
	s_andn2_saveexec_b64 s[0:1], s[24:25]
.LBB255_410:                            ;   in Loop: Header=BB255_233 Depth=1
	v_mul_f32_e64 v12, |v3|, s45
	v_rndne_f32_e32 v26, v12
	v_cvt_i32_f32_e32 v12, v26
	v_fma_f32 v25, v26, s46, |v3|
	v_fmac_f32_e32 v25, 0xb3a22168, v26
	v_fmac_f32_e32 v25, 0xa7c234c4, v26
.LBB255_411:                            ;   in Loop: Header=BB255_233 Depth=1
	s_or_b64 exec, exec, s[0:1]
	v_mul_f32_e32 v27, v1, v1
	v_mov_b32_e32 v28, 0xbab64f3b
	v_fmac_f32_e32 v28, 0x37d75334, v27
	v_mov_b32_e32 v29, 0x3c0881c4
	v_fma_f32 v28, v27, v28, v19
	v_fmac_f32_e32 v29, 0xb94c1982, v27
	v_fma_f32 v28, v27, v28, v20
	v_fma_f32 v29, v27, v29, v18
	v_lshlrev_b32_e32 v26, 30, v11
	v_and_b32_e32 v11, 1, v11
	v_fma_f32 v28, v27, v28, 1.0
	v_mul_f32_e32 v27, v27, v29
	v_sub_f32_e32 v2, 0xc322e3bc, v2
	v_fmac_f32_e32 v1, v1, v27
	v_cmp_eq_u32_e32 vcc, 0, v11
	v_mul_f32_e32 v11, 0x3fb8aa3b, v2
	v_cndmask_b32_e64 v1, -v1, v28, vcc
	v_fma_f32 v27, v2, s51, -v11
	v_rndne_f32_e32 v28, v11
	v_fmac_f32_e32 v27, 0x32a5705f, v2
	v_sub_f32_e32 v11, v11, v28
	v_add_f32_e32 v11, v11, v27
	v_exp_f32_e32 v11, v11
	v_cvt_i32_f32_e32 v27, v28
	v_cmp_class_f32_e64 vcc, v3, s50
	v_cmp_ngt_f32_e64 s[0:1], s52, v2
	v_and_b32_e32 v26, 0x80000000, v26
	v_ldexp_f32 v3, v11, v27
	v_cndmask_b32_e64 v3, 0, v3, s[0:1]
	v_cmp_nlt_f32_e64 s[0:1], s53, v2
	v_cndmask_b32_e64 v2, v23, v3, s[0:1]
	v_and_b32_e32 v3, 0x7fffff, v2
	v_lshrrev_b32_e32 v2, 23, v2
	v_subrev_u32_e32 v2, 19, v2
	v_lshrrev_b16_e32 v11, 15, v2
	v_add_u16_e32 v11, v2, v11
	v_xor_b32_e32 v1, v26, v1
	v_ashrrev_i16_e32 v11, 1, v11
	v_cndmask_b32_e32 v1, v24, v1, vcc
	v_or_b32_e32 v3, 0x7f000000, v3
	v_bfe_i32 v11, v11, 0, 16
	v_mul_f32_e32 v1, v1, v3
	v_lshl_add_u32 v26, v11, 23, 1.0
	v_sub_u32_e32 v2, v2, v11
	v_mul_f32_e32 v1, v1, v26
	v_lshl_add_u32 v2, v2, 23, 1.0
	v_mul_f32_e32 v11, v1, v2
	v_mul_f32_e32 v1, v25, v25
	v_mov_b32_e32 v27, 0x3c0881c4
	v_fmac_f32_e32 v27, 0xb94c1982, v1
	v_fma_f32 v27, v1, v27, v18
	v_mul_f32_e32 v27, v1, v27
	v_fmac_f32_e32 v25, v25, v27
	v_mov_b32_e32 v27, 0xbab64f3b
	v_fmac_f32_e32 v27, 0x37d75334, v1
	v_fma_f32 v27, v1, v27, v19
	v_fma_f32 v27, v1, v27, v20
	v_fma_f32 v1, v1, v27, 1.0
	v_and_b32_e32 v27, 1, v12
	v_cmp_eq_u32_e64 s[0:1], 0, v27
	v_lshlrev_b32_e32 v12, 30, v12
	v_cndmask_b32_e64 v1, v1, v25, s[0:1]
	v_and_or_b32 v0, v12, s33, v0
	v_xor_b32_e32 v0, v0, v1
	v_xor_b32_e32 v0, v0, v10
	v_cndmask_b32_e32 v0, v24, v0, vcc
	v_mul_f32_e32 v0, v0, v3
	v_mul_f32_e32 v0, v0, v26
	;; [unrolled: 1-line block ×3, first 2 shown]
.LBB255_412:                            ;   in Loop: Header=BB255_233 Depth=1
	s_or_b64 exec, exec, s[22:23]
                                        ; implicit-def: $vgpr0_vgpr1_vgpr2_vgpr3
                                        ; implicit-def: $vgpr12
                                        ; implicit-def: $vgpr1
.LBB255_413:                            ;   in Loop: Header=BB255_233 Depth=1
	s_andn2_saveexec_b64 s[0:1], s[20:21]
	s_cbranch_execz .LBB255_419
; %bb.414:                              ;   in Loop: Header=BB255_233 Depth=1
	v_cmp_ne_u32_e32 vcc, s34, v1
	v_sub_f32_e32 v10, v3, v3
	s_and_saveexec_b64 s[2:3], vcc
	s_xor_b64 s[2:3], exec, s[2:3]
; %bb.415:                              ;   in Loop: Header=BB255_233 Depth=1
                                        ; implicit-def: $vgpr12
                                        ; implicit-def: $vgpr0_vgpr1_vgpr2_vgpr3
; %bb.416:                              ;   in Loop: Header=BB255_233 Depth=1
	s_or_saveexec_b64 s[2:3], s[2:3]
	v_mov_b32_e32 v11, v10
	s_xor_b64 exec, exec, s[2:3]
; %bb.417:                              ;   in Loop: Header=BB255_233 Depth=1
	v_cmp_lt_i32_e32 vcc, -1, v12
	v_cndmask_b32_e64 v11, 0, -v2, vcc
	v_cndmask_b32_e32 v10, 0, v10, vcc
; %bb.418:                              ;   in Loop: Header=BB255_233 Depth=1
	s_or_b64 exec, exec, s[2:3]
.LBB255_419:                            ;   in Loop: Header=BB255_233 Depth=1
	s_or_b64 exec, exec, s[0:1]
                                        ; implicit-def: $vgpr0_vgpr1_vgpr2_vgpr3
                                        ; implicit-def: $vgpr0
.LBB255_420:                            ;   in Loop: Header=BB255_233 Depth=1
	s_andn2_saveexec_b64 s[14:15], s[14:15]
	s_cbranch_execz .LBB255_430
; %bb.421:                              ;   in Loop: Header=BB255_233 Depth=1
	v_cmp_nlt_f32_e64 s[20:21], |v3|, s36
                                        ; implicit-def: $vgpr1
                                        ; implicit-def: $vgpr2
	s_and_saveexec_b64 s[0:1], s[20:21]
	s_xor_b64 s[22:23], exec, s[0:1]
	s_cbranch_execz .LBB255_423
; %bb.422:                              ;   in Loop: Header=BB255_233 Depth=1
	v_lshrrev_b32_e32 v1, 23, v0
	v_add_u32_e32 v1, 0xffffff88, v1
	v_cmp_lt_u32_e32 vcc, 63, v1
	v_cndmask_b32_e32 v2, 0, v21, vcc
	v_add_u32_e32 v1, v2, v1
	v_cmp_lt_u32_e64 s[0:1], 31, v1
	v_cndmask_b32_e64 v2, 0, v22, s[0:1]
	v_add_u32_e32 v1, v2, v1
	v_cmp_lt_u32_e64 s[2:3], 31, v1
	v_cndmask_b32_e64 v2, 0, v22, s[2:3]
	v_add_u32_e32 v1, v2, v1
	v_and_b32_e32 v2, 0x7fffff, v0
	v_or_b32_e32 v2, 0x800000, v2
	v_mad_u64_u32 v[26:27], s[4:5], v2, s37, 0
	v_mov_b32_e32 v12, v27
	v_mad_u64_u32 v[28:29], s[4:5], v2, s38, v[12:13]
	v_mov_b32_e32 v12, v29
	;; [unrolled: 2-line block ×6, first 2 shown]
	v_mad_u64_u32 v[38:39], s[4:5], v2, s43, v[12:13]
	v_cndmask_b32_e32 v11, v36, v32, vcc
	v_cndmask_b32_e32 v2, v38, v34, vcc
	;; [unrolled: 1-line block ×3, first 2 shown]
	v_cndmask_b32_e64 v12, v2, v11, s[0:1]
	v_cndmask_b32_e64 v2, v25, v2, s[0:1]
	v_cndmask_b32_e32 v25, v34, v30, vcc
	v_cndmask_b32_e64 v11, v11, v25, s[0:1]
	v_cndmask_b32_e64 v2, v2, v12, s[2:3]
	;; [unrolled: 1-line block ×3, first 2 shown]
	v_sub_u32_e32 v27, 32, v1
	v_alignbit_b32 v29, v2, v12, v27
	v_cmp_eq_u32_e64 s[4:5], 0, v1
	v_cndmask_b32_e64 v1, v29, v2, s[4:5]
	v_cndmask_b32_e32 v2, v32, v28, vcc
	v_cndmask_b32_e64 v25, v25, v2, s[0:1]
	v_cndmask_b32_e64 v11, v11, v25, s[2:3]
	v_alignbit_b32 v28, v12, v11, v27
	v_cndmask_b32_e32 v26, v30, v26, vcc
	v_cndmask_b32_e64 v12, v28, v12, s[4:5]
	v_bfe_u32 v31, v1, 29, 1
	v_cndmask_b32_e64 v2, v2, v26, s[0:1]
	v_alignbit_b32 v28, v1, v12, 30
	v_sub_u32_e32 v32, 0, v31
	v_cndmask_b32_e64 v2, v25, v2, s[2:3]
	v_xor_b32_e32 v33, v28, v32
	v_alignbit_b32 v25, v11, v2, v27
	v_cndmask_b32_e64 v11, v25, v11, s[4:5]
	v_ffbh_u32_e32 v25, v33
	v_add_u32_e32 v25, 1, v25
	v_cmp_ne_u32_e32 vcc, v28, v32
	v_alignbit_b32 v12, v12, v11, 30
	v_cndmask_b32_e32 v25, 33, v25, vcc
	v_alignbit_b32 v2, v11, v2, 30
	v_xor_b32_e32 v12, v12, v32
	v_sub_u32_e32 v26, 32, v25
	v_xor_b32_e32 v2, v2, v32
	v_alignbit_b32 v27, v33, v12, v26
	v_alignbit_b32 v2, v12, v2, v26
	;; [unrolled: 1-line block ×3, first 2 shown]
	v_ffbh_u32_e32 v12, v11
	v_min_u32_e32 v12, 32, v12
	v_lshrrev_b32_e32 v29, 29, v1
	v_sub_u32_e32 v26, 31, v12
	v_alignbit_b32 v2, v11, v2, v26
	v_lshlrev_b32_e32 v11, 31, v29
	v_or_b32_e32 v26, 0x33800000, v11
	v_add_lshl_u32 v12, v12, v25, 23
	v_lshrrev_b32_e32 v2, 9, v2
	v_sub_u32_e32 v12, v26, v12
	v_or_b32_e32 v2, v12, v2
	v_alignbit_b32 v12, v25, v27, 9
	v_or_b32_e32 v11, v12, v11
	v_xor_b32_e32 v11, 1.0, v11
	v_mul_f32_e32 v12, 0x3fc90fda, v11
	v_fma_f32 v25, v11, s44, -v12
	v_fmac_f32_e32 v25, 0x33a22168, v11
	v_fmac_f32_e32 v25, 0x3fc90fda, v2
	v_lshrrev_b32_e32 v1, 30, v1
	v_add_f32_e32 v2, v12, v25
	v_add_u32_e32 v1, v31, v1
	s_andn2_saveexec_b64 s[0:1], s[22:23]
	s_branch .LBB255_424
.LBB255_423:                            ;   in Loop: Header=BB255_233 Depth=1
	s_andn2_saveexec_b64 s[0:1], s[22:23]
.LBB255_424:                            ;   in Loop: Header=BB255_233 Depth=1
	v_mul_f32_e64 v1, |v3|, s45
	v_rndne_f32_e32 v11, v1
	v_cvt_i32_f32_e32 v1, v11
	v_fma_f32 v2, v11, s46, |v3|
	v_fmac_f32_e32 v2, 0xb3a22168, v11
	v_fmac_f32_e32 v2, 0xa7c234c4, v11
; %bb.425:                              ;   in Loop: Header=BB255_233 Depth=1
	s_or_b64 exec, exec, s[0:1]
                                        ; implicit-def: $vgpr12
                                        ; implicit-def: $vgpr25
	s_and_saveexec_b64 s[0:1], s[20:21]
	s_xor_b64 s[20:21], exec, s[0:1]
	s_cbranch_execz .LBB255_427
; %bb.426:                              ;   in Loop: Header=BB255_233 Depth=1
	v_lshrrev_b32_e32 v11, 23, v0
	v_add_u32_e32 v11, 0xffffff88, v11
	v_cmp_lt_u32_e32 vcc, 63, v11
	v_cndmask_b32_e32 v12, 0, v21, vcc
	v_add_u32_e32 v11, v12, v11
	v_cmp_lt_u32_e64 s[0:1], 31, v11
	v_cndmask_b32_e64 v12, 0, v22, s[0:1]
	v_add_u32_e32 v11, v12, v11
	v_cmp_lt_u32_e64 s[2:3], 31, v11
	v_cndmask_b32_e64 v12, 0, v22, s[2:3]
	v_add_u32_e32 v11, v12, v11
	v_and_b32_e32 v12, 0x7fffff, v0
	v_or_b32_e32 v25, 0x800000, v12
	v_mad_u64_u32 v[26:27], s[4:5], v25, s37, 0
	v_mov_b32_e32 v12, v27
	v_mad_u64_u32 v[28:29], s[4:5], v25, s38, v[12:13]
	v_mov_b32_e32 v12, v29
	;; [unrolled: 2-line block ×6, first 2 shown]
	v_mad_u64_u32 v[38:39], s[4:5], v25, s43, v[12:13]
	v_cndmask_b32_e32 v27, v36, v32, vcc
	v_cndmask_b32_e32 v12, v38, v34, vcc
	;; [unrolled: 1-line block ×3, first 2 shown]
	v_cndmask_b32_e64 v25, v12, v27, s[0:1]
	v_cndmask_b32_e64 v12, v29, v12, s[0:1]
	v_cndmask_b32_e32 v29, v34, v30, vcc
	v_cndmask_b32_e64 v27, v27, v29, s[0:1]
	v_cndmask_b32_e64 v12, v12, v25, s[2:3]
	;; [unrolled: 1-line block ×3, first 2 shown]
	v_sub_u32_e32 v31, 32, v11
	v_alignbit_b32 v33, v12, v25, v31
	v_cmp_eq_u32_e64 s[4:5], 0, v11
	v_cndmask_b32_e64 v11, v33, v12, s[4:5]
	v_cndmask_b32_e32 v12, v32, v28, vcc
	v_cndmask_b32_e64 v28, v29, v12, s[0:1]
	v_cndmask_b32_e64 v27, v27, v28, s[2:3]
	v_alignbit_b32 v29, v25, v27, v31
	v_cndmask_b32_e32 v26, v30, v26, vcc
	v_cndmask_b32_e64 v25, v29, v25, s[4:5]
	v_bfe_u32 v33, v11, 29, 1
	v_cndmask_b32_e64 v12, v12, v26, s[0:1]
	v_alignbit_b32 v29, v11, v25, 30
	v_sub_u32_e32 v34, 0, v33
	v_cndmask_b32_e64 v12, v28, v12, s[2:3]
	v_xor_b32_e32 v35, v29, v34
	v_alignbit_b32 v26, v27, v12, v31
	v_cndmask_b32_e64 v26, v26, v27, s[4:5]
	v_ffbh_u32_e32 v27, v35
	v_add_u32_e32 v27, 1, v27
	v_cmp_ne_u32_e32 vcc, v29, v34
	v_alignbit_b32 v25, v25, v26, 30
	v_cndmask_b32_e32 v27, 33, v27, vcc
	v_alignbit_b32 v12, v26, v12, 30
	v_xor_b32_e32 v25, v25, v34
	v_sub_u32_e32 v28, 32, v27
	v_xor_b32_e32 v12, v12, v34
	v_alignbit_b32 v29, v35, v25, v28
	v_alignbit_b32 v12, v25, v12, v28
	;; [unrolled: 1-line block ×3, first 2 shown]
	v_ffbh_u32_e32 v26, v25
	v_min_u32_e32 v26, 32, v26
	v_lshrrev_b32_e32 v32, 29, v11
	v_sub_u32_e32 v28, 31, v26
	v_alignbit_b32 v12, v25, v12, v28
	v_lshlrev_b32_e32 v25, 31, v32
	v_or_b32_e32 v28, 0x33800000, v25
	v_add_lshl_u32 v26, v26, v27, 23
	v_lshrrev_b32_e32 v12, 9, v12
	v_sub_u32_e32 v26, v28, v26
	v_or_b32_e32 v12, v26, v12
	v_alignbit_b32 v26, v27, v29, 9
	v_or_b32_e32 v25, v26, v25
	v_xor_b32_e32 v25, 1.0, v25
	v_mul_f32_e32 v26, 0x3fc90fda, v25
	v_fma_f32 v27, v25, s44, -v26
	v_fmac_f32_e32 v27, 0x33a22168, v25
	v_fmac_f32_e32 v27, 0x3fc90fda, v12
	v_lshrrev_b32_e32 v11, 30, v11
	v_add_f32_e32 v25, v26, v27
	v_add_u32_e32 v12, v33, v11
	s_andn2_saveexec_b64 s[0:1], s[20:21]
	s_cbranch_execnz .LBB255_428
	s_branch .LBB255_429
.LBB255_427:                            ;   in Loop: Header=BB255_233 Depth=1
	s_andn2_saveexec_b64 s[0:1], s[20:21]
.LBB255_428:                            ;   in Loop: Header=BB255_233 Depth=1
	v_mul_f32_e64 v11, |v3|, s45
	v_rndne_f32_e32 v11, v11
	v_cvt_i32_f32_e32 v12, v11
	v_fma_f32 v25, v11, s46, |v3|
	v_fmac_f32_e32 v25, 0xb3a22168, v11
	v_fmac_f32_e32 v25, 0xa7c234c4, v11
.LBB255_429:                            ;   in Loop: Header=BB255_233 Depth=1
	s_or_b64 exec, exec, s[0:1]
	v_mul_f32_e32 v11, v2, v2
	v_mov_b32_e32 v26, 0x3c0881c4
	v_fmac_f32_e32 v26, 0xb94c1982, v11
	v_fma_f32 v26, v11, v26, v18
	v_mul_f32_e32 v26, v11, v26
	v_fmac_f32_e32 v2, v2, v26
	v_mov_b32_e32 v26, 0xbab64f3b
	v_fmac_f32_e32 v26, 0x37d75334, v11
	v_fma_f32 v26, v11, v26, v19
	v_fma_f32 v26, v11, v26, v20
	v_fma_f32 v11, v11, v26, 1.0
	v_and_b32_e32 v26, 1, v1
	v_cmp_eq_u32_e32 vcc, 0, v26
	v_lshlrev_b32_e32 v1, 30, v1
	v_cndmask_b32_e64 v2, -v2, v11, vcc
	v_and_b32_e32 v1, 0x80000000, v1
	v_xor_b32_e32 v1, v1, v2
	v_cmp_class_f32_e64 vcc, v3, s50
	v_cndmask_b32_e32 v11, v24, v1, vcc
	v_mul_f32_e32 v1, v25, v25
	v_mov_b32_e32 v2, 0x3c0881c4
	v_fmac_f32_e32 v2, 0xb94c1982, v1
	v_fma_f32 v2, v1, v2, v18
	v_mul_f32_e32 v2, v1, v2
	v_fmac_f32_e32 v25, v25, v2
	v_mov_b32_e32 v2, 0xbab64f3b
	v_fmac_f32_e32 v2, 0x37d75334, v1
	v_fma_f32 v2, v1, v2, v19
	v_fma_f32 v2, v1, v2, v20
	v_fma_f32 v1, v1, v2, 1.0
	v_and_b32_e32 v2, 1, v12
	v_cmp_eq_u32_e64 s[0:1], 0, v2
	v_lshlrev_b32_e32 v2, 30, v12
	v_cndmask_b32_e64 v1, v1, v25, s[0:1]
	v_and_or_b32 v0, v2, s33, v0
	v_xor_b32_e32 v0, v0, v1
	v_xor_b32_e32 v0, v0, v10
	v_cndmask_b32_e32 v10, v24, v0, vcc
.LBB255_430:                            ;   in Loop: Header=BB255_233 Depth=1
	s_or_b64 exec, exec, s[14:15]
                                        ; implicit-def: $vgpr0_vgpr1_vgpr2_vgpr3
.LBB255_431:                            ;   in Loop: Header=BB255_233 Depth=1
	s_andn2_saveexec_b64 s[0:1], s[12:13]
	s_cbranch_execz .LBB255_433
; %bb.432:                              ;   in Loop: Header=BB255_233 Depth=1
	v_mul_f32_e32 v0, 0xbfb8aa3b, v2
	v_rndne_f32_e32 v1, v0
	v_sub_f32_e32 v3, v0, v1
	v_fma_f32 v0, v2, s47, -v0
	v_fmac_f32_e32 v0, 0xb2a5705f, v2
	v_add_f32_e32 v0, v3, v0
	v_cvt_i32_f32_e32 v1, v1
	v_exp_f32_e32 v0, v0
	v_cmp_nlt_f32_e32 vcc, s48, v2
	v_ldexp_f32 v0, v0, v1
	v_cndmask_b32_e32 v0, 0, v0, vcc
	v_cmp_ngt_f32_e32 vcc, s49, v2
	v_cndmask_b32_e32 v11, v23, v0, vcc
.LBB255_433:                            ;   in Loop: Header=BB255_233 Depth=1
	s_or_b64 exec, exec, s[0:1]
	v_add_f32_e32 v1, s16, v11
	v_add_f32_e32 v0, s17, v10
	v_cmp_gt_f32_e32 vcc, 0, v1
	v_cndmask_b32_e64 v3, v1, -v1, vcc
	v_cmp_gt_f32_e32 vcc, 0, v0
	v_cndmask_b32_e64 v2, v0, -v0, vcc
	v_cmp_ge_f32_e32 vcc, v3, v2
	s_and_saveexec_b64 s[0:1], vcc
	s_xor_b64 s[2:3], exec, s[0:1]
	s_cbranch_execz .LBB255_439
; %bb.434:                              ;   in Loop: Header=BB255_233 Depth=1
	v_cmp_neq_f32_e32 vcc, 0, v1
	v_cmp_neq_f32_e64 s[0:1], 0, v0
	s_or_b64 s[0:1], vcc, s[0:1]
	s_and_saveexec_b64 s[4:5], s[0:1]
	s_xor_b64 s[0:1], exec, s[4:5]
	s_cbranch_execz .LBB255_436
; %bb.435:                              ;   in Loop: Header=BB255_233 Depth=1
	v_div_scale_f32 v2, s[4:5], v1, v1, v0
	v_rcp_f32_e32 v3, v2
	v_div_scale_f32 v10, vcc, v0, v1, v0
	v_fma_f32 v11, -v2, v3, 1.0
	v_fmac_f32_e32 v3, v11, v3
	v_mul_f32_e32 v11, v10, v3
	v_fma_f32 v12, -v2, v11, v10
	v_fmac_f32_e32 v11, v12, v3
	v_fma_f32 v2, -v2, v11, v10
	v_div_fmas_f32 v2, v2, v3, v11
	v_div_fixup_f32 v2, v2, v1, v0
	v_fmac_f32_e32 v1, v0, v2
	v_div_scale_f32 v0, s[4:5], v1, v1, 1.0
	v_rcp_f32_e32 v3, v0
	v_fma_f32 v10, -v0, v3, 1.0
	v_fmac_f32_e32 v3, v10, v3
	v_div_scale_f32 v10, vcc, 1.0, v1, 1.0
	v_mul_f32_e32 v11, v10, v3
	v_fma_f32 v12, -v0, v11, v10
	v_fmac_f32_e32 v11, v12, v3
	v_fma_f32 v0, -v0, v11, v10
	v_div_fmas_f32 v0, v0, v3, v11
	v_div_fixup_f32 v0, v0, v1, 1.0
	v_mov_b32_e32 v1, s16
	v_fma_f32 v1, s17, v2, v1
	v_mul_f32_e32 v10, v1, v0
	v_mov_b32_e32 v1, s17
	v_fma_f32 v1, -v2, s16, v1
	v_mul_f32_e32 v11, v1, v0
                                        ; implicit-def: $vgpr3
                                        ; implicit-def: $vgpr2
.LBB255_436:                            ;   in Loop: Header=BB255_233 Depth=1
	s_andn2_saveexec_b64 s[0:1], s[0:1]
	s_cbranch_execz .LBB255_438
; %bb.437:                              ;   in Loop: Header=BB255_233 Depth=1
	v_div_scale_f32 v0, s[4:5], v3, v3, s16
	v_rcp_f32_e32 v1, v0
	v_div_scale_f32 v10, vcc, s16, v3, s16
	v_fma_f32 v11, -v0, v1, 1.0
	v_fmac_f32_e32 v1, v11, v1
	v_mul_f32_e32 v11, v10, v1
	v_fma_f32 v12, -v0, v11, v10
	v_fmac_f32_e32 v11, v12, v1
	v_div_scale_f32 v12, s[4:5], v2, v2, s17
	v_rcp_f32_e32 v25, v12
	v_fma_f32 v0, -v0, v11, v10
	v_div_fmas_f32 v0, v0, v1, v11
	v_div_fixup_f32 v10, v0, v3, s16
	v_fma_f32 v0, -v12, v25, 1.0
	v_fmac_f32_e32 v25, v0, v25
	v_div_scale_f32 v0, vcc, s17, v2, s17
	v_mul_f32_e32 v1, v0, v25
	v_fma_f32 v3, -v12, v1, v0
	v_fmac_f32_e32 v1, v3, v25
	v_fma_f32 v0, -v12, v1, v0
	v_div_fmas_f32 v0, v0, v25, v1
	v_div_fixup_f32 v11, v0, v2, s17
.LBB255_438:                            ;   in Loop: Header=BB255_233 Depth=1
	s_or_b64 exec, exec, s[0:1]
                                        ; implicit-def: $vgpr0
                                        ; implicit-def: $vgpr1
.LBB255_439:                            ;   in Loop: Header=BB255_233 Depth=1
	s_andn2_saveexec_b64 s[0:1], s[2:3]
	s_cbranch_execz .LBB255_232
; %bb.440:                              ;   in Loop: Header=BB255_233 Depth=1
	v_div_scale_f32 v2, s[2:3], v0, v0, v1
	v_rcp_f32_e32 v3, v2
	v_div_scale_f32 v10, vcc, v1, v0, v1
	v_fma_f32 v11, -v2, v3, 1.0
	v_fmac_f32_e32 v3, v11, v3
	v_mul_f32_e32 v11, v10, v3
	v_fma_f32 v12, -v2, v11, v10
	v_fmac_f32_e32 v11, v12, v3
	v_fma_f32 v2, -v2, v11, v10
	v_div_fmas_f32 v2, v2, v3, v11
	v_div_fixup_f32 v2, v2, v0, v1
	v_fmac_f32_e32 v0, v1, v2
	v_div_scale_f32 v1, s[2:3], v0, v0, 1.0
	v_rcp_f32_e32 v3, v1
	v_fma_f32 v10, -v1, v3, 1.0
	v_fmac_f32_e32 v3, v10, v3
	v_div_scale_f32 v10, vcc, 1.0, v0, 1.0
	v_mul_f32_e32 v11, v10, v3
	v_fma_f32 v12, -v1, v11, v10
	v_fmac_f32_e32 v11, v12, v3
	v_fma_f32 v1, -v1, v11, v10
	v_div_fmas_f32 v1, v1, v3, v11
	v_div_fixup_f32 v0, v1, v0, 1.0
	v_mov_b32_e32 v1, s17
	v_fma_f32 v1, s16, v2, v1
	v_mul_f32_e32 v10, v1, v0
	v_mov_b32_e32 v1, s16
	v_fma_f32 v1, v2, s17, -v1
	v_mul_f32_e32 v11, v1, v0
	s_branch .LBB255_232
.LBB255_441:
	s_endpgm
	.section	.rodata,"a",@progbits
	.p2align	6, 0x0
	.amdhsa_kernel _ZN2at6native12_GLOBAL__N_125multi_tensor_apply_kernelINS1_18TensorListMetadataILi1EEENS1_14UnaryOpFunctorIN3c107complexIfEELi1ELi1ELi0EEEJNS0_7SigmoidIS8_EEEEEvT_T0_DpT1_
		.amdhsa_group_segment_fixed_size 0
		.amdhsa_private_segment_fixed_size 0
		.amdhsa_kernarg_size 3640
		.amdhsa_user_sgpr_count 6
		.amdhsa_user_sgpr_private_segment_buffer 1
		.amdhsa_user_sgpr_dispatch_ptr 0
		.amdhsa_user_sgpr_queue_ptr 0
		.amdhsa_user_sgpr_kernarg_segment_ptr 1
		.amdhsa_user_sgpr_dispatch_id 0
		.amdhsa_user_sgpr_flat_scratch_init 0
		.amdhsa_user_sgpr_kernarg_preload_length 0
		.amdhsa_user_sgpr_kernarg_preload_offset 0
		.amdhsa_user_sgpr_private_segment_size 0
		.amdhsa_uses_dynamic_stack 0
		.amdhsa_system_sgpr_private_segment_wavefront_offset 0
		.amdhsa_system_sgpr_workgroup_id_x 1
		.amdhsa_system_sgpr_workgroup_id_y 0
		.amdhsa_system_sgpr_workgroup_id_z 0
		.amdhsa_system_sgpr_workgroup_info 0
		.amdhsa_system_vgpr_workitem_id 0
		.amdhsa_next_free_vgpr 50
		.amdhsa_next_free_sgpr 68
		.amdhsa_accum_offset 52
		.amdhsa_reserve_vcc 1
		.amdhsa_reserve_flat_scratch 0
		.amdhsa_float_round_mode_32 0
		.amdhsa_float_round_mode_16_64 0
		.amdhsa_float_denorm_mode_32 3
		.amdhsa_float_denorm_mode_16_64 3
		.amdhsa_dx10_clamp 1
		.amdhsa_ieee_mode 1
		.amdhsa_fp16_overflow 0
		.amdhsa_tg_split 0
		.amdhsa_exception_fp_ieee_invalid_op 0
		.amdhsa_exception_fp_denorm_src 0
		.amdhsa_exception_fp_ieee_div_zero 0
		.amdhsa_exception_fp_ieee_overflow 0
		.amdhsa_exception_fp_ieee_underflow 0
		.amdhsa_exception_fp_ieee_inexact 0
		.amdhsa_exception_int_div_zero 0
	.end_amdhsa_kernel
	.section	.text._ZN2at6native12_GLOBAL__N_125multi_tensor_apply_kernelINS1_18TensorListMetadataILi1EEENS1_14UnaryOpFunctorIN3c107complexIfEELi1ELi1ELi0EEEJNS0_7SigmoidIS8_EEEEEvT_T0_DpT1_,"axG",@progbits,_ZN2at6native12_GLOBAL__N_125multi_tensor_apply_kernelINS1_18TensorListMetadataILi1EEENS1_14UnaryOpFunctorIN3c107complexIfEELi1ELi1ELi0EEEJNS0_7SigmoidIS8_EEEEEvT_T0_DpT1_,comdat
.Lfunc_end255:
	.size	_ZN2at6native12_GLOBAL__N_125multi_tensor_apply_kernelINS1_18TensorListMetadataILi1EEENS1_14UnaryOpFunctorIN3c107complexIfEELi1ELi1ELi0EEEJNS0_7SigmoidIS8_EEEEEvT_T0_DpT1_, .Lfunc_end255-_ZN2at6native12_GLOBAL__N_125multi_tensor_apply_kernelINS1_18TensorListMetadataILi1EEENS1_14UnaryOpFunctorIN3c107complexIfEELi1ELi1ELi0EEEJNS0_7SigmoidIS8_EEEEEvT_T0_DpT1_
                                        ; -- End function
	.section	.AMDGPU.csdata,"",@progbits
; Kernel info:
; codeLenInByte = 44776
; NumSgprs: 72
; NumVgprs: 50
; NumAgprs: 0
; TotalNumVgprs: 50
; ScratchSize: 0
; MemoryBound: 1
; FloatMode: 240
; IeeeMode: 1
; LDSByteSize: 0 bytes/workgroup (compile time only)
; SGPRBlocks: 8
; VGPRBlocks: 6
; NumSGPRsForWavesPerEU: 72
; NumVGPRsForWavesPerEU: 50
; AccumOffset: 52
; Occupancy: 8
; WaveLimiterHint : 0
; COMPUTE_PGM_RSRC2:SCRATCH_EN: 0
; COMPUTE_PGM_RSRC2:USER_SGPR: 6
; COMPUTE_PGM_RSRC2:TRAP_HANDLER: 0
; COMPUTE_PGM_RSRC2:TGID_X_EN: 1
; COMPUTE_PGM_RSRC2:TGID_Y_EN: 0
; COMPUTE_PGM_RSRC2:TGID_Z_EN: 0
; COMPUTE_PGM_RSRC2:TIDIG_COMP_CNT: 0
; COMPUTE_PGM_RSRC3_GFX90A:ACCUM_OFFSET: 12
; COMPUTE_PGM_RSRC3_GFX90A:TG_SPLIT: 0
	.section	.text._ZN2at6native12_GLOBAL__N_125multi_tensor_apply_kernelINS1_18TensorListMetadataILi1EEENS1_14UnaryOpFunctorIN3c104HalfELi1ELi1ELi0EEEJNS0_7SigmoidIfEEEEEvT_T0_DpT1_,"axG",@progbits,_ZN2at6native12_GLOBAL__N_125multi_tensor_apply_kernelINS1_18TensorListMetadataILi1EEENS1_14UnaryOpFunctorIN3c104HalfELi1ELi1ELi0EEEJNS0_7SigmoidIfEEEEEvT_T0_DpT1_,comdat
	.globl	_ZN2at6native12_GLOBAL__N_125multi_tensor_apply_kernelINS1_18TensorListMetadataILi1EEENS1_14UnaryOpFunctorIN3c104HalfELi1ELi1ELi0EEEJNS0_7SigmoidIfEEEEEvT_T0_DpT1_ ; -- Begin function _ZN2at6native12_GLOBAL__N_125multi_tensor_apply_kernelINS1_18TensorListMetadataILi1EEENS1_14UnaryOpFunctorIN3c104HalfELi1ELi1ELi0EEEJNS0_7SigmoidIfEEEEEvT_T0_DpT1_
	.p2align	8
	.type	_ZN2at6native12_GLOBAL__N_125multi_tensor_apply_kernelINS1_18TensorListMetadataILi1EEENS1_14UnaryOpFunctorIN3c104HalfELi1ELi1ELi0EEEJNS0_7SigmoidIfEEEEEvT_T0_DpT1_,@function
_ZN2at6native12_GLOBAL__N_125multi_tensor_apply_kernelINS1_18TensorListMetadataILi1EEENS1_14UnaryOpFunctorIN3c104HalfELi1ELi1ELi0EEEJNS0_7SigmoidIfEEEEEvT_T0_DpT1_: ; @_ZN2at6native12_GLOBAL__N_125multi_tensor_apply_kernelINS1_18TensorListMetadataILi1EEENS1_14UnaryOpFunctorIN3c104HalfELi1ELi1ELi0EEEJNS0_7SigmoidIfEEEEEvT_T0_DpT1_
; %bb.0:
	v_mov_b32_e32 v1, s6
	global_load_ubyte v1, v1, s[4:5] offset:1760
	s_add_u32 s0, s4, s6
	s_mul_hi_u32 s1, s6, 3
	s_mul_i32 s6, s6, 3
	s_addc_u32 s2, s5, 0
	s_add_u32 s0, s0, s6
	s_addc_u32 s1, s2, s1
	s_load_dword s0, s[0:1], 0x820
	s_mov_b32 s7, 0
	s_waitcnt vmcnt(0)
	v_readfirstlane_b32 s1, v1
	s_lshl_b32 s1, s1, 3
	s_load_dword s10, s[4:5], 0xd2c
	s_load_dwordx2 s[2:3], s[4:5], s1 offset:0x370
	s_load_dwordx2 s[14:15], s[4:5], s1 offset:0x0
	s_waitcnt lgkmcnt(0)
	s_ashr_i32 s1, s0, 31
	s_lshl_b64 s[16:17], s[0:1], 17
	s_lshl_b64 s[0:1], s[0:1], 16
	s_and_b32 s6, s14, 7
	s_sub_u32 s12, s2, s0
	s_subb_u32 s13, s3, s1
	s_and_b32 s0, s2, 3
	s_mov_b32 s1, s7
	s_or_b64 s[0:1], s[6:7], s[0:1]
	s_cmp_eq_u64 s[0:1], 0
	s_cbranch_scc1 .LBB256_21
; %bb.1:
	v_cmp_lt_i64_e64 s[0:1], s[12:13], 1
	s_and_b64 vcc, exec, s[0:1]
	s_cbranch_vccnz .LBB256_20
; %bb.2:
	s_load_dword s0, s[4:5], 0xd3c
	v_mov_b32_e32 v2, 0x10000
	v_mov_b32_e32 v3, 0
	v_cmp_lt_u64_e32 vcc, s[12:13], v[2:3]
	v_lshlrev_b32_e32 v1, 1, v0
	s_waitcnt lgkmcnt(0)
	s_and_b32 s2, s0, 0xffff
	s_and_b64 s[0:1], vcc, exec
	s_cselect_b32 s19, s13, 0
	s_cselect_b32 s18, s12, 0x10000
	s_lshl_b32 s3, s2, 1
	s_lshl_b32 s24, s2, 2
	s_add_u32 s6, s14, s16
	s_addc_u32 s7, s15, s17
	v_mov_b32_e32 v3, s7
	v_add_co_u32_e32 v2, vcc, s6, v1
	s_mul_i32 s0, s2, 3
	v_addc_co_u32_e32 v3, vcc, 0, v3, vcc
	v_add_co_u32_e32 v1, vcc, s0, v0
	v_addc_co_u32_e64 v6, s[0:1], 0, 0, vcc
	v_add_co_u32_e32 v7, vcc, s3, v0
	v_addc_co_u32_e64 v8, s[0:1], 0, 0, vcc
	v_add_co_u32_e32 v9, vcc, s2, v0
	v_lshlrev_b32_e32 v4, 1, v9
	s_mov_b32 s11, 0
	v_addc_co_u32_e64 v10, s[0:1], 0, 0, vcc
	v_mov_b32_e32 v5, s7
	v_add_co_u32_e32 v4, vcc, s6, v4
	s_lshl_b32 s25, s2, 3
	s_mov_b32 s26, s11
	s_mul_i32 s27, s2, 6
	s_mov_b32 s28, s11
	v_addc_co_u32_e32 v5, vcc, 0, v5, vcc
	s_mov_b64 s[20:21], 0
	s_mov_b32 s29, 0x3fb8aa3b
	s_mov_b32 s30, 0x32a5705f
	s_mov_b32 s31, 0xc2ce8ed0
	s_mov_b32 s33, 0x42b17218
	v_mov_b32_e32 v11, 0x7f800000
	s_branch .LBB256_4
.LBB256_3:                              ;   in Loop: Header=BB256_4 Depth=1
	s_or_b64 exec, exec, s[2:3]
	s_add_u32 s20, s20, s24
	s_addc_u32 s21, s21, 0
	s_waitcnt vmcnt(0)
	v_pk_mov_b32 v[12:13], s[12:13], s[12:13] op_sel:[0,1]
	v_cmp_lt_i64_e32 vcc, s[20:21], v[12:13]
	v_mov_b32_e32 v12, 0x10000
	v_mov_b32_e32 v13, 0
	v_cmp_lt_u64_e64 s[0:1], s[20:21], v[12:13]
	s_and_b64 s[0:1], vcc, s[0:1]
	v_mov_b32_e32 v12, s26
	v_add_co_u32_e32 v2, vcc, s25, v2
	v_addc_co_u32_e32 v3, vcc, v3, v12, vcc
	v_add_co_u32_e32 v4, vcc, s25, v4
	v_addc_co_u32_e32 v5, vcc, v5, v12, vcc
	s_and_b64 vcc, exec, s[0:1]
	s_cbranch_vccz .LBB256_20
.LBB256_4:                              ; =>This Inner Loop Header: Depth=1
	v_mov_b32_e32 v13, s21
	v_add_co_u32_e32 v12, vcc, s20, v0
	v_addc_co_u32_e32 v13, vcc, 0, v13, vcc
	v_cmp_gt_u64_e32 vcc, s[18:19], v[12:13]
	v_mov_b32_e32 v15, 0
	s_and_saveexec_b64 s[0:1], vcc
	s_cbranch_execz .LBB256_6
; %bb.5:                                ;   in Loop: Header=BB256_4 Depth=1
	global_load_ushort v15, v[2:3], off
.LBB256_6:                              ;   in Loop: Header=BB256_4 Depth=1
	s_or_b64 exec, exec, s[0:1]
	v_mov_b32_e32 v13, s21
	v_add_co_u32_e64 v12, s[0:1], s20, v9
	v_addc_co_u32_e64 v13, s[0:1], v10, v13, s[0:1]
	v_cmp_gt_u64_e64 s[6:7], s[18:19], v[12:13]
	v_mov_b32_e32 v14, 0
	s_and_saveexec_b64 s[0:1], s[6:7]
	s_cbranch_execz .LBB256_8
; %bb.7:                                ;   in Loop: Header=BB256_4 Depth=1
	global_load_ushort v14, v[4:5], off
.LBB256_8:                              ;   in Loop: Header=BB256_4 Depth=1
	s_or_b64 exec, exec, s[0:1]
	v_mov_b32_e32 v13, s21
	v_add_co_u32_e64 v12, s[0:1], s20, v7
	v_addc_co_u32_e64 v13, s[0:1], v8, v13, s[0:1]
	v_cmp_gt_u64_e64 s[2:3], s[18:19], v[12:13]
	v_mov_b32_e32 v12, 0
	v_mov_b32_e32 v13, 0
	s_and_saveexec_b64 s[8:9], s[2:3]
	s_cbranch_execz .LBB256_10
; %bb.9:                                ;   in Loop: Header=BB256_4 Depth=1
	v_mov_b32_e32 v13, s11
	v_add_co_u32_e64 v16, s[0:1], s24, v2
	v_addc_co_u32_e64 v17, s[0:1], v3, v13, s[0:1]
	global_load_ushort v13, v[16:17], off
.LBB256_10:                             ;   in Loop: Header=BB256_4 Depth=1
	s_or_b64 exec, exec, s[8:9]
	v_mov_b32_e32 v17, s21
	v_add_co_u32_e64 v16, s[0:1], s20, v1
	v_addc_co_u32_e64 v17, s[0:1], v6, v17, s[0:1]
	v_cmp_gt_u64_e64 s[0:1], s[18:19], v[16:17]
	s_and_saveexec_b64 s[22:23], s[0:1]
	s_cbranch_execnz .LBB256_15
; %bb.11:                               ;   in Loop: Header=BB256_4 Depth=1
	s_or_b64 exec, exec, s[22:23]
	s_and_saveexec_b64 s[8:9], vcc
	s_cbranch_execnz .LBB256_16
.LBB256_12:                             ;   in Loop: Header=BB256_4 Depth=1
	s_or_b64 exec, exec, s[8:9]
	s_and_saveexec_b64 s[8:9], s[6:7]
	s_cbranch_execnz .LBB256_17
.LBB256_13:                             ;   in Loop: Header=BB256_4 Depth=1
	s_or_b64 exec, exec, s[8:9]
	s_and_saveexec_b64 s[6:7], s[2:3]
	s_cbranch_execnz .LBB256_18
.LBB256_14:                             ;   in Loop: Header=BB256_4 Depth=1
	s_or_b64 exec, exec, s[6:7]
	s_and_saveexec_b64 s[2:3], s[0:1]
	s_cbranch_execz .LBB256_3
	s_branch .LBB256_19
.LBB256_15:                             ;   in Loop: Header=BB256_4 Depth=1
	v_mov_b32_e32 v12, s28
	v_add_co_u32_e64 v16, s[8:9], s27, v2
	v_addc_co_u32_e64 v17, s[8:9], v3, v12, s[8:9]
	global_load_ushort v12, v[16:17], off
	s_or_b64 exec, exec, s[22:23]
	s_and_saveexec_b64 s[8:9], vcc
	s_cbranch_execz .LBB256_12
.LBB256_16:                             ;   in Loop: Header=BB256_4 Depth=1
	s_waitcnt vmcnt(0)
	v_cvt_f32_f16_e64 v16, -v15
	v_mul_f32_e32 v17, 0x3fb8aa3b, v16
	v_rndne_f32_e32 v18, v17
	v_fma_mix_f32 v19, -v15, s29, -v17 op_sel_hi:[1,0,0]
	v_sub_f32_e32 v17, v17, v18
	v_fma_mix_f32 v15, -v15, s30, v19 op_sel_hi:[1,0,0]
	v_add_f32_e32 v15, v17, v15
	v_cvt_i32_f32_e32 v18, v18
	v_exp_f32_e32 v15, v15
	v_cmp_ngt_f32_e32 vcc, s31, v16
	v_ldexp_f32 v15, v15, v18
	v_cndmask_b32_e32 v15, 0, v15, vcc
	v_cmp_nlt_f32_e32 vcc, s33, v16
	v_cndmask_b32_e32 v15, v11, v15, vcc
	v_add_f32_e32 v15, s10, v15
	v_div_scale_f32 v16, s[22:23], v15, v15, s10
	v_rcp_f32_e32 v17, v16
	v_div_scale_f32 v18, vcc, s10, v15, s10
	v_fma_f32 v19, -v16, v17, 1.0
	v_fmac_f32_e32 v17, v19, v17
	v_mul_f32_e32 v19, v18, v17
	v_fma_f32 v20, -v16, v19, v18
	v_fmac_f32_e32 v19, v20, v17
	v_fma_f32 v16, -v16, v19, v18
	v_div_fmas_f32 v16, v16, v17, v19
	v_div_fixup_f32 v15, v16, v15, s10
	v_cvt_f16_f32_e32 v15, v15
	global_store_short v[2:3], v15, off
	s_or_b64 exec, exec, s[8:9]
	s_and_saveexec_b64 s[8:9], s[6:7]
	s_cbranch_execz .LBB256_13
.LBB256_17:                             ;   in Loop: Header=BB256_4 Depth=1
	s_waitcnt vmcnt(0)
	v_cvt_f32_f16_e64 v15, -v14
	v_mul_f32_e32 v16, 0x3fb8aa3b, v15
	v_rndne_f32_e32 v17, v16
	v_fma_mix_f32 v18, -v14, s29, -v16 op_sel_hi:[1,0,0]
	v_sub_f32_e32 v16, v16, v17
	v_fma_mix_f32 v14, -v14, s30, v18 op_sel_hi:[1,0,0]
	v_add_f32_e32 v14, v16, v14
	v_cvt_i32_f32_e32 v17, v17
	v_exp_f32_e32 v14, v14
	v_cmp_ngt_f32_e32 vcc, s31, v15
	v_ldexp_f32 v14, v14, v17
	v_cndmask_b32_e32 v14, 0, v14, vcc
	v_cmp_nlt_f32_e32 vcc, s33, v15
	v_cndmask_b32_e32 v14, v11, v14, vcc
	v_add_f32_e32 v14, s10, v14
	v_div_scale_f32 v15, s[6:7], v14, v14, s10
	v_rcp_f32_e32 v16, v15
	v_div_scale_f32 v17, vcc, s10, v14, s10
	v_fma_f32 v18, -v15, v16, 1.0
	v_fmac_f32_e32 v16, v18, v16
	v_mul_f32_e32 v18, v17, v16
	v_fma_f32 v19, -v15, v18, v17
	v_fmac_f32_e32 v18, v19, v16
	v_fma_f32 v15, -v15, v18, v17
	v_div_fmas_f32 v15, v15, v16, v18
	v_div_fixup_f32 v14, v15, v14, s10
	v_cvt_f16_f32_e32 v14, v14
	global_store_short v[4:5], v14, off
	s_or_b64 exec, exec, s[8:9]
	s_and_saveexec_b64 s[6:7], s[2:3]
	s_cbranch_execz .LBB256_14
.LBB256_18:                             ;   in Loop: Header=BB256_4 Depth=1
	s_waitcnt vmcnt(0)
	v_cvt_f32_f16_e64 v14, -v13
	v_mul_f32_e32 v15, 0x3fb8aa3b, v14
	v_rndne_f32_e32 v16, v15
	v_fma_mix_f32 v17, -v13, s29, -v15 op_sel_hi:[1,0,0]
	v_sub_f32_e32 v15, v15, v16
	v_fma_mix_f32 v13, -v13, s30, v17 op_sel_hi:[1,0,0]
	v_add_f32_e32 v13, v15, v13
	v_cvt_i32_f32_e32 v16, v16
	v_exp_f32_e32 v13, v13
	v_cmp_ngt_f32_e32 vcc, s31, v14
	v_ldexp_f32 v13, v13, v16
	v_cndmask_b32_e32 v13, 0, v13, vcc
	v_cmp_nlt_f32_e32 vcc, s33, v14
	v_cndmask_b32_e32 v13, v11, v13, vcc
	v_add_f32_e32 v13, s10, v13
	v_div_scale_f32 v14, s[2:3], v13, v13, s10
	v_rcp_f32_e32 v15, v14
	v_div_scale_f32 v16, vcc, s10, v13, s10
	v_fma_f32 v17, -v14, v15, 1.0
	v_fmac_f32_e32 v15, v17, v15
	v_mul_f32_e32 v17, v16, v15
	v_fma_f32 v18, -v14, v17, v16
	v_fmac_f32_e32 v17, v18, v15
	v_fma_f32 v14, -v14, v17, v16
	v_div_fmas_f32 v14, v14, v15, v17
	v_div_fixup_f32 v13, v14, v13, s10
	v_cvt_f16_f32_e32 v13, v13
	v_mov_b32_e32 v15, s11
	v_add_co_u32_e32 v14, vcc, s24, v2
	v_addc_co_u32_e32 v15, vcc, v3, v15, vcc
	global_store_short v[14:15], v13, off
	s_or_b64 exec, exec, s[6:7]
	s_and_saveexec_b64 s[2:3], s[0:1]
	s_cbranch_execz .LBB256_3
.LBB256_19:                             ;   in Loop: Header=BB256_4 Depth=1
	s_waitcnt vmcnt(0)
	v_cvt_f32_f16_e64 v13, -v12
	v_mul_f32_e32 v14, 0x3fb8aa3b, v13
	v_rndne_f32_e32 v15, v14
	v_fma_mix_f32 v16, -v12, s29, -v14 op_sel_hi:[1,0,0]
	v_sub_f32_e32 v14, v14, v15
	v_fma_mix_f32 v12, -v12, s30, v16 op_sel_hi:[1,0,0]
	v_add_f32_e32 v12, v14, v12
	v_cvt_i32_f32_e32 v15, v15
	v_exp_f32_e32 v12, v12
	v_cmp_ngt_f32_e32 vcc, s31, v13
	v_ldexp_f32 v12, v12, v15
	v_cndmask_b32_e32 v12, 0, v12, vcc
	v_cmp_nlt_f32_e32 vcc, s33, v13
	v_cndmask_b32_e32 v12, v11, v12, vcc
	v_add_f32_e32 v12, s10, v12
	v_div_scale_f32 v13, s[0:1], v12, v12, s10
	v_rcp_f32_e32 v14, v13
	v_div_scale_f32 v15, vcc, s10, v12, s10
	v_fma_f32 v16, -v13, v14, 1.0
	v_fmac_f32_e32 v14, v16, v14
	v_mul_f32_e32 v16, v15, v14
	v_fma_f32 v17, -v13, v16, v15
	v_fmac_f32_e32 v16, v17, v14
	v_fma_f32 v13, -v13, v16, v15
	v_div_fmas_f32 v13, v13, v14, v16
	v_div_fixup_f32 v12, v13, v12, s10
	v_cvt_f16_f32_e32 v14, v12
	v_mov_b32_e32 v13, s28
	v_add_co_u32_e32 v12, vcc, s27, v2
	v_addc_co_u32_e32 v13, vcc, v3, v13, vcc
	global_store_short v[12:13], v14, off
	s_branch .LBB256_3
.LBB256_20:
	s_cbranch_execz .LBB256_22
	s_branch .LBB256_25
.LBB256_21:
.LBB256_22:
	v_mov_b32_e32 v3, 0
	v_lshlrev_b32_e32 v2, 2, v0
	s_mov_b32 s0, 0
	v_cmp_gt_i64_e32 vcc, s[12:13], v[2:3]
	s_and_saveexec_b64 s[2:3], vcc
	s_cbranch_execz .LBB256_25
; %bb.23:
	s_load_dword s1, s[4:5], 0xd3c
	v_lshlrev_b32_e32 v1, 3, v0
	s_mov_b32 s11, s10
	s_mov_b32 s6, s10
	;; [unrolled: 1-line block ×3, first 2 shown]
	s_waitcnt lgkmcnt(0)
	s_and_b32 s1, s1, 0xffff
	s_add_u32 s2, s14, s16
	s_addc_u32 s3, s15, s17
	v_mov_b32_e32 v2, s3
	v_add_co_u32_e32 v4, vcc, s2, v1
	v_addc_co_u32_e32 v5, vcc, 0, v2, vcc
	s_lshl_b32 s16, s1, 3
	v_add_lshl_u32 v2, v0, s1, 2
	s_lshl_b32 s17, s1, 2
	s_mov_b64 s[8:9], 0
	s_mov_b32 s18, 0x3fb8aa3b
	s_mov_b32 s19, 0x32a5705f
	;; [unrolled: 1-line block ×4, first 2 shown]
	v_mov_b32_e32 v0, 0x7f800000
	s_mov_b64 s[14:15], 0xffff
	v_mov_b32_e32 v1, s0
	v_mov_b32_e32 v6, s0
.LBB256_24:                             ; =>This Inner Loop Header: Depth=1
	global_load_dwordx2 v[8:9], v[4:5], off
	s_waitcnt vmcnt(0)
	v_cvt_f32_f16_e64 v7, -v8
	v_cvt_f32_f16_sdwa v10, -v8 dst_sel:DWORD dst_unused:UNUSED_PAD src0_sel:WORD_1
	v_cvt_f32_f16_e64 v11, -v9
	v_cvt_f32_f16_sdwa v12, -v9 dst_sel:DWORD dst_unused:UNUSED_PAD src0_sel:WORD_1
	v_mul_f32_e32 v13, 0x3fb8aa3b, v7
	v_mul_f32_e32 v14, 0x3fb8aa3b, v10
	v_rndne_f32_e32 v17, v13
	v_fma_mix_f32 v18, -v8, s18, -v13 op_sel_hi:[1,0,0]
	v_mul_f32_e32 v15, 0x3fb8aa3b, v11
	v_rndne_f32_e32 v19, v14
	v_fma_mix_f32 v20, -v8, s18, -v14 op_sel:[1,0,0] op_sel_hi:[1,0,0]
	v_sub_f32_e32 v13, v13, v17
	v_fma_mix_f32 v18, -v8, s19, v18 op_sel_hi:[1,0,0]
	v_mul_f32_e32 v16, 0x3fb8aa3b, v12
	v_rndne_f32_e32 v21, v15
	v_fma_mix_f32 v22, -v9, s18, -v15 op_sel_hi:[1,0,0]
	v_sub_f32_e32 v14, v14, v19
	v_fma_mix_f32 v8, -v8, s19, v20 op_sel:[1,0,0] op_sel_hi:[1,0,0]
	v_add_f32_e32 v13, v13, v18
	v_rndne_f32_e32 v23, v16
	v_fma_mix_f32 v24, -v9, s18, -v16 op_sel:[1,0,0] op_sel_hi:[1,0,0]
	v_cvt_i32_f32_e32 v17, v17
	v_sub_f32_e32 v15, v15, v21
	v_fma_mix_f32 v20, -v9, s19, v22 op_sel_hi:[1,0,0]
	v_add_f32_e32 v8, v14, v8
	v_exp_f32_e32 v13, v13
	v_cvt_i32_f32_e32 v19, v19
	v_sub_f32_e32 v16, v16, v23
	v_fma_mix_f32 v9, -v9, s19, v24 op_sel:[1,0,0] op_sel_hi:[1,0,0]
	v_add_f32_e32 v14, v15, v20
	v_exp_f32_e32 v8, v8
	v_cvt_i32_f32_e32 v21, v21
	v_add_f32_e32 v9, v16, v9
	v_exp_f32_e32 v14, v14
	v_cvt_i32_f32_e32 v22, v23
	v_exp_f32_e32 v9, v9
	v_ldexp_f32 v13, v13, v17
	v_cmp_ngt_f32_e32 vcc, s20, v7
	v_ldexp_f32 v8, v8, v19
	v_cndmask_b32_e32 v13, 0, v13, vcc
	v_cmp_ngt_f32_e32 vcc, s20, v10
	v_ldexp_f32 v14, v14, v21
	v_cndmask_b32_e32 v15, 0, v8, vcc
	;; [unrolled: 3-line block ×3, first 2 shown]
	v_cmp_ngt_f32_e32 vcc, s20, v12
	v_cndmask_b32_e32 v16, 0, v9, vcc
	v_cmp_nlt_f32_e32 vcc, s21, v7
	v_cndmask_b32_e32 v8, v0, v13, vcc
	v_cmp_nlt_f32_e32 vcc, s21, v10
	;; [unrolled: 2-line block ×4, first 2 shown]
	v_pk_add_f32 v[8:9], v[8:9], s[10:11]
	v_cndmask_b32_e32 v11, v0, v16, vcc
	v_div_scale_f32 v7, s[0:1], v8, v8, s10
	v_pk_add_f32 v[10:11], v[10:11], s[6:7]
	v_div_scale_f32 v13, s[0:1], v9, v9, s11
	v_rcp_f32_e32 v19, v7
	v_div_scale_f32 v15, s[2:3], v10, v10, s6
	v_rcp_f32_e32 v20, v13
	v_rcp_f32_e32 v21, v15
	v_div_scale_f32 v17, s[4:5], v11, v11, s7
	v_rcp_f32_e32 v22, v17
	v_fma_f32 v23, -v7, v19, 1.0
	v_div_scale_f32 v12, vcc, s10, v8, s10
	v_fma_f32 v24, -v13, v20, 1.0
	v_fmac_f32_e32 v19, v23, v19
	v_div_scale_f32 v14, s[0:1], s11, v9, s11
	v_fma_f32 v25, -v15, v21, 1.0
	v_fmac_f32_e32 v20, v24, v20
	v_mul_f32_e32 v23, v12, v19
	v_div_scale_f32 v16, s[2:3], s6, v10, s6
	v_fmac_f32_e32 v21, v25, v21
	v_mul_f32_e32 v24, v14, v20
	v_fma_f32 v27, -v7, v23, v12
	v_fma_f32 v26, -v17, v22, 1.0
	v_mul_f32_e32 v25, v16, v21
	v_fma_f32 v28, -v13, v24, v14
	v_fmac_f32_e32 v23, v27, v19
	v_div_scale_f32 v18, s[4:5], s7, v11, s7
	v_fmac_f32_e32 v22, v26, v22
	v_fma_f32 v29, -v15, v25, v16
	v_fmac_f32_e32 v24, v28, v20
	v_fma_f32 v7, -v7, v23, v12
	v_mul_f32_e32 v26, v18, v22
	v_fmac_f32_e32 v25, v29, v21
	v_fma_f32 v12, -v13, v24, v14
	v_div_fmas_f32 v7, v7, v19, v23
	s_mov_b64 vcc, s[0:1]
	v_fma_f32 v30, -v17, v26, v18
	v_fma_f32 v13, -v15, v25, v16
	v_div_fixup_f32 v7, v7, v8, s10
	v_div_fmas_f32 v8, v12, v20, v24
	s_mov_b64 vcc, s[2:3]
	v_fmac_f32_e32 v26, v30, v22
	v_div_fixup_f32 v8, v8, v9, s11
	v_div_fmas_f32 v9, v13, v21, v25
	v_div_fixup_f32 v9, v9, v10, s6
	v_fma_f32 v10, -v17, v26, v18
	s_mov_b64 vcc, s[4:5]
	v_div_fmas_f32 v10, v10, v22, v26
	v_div_fixup_f32 v10, v10, v11, s7
	v_cvt_f16_f32_e32 v10, v10
	v_cvt_f16_f32_e32 v9, v9
	;; [unrolled: 1-line block ×4, first 2 shown]
	v_cmp_le_i64_e32 vcc, s[12:13], v[2:3]
	v_pack_b32_f16 v9, v9, v10
	v_cmp_lt_u64_e64 s[0:1], s[14:15], v[2:3]
	v_pack_b32_f16 v8, v7, v8
	global_store_dwordx2 v[4:5], v[8:9], off
	s_or_b64 s[0:1], vcc, s[0:1]
	v_add_co_u32_e32 v4, vcc, s16, v4
	v_addc_co_u32_e32 v5, vcc, v5, v1, vcc
	s_and_b64 s[0:1], exec, s[0:1]
	v_add_co_u32_e32 v2, vcc, s17, v2
	s_or_b64 s[8:9], s[0:1], s[8:9]
	v_addc_co_u32_e32 v3, vcc, v3, v6, vcc
	s_andn2_b64 exec, exec, s[8:9]
	s_cbranch_execnz .LBB256_24
.LBB256_25:
	s_endpgm
	.section	.rodata,"a",@progbits
	.p2align	6, 0x0
	.amdhsa_kernel _ZN2at6native12_GLOBAL__N_125multi_tensor_apply_kernelINS1_18TensorListMetadataILi1EEENS1_14UnaryOpFunctorIN3c104HalfELi1ELi1ELi0EEEJNS0_7SigmoidIfEEEEEvT_T0_DpT1_
		.amdhsa_group_segment_fixed_size 0
		.amdhsa_private_segment_fixed_size 0
		.amdhsa_kernarg_size 3632
		.amdhsa_user_sgpr_count 6
		.amdhsa_user_sgpr_private_segment_buffer 1
		.amdhsa_user_sgpr_dispatch_ptr 0
		.amdhsa_user_sgpr_queue_ptr 0
		.amdhsa_user_sgpr_kernarg_segment_ptr 1
		.amdhsa_user_sgpr_dispatch_id 0
		.amdhsa_user_sgpr_flat_scratch_init 0
		.amdhsa_user_sgpr_kernarg_preload_length 0
		.amdhsa_user_sgpr_kernarg_preload_offset 0
		.amdhsa_user_sgpr_private_segment_size 0
		.amdhsa_uses_dynamic_stack 0
		.amdhsa_system_sgpr_private_segment_wavefront_offset 0
		.amdhsa_system_sgpr_workgroup_id_x 1
		.amdhsa_system_sgpr_workgroup_id_y 0
		.amdhsa_system_sgpr_workgroup_id_z 0
		.amdhsa_system_sgpr_workgroup_info 0
		.amdhsa_system_vgpr_workitem_id 0
		.amdhsa_next_free_vgpr 31
		.amdhsa_next_free_sgpr 34
		.amdhsa_accum_offset 32
		.amdhsa_reserve_vcc 1
		.amdhsa_reserve_flat_scratch 0
		.amdhsa_float_round_mode_32 0
		.amdhsa_float_round_mode_16_64 0
		.amdhsa_float_denorm_mode_32 3
		.amdhsa_float_denorm_mode_16_64 3
		.amdhsa_dx10_clamp 1
		.amdhsa_ieee_mode 1
		.amdhsa_fp16_overflow 0
		.amdhsa_tg_split 0
		.amdhsa_exception_fp_ieee_invalid_op 0
		.amdhsa_exception_fp_denorm_src 0
		.amdhsa_exception_fp_ieee_div_zero 0
		.amdhsa_exception_fp_ieee_overflow 0
		.amdhsa_exception_fp_ieee_underflow 0
		.amdhsa_exception_fp_ieee_inexact 0
		.amdhsa_exception_int_div_zero 0
	.end_amdhsa_kernel
	.section	.text._ZN2at6native12_GLOBAL__N_125multi_tensor_apply_kernelINS1_18TensorListMetadataILi1EEENS1_14UnaryOpFunctorIN3c104HalfELi1ELi1ELi0EEEJNS0_7SigmoidIfEEEEEvT_T0_DpT1_,"axG",@progbits,_ZN2at6native12_GLOBAL__N_125multi_tensor_apply_kernelINS1_18TensorListMetadataILi1EEENS1_14UnaryOpFunctorIN3c104HalfELi1ELi1ELi0EEEJNS0_7SigmoidIfEEEEEvT_T0_DpT1_,comdat
.Lfunc_end256:
	.size	_ZN2at6native12_GLOBAL__N_125multi_tensor_apply_kernelINS1_18TensorListMetadataILi1EEENS1_14UnaryOpFunctorIN3c104HalfELi1ELi1ELi0EEEJNS0_7SigmoidIfEEEEEvT_T0_DpT1_, .Lfunc_end256-_ZN2at6native12_GLOBAL__N_125multi_tensor_apply_kernelINS1_18TensorListMetadataILi1EEENS1_14UnaryOpFunctorIN3c104HalfELi1ELi1ELi0EEEJNS0_7SigmoidIfEEEEEvT_T0_DpT1_
                                        ; -- End function
	.section	.AMDGPU.csdata,"",@progbits
; Kernel info:
; codeLenInByte = 2356
; NumSgprs: 38
; NumVgprs: 31
; NumAgprs: 0
; TotalNumVgprs: 31
; ScratchSize: 0
; MemoryBound: 0
; FloatMode: 240
; IeeeMode: 1
; LDSByteSize: 0 bytes/workgroup (compile time only)
; SGPRBlocks: 4
; VGPRBlocks: 3
; NumSGPRsForWavesPerEU: 38
; NumVGPRsForWavesPerEU: 31
; AccumOffset: 32
; Occupancy: 8
; WaveLimiterHint : 0
; COMPUTE_PGM_RSRC2:SCRATCH_EN: 0
; COMPUTE_PGM_RSRC2:USER_SGPR: 6
; COMPUTE_PGM_RSRC2:TRAP_HANDLER: 0
; COMPUTE_PGM_RSRC2:TGID_X_EN: 1
; COMPUTE_PGM_RSRC2:TGID_Y_EN: 0
; COMPUTE_PGM_RSRC2:TGID_Z_EN: 0
; COMPUTE_PGM_RSRC2:TIDIG_COMP_CNT: 0
; COMPUTE_PGM_RSRC3_GFX90A:ACCUM_OFFSET: 7
; COMPUTE_PGM_RSRC3_GFX90A:TG_SPLIT: 0
	.section	.text._ZN2at6native12_GLOBAL__N_125multi_tensor_apply_kernelINS1_18TensorListMetadataILi1EEENS1_14UnaryOpFunctorIN3c108BFloat16ELi1ELi1ELi0EEEJNS0_7SigmoidIfEEEEEvT_T0_DpT1_,"axG",@progbits,_ZN2at6native12_GLOBAL__N_125multi_tensor_apply_kernelINS1_18TensorListMetadataILi1EEENS1_14UnaryOpFunctorIN3c108BFloat16ELi1ELi1ELi0EEEJNS0_7SigmoidIfEEEEEvT_T0_DpT1_,comdat
	.globl	_ZN2at6native12_GLOBAL__N_125multi_tensor_apply_kernelINS1_18TensorListMetadataILi1EEENS1_14UnaryOpFunctorIN3c108BFloat16ELi1ELi1ELi0EEEJNS0_7SigmoidIfEEEEEvT_T0_DpT1_ ; -- Begin function _ZN2at6native12_GLOBAL__N_125multi_tensor_apply_kernelINS1_18TensorListMetadataILi1EEENS1_14UnaryOpFunctorIN3c108BFloat16ELi1ELi1ELi0EEEJNS0_7SigmoidIfEEEEEvT_T0_DpT1_
	.p2align	8
	.type	_ZN2at6native12_GLOBAL__N_125multi_tensor_apply_kernelINS1_18TensorListMetadataILi1EEENS1_14UnaryOpFunctorIN3c108BFloat16ELi1ELi1ELi0EEEJNS0_7SigmoidIfEEEEEvT_T0_DpT1_,@function
_ZN2at6native12_GLOBAL__N_125multi_tensor_apply_kernelINS1_18TensorListMetadataILi1EEENS1_14UnaryOpFunctorIN3c108BFloat16ELi1ELi1ELi0EEEJNS0_7SigmoidIfEEEEEvT_T0_DpT1_: ; @_ZN2at6native12_GLOBAL__N_125multi_tensor_apply_kernelINS1_18TensorListMetadataILi1EEENS1_14UnaryOpFunctorIN3c108BFloat16ELi1ELi1ELi0EEEJNS0_7SigmoidIfEEEEEvT_T0_DpT1_
; %bb.0:
	v_mov_b32_e32 v1, s6
	global_load_ubyte v1, v1, s[4:5] offset:1760
	s_add_u32 s0, s4, s6
	s_mul_hi_u32 s1, s6, 3
	s_mul_i32 s6, s6, 3
	s_addc_u32 s2, s5, 0
	s_add_u32 s0, s0, s6
	s_addc_u32 s1, s2, s1
	s_load_dword s0, s[0:1], 0x820
	s_mov_b32 s7, 0
	s_waitcnt vmcnt(0)
	v_readfirstlane_b32 s1, v1
	s_lshl_b32 s1, s1, 3
	s_load_dword s22, s[4:5], 0xd2c
	s_load_dwordx2 s[2:3], s[4:5], s1 offset:0x370
	s_load_dwordx2 s[12:13], s[4:5], s1 offset:0x0
	s_waitcnt lgkmcnt(0)
	s_ashr_i32 s1, s0, 31
	s_lshl_b64 s[14:15], s[0:1], 17
	s_lshl_b64 s[0:1], s[0:1], 16
	s_and_b32 s6, s12, 7
	s_sub_u32 s10, s2, s0
	s_subb_u32 s11, s3, s1
	s_and_b32 s0, s2, 3
	s_mov_b32 s1, s7
	s_or_b64 s[0:1], s[6:7], s[0:1]
	s_cmp_eq_u64 s[0:1], 0
	s_cbranch_scc1 .LBB257_21
; %bb.1:
	v_cmp_lt_i64_e64 s[0:1], s[10:11], 1
	s_and_b64 vcc, exec, s[0:1]
	s_cbranch_vccnz .LBB257_20
; %bb.2:
	s_load_dword s0, s[4:5], 0xd3c
	v_mov_b32_e32 v2, 0x10000
	v_mov_b32_e32 v3, 0
	v_cmp_lt_u64_e32 vcc, s[10:11], v[2:3]
	v_lshlrev_b32_e32 v1, 1, v0
	s_waitcnt lgkmcnt(0)
	s_and_b32 s2, s0, 0xffff
	s_and_b64 s[0:1], vcc, exec
	s_cselect_b32 s17, s11, 0
	s_cselect_b32 s16, s10, 0x10000
	s_lshl_b32 s3, s2, 1
	s_lshl_b32 s24, s2, 2
	s_add_u32 s6, s12, s14
	s_addc_u32 s7, s13, s15
	v_mov_b32_e32 v3, s7
	v_add_co_u32_e32 v2, vcc, s6, v1
	s_mul_i32 s0, s2, 3
	v_addc_co_u32_e32 v3, vcc, 0, v3, vcc
	v_add_co_u32_e32 v1, vcc, s0, v0
	v_addc_co_u32_e64 v6, s[0:1], 0, 0, vcc
	v_add_co_u32_e32 v7, vcc, s3, v0
	v_addc_co_u32_e64 v8, s[0:1], 0, 0, vcc
	v_add_co_u32_e32 v9, vcc, s2, v0
	v_lshlrev_b32_e32 v4, 1, v9
	s_mov_b32 s23, 0
	v_addc_co_u32_e64 v10, s[0:1], 0, 0, vcc
	v_mov_b32_e32 v5, s7
	v_add_co_u32_e32 v4, vcc, s6, v4
	s_lshl_b32 s25, s2, 3
	s_mov_b32 s26, s23
	s_mul_i32 s27, s2, 6
	s_mov_b32 s28, s23
	v_addc_co_u32_e32 v5, vcc, 0, v5, vcc
	s_mov_b64 s[18:19], 0
	s_mov_b32 s29, 0xbfb8aa3b
	s_mov_b32 s30, 0x42ce8ed0
	;; [unrolled: 1-line block ×3, first 2 shown]
	s_movk_i32 s33, 0x7fff
	v_mov_b32_e32 v11, 0x7f800000
	v_mov_b32_e32 v12, 0x7fc0
	s_branch .LBB257_4
.LBB257_3:                              ;   in Loop: Header=BB257_4 Depth=1
	s_or_b64 exec, exec, s[2:3]
	s_add_u32 s18, s18, s24
	s_addc_u32 s19, s19, 0
	s_waitcnt vmcnt(0)
	v_pk_mov_b32 v[14:15], s[10:11], s[10:11] op_sel:[0,1]
	v_cmp_lt_i64_e32 vcc, s[18:19], v[14:15]
	v_mov_b32_e32 v14, 0x10000
	v_mov_b32_e32 v15, 0
	v_cmp_lt_u64_e64 s[0:1], s[18:19], v[14:15]
	s_and_b64 s[0:1], vcc, s[0:1]
	v_mov_b32_e32 v13, s26
	v_add_co_u32_e32 v2, vcc, s25, v2
	v_addc_co_u32_e32 v3, vcc, v3, v13, vcc
	v_add_co_u32_e32 v4, vcc, s25, v4
	v_addc_co_u32_e32 v5, vcc, v5, v13, vcc
	s_and_b64 vcc, exec, s[0:1]
	s_cbranch_vccz .LBB257_20
.LBB257_4:                              ; =>This Inner Loop Header: Depth=1
	v_mov_b32_e32 v13, s19
	v_add_co_u32_e32 v14, vcc, s18, v0
	v_addc_co_u32_e32 v15, vcc, 0, v13, vcc
	v_cmp_gt_u64_e32 vcc, s[16:17], v[14:15]
	v_mov_b32_e32 v16, 0
	s_and_saveexec_b64 s[0:1], vcc
	s_cbranch_execz .LBB257_6
; %bb.5:                                ;   in Loop: Header=BB257_4 Depth=1
	global_load_ushort v16, v[2:3], off
.LBB257_6:                              ;   in Loop: Header=BB257_4 Depth=1
	s_or_b64 exec, exec, s[0:1]
	v_mov_b32_e32 v13, s19
	v_add_co_u32_e64 v14, s[0:1], s18, v9
	v_addc_co_u32_e64 v15, s[0:1], v10, v13, s[0:1]
	v_cmp_gt_u64_e64 s[6:7], s[16:17], v[14:15]
	v_mov_b32_e32 v15, 0
	s_and_saveexec_b64 s[0:1], s[6:7]
	s_cbranch_execz .LBB257_8
; %bb.7:                                ;   in Loop: Header=BB257_4 Depth=1
	global_load_ushort v15, v[4:5], off
.LBB257_8:                              ;   in Loop: Header=BB257_4 Depth=1
	s_or_b64 exec, exec, s[0:1]
	v_mov_b32_e32 v13, s19
	v_add_co_u32_e64 v18, s[0:1], s18, v7
	v_addc_co_u32_e64 v19, s[0:1], v8, v13, s[0:1]
	v_cmp_gt_u64_e64 s[2:3], s[16:17], v[18:19]
	v_mov_b32_e32 v13, 0
	v_mov_b32_e32 v14, 0
	s_and_saveexec_b64 s[8:9], s[2:3]
	s_cbranch_execz .LBB257_10
; %bb.9:                                ;   in Loop: Header=BB257_4 Depth=1
	v_mov_b32_e32 v14, s23
	v_add_co_u32_e64 v18, s[0:1], s24, v2
	v_addc_co_u32_e64 v19, s[0:1], v3, v14, s[0:1]
	global_load_ushort v14, v[18:19], off
.LBB257_10:                             ;   in Loop: Header=BB257_4 Depth=1
	s_or_b64 exec, exec, s[8:9]
	v_mov_b32_e32 v17, s19
	v_add_co_u32_e64 v18, s[0:1], s18, v1
	v_addc_co_u32_e64 v19, s[0:1], v6, v17, s[0:1]
	v_cmp_gt_u64_e64 s[0:1], s[16:17], v[18:19]
	s_and_saveexec_b64 s[20:21], s[0:1]
	s_cbranch_execnz .LBB257_15
; %bb.11:                               ;   in Loop: Header=BB257_4 Depth=1
	s_or_b64 exec, exec, s[20:21]
	s_and_saveexec_b64 s[8:9], vcc
	s_cbranch_execnz .LBB257_16
.LBB257_12:                             ;   in Loop: Header=BB257_4 Depth=1
	s_or_b64 exec, exec, s[8:9]
	s_and_saveexec_b64 s[8:9], s[6:7]
	s_cbranch_execnz .LBB257_17
.LBB257_13:                             ;   in Loop: Header=BB257_4 Depth=1
	s_or_b64 exec, exec, s[8:9]
	s_and_saveexec_b64 s[6:7], s[2:3]
	s_cbranch_execnz .LBB257_18
.LBB257_14:                             ;   in Loop: Header=BB257_4 Depth=1
	s_or_b64 exec, exec, s[6:7]
	s_and_saveexec_b64 s[2:3], s[0:1]
	s_cbranch_execz .LBB257_3
	s_branch .LBB257_19
.LBB257_15:                             ;   in Loop: Header=BB257_4 Depth=1
	v_mov_b32_e32 v13, s28
	v_add_co_u32_e64 v18, s[8:9], s27, v2
	v_addc_co_u32_e64 v19, s[8:9], v3, v13, s[8:9]
	global_load_ushort v13, v[18:19], off
	s_or_b64 exec, exec, s[20:21]
	s_and_saveexec_b64 s[8:9], vcc
	s_cbranch_execz .LBB257_12
.LBB257_16:                             ;   in Loop: Header=BB257_4 Depth=1
	s_waitcnt vmcnt(0)
	v_lshlrev_b32_e32 v16, 16, v16
	v_mul_f32_e32 v17, 0xbfb8aa3b, v16
	v_rndne_f32_e32 v18, v17
	v_sub_f32_e32 v19, v17, v18
	v_fma_f32 v17, v16, s29, -v17
	v_fmac_f32_e32 v17, 0xb2a5705f, v16
	v_add_f32_e32 v17, v19, v17
	v_cvt_i32_f32_e32 v18, v18
	v_exp_f32_e32 v17, v17
	v_cmp_nlt_f32_e32 vcc, s30, v16
	v_ldexp_f32 v17, v17, v18
	v_cndmask_b32_e32 v17, 0, v17, vcc
	v_cmp_ngt_f32_e32 vcc, s31, v16
	v_cndmask_b32_e32 v16, v11, v17, vcc
	v_add_f32_e32 v16, s22, v16
	v_div_scale_f32 v17, s[20:21], v16, v16, s22
	v_rcp_f32_e32 v18, v17
	v_fma_f32 v19, -v17, v18, 1.0
	v_fmac_f32_e32 v18, v19, v18
	v_div_scale_f32 v19, vcc, s22, v16, s22
	v_mul_f32_e32 v20, v19, v18
	v_fma_f32 v21, -v17, v20, v19
	v_fmac_f32_e32 v20, v21, v18
	v_fma_f32 v17, -v17, v20, v19
	v_div_fmas_f32 v17, v17, v18, v20
	v_div_fixup_f32 v16, v17, v16, s22
	v_bfe_u32 v17, v16, 16, 1
	v_add3_u32 v17, v16, v17, s33
	v_lshrrev_b32_e32 v17, 16, v17
	v_cmp_o_f32_e32 vcc, v16, v16
	v_cndmask_b32_e32 v16, v12, v17, vcc
	global_store_short v[2:3], v16, off
	s_or_b64 exec, exec, s[8:9]
	s_and_saveexec_b64 s[8:9], s[6:7]
	s_cbranch_execz .LBB257_13
.LBB257_17:                             ;   in Loop: Header=BB257_4 Depth=1
	s_waitcnt vmcnt(0)
	v_lshlrev_b32_e32 v15, 16, v15
	v_mul_f32_e32 v16, 0xbfb8aa3b, v15
	v_rndne_f32_e32 v17, v16
	v_sub_f32_e32 v18, v16, v17
	v_fma_f32 v16, v15, s29, -v16
	v_fmac_f32_e32 v16, 0xb2a5705f, v15
	v_add_f32_e32 v16, v18, v16
	v_cvt_i32_f32_e32 v17, v17
	v_exp_f32_e32 v16, v16
	v_cmp_nlt_f32_e32 vcc, s30, v15
	v_ldexp_f32 v16, v16, v17
	v_cndmask_b32_e32 v16, 0, v16, vcc
	v_cmp_ngt_f32_e32 vcc, s31, v15
	v_cndmask_b32_e32 v15, v11, v16, vcc
	v_add_f32_e32 v15, s22, v15
	v_div_scale_f32 v16, s[6:7], v15, v15, s22
	v_rcp_f32_e32 v17, v16
	v_fma_f32 v18, -v16, v17, 1.0
	v_fmac_f32_e32 v17, v18, v17
	v_div_scale_f32 v18, vcc, s22, v15, s22
	v_mul_f32_e32 v19, v18, v17
	v_fma_f32 v20, -v16, v19, v18
	v_fmac_f32_e32 v19, v20, v17
	v_fma_f32 v16, -v16, v19, v18
	v_div_fmas_f32 v16, v16, v17, v19
	v_div_fixup_f32 v15, v16, v15, s22
	v_bfe_u32 v16, v15, 16, 1
	v_add3_u32 v16, v15, v16, s33
	v_lshrrev_b32_e32 v16, 16, v16
	v_cmp_o_f32_e32 vcc, v15, v15
	v_cndmask_b32_e32 v15, v12, v16, vcc
	global_store_short v[4:5], v15, off
	s_or_b64 exec, exec, s[8:9]
	s_and_saveexec_b64 s[6:7], s[2:3]
	s_cbranch_execz .LBB257_14
.LBB257_18:                             ;   in Loop: Header=BB257_4 Depth=1
	s_waitcnt vmcnt(0)
	v_lshlrev_b32_e32 v14, 16, v14
	v_mul_f32_e32 v15, 0xbfb8aa3b, v14
	v_rndne_f32_e32 v16, v15
	v_sub_f32_e32 v17, v15, v16
	v_fma_f32 v15, v14, s29, -v15
	v_fmac_f32_e32 v15, 0xb2a5705f, v14
	v_add_f32_e32 v15, v17, v15
	v_cvt_i32_f32_e32 v16, v16
	v_exp_f32_e32 v15, v15
	v_cmp_nlt_f32_e32 vcc, s30, v14
	v_ldexp_f32 v15, v15, v16
	v_cndmask_b32_e32 v15, 0, v15, vcc
	v_cmp_ngt_f32_e32 vcc, s31, v14
	v_cndmask_b32_e32 v14, v11, v15, vcc
	v_add_f32_e32 v14, s22, v14
	v_div_scale_f32 v15, s[2:3], v14, v14, s22
	v_rcp_f32_e32 v16, v15
	v_fma_f32 v17, -v15, v16, 1.0
	v_fmac_f32_e32 v16, v17, v16
	v_div_scale_f32 v17, vcc, s22, v14, s22
	v_mul_f32_e32 v18, v17, v16
	v_fma_f32 v19, -v15, v18, v17
	v_fmac_f32_e32 v18, v19, v16
	v_fma_f32 v15, -v15, v18, v17
	v_div_fmas_f32 v15, v15, v16, v18
	v_div_fixup_f32 v14, v15, v14, s22
	v_bfe_u32 v15, v14, 16, 1
	v_add3_u32 v15, v14, v15, s33
	v_lshrrev_b32_e32 v15, 16, v15
	v_cmp_o_f32_e32 vcc, v14, v14
	v_cndmask_b32_e32 v16, v12, v15, vcc
	v_mov_b32_e32 v15, s23
	v_add_co_u32_e32 v14, vcc, s24, v2
	v_addc_co_u32_e32 v15, vcc, v3, v15, vcc
	global_store_short v[14:15], v16, off
	s_or_b64 exec, exec, s[6:7]
	s_and_saveexec_b64 s[2:3], s[0:1]
	s_cbranch_execz .LBB257_3
.LBB257_19:                             ;   in Loop: Header=BB257_4 Depth=1
	s_waitcnt vmcnt(0)
	v_lshlrev_b32_e32 v13, 16, v13
	v_mul_f32_e32 v14, 0xbfb8aa3b, v13
	v_rndne_f32_e32 v15, v14
	v_sub_f32_e32 v16, v14, v15
	v_fma_f32 v14, v13, s29, -v14
	v_fmac_f32_e32 v14, 0xb2a5705f, v13
	v_add_f32_e32 v14, v16, v14
	v_cvt_i32_f32_e32 v15, v15
	v_exp_f32_e32 v14, v14
	v_cmp_nlt_f32_e32 vcc, s30, v13
	v_ldexp_f32 v14, v14, v15
	v_cndmask_b32_e32 v14, 0, v14, vcc
	v_cmp_ngt_f32_e32 vcc, s31, v13
	v_cndmask_b32_e32 v13, v11, v14, vcc
	v_add_f32_e32 v13, s22, v13
	v_div_scale_f32 v14, s[0:1], v13, v13, s22
	v_rcp_f32_e32 v15, v14
	v_fma_f32 v16, -v14, v15, 1.0
	v_fmac_f32_e32 v15, v16, v15
	v_div_scale_f32 v16, vcc, s22, v13, s22
	v_mul_f32_e32 v17, v16, v15
	v_fma_f32 v18, -v14, v17, v16
	v_fmac_f32_e32 v17, v18, v15
	v_fma_f32 v14, -v14, v17, v16
	v_div_fmas_f32 v14, v14, v15, v17
	v_div_fixup_f32 v13, v14, v13, s22
	v_bfe_u32 v14, v13, 16, 1
	v_add3_u32 v14, v13, v14, s33
	v_lshrrev_b32_e32 v14, 16, v14
	v_cmp_o_f32_e32 vcc, v13, v13
	v_cndmask_b32_e32 v13, v12, v14, vcc
	v_mov_b32_e32 v15, s28
	v_add_co_u32_e32 v14, vcc, s27, v2
	v_addc_co_u32_e32 v15, vcc, v3, v15, vcc
	global_store_short v[14:15], v13, off
	s_branch .LBB257_3
.LBB257_20:
	s_cbranch_execz .LBB257_22
	s_branch .LBB257_25
.LBB257_21:
.LBB257_22:
	v_mov_b32_e32 v3, 0
	v_lshlrev_b32_e32 v2, 2, v0
	s_mov_b32 s0, 0
	v_cmp_gt_i64_e32 vcc, s[10:11], v[2:3]
	s_and_saveexec_b64 s[2:3], vcc
	s_cbranch_execz .LBB257_25
; %bb.23:
	s_load_dword s1, s[4:5], 0xd3c
	v_lshlrev_b32_e32 v1, 3, v0
	s_mov_b64 s[4:5], 0
	v_mov_b32_e32 v6, 0x7fc0
	s_mov_b64 s[6:7], 0xffff
	s_waitcnt lgkmcnt(0)
	s_and_b32 s1, s1, 0xffff
	s_add_u32 s2, s12, s14
	s_addc_u32 s3, s13, s15
	v_mov_b32_e32 v2, s3
	v_add_co_u32_e32 v4, vcc, s2, v1
	v_addc_co_u32_e32 v5, vcc, 0, v2, vcc
	s_lshl_b32 s8, s1, 3
	v_add_lshl_u32 v2, v0, s1, 2
	s_lshl_b32 s9, s1, 2
	s_mov_b32 s12, 0xbfb8aa3b
	s_mov_b32 s13, 0x42ce8ed0
	;; [unrolled: 1-line block ×3, first 2 shown]
	v_mov_b32_e32 v0, 0x7f800000
	s_movk_i32 s15, 0x7fff
	v_mov_b32_e32 v1, 0x7fc00000
	v_mov_b32_e32 v7, s0
	;; [unrolled: 1-line block ×3, first 2 shown]
.LBB257_24:                             ; =>This Inner Loop Header: Depth=1
	global_load_dwordx2 v[10:11], v[4:5], off
	s_waitcnt vmcnt(0)
	v_lshlrev_b32_e32 v12, 16, v10
	v_and_b32_e32 v9, 0xffff0000, v10
	v_mul_f32_e32 v13, 0xbfb8aa3b, v12
	v_alignbit_b32 v10, v11, v10, 16
	v_and_b32_e32 v11, 0xffff0000, v11
	v_mul_f32_e32 v14, 0xbfb8aa3b, v9
	v_fma_f32 v16, v12, s12, -v13
	v_rndne_f32_e32 v17, v13
	v_mul_f32_e32 v15, 0xbfb8aa3b, v11
	v_fma_f32 v18, v9, s12, -v14
	v_rndne_f32_e32 v19, v14
	v_fmac_f32_e32 v16, 0xb2a5705f, v12
	v_sub_f32_e32 v13, v13, v17
	v_fma_f32 v21, v11, s12, -v15
	v_rndne_f32_e32 v22, v15
	v_fmac_f32_e32 v18, 0xb2a5705f, v9
	v_sub_f32_e32 v14, v14, v19
	v_add_f32_e32 v13, v13, v16
	v_and_b32_e32 v10, 0xffff0000, v10
	v_cvt_i32_f32_e32 v17, v17
	v_fmac_f32_e32 v21, 0xb2a5705f, v11
	v_sub_f32_e32 v15, v15, v22
	v_add_f32_e32 v14, v14, v18
	v_exp_f32_e32 v13, v13
	v_mul_f32_e32 v20, 0xbfb8aa3b, v10
	v_cvt_i32_f32_e32 v19, v19
	v_add_f32_e32 v15, v15, v21
	v_exp_f32_e32 v14, v14
	v_fma_f32 v23, v10, s12, -v20
	v_rndne_f32_e32 v24, v20
	v_cvt_i32_f32_e32 v22, v22
	v_exp_f32_e32 v15, v15
	v_fmac_f32_e32 v23, 0xb2a5705f, v10
	v_sub_f32_e32 v16, v20, v24
	v_add_f32_e32 v16, v16, v23
	v_ldexp_f32 v13, v13, v17
	v_cmp_nlt_f32_e32 vcc, s13, v12
	v_cvt_i32_f32_e32 v18, v24
	v_exp_f32_e32 v16, v16
	v_ldexp_f32 v14, v14, v19
	v_cndmask_b32_e32 v13, 0, v13, vcc
	v_cmp_nlt_f32_e32 vcc, s13, v9
	v_ldexp_f32 v15, v15, v22
	v_cndmask_b32_e32 v14, 0, v14, vcc
	v_cmp_nlt_f32_e32 vcc, s13, v11
	v_cndmask_b32_e32 v15, 0, v15, vcc
	v_cmp_ngt_f32_e32 vcc, s14, v12
	v_cndmask_b32_e32 v12, v0, v13, vcc
	v_cmp_ngt_f32_e32 vcc, s14, v9
	v_ldexp_f32 v16, v16, v18
	v_cndmask_b32_e32 v9, v0, v14, vcc
	v_cmp_nlt_f32_e32 vcc, s13, v10
	v_cndmask_b32_e32 v13, 0, v16, vcc
	v_cmp_ngt_f32_e32 vcc, s14, v11
	v_cndmask_b32_e32 v11, v0, v15, vcc
	v_add_f32_e32 v12, s22, v12
	v_cmp_ngt_f32_e32 vcc, s14, v10
	v_add_f32_e32 v9, s22, v9
	v_cndmask_b32_e32 v10, v0, v13, vcc
	v_div_scale_f32 v13, s[0:1], v12, v12, s22
	v_div_scale_f32 v15, s[0:1], v9, v9, s22
	v_add_f32_e32 v10, s22, v10
	v_rcp_f32_e32 v17, v13
	v_rcp_f32_e32 v18, v15
	v_div_scale_f32 v19, s[2:3], v10, v10, s22
	v_rcp_f32_e32 v21, v19
	v_fma_f32 v22, -v13, v17, 1.0
	v_div_scale_f32 v14, vcc, s22, v12, s22
	v_fma_f32 v23, -v15, v18, 1.0
	v_fmac_f32_e32 v17, v22, v17
	v_div_scale_f32 v16, s[0:1], s22, v9, s22
	v_fmac_f32_e32 v18, v23, v18
	v_fma_f32 v22, -v19, v21, 1.0
	v_mul_f32_e32 v23, v14, v17
	v_mul_f32_e32 v24, v16, v18
	v_fmac_f32_e32 v21, v22, v21
	v_fma_f32 v22, -v13, v23, v14
	v_div_scale_f32 v20, s[2:3], s22, v10, s22
	v_fma_f32 v25, -v15, v24, v16
	v_fmac_f32_e32 v23, v22, v17
	v_mul_f32_e32 v26, v20, v21
	v_fmac_f32_e32 v24, v25, v18
	v_fma_f32 v13, -v13, v23, v14
	v_fma_f32 v22, -v19, v26, v20
	;; [unrolled: 1-line block ×3, first 2 shown]
	v_div_fmas_f32 v13, v13, v17, v23
	s_mov_b64 vcc, s[0:1]
	v_fmac_f32_e32 v26, v22, v21
	v_div_fixup_f32 v12, v13, v12, s22
	v_div_fmas_f32 v13, v14, v18, v24
	v_fma_f32 v15, -v19, v26, v20
	v_bfe_u32 v14, v12, 16, 1
	v_div_fixup_f32 v9, v13, v9, s22
	s_mov_b64 vcc, s[2:3]
	v_add_f32_e32 v11, s22, v11
	v_div_fmas_f32 v13, v15, v21, v26
	v_add3_u32 v14, v12, v14, s15
	v_bfe_u32 v15, v9, 16, 1
	v_div_fixup_f32 v10, v13, v10, s22
	v_lshrrev_b32_e32 v13, 16, v14
	v_add3_u32 v14, v9, v15, s15
	v_div_scale_f32 v15, s[0:1], v11, v11, s22
	v_rcp_f32_e32 v16, v15
	v_bfe_u32 v17, v10, 16, 1
	v_add3_u32 v17, v10, v17, s15
	v_lshrrev_b32_e32 v17, 16, v17
	v_fma_f32 v18, -v15, v16, 1.0
	v_fmac_f32_e32 v16, v18, v16
	v_div_scale_f32 v18, vcc, s22, v11, s22
	v_mul_f32_e32 v19, v18, v16
	v_fma_f32 v20, -v15, v19, v18
	v_fmac_f32_e32 v19, v20, v16
	v_fma_f32 v15, -v15, v19, v18
	v_div_fmas_f32 v15, v15, v16, v19
	v_div_fixup_f32 v11, v15, v11, s22
	v_bfe_u32 v15, v11, 16, 1
	v_add3_u32 v15, v11, v15, s15
	v_and_b32_e32 v15, 0xffff0000, v15
	v_cmp_o_f32_e32 vcc, v11, v11
	v_cndmask_b32_e32 v11, v1, v15, vcc
	v_cmp_o_f32_e32 vcc, v10, v10
	v_and_b32_e32 v14, 0xffff0000, v14
	v_cndmask_b32_e32 v10, v6, v17, vcc
	v_cmp_o_f32_e32 vcc, v9, v9
	v_cndmask_b32_e32 v9, v1, v14, vcc
	v_cmp_o_f32_e32 vcc, v12, v12
	v_cndmask_b32_e32 v12, v6, v13, vcc
	v_or_b32_e32 v9, v12, v9
	v_or3_b32 v11, 0, v10, v11
	v_or3_b32 v10, v9, 0, 0
	v_cmp_le_i64_e32 vcc, s[10:11], v[2:3]
	v_cmp_lt_u64_e64 s[0:1], s[6:7], v[2:3]
	global_store_dwordx2 v[4:5], v[10:11], off
	s_or_b64 s[0:1], vcc, s[0:1]
	v_add_co_u32_e32 v4, vcc, s8, v4
	v_addc_co_u32_e32 v5, vcc, v5, v7, vcc
	s_and_b64 s[0:1], exec, s[0:1]
	v_add_co_u32_e32 v2, vcc, s9, v2
	s_or_b64 s[4:5], s[0:1], s[4:5]
	v_addc_co_u32_e32 v3, vcc, v3, v8, vcc
	s_andn2_b64 exec, exec, s[4:5]
	s_cbranch_execnz .LBB257_24
.LBB257_25:
	s_endpgm
	.section	.rodata,"a",@progbits
	.p2align	6, 0x0
	.amdhsa_kernel _ZN2at6native12_GLOBAL__N_125multi_tensor_apply_kernelINS1_18TensorListMetadataILi1EEENS1_14UnaryOpFunctorIN3c108BFloat16ELi1ELi1ELi0EEEJNS0_7SigmoidIfEEEEEvT_T0_DpT1_
		.amdhsa_group_segment_fixed_size 0
		.amdhsa_private_segment_fixed_size 0
		.amdhsa_kernarg_size 3632
		.amdhsa_user_sgpr_count 6
		.amdhsa_user_sgpr_private_segment_buffer 1
		.amdhsa_user_sgpr_dispatch_ptr 0
		.amdhsa_user_sgpr_queue_ptr 0
		.amdhsa_user_sgpr_kernarg_segment_ptr 1
		.amdhsa_user_sgpr_dispatch_id 0
		.amdhsa_user_sgpr_flat_scratch_init 0
		.amdhsa_user_sgpr_kernarg_preload_length 0
		.amdhsa_user_sgpr_kernarg_preload_offset 0
		.amdhsa_user_sgpr_private_segment_size 0
		.amdhsa_uses_dynamic_stack 0
		.amdhsa_system_sgpr_private_segment_wavefront_offset 0
		.amdhsa_system_sgpr_workgroup_id_x 1
		.amdhsa_system_sgpr_workgroup_id_y 0
		.amdhsa_system_sgpr_workgroup_id_z 0
		.amdhsa_system_sgpr_workgroup_info 0
		.amdhsa_system_vgpr_workitem_id 0
		.amdhsa_next_free_vgpr 27
		.amdhsa_next_free_sgpr 34
		.amdhsa_accum_offset 28
		.amdhsa_reserve_vcc 1
		.amdhsa_reserve_flat_scratch 0
		.amdhsa_float_round_mode_32 0
		.amdhsa_float_round_mode_16_64 0
		.amdhsa_float_denorm_mode_32 3
		.amdhsa_float_denorm_mode_16_64 3
		.amdhsa_dx10_clamp 1
		.amdhsa_ieee_mode 1
		.amdhsa_fp16_overflow 0
		.amdhsa_tg_split 0
		.amdhsa_exception_fp_ieee_invalid_op 0
		.amdhsa_exception_fp_denorm_src 0
		.amdhsa_exception_fp_ieee_div_zero 0
		.amdhsa_exception_fp_ieee_overflow 0
		.amdhsa_exception_fp_ieee_underflow 0
		.amdhsa_exception_fp_ieee_inexact 0
		.amdhsa_exception_int_div_zero 0
	.end_amdhsa_kernel
	.section	.text._ZN2at6native12_GLOBAL__N_125multi_tensor_apply_kernelINS1_18TensorListMetadataILi1EEENS1_14UnaryOpFunctorIN3c108BFloat16ELi1ELi1ELi0EEEJNS0_7SigmoidIfEEEEEvT_T0_DpT1_,"axG",@progbits,_ZN2at6native12_GLOBAL__N_125multi_tensor_apply_kernelINS1_18TensorListMetadataILi1EEENS1_14UnaryOpFunctorIN3c108BFloat16ELi1ELi1ELi0EEEJNS0_7SigmoidIfEEEEEvT_T0_DpT1_,comdat
.Lfunc_end257:
	.size	_ZN2at6native12_GLOBAL__N_125multi_tensor_apply_kernelINS1_18TensorListMetadataILi1EEENS1_14UnaryOpFunctorIN3c108BFloat16ELi1ELi1ELi0EEEJNS0_7SigmoidIfEEEEEvT_T0_DpT1_, .Lfunc_end257-_ZN2at6native12_GLOBAL__N_125multi_tensor_apply_kernelINS1_18TensorListMetadataILi1EEENS1_14UnaryOpFunctorIN3c108BFloat16ELi1ELi1ELi0EEEJNS0_7SigmoidIfEEEEEvT_T0_DpT1_
                                        ; -- End function
	.section	.AMDGPU.csdata,"",@progbits
; Kernel info:
; codeLenInByte = 2548
; NumSgprs: 38
; NumVgprs: 27
; NumAgprs: 0
; TotalNumVgprs: 27
; ScratchSize: 0
; MemoryBound: 0
; FloatMode: 240
; IeeeMode: 1
; LDSByteSize: 0 bytes/workgroup (compile time only)
; SGPRBlocks: 4
; VGPRBlocks: 3
; NumSGPRsForWavesPerEU: 38
; NumVGPRsForWavesPerEU: 27
; AccumOffset: 28
; Occupancy: 8
; WaveLimiterHint : 0
; COMPUTE_PGM_RSRC2:SCRATCH_EN: 0
; COMPUTE_PGM_RSRC2:USER_SGPR: 6
; COMPUTE_PGM_RSRC2:TRAP_HANDLER: 0
; COMPUTE_PGM_RSRC2:TGID_X_EN: 1
; COMPUTE_PGM_RSRC2:TGID_Y_EN: 0
; COMPUTE_PGM_RSRC2:TGID_Z_EN: 0
; COMPUTE_PGM_RSRC2:TIDIG_COMP_CNT: 0
; COMPUTE_PGM_RSRC3_GFX90A:ACCUM_OFFSET: 6
; COMPUTE_PGM_RSRC3_GFX90A:TG_SPLIT: 0
	.section	.text._ZN2at6native12_GLOBAL__N_125multi_tensor_apply_kernelINS1_18TensorListMetadataILi2EEENS1_14UnaryOpFunctorIdLi2ELi1ELi1EEEJNS0_5RoundIdEEEEEvT_T0_DpT1_,"axG",@progbits,_ZN2at6native12_GLOBAL__N_125multi_tensor_apply_kernelINS1_18TensorListMetadataILi2EEENS1_14UnaryOpFunctorIdLi2ELi1ELi1EEEJNS0_5RoundIdEEEEEvT_T0_DpT1_,comdat
	.globl	_ZN2at6native12_GLOBAL__N_125multi_tensor_apply_kernelINS1_18TensorListMetadataILi2EEENS1_14UnaryOpFunctorIdLi2ELi1ELi1EEEJNS0_5RoundIdEEEEEvT_T0_DpT1_ ; -- Begin function _ZN2at6native12_GLOBAL__N_125multi_tensor_apply_kernelINS1_18TensorListMetadataILi2EEENS1_14UnaryOpFunctorIdLi2ELi1ELi1EEEJNS0_5RoundIdEEEEEvT_T0_DpT1_
	.p2align	8
	.type	_ZN2at6native12_GLOBAL__N_125multi_tensor_apply_kernelINS1_18TensorListMetadataILi2EEENS1_14UnaryOpFunctorIdLi2ELi1ELi1EEEJNS0_5RoundIdEEEEEvT_T0_DpT1_,@function
_ZN2at6native12_GLOBAL__N_125multi_tensor_apply_kernelINS1_18TensorListMetadataILi2EEENS1_14UnaryOpFunctorIdLi2ELi1ELi1EEEJNS0_5RoundIdEEEEEvT_T0_DpT1_: ; @_ZN2at6native12_GLOBAL__N_125multi_tensor_apply_kernelINS1_18TensorListMetadataILi2EEENS1_14UnaryOpFunctorIdLi2ELi1ELi1EEEJNS0_5RoundIdEEEEEvT_T0_DpT1_
; %bb.0:
	v_mov_b32_e32 v1, s6
	global_load_ubyte v1, v1, s[4:5] offset:1536
	s_add_u32 s0, s4, s6
	s_mul_hi_u32 s2, s6, 3
	s_mul_i32 s6, s6, 3
	s_addc_u32 s7, s5, 0
	s_add_u32 s6, s0, s6
	s_addc_u32 s7, s7, s2
	s_load_dword s12, s[6:7], 0x740
	s_mov_b32 s1, 0
	s_mov_b32 s11, s1
	;; [unrolled: 1-line block ×3, first 2 shown]
	s_waitcnt lgkmcnt(0)
	s_ashr_i32 s13, s12, 31
	s_lshl_b64 s[8:9], s[12:13], 19
	s_waitcnt vmcnt(0)
	v_readfirstlane_b32 s0, v1
	s_lshl_b32 s0, s0, 3
	s_load_dwordx2 s[14:15], s[4:5], s0 offset:0x0
	s_load_dwordx2 s[16:17], s[4:5], s0 offset:0x400
	;; [unrolled: 1-line block ×3, first 2 shown]
	s_waitcnt lgkmcnt(0)
	s_add_u32 s20, s14, s8
	s_addc_u32 s21, s15, s9
	s_and_b32 s0, s20, 31
	s_add_u32 s22, s6, s8
	s_addc_u32 s23, s7, s9
	s_and_b32 s10, s16, 3
	s_and_b32 s2, s22, 31
	s_or_b64 s[10:11], s[0:1], s[10:11]
	s_or_b64 s[2:3], s[2:3], s[10:11]
	s_lshl_b64 s[10:11], s[12:13], 16
	s_sub_u32 s10, s16, s10
	s_subb_u32 s11, s17, s11
	s_cmp_eq_u64 s[2:3], 0
	s_mov_b64 s[2:3], -1
	s_cbranch_scc0 .LBB258_5
; %bb.1:
	v_mov_b32_e32 v3, 0
	v_lshlrev_b32_e32 v2, 2, v0
	v_cmp_gt_i64_e32 vcc, s[10:11], v[2:3]
	s_and_saveexec_b64 s[12:13], vcc
	s_cbranch_execz .LBB258_4
; %bb.2:
	s_load_dword s0, s[4:5], 0xc5c
	v_lshlrev_b32_e32 v4, 5, v0
	s_mov_b64 s[16:17], 0
	s_mov_b64 s[18:19], 0xffff
	v_mov_b32_e32 v1, s1
	s_waitcnt lgkmcnt(0)
	s_and_b32 s0, s0, 0xffff
	v_add_lshl_u32 v2, v0, s0, 2
	s_lshl_b32 s24, s0, 2
	s_lshl_b32 s25, s0, 5
.LBB258_3:                              ; =>This Inner Loop Header: Depth=1
	v_mov_b32_e32 v5, s21
	v_add_co_u32_e32 v14, vcc, s20, v4
	v_addc_co_u32_e32 v15, vcc, 0, v5, vcc
	global_load_dwordx4 v[6:9], v[14:15], off
	global_load_dwordx4 v[10:13], v[14:15], off offset:16
	v_cmp_le_i64_e32 vcc, s[10:11], v[2:3]
	v_cmp_lt_u64_e64 s[0:1], s[18:19], v[2:3]
	s_or_b64 s[0:1], vcc, s[0:1]
	v_add_co_u32_e64 v2, s[2:3], s24, v2
	s_add_u32 s20, s20, s25
	v_addc_co_u32_e64 v3, s[2:3], v3, v1, s[2:3]
	s_addc_u32 s21, s21, 0
	v_add_co_u32_e64 v14, s[2:3], s22, v4
	s_add_u32 s22, s22, s25
	v_mov_b32_e32 v5, s23
	s_addc_u32 s23, s23, 0
	s_and_b64 s[0:1], exec, s[0:1]
	v_addc_co_u32_e64 v15, s[2:3], 0, v5, s[2:3]
	s_or_b64 s[16:17], s[0:1], s[16:17]
	s_waitcnt vmcnt(1)
	v_rndne_f64_e32 v[6:7], v[6:7]
	v_rndne_f64_e32 v[8:9], v[8:9]
	s_waitcnt vmcnt(0)
	v_rndne_f64_e32 v[10:11], v[10:11]
	v_rndne_f64_e32 v[12:13], v[12:13]
	global_store_dwordx4 v[14:15], v[6:9], off
	global_store_dwordx4 v[14:15], v[10:13], off offset:16
	s_andn2_b64 exec, exec, s[16:17]
	s_cbranch_execnz .LBB258_3
.LBB258_4:
	s_or_b64 exec, exec, s[12:13]
	s_mov_b64 s[2:3], 0
.LBB258_5:
	s_andn2_b64 vcc, exec, s[2:3]
	s_cbranch_vccnz .LBB258_25
; %bb.6:
	v_cmp_lt_i64_e64 s[0:1], s[10:11], 1
	s_and_b64 vcc, exec, s[0:1]
	s_cbranch_vccnz .LBB258_25
; %bb.7:
	s_load_dword s0, s[4:5], 0xc5c
	v_mov_b32_e32 v2, 0x10000
	v_mov_b32_e32 v3, 0
	v_cmp_lt_u64_e32 vcc, s[10:11], v[2:3]
	v_lshlrev_b32_e32 v10, 3, v0
	s_waitcnt lgkmcnt(0)
	s_and_b32 s2, s0, 0xffff
	s_and_b64 s[0:1], vcc, exec
	v_mov_b32_e32 v13, s15
	v_add_co_u32_e32 v2, vcc, s14, v10
	v_addc_co_u32_e32 v1, vcc, 0, v13, vcc
	v_mov_b32_e32 v11, 0
	v_mov_b32_e32 v15, s7
	v_add_co_u32_e32 v4, vcc, s6, v10
	v_addc_co_u32_e32 v3, vcc, 0, v15, vcc
	v_mad_u64_u32 v[8:9], s[0:1], s2, 24, v[10:11]
	v_add_co_u32_e32 v6, vcc, s14, v8
	v_addc_co_u32_e32 v5, vcc, v13, v9, vcc
	v_add_co_u32_e32 v8, vcc, s6, v8
	s_mul_i32 s4, s2, 3
	v_addc_co_u32_e32 v7, vcc, v15, v9, vcc
	v_add_co_u32_e32 v17, vcc, s4, v0
	v_addc_co_u32_e64 v26, s[0:1], 0, 0, vcc
	s_cselect_b32 s13, s11, 0
	s_cselect_b32 s12, s10, 0x10000
	s_lshl_b32 s0, s2, 4
	v_add_co_u32_e32 v11, vcc, s0, v10
	v_addc_co_u32_e64 v14, s[0:1], 0, 0, vcc
	v_add_co_u32_e32 v10, vcc, s14, v11
	v_addc_co_u32_e32 v9, vcc, v13, v14, vcc
	v_add_co_u32_e32 v12, vcc, s6, v11
	s_lshl_b32 s3, s2, 1
	v_addc_co_u32_e32 v11, vcc, v15, v14, vcc
	v_add_co_u32_e32 v27, vcc, s3, v0
	v_addc_co_u32_e64 v28, s[0:1], 0, 0, vcc
	v_add_co_u32_e32 v29, vcc, s2, v0
	v_lshlrev_b32_e32 v16, 3, v29
	v_addc_co_u32_e64 v30, s[0:1], 0, 0, vcc
	v_add_co_u32_e32 v14, vcc, s14, v16
	v_addc_co_u32_e32 v13, vcc, 0, v13, vcc
	v_add_co_u32_e32 v16, vcc, s6, v16
	s_mov_b32 s18, 0
	s_lshl_b32 s19, s2, 2
	s_lshl_b32 s20, s2, 5
	v_addc_co_u32_e32 v15, vcc, 0, v15, vcc
	s_mov_b64 s[14:15], 0
	s_branch .LBB258_9
.LBB258_8:                              ;   in Loop: Header=BB258_9 Depth=1
	s_or_b64 exec, exec, s[0:1]
	s_add_u32 s14, s14, s19
	s_addc_u32 s15, s15, 0
	s_waitcnt vmcnt(0)
	v_pk_mov_b32 v[18:19], s[10:11], s[10:11] op_sel:[0,1]
	v_cmp_ge_i64_e32 vcc, s[14:15], v[18:19]
	v_mov_b32_e32 v18, 0xffff
	v_mov_b32_e32 v19, 0
	v_cmp_gt_u64_e64 s[0:1], s[14:15], v[18:19]
	s_or_b64 s[0:1], vcc, s[0:1]
	v_mov_b32_e32 v18, s18
	v_add_co_u32_e32 v2, vcc, s20, v2
	v_addc_co_u32_e32 v1, vcc, v1, v18, vcc
	v_add_co_u32_e32 v4, vcc, s20, v4
	v_addc_co_u32_e32 v3, vcc, v3, v18, vcc
	;; [unrolled: 2-line block ×8, first 2 shown]
	s_and_b64 vcc, exec, s[0:1]
	s_cbranch_vccnz .LBB258_25
.LBB258_9:                              ; =>This Inner Loop Header: Depth=1
	v_mov_b32_e32 v19, s15
	v_add_co_u32_e32 v18, vcc, s14, v0
	v_addc_co_u32_e32 v19, vcc, 0, v19, vcc
	v_cmp_gt_u64_e32 vcc, s[12:13], v[18:19]
	v_pk_mov_b32 v[18:19], 0, 0
	v_pk_mov_b32 v[20:21], v[18:19], v[18:19] op_sel:[0,1]
	s_and_saveexec_b64 s[2:3], vcc
	s_cbranch_execz .LBB258_11
; %bb.10:                               ;   in Loop: Header=BB258_9 Depth=1
	v_mov_b32_e32 v21, s9
	v_add_co_u32_e64 v20, s[0:1], s8, v2
	v_addc_co_u32_e64 v21, s[0:1], v1, v21, s[0:1]
	global_load_dwordx2 v[20:21], v[20:21], off
.LBB258_11:                             ;   in Loop: Header=BB258_9 Depth=1
	s_or_b64 exec, exec, s[2:3]
	v_mov_b32_e32 v23, s15
	v_add_co_u32_e64 v22, s[0:1], s14, v29
	v_addc_co_u32_e64 v23, s[0:1], v30, v23, s[0:1]
	v_cmp_gt_u64_e64 s[0:1], s[12:13], v[22:23]
	s_and_saveexec_b64 s[4:5], s[0:1]
	s_cbranch_execz .LBB258_13
; %bb.12:                               ;   in Loop: Header=BB258_9 Depth=1
	v_mov_b32_e32 v19, s9
	v_add_co_u32_e64 v18, s[2:3], s8, v14
	v_addc_co_u32_e64 v19, s[2:3], v13, v19, s[2:3]
	global_load_dwordx2 v[18:19], v[18:19], off
.LBB258_13:                             ;   in Loop: Header=BB258_9 Depth=1
	s_or_b64 exec, exec, s[4:5]
	v_mov_b32_e32 v23, s15
	v_add_co_u32_e64 v22, s[2:3], s14, v27
	v_addc_co_u32_e64 v23, s[2:3], v28, v23, s[2:3]
	v_cmp_gt_u64_e64 s[2:3], s[12:13], v[22:23]
	v_pk_mov_b32 v[22:23], 0, 0
	v_pk_mov_b32 v[24:25], v[22:23], v[22:23] op_sel:[0,1]
	s_and_saveexec_b64 s[6:7], s[2:3]
	s_cbranch_execz .LBB258_15
; %bb.14:                               ;   in Loop: Header=BB258_9 Depth=1
	v_mov_b32_e32 v25, s9
	v_add_co_u32_e64 v24, s[4:5], s8, v10
	v_addc_co_u32_e64 v25, s[4:5], v9, v25, s[4:5]
	global_load_dwordx2 v[24:25], v[24:25], off
.LBB258_15:                             ;   in Loop: Header=BB258_9 Depth=1
	s_or_b64 exec, exec, s[6:7]
	v_mov_b32_e32 v31, s15
	v_add_co_u32_e64 v32, s[4:5], s14, v17
	v_addc_co_u32_e64 v33, s[4:5], v26, v31, s[4:5]
	v_cmp_gt_u64_e64 s[4:5], s[12:13], v[32:33]
	s_and_saveexec_b64 s[16:17], s[4:5]
	s_cbranch_execnz .LBB258_20
; %bb.16:                               ;   in Loop: Header=BB258_9 Depth=1
	s_or_b64 exec, exec, s[16:17]
	s_and_saveexec_b64 s[6:7], vcc
	s_cbranch_execnz .LBB258_21
.LBB258_17:                             ;   in Loop: Header=BB258_9 Depth=1
	s_or_b64 exec, exec, s[6:7]
	s_and_saveexec_b64 s[6:7], s[0:1]
	s_cbranch_execnz .LBB258_22
.LBB258_18:                             ;   in Loop: Header=BB258_9 Depth=1
	s_or_b64 exec, exec, s[6:7]
	s_and_saveexec_b64 s[0:1], s[2:3]
	s_cbranch_execnz .LBB258_23
.LBB258_19:                             ;   in Loop: Header=BB258_9 Depth=1
	s_or_b64 exec, exec, s[0:1]
	s_and_saveexec_b64 s[0:1], s[4:5]
	s_cbranch_execz .LBB258_8
	s_branch .LBB258_24
.LBB258_20:                             ;   in Loop: Header=BB258_9 Depth=1
	v_mov_b32_e32 v23, s9
	v_add_co_u32_e64 v22, s[6:7], s8, v6
	v_addc_co_u32_e64 v23, s[6:7], v5, v23, s[6:7]
	global_load_dwordx2 v[22:23], v[22:23], off
	s_or_b64 exec, exec, s[16:17]
	s_and_saveexec_b64 s[6:7], vcc
	s_cbranch_execz .LBB258_17
.LBB258_21:                             ;   in Loop: Header=BB258_9 Depth=1
	v_mov_b32_e32 v31, s9
	v_add_co_u32_e32 v32, vcc, s8, v4
	v_addc_co_u32_e32 v33, vcc, v3, v31, vcc
	s_waitcnt vmcnt(0)
	v_rndne_f64_e32 v[20:21], v[20:21]
	global_store_dwordx2 v[32:33], v[20:21], off
	s_or_b64 exec, exec, s[6:7]
	s_and_saveexec_b64 s[6:7], s[0:1]
	s_cbranch_execz .LBB258_18
.LBB258_22:                             ;   in Loop: Header=BB258_9 Depth=1
	s_waitcnt vmcnt(0)
	v_mov_b32_e32 v21, s9
	v_add_co_u32_e32 v20, vcc, s8, v16
	v_rndne_f64_e32 v[18:19], v[18:19]
	v_addc_co_u32_e32 v21, vcc, v15, v21, vcc
	global_store_dwordx2 v[20:21], v[18:19], off
	s_or_b64 exec, exec, s[6:7]
	s_and_saveexec_b64 s[0:1], s[2:3]
	s_cbranch_execz .LBB258_19
.LBB258_23:                             ;   in Loop: Header=BB258_9 Depth=1
	s_waitcnt vmcnt(0)
	v_mov_b32_e32 v21, s9
	v_add_co_u32_e32 v20, vcc, s8, v12
	v_rndne_f64_e32 v[18:19], v[24:25]
	v_addc_co_u32_e32 v21, vcc, v11, v21, vcc
	global_store_dwordx2 v[20:21], v[18:19], off
	s_or_b64 exec, exec, s[0:1]
	s_and_saveexec_b64 s[0:1], s[4:5]
	s_cbranch_execz .LBB258_8
.LBB258_24:                             ;   in Loop: Header=BB258_9 Depth=1
	s_waitcnt vmcnt(0)
	v_mov_b32_e32 v21, s9
	v_add_co_u32_e32 v20, vcc, s8, v8
	v_rndne_f64_e32 v[18:19], v[22:23]
	v_addc_co_u32_e32 v21, vcc, v7, v21, vcc
	global_store_dwordx2 v[20:21], v[18:19], off
	s_branch .LBB258_8
.LBB258_25:
	s_endpgm
	.section	.rodata,"a",@progbits
	.p2align	6, 0x0
	.amdhsa_kernel _ZN2at6native12_GLOBAL__N_125multi_tensor_apply_kernelINS1_18TensorListMetadataILi2EEENS1_14UnaryOpFunctorIdLi2ELi1ELi1EEEJNS0_5RoundIdEEEEEvT_T0_DpT1_
		.amdhsa_group_segment_fixed_size 0
		.amdhsa_private_segment_fixed_size 0
		.amdhsa_kernarg_size 3408
		.amdhsa_user_sgpr_count 6
		.amdhsa_user_sgpr_private_segment_buffer 1
		.amdhsa_user_sgpr_dispatch_ptr 0
		.amdhsa_user_sgpr_queue_ptr 0
		.amdhsa_user_sgpr_kernarg_segment_ptr 1
		.amdhsa_user_sgpr_dispatch_id 0
		.amdhsa_user_sgpr_flat_scratch_init 0
		.amdhsa_user_sgpr_kernarg_preload_length 0
		.amdhsa_user_sgpr_kernarg_preload_offset 0
		.amdhsa_user_sgpr_private_segment_size 0
		.amdhsa_uses_dynamic_stack 0
		.amdhsa_system_sgpr_private_segment_wavefront_offset 0
		.amdhsa_system_sgpr_workgroup_id_x 1
		.amdhsa_system_sgpr_workgroup_id_y 0
		.amdhsa_system_sgpr_workgroup_id_z 0
		.amdhsa_system_sgpr_workgroup_info 0
		.amdhsa_system_vgpr_workitem_id 0
		.amdhsa_next_free_vgpr 34
		.amdhsa_next_free_sgpr 26
		.amdhsa_accum_offset 36
		.amdhsa_reserve_vcc 1
		.amdhsa_reserve_flat_scratch 0
		.amdhsa_float_round_mode_32 0
		.amdhsa_float_round_mode_16_64 0
		.amdhsa_float_denorm_mode_32 3
		.amdhsa_float_denorm_mode_16_64 3
		.amdhsa_dx10_clamp 1
		.amdhsa_ieee_mode 1
		.amdhsa_fp16_overflow 0
		.amdhsa_tg_split 0
		.amdhsa_exception_fp_ieee_invalid_op 0
		.amdhsa_exception_fp_denorm_src 0
		.amdhsa_exception_fp_ieee_div_zero 0
		.amdhsa_exception_fp_ieee_overflow 0
		.amdhsa_exception_fp_ieee_underflow 0
		.amdhsa_exception_fp_ieee_inexact 0
		.amdhsa_exception_int_div_zero 0
	.end_amdhsa_kernel
	.section	.text._ZN2at6native12_GLOBAL__N_125multi_tensor_apply_kernelINS1_18TensorListMetadataILi2EEENS1_14UnaryOpFunctorIdLi2ELi1ELi1EEEJNS0_5RoundIdEEEEEvT_T0_DpT1_,"axG",@progbits,_ZN2at6native12_GLOBAL__N_125multi_tensor_apply_kernelINS1_18TensorListMetadataILi2EEENS1_14UnaryOpFunctorIdLi2ELi1ELi1EEEJNS0_5RoundIdEEEEEvT_T0_DpT1_,comdat
.Lfunc_end258:
	.size	_ZN2at6native12_GLOBAL__N_125multi_tensor_apply_kernelINS1_18TensorListMetadataILi2EEENS1_14UnaryOpFunctorIdLi2ELi1ELi1EEEJNS0_5RoundIdEEEEEvT_T0_DpT1_, .Lfunc_end258-_ZN2at6native12_GLOBAL__N_125multi_tensor_apply_kernelINS1_18TensorListMetadataILi2EEENS1_14UnaryOpFunctorIdLi2ELi1ELi1EEEJNS0_5RoundIdEEEEEvT_T0_DpT1_
                                        ; -- End function
	.section	.AMDGPU.csdata,"",@progbits
; Kernel info:
; codeLenInByte = 1288
; NumSgprs: 30
; NumVgprs: 34
; NumAgprs: 0
; TotalNumVgprs: 34
; ScratchSize: 0
; MemoryBound: 0
; FloatMode: 240
; IeeeMode: 1
; LDSByteSize: 0 bytes/workgroup (compile time only)
; SGPRBlocks: 3
; VGPRBlocks: 4
; NumSGPRsForWavesPerEU: 30
; NumVGPRsForWavesPerEU: 34
; AccumOffset: 36
; Occupancy: 8
; WaveLimiterHint : 0
; COMPUTE_PGM_RSRC2:SCRATCH_EN: 0
; COMPUTE_PGM_RSRC2:USER_SGPR: 6
; COMPUTE_PGM_RSRC2:TRAP_HANDLER: 0
; COMPUTE_PGM_RSRC2:TGID_X_EN: 1
; COMPUTE_PGM_RSRC2:TGID_Y_EN: 0
; COMPUTE_PGM_RSRC2:TGID_Z_EN: 0
; COMPUTE_PGM_RSRC2:TIDIG_COMP_CNT: 0
; COMPUTE_PGM_RSRC3_GFX90A:ACCUM_OFFSET: 8
; COMPUTE_PGM_RSRC3_GFX90A:TG_SPLIT: 0
	.section	.text._ZN2at6native12_GLOBAL__N_125multi_tensor_apply_kernelINS1_18TensorListMetadataILi2EEENS1_14UnaryOpFunctorIfLi2ELi1ELi1EEEJNS0_5RoundIfEEEEEvT_T0_DpT1_,"axG",@progbits,_ZN2at6native12_GLOBAL__N_125multi_tensor_apply_kernelINS1_18TensorListMetadataILi2EEENS1_14UnaryOpFunctorIfLi2ELi1ELi1EEEJNS0_5RoundIfEEEEEvT_T0_DpT1_,comdat
	.globl	_ZN2at6native12_GLOBAL__N_125multi_tensor_apply_kernelINS1_18TensorListMetadataILi2EEENS1_14UnaryOpFunctorIfLi2ELi1ELi1EEEJNS0_5RoundIfEEEEEvT_T0_DpT1_ ; -- Begin function _ZN2at6native12_GLOBAL__N_125multi_tensor_apply_kernelINS1_18TensorListMetadataILi2EEENS1_14UnaryOpFunctorIfLi2ELi1ELi1EEEJNS0_5RoundIfEEEEEvT_T0_DpT1_
	.p2align	8
	.type	_ZN2at6native12_GLOBAL__N_125multi_tensor_apply_kernelINS1_18TensorListMetadataILi2EEENS1_14UnaryOpFunctorIfLi2ELi1ELi1EEEJNS0_5RoundIfEEEEEvT_T0_DpT1_,@function
_ZN2at6native12_GLOBAL__N_125multi_tensor_apply_kernelINS1_18TensorListMetadataILi2EEENS1_14UnaryOpFunctorIfLi2ELi1ELi1EEEJNS0_5RoundIfEEEEEvT_T0_DpT1_: ; @_ZN2at6native12_GLOBAL__N_125multi_tensor_apply_kernelINS1_18TensorListMetadataILi2EEENS1_14UnaryOpFunctorIfLi2ELi1ELi1EEEJNS0_5RoundIfEEEEEvT_T0_DpT1_
; %bb.0:
	v_mov_b32_e32 v1, s6
	global_load_ubyte v1, v1, s[4:5] offset:1536
	s_add_u32 s0, s4, s6
	s_mul_hi_u32 s2, s6, 3
	s_mul_i32 s6, s6, 3
	s_addc_u32 s7, s5, 0
	s_add_u32 s8, s0, s6
	s_addc_u32 s9, s7, s2
	s_mov_b32 s1, 0
	s_mov_b32 s17, s1
	;; [unrolled: 1-line block ×3, first 2 shown]
	s_waitcnt vmcnt(0)
	v_readfirstlane_b32 s0, v1
	s_lshl_b32 s0, s0, 3
	s_load_dword s10, s[8:9], 0x740
	s_load_dwordx2 s[14:15], s[4:5], s0 offset:0x0
	s_load_dwordx2 s[12:13], s[4:5], s0 offset:0x400
	;; [unrolled: 1-line block ×3, first 2 shown]
	s_waitcnt lgkmcnt(0)
	s_ashr_i32 s11, s10, 31
	s_and_b32 s0, s14, 15
	s_and_b32 s16, s12, 3
	;; [unrolled: 1-line block ×3, first 2 shown]
	s_or_b64 s[16:17], s[0:1], s[16:17]
	s_lshl_b64 s[8:9], s[10:11], 18
	s_or_b64 s[2:3], s[2:3], s[16:17]
	s_lshl_b64 s[10:11], s[10:11], 16
	s_sub_u32 s10, s12, s10
	s_subb_u32 s11, s13, s11
	s_cmp_eq_u64 s[2:3], 0
	s_mov_b64 s[2:3], -1
	s_cbranch_scc0 .LBB259_5
; %bb.1:
	v_mov_b32_e32 v3, 0
	v_lshlrev_b32_e32 v2, 2, v0
	v_cmp_gt_i64_e32 vcc, s[10:11], v[2:3]
	s_and_saveexec_b64 s[12:13], vcc
	s_cbranch_execz .LBB259_4
; %bb.2:
	s_load_dword s0, s[4:5], 0xc5c
	v_lshlrev_b32_e32 v1, 4, v0
	v_mov_b32_e32 v4, s9
	v_add_co_u32_e32 v1, vcc, s8, v1
	v_addc_co_u32_e32 v5, vcc, 0, v4, vcc
	s_waitcnt lgkmcnt(0)
	s_and_b32 s0, s0, 0xffff
	v_add_co_u32_e32 v4, vcc, 8, v1
	v_add_lshl_u32 v2, v0, s0, 2
	s_lshl_b32 s20, s0, 2
	v_addc_co_u32_e32 v1, vcc, 0, v5, vcc
	s_lshl_b32 s21, s0, 4
	s_mov_b64 s[16:17], 0
	v_mov_b32_e32 v5, s15
	v_mov_b32_e32 v6, s7
	s_mov_b64 s[18:19], 0xffff
	v_mov_b32_e32 v7, s1
	v_mov_b32_e32 v8, s1
.LBB259_3:                              ; =>This Inner Loop Header: Depth=1
	v_add_co_u32_e32 v10, vcc, s14, v4
	v_addc_co_u32_e32 v11, vcc, v5, v1, vcc
	global_load_dwordx4 v[10:13], v[10:11], off offset:-8
	v_add_co_u32_e32 v14, vcc, s6, v4
	v_addc_co_u32_e32 v15, vcc, v6, v1, vcc
	v_cmp_le_i64_e32 vcc, s[10:11], v[2:3]
	v_cmp_lt_u64_e64 s[0:1], s[18:19], v[2:3]
	v_add_co_u32_e64 v2, s[2:3], s20, v2
	v_addc_co_u32_e64 v3, s[2:3], v3, v7, s[2:3]
	s_or_b64 s[0:1], vcc, s[0:1]
	v_add_co_u32_e64 v4, s[2:3], s21, v4
	s_and_b64 s[0:1], exec, s[0:1]
	v_addc_co_u32_e64 v1, s[2:3], v1, v8, s[2:3]
	s_or_b64 s[16:17], s[0:1], s[16:17]
	s_waitcnt vmcnt(0)
	v_rndne_f32_e32 v11, v11
	v_rndne_f32_e32 v10, v10
	;; [unrolled: 1-line block ×4, first 2 shown]
	global_store_dwordx4 v[14:15], v[10:13], off offset:-8
	s_andn2_b64 exec, exec, s[16:17]
	s_cbranch_execnz .LBB259_3
.LBB259_4:
	s_or_b64 exec, exec, s[12:13]
	s_mov_b64 s[2:3], 0
.LBB259_5:
	s_andn2_b64 vcc, exec, s[2:3]
	s_cbranch_vccnz .LBB259_25
; %bb.6:
	v_cmp_lt_i64_e64 s[0:1], s[10:11], 1
	s_and_b64 vcc, exec, s[0:1]
	s_cbranch_vccnz .LBB259_25
; %bb.7:
	s_load_dword s0, s[4:5], 0xc5c
	v_mov_b32_e32 v2, 0x10000
	v_mov_b32_e32 v3, 0
	v_cmp_lt_u64_e32 vcc, s[10:11], v[2:3]
	v_lshlrev_b32_e32 v10, 2, v0
	s_waitcnt lgkmcnt(0)
	s_and_b32 s2, s0, 0xffff
	s_and_b64 s[0:1], vcc, exec
	v_mov_b32_e32 v13, s15
	v_add_co_u32_e32 v2, vcc, s14, v10
	v_addc_co_u32_e32 v1, vcc, 0, v13, vcc
	v_mov_b32_e32 v11, 0
	v_mov_b32_e32 v15, s7
	v_add_co_u32_e32 v4, vcc, s6, v10
	v_addc_co_u32_e32 v3, vcc, 0, v15, vcc
	v_mad_u64_u32 v[8:9], s[0:1], s2, 12, v[10:11]
	v_add_co_u32_e32 v6, vcc, s14, v8
	v_addc_co_u32_e32 v5, vcc, v13, v9, vcc
	v_add_co_u32_e32 v8, vcc, s6, v8
	s_mul_i32 s4, s2, 3
	v_addc_co_u32_e32 v7, vcc, v15, v9, vcc
	v_add_co_u32_e32 v17, vcc, s4, v0
	v_addc_co_u32_e64 v18, s[0:1], 0, 0, vcc
	s_cselect_b32 s13, s11, 0
	s_cselect_b32 s12, s10, 0x10000
	s_lshl_b32 s0, s2, 3
	v_add_co_u32_e32 v11, vcc, s0, v10
	v_addc_co_u32_e64 v14, s[0:1], 0, 0, vcc
	v_add_co_u32_e32 v10, vcc, s14, v11
	v_addc_co_u32_e32 v9, vcc, v13, v14, vcc
	v_add_co_u32_e32 v12, vcc, s6, v11
	s_lshl_b32 s3, s2, 1
	v_addc_co_u32_e32 v11, vcc, v15, v14, vcc
	v_add_co_u32_e32 v19, vcc, s3, v0
	v_addc_co_u32_e64 v20, s[0:1], 0, 0, vcc
	v_add_co_u32_e32 v21, vcc, s2, v0
	v_lshlrev_b32_e32 v16, 2, v21
	v_addc_co_u32_e64 v22, s[0:1], 0, 0, vcc
	v_add_co_u32_e32 v14, vcc, s14, v16
	v_addc_co_u32_e32 v13, vcc, 0, v13, vcc
	v_add_co_u32_e32 v16, vcc, s6, v16
	s_mov_b32 s18, 0
	s_lshl_b32 s19, s2, 2
	s_lshl_b32 s20, s2, 4
	v_addc_co_u32_e32 v15, vcc, 0, v15, vcc
	s_mov_b64 s[14:15], 0
	s_branch .LBB259_9
.LBB259_8:                              ;   in Loop: Header=BB259_9 Depth=1
	s_or_b64 exec, exec, s[0:1]
	s_add_u32 s14, s14, s19
	s_addc_u32 s15, s15, 0
	s_waitcnt vmcnt(0)
	v_pk_mov_b32 v[24:25], s[10:11], s[10:11] op_sel:[0,1]
	v_cmp_ge_i64_e32 vcc, s[14:15], v[24:25]
	v_mov_b32_e32 v24, 0xffff
	v_mov_b32_e32 v25, 0
	v_cmp_gt_u64_e64 s[0:1], s[14:15], v[24:25]
	s_or_b64 s[0:1], vcc, s[0:1]
	v_mov_b32_e32 v23, s18
	v_add_co_u32_e32 v2, vcc, s20, v2
	v_addc_co_u32_e32 v1, vcc, v1, v23, vcc
	v_add_co_u32_e32 v4, vcc, s20, v4
	v_addc_co_u32_e32 v3, vcc, v3, v23, vcc
	;; [unrolled: 2-line block ×8, first 2 shown]
	s_and_b64 vcc, exec, s[0:1]
	s_cbranch_vccnz .LBB259_25
.LBB259_9:                              ; =>This Inner Loop Header: Depth=1
	v_mov_b32_e32 v23, s15
	v_add_co_u32_e32 v24, vcc, s14, v0
	v_addc_co_u32_e32 v25, vcc, 0, v23, vcc
	v_cmp_gt_u64_e32 vcc, s[12:13], v[24:25]
	v_mov_b32_e32 v23, 0
	s_and_saveexec_b64 s[2:3], vcc
	s_cbranch_execz .LBB259_11
; %bb.10:                               ;   in Loop: Header=BB259_9 Depth=1
	v_mov_b32_e32 v23, s9
	v_add_co_u32_e64 v24, s[0:1], s8, v2
	v_addc_co_u32_e64 v25, s[0:1], v1, v23, s[0:1]
	global_load_dword v23, v[24:25], off
.LBB259_11:                             ;   in Loop: Header=BB259_9 Depth=1
	s_or_b64 exec, exec, s[2:3]
	v_mov_b32_e32 v25, s15
	v_add_co_u32_e64 v24, s[0:1], s14, v21
	v_addc_co_u32_e64 v25, s[0:1], v22, v25, s[0:1]
	v_cmp_gt_u64_e64 s[0:1], s[12:13], v[24:25]
	v_mov_b32_e32 v25, 0
	s_and_saveexec_b64 s[4:5], s[0:1]
	s_cbranch_execz .LBB259_13
; %bb.12:                               ;   in Loop: Header=BB259_9 Depth=1
	v_mov_b32_e32 v25, s9
	v_add_co_u32_e64 v24, s[2:3], s8, v14
	v_addc_co_u32_e64 v25, s[2:3], v13, v25, s[2:3]
	global_load_dword v25, v[24:25], off
.LBB259_13:                             ;   in Loop: Header=BB259_9 Depth=1
	s_or_b64 exec, exec, s[4:5]
	v_mov_b32_e32 v24, s15
	v_add_co_u32_e64 v26, s[2:3], s14, v19
	v_addc_co_u32_e64 v27, s[2:3], v20, v24, s[2:3]
	v_cmp_gt_u64_e64 s[2:3], s[12:13], v[26:27]
	v_mov_b32_e32 v24, 0
	v_mov_b32_e32 v26, 0
	s_and_saveexec_b64 s[6:7], s[2:3]
	s_cbranch_execz .LBB259_15
; %bb.14:                               ;   in Loop: Header=BB259_9 Depth=1
	v_mov_b32_e32 v27, s9
	v_add_co_u32_e64 v26, s[4:5], s8, v10
	v_addc_co_u32_e64 v27, s[4:5], v9, v27, s[4:5]
	global_load_dword v26, v[26:27], off
.LBB259_15:                             ;   in Loop: Header=BB259_9 Depth=1
	s_or_b64 exec, exec, s[6:7]
	v_mov_b32_e32 v27, s15
	v_add_co_u32_e64 v28, s[4:5], s14, v17
	v_addc_co_u32_e64 v29, s[4:5], v18, v27, s[4:5]
	v_cmp_gt_u64_e64 s[4:5], s[12:13], v[28:29]
	s_and_saveexec_b64 s[16:17], s[4:5]
	s_cbranch_execnz .LBB259_20
; %bb.16:                               ;   in Loop: Header=BB259_9 Depth=1
	s_or_b64 exec, exec, s[16:17]
	s_and_saveexec_b64 s[6:7], vcc
	s_cbranch_execnz .LBB259_21
.LBB259_17:                             ;   in Loop: Header=BB259_9 Depth=1
	s_or_b64 exec, exec, s[6:7]
	s_and_saveexec_b64 s[6:7], s[0:1]
	s_cbranch_execnz .LBB259_22
.LBB259_18:                             ;   in Loop: Header=BB259_9 Depth=1
	s_or_b64 exec, exec, s[6:7]
	s_and_saveexec_b64 s[0:1], s[2:3]
	s_cbranch_execnz .LBB259_23
.LBB259_19:                             ;   in Loop: Header=BB259_9 Depth=1
	s_or_b64 exec, exec, s[0:1]
	s_and_saveexec_b64 s[0:1], s[4:5]
	s_cbranch_execz .LBB259_8
	s_branch .LBB259_24
.LBB259_20:                             ;   in Loop: Header=BB259_9 Depth=1
	v_mov_b32_e32 v24, s9
	v_add_co_u32_e64 v28, s[6:7], s8, v6
	v_addc_co_u32_e64 v29, s[6:7], v5, v24, s[6:7]
	global_load_dword v24, v[28:29], off
	s_or_b64 exec, exec, s[16:17]
	s_and_saveexec_b64 s[6:7], vcc
	s_cbranch_execz .LBB259_17
.LBB259_21:                             ;   in Loop: Header=BB259_9 Depth=1
	v_mov_b32_e32 v27, s9
	v_add_co_u32_e32 v28, vcc, s8, v4
	v_addc_co_u32_e32 v29, vcc, v3, v27, vcc
	s_waitcnt vmcnt(0)
	v_rndne_f32_e32 v23, v23
	global_store_dword v[28:29], v23, off
	s_or_b64 exec, exec, s[6:7]
	s_and_saveexec_b64 s[6:7], s[0:1]
	s_cbranch_execz .LBB259_18
.LBB259_22:                             ;   in Loop: Header=BB259_9 Depth=1
	s_waitcnt vmcnt(0)
	v_rndne_f32_e32 v23, v25
	v_mov_b32_e32 v25, s9
	v_add_co_u32_e32 v28, vcc, s8, v16
	v_addc_co_u32_e32 v29, vcc, v15, v25, vcc
	global_store_dword v[28:29], v23, off
	s_or_b64 exec, exec, s[6:7]
	s_and_saveexec_b64 s[0:1], s[2:3]
	s_cbranch_execz .LBB259_19
.LBB259_23:                             ;   in Loop: Header=BB259_9 Depth=1
	s_waitcnt vmcnt(0)
	v_rndne_f32_e32 v23, v26
	v_mov_b32_e32 v25, s9
	v_add_co_u32_e32 v26, vcc, s8, v12
	v_addc_co_u32_e32 v27, vcc, v11, v25, vcc
	global_store_dword v[26:27], v23, off
	s_or_b64 exec, exec, s[0:1]
	s_and_saveexec_b64 s[0:1], s[4:5]
	s_cbranch_execz .LBB259_8
.LBB259_24:                             ;   in Loop: Header=BB259_9 Depth=1
	s_waitcnt vmcnt(0)
	v_rndne_f32_e32 v23, v24
	v_mov_b32_e32 v25, s9
	v_add_co_u32_e32 v24, vcc, s8, v8
	v_addc_co_u32_e32 v25, vcc, v7, v25, vcc
	global_store_dword v[24:25], v23, off
	s_branch .LBB259_8
.LBB259_25:
	s_endpgm
	.section	.rodata,"a",@progbits
	.p2align	6, 0x0
	.amdhsa_kernel _ZN2at6native12_GLOBAL__N_125multi_tensor_apply_kernelINS1_18TensorListMetadataILi2EEENS1_14UnaryOpFunctorIfLi2ELi1ELi1EEEJNS0_5RoundIfEEEEEvT_T0_DpT1_
		.amdhsa_group_segment_fixed_size 0
		.amdhsa_private_segment_fixed_size 0
		.amdhsa_kernarg_size 3408
		.amdhsa_user_sgpr_count 6
		.amdhsa_user_sgpr_private_segment_buffer 1
		.amdhsa_user_sgpr_dispatch_ptr 0
		.amdhsa_user_sgpr_queue_ptr 0
		.amdhsa_user_sgpr_kernarg_segment_ptr 1
		.amdhsa_user_sgpr_dispatch_id 0
		.amdhsa_user_sgpr_flat_scratch_init 0
		.amdhsa_user_sgpr_kernarg_preload_length 0
		.amdhsa_user_sgpr_kernarg_preload_offset 0
		.amdhsa_user_sgpr_private_segment_size 0
		.amdhsa_uses_dynamic_stack 0
		.amdhsa_system_sgpr_private_segment_wavefront_offset 0
		.amdhsa_system_sgpr_workgroup_id_x 1
		.amdhsa_system_sgpr_workgroup_id_y 0
		.amdhsa_system_sgpr_workgroup_id_z 0
		.amdhsa_system_sgpr_workgroup_info 0
		.amdhsa_system_vgpr_workitem_id 0
		.amdhsa_next_free_vgpr 30
		.amdhsa_next_free_sgpr 22
		.amdhsa_accum_offset 32
		.amdhsa_reserve_vcc 1
		.amdhsa_reserve_flat_scratch 0
		.amdhsa_float_round_mode_32 0
		.amdhsa_float_round_mode_16_64 0
		.amdhsa_float_denorm_mode_32 3
		.amdhsa_float_denorm_mode_16_64 3
		.amdhsa_dx10_clamp 1
		.amdhsa_ieee_mode 1
		.amdhsa_fp16_overflow 0
		.amdhsa_tg_split 0
		.amdhsa_exception_fp_ieee_invalid_op 0
		.amdhsa_exception_fp_denorm_src 0
		.amdhsa_exception_fp_ieee_div_zero 0
		.amdhsa_exception_fp_ieee_overflow 0
		.amdhsa_exception_fp_ieee_underflow 0
		.amdhsa_exception_fp_ieee_inexact 0
		.amdhsa_exception_int_div_zero 0
	.end_amdhsa_kernel
	.section	.text._ZN2at6native12_GLOBAL__N_125multi_tensor_apply_kernelINS1_18TensorListMetadataILi2EEENS1_14UnaryOpFunctorIfLi2ELi1ELi1EEEJNS0_5RoundIfEEEEEvT_T0_DpT1_,"axG",@progbits,_ZN2at6native12_GLOBAL__N_125multi_tensor_apply_kernelINS1_18TensorListMetadataILi2EEENS1_14UnaryOpFunctorIfLi2ELi1ELi1EEEJNS0_5RoundIfEEEEEvT_T0_DpT1_,comdat
.Lfunc_end259:
	.size	_ZN2at6native12_GLOBAL__N_125multi_tensor_apply_kernelINS1_18TensorListMetadataILi2EEENS1_14UnaryOpFunctorIfLi2ELi1ELi1EEEJNS0_5RoundIfEEEEEvT_T0_DpT1_, .Lfunc_end259-_ZN2at6native12_GLOBAL__N_125multi_tensor_apply_kernelINS1_18TensorListMetadataILi2EEENS1_14UnaryOpFunctorIfLi2ELi1ELi1EEEJNS0_5RoundIfEEEEEvT_T0_DpT1_
                                        ; -- End function
	.section	.AMDGPU.csdata,"",@progbits
; Kernel info:
; codeLenInByte = 1248
; NumSgprs: 26
; NumVgprs: 30
; NumAgprs: 0
; TotalNumVgprs: 30
; ScratchSize: 0
; MemoryBound: 0
; FloatMode: 240
; IeeeMode: 1
; LDSByteSize: 0 bytes/workgroup (compile time only)
; SGPRBlocks: 3
; VGPRBlocks: 3
; NumSGPRsForWavesPerEU: 26
; NumVGPRsForWavesPerEU: 30
; AccumOffset: 32
; Occupancy: 8
; WaveLimiterHint : 0
; COMPUTE_PGM_RSRC2:SCRATCH_EN: 0
; COMPUTE_PGM_RSRC2:USER_SGPR: 6
; COMPUTE_PGM_RSRC2:TRAP_HANDLER: 0
; COMPUTE_PGM_RSRC2:TGID_X_EN: 1
; COMPUTE_PGM_RSRC2:TGID_Y_EN: 0
; COMPUTE_PGM_RSRC2:TGID_Z_EN: 0
; COMPUTE_PGM_RSRC2:TIDIG_COMP_CNT: 0
; COMPUTE_PGM_RSRC3_GFX90A:ACCUM_OFFSET: 7
; COMPUTE_PGM_RSRC3_GFX90A:TG_SPLIT: 0
	.section	.text._ZN2at6native12_GLOBAL__N_125multi_tensor_apply_kernelINS1_18TensorListMetadataILi2EEENS1_14UnaryOpFunctorIN3c104HalfELi2ELi1ELi1EEEJNS0_5RoundIfEEEEEvT_T0_DpT1_,"axG",@progbits,_ZN2at6native12_GLOBAL__N_125multi_tensor_apply_kernelINS1_18TensorListMetadataILi2EEENS1_14UnaryOpFunctorIN3c104HalfELi2ELi1ELi1EEEJNS0_5RoundIfEEEEEvT_T0_DpT1_,comdat
	.globl	_ZN2at6native12_GLOBAL__N_125multi_tensor_apply_kernelINS1_18TensorListMetadataILi2EEENS1_14UnaryOpFunctorIN3c104HalfELi2ELi1ELi1EEEJNS0_5RoundIfEEEEEvT_T0_DpT1_ ; -- Begin function _ZN2at6native12_GLOBAL__N_125multi_tensor_apply_kernelINS1_18TensorListMetadataILi2EEENS1_14UnaryOpFunctorIN3c104HalfELi2ELi1ELi1EEEJNS0_5RoundIfEEEEEvT_T0_DpT1_
	.p2align	8
	.type	_ZN2at6native12_GLOBAL__N_125multi_tensor_apply_kernelINS1_18TensorListMetadataILi2EEENS1_14UnaryOpFunctorIN3c104HalfELi2ELi1ELi1EEEJNS0_5RoundIfEEEEEvT_T0_DpT1_,@function
_ZN2at6native12_GLOBAL__N_125multi_tensor_apply_kernelINS1_18TensorListMetadataILi2EEENS1_14UnaryOpFunctorIN3c104HalfELi2ELi1ELi1EEEJNS0_5RoundIfEEEEEvT_T0_DpT1_: ; @_ZN2at6native12_GLOBAL__N_125multi_tensor_apply_kernelINS1_18TensorListMetadataILi2EEENS1_14UnaryOpFunctorIN3c104HalfELi2ELi1ELi1EEEJNS0_5RoundIfEEEEEvT_T0_DpT1_
; %bb.0:
	v_mov_b32_e32 v1, s6
	global_load_ubyte v1, v1, s[4:5] offset:1536
	s_add_u32 s0, s4, s6
	s_mul_hi_u32 s2, s6, 3
	s_mul_i32 s6, s6, 3
	s_addc_u32 s7, s5, 0
	s_add_u32 s6, s0, s6
	s_addc_u32 s7, s7, s2
	s_load_dword s12, s[6:7], 0x740
	s_mov_b32 s1, 0
	s_mov_b32 s11, s1
	;; [unrolled: 1-line block ×3, first 2 shown]
	s_waitcnt lgkmcnt(0)
	s_ashr_i32 s13, s12, 31
	s_lshl_b64 s[8:9], s[12:13], 17
	s_waitcnt vmcnt(0)
	v_readfirstlane_b32 s0, v1
	s_lshl_b32 s0, s0, 3
	s_load_dwordx2 s[14:15], s[4:5], s0 offset:0x0
	s_load_dwordx2 s[16:17], s[4:5], s0 offset:0x400
	;; [unrolled: 1-line block ×3, first 2 shown]
	s_waitcnt lgkmcnt(0)
	s_add_u32 s20, s14, s8
	s_addc_u32 s21, s15, s9
	s_and_b32 s0, s20, 7
	s_add_u32 s22, s6, s8
	s_addc_u32 s23, s7, s9
	s_and_b32 s10, s16, 3
	s_and_b32 s2, s22, 7
	s_or_b64 s[10:11], s[0:1], s[10:11]
	s_or_b64 s[2:3], s[2:3], s[10:11]
	s_lshl_b64 s[10:11], s[12:13], 16
	s_sub_u32 s10, s16, s10
	s_subb_u32 s11, s17, s11
	s_cmp_eq_u64 s[2:3], 0
	s_mov_b64 s[2:3], -1
	s_cbranch_scc0 .LBB260_5
; %bb.1:
	v_mov_b32_e32 v3, 0
	v_lshlrev_b32_e32 v2, 2, v0
	v_cmp_gt_i64_e32 vcc, s[10:11], v[2:3]
	s_and_saveexec_b64 s[12:13], vcc
	s_cbranch_execz .LBB260_4
; %bb.2:
	s_load_dword s0, s[4:5], 0xc5c
	v_lshlrev_b32_e32 v4, 3, v0
	s_mov_b64 s[16:17], 0
	s_mov_b64 s[18:19], 0xffff
	v_mov_b32_e32 v1, s1
	s_waitcnt lgkmcnt(0)
	s_and_b32 s0, s0, 0xffff
	v_add_lshl_u32 v2, v0, s0, 2
	s_lshl_b32 s24, s0, 2
	s_lshl_b32 s25, s0, 3
.LBB260_3:                              ; =>This Inner Loop Header: Depth=1
	v_mov_b32_e32 v5, s21
	v_add_co_u32_e32 v6, vcc, s20, v4
	v_addc_co_u32_e32 v7, vcc, 0, v5, vcc
	global_load_dwordx2 v[6:7], v[6:7], off
	v_cmp_le_i64_e32 vcc, s[10:11], v[2:3]
	v_cmp_lt_u64_e64 s[0:1], s[18:19], v[2:3]
	s_or_b64 s[0:1], vcc, s[0:1]
	v_add_co_u32_e64 v2, s[2:3], s24, v2
	s_add_u32 s20, s20, s25
	v_addc_co_u32_e64 v3, s[2:3], v3, v1, s[2:3]
	s_addc_u32 s21, s21, 0
	v_add_co_u32_e64 v8, s[2:3], s22, v4
	s_add_u32 s22, s22, s25
	v_mov_b32_e32 v5, s23
	s_addc_u32 s23, s23, 0
	v_addc_co_u32_e64 v9, s[2:3], 0, v5, s[2:3]
	s_and_b64 s[0:1], exec, s[0:1]
	s_or_b64 s[16:17], s[0:1], s[16:17]
	s_waitcnt vmcnt(0)
	v_rndne_f16_e32 v5, v6
	v_rndne_f16_sdwa v6, v6 dst_sel:DWORD dst_unused:UNUSED_PAD src0_sel:WORD_1
	v_rndne_f16_e32 v10, v7
	v_rndne_f16_sdwa v7, v7 dst_sel:DWORD dst_unused:UNUSED_PAD src0_sel:WORD_1
	v_pack_b32_f16 v7, v10, v7
	v_pack_b32_f16 v6, v5, v6
	global_store_dwordx2 v[8:9], v[6:7], off
	s_andn2_b64 exec, exec, s[16:17]
	s_cbranch_execnz .LBB260_3
.LBB260_4:
	s_or_b64 exec, exec, s[12:13]
	s_mov_b64 s[2:3], 0
.LBB260_5:
	s_andn2_b64 vcc, exec, s[2:3]
	s_cbranch_vccnz .LBB260_25
; %bb.6:
	v_cmp_lt_i64_e64 s[0:1], s[10:11], 1
	s_and_b64 vcc, exec, s[0:1]
	s_cbranch_vccnz .LBB260_25
; %bb.7:
	s_load_dword s0, s[4:5], 0xc5c
	v_mov_b32_e32 v2, 0x10000
	v_mov_b32_e32 v3, 0
	v_cmp_lt_u64_e32 vcc, s[10:11], v[2:3]
	v_lshlrev_b32_e32 v10, 1, v0
	s_waitcnt lgkmcnt(0)
	s_and_b32 s2, s0, 0xffff
	s_and_b64 s[0:1], vcc, exec
	v_mov_b32_e32 v13, s15
	v_add_co_u32_e32 v2, vcc, s14, v10
	v_addc_co_u32_e32 v1, vcc, 0, v13, vcc
	v_mov_b32_e32 v11, 0
	v_mov_b32_e32 v15, s7
	v_add_co_u32_e32 v4, vcc, s6, v10
	v_addc_co_u32_e32 v3, vcc, 0, v15, vcc
	v_mad_u64_u32 v[8:9], s[0:1], s2, 6, v[10:11]
	v_add_co_u32_e32 v6, vcc, s14, v8
	v_addc_co_u32_e32 v5, vcc, v13, v9, vcc
	v_add_co_u32_e32 v8, vcc, s6, v8
	s_mul_i32 s4, s2, 3
	v_addc_co_u32_e32 v7, vcc, v15, v9, vcc
	s_cselect_b32 s13, s11, 0
	s_cselect_b32 s12, s10, 0x10000
	s_lshl_b32 s19, s2, 2
	v_add_co_u32_e32 v17, vcc, s4, v0
	v_addc_co_u32_e64 v18, s[0:1], 0, 0, vcc
	v_add_co_u32_e32 v11, vcc, s19, v10
	v_addc_co_u32_e64 v14, s[0:1], 0, 0, vcc
	v_add_co_u32_e32 v10, vcc, s14, v11
	v_addc_co_u32_e32 v9, vcc, v13, v14, vcc
	v_add_co_u32_e32 v12, vcc, s6, v11
	s_lshl_b32 s3, s2, 1
	v_addc_co_u32_e32 v11, vcc, v15, v14, vcc
	v_add_co_u32_e32 v19, vcc, s3, v0
	v_addc_co_u32_e64 v20, s[0:1], 0, 0, vcc
	v_add_co_u32_e32 v21, vcc, s2, v0
	v_lshlrev_b32_e32 v16, 1, v21
	v_addc_co_u32_e64 v22, s[0:1], 0, 0, vcc
	v_add_co_u32_e32 v14, vcc, s14, v16
	v_addc_co_u32_e32 v13, vcc, 0, v13, vcc
	v_add_co_u32_e32 v16, vcc, s6, v16
	s_mov_b32 s18, 0
	s_lshl_b32 s20, s2, 3
	v_addc_co_u32_e32 v15, vcc, 0, v15, vcc
	s_mov_b64 s[14:15], 0
	s_branch .LBB260_9
.LBB260_8:                              ;   in Loop: Header=BB260_9 Depth=1
	s_or_b64 exec, exec, s[0:1]
	s_add_u32 s14, s14, s19
	s_addc_u32 s15, s15, 0
	s_waitcnt vmcnt(0)
	v_pk_mov_b32 v[24:25], s[10:11], s[10:11] op_sel:[0,1]
	v_cmp_ge_i64_e32 vcc, s[14:15], v[24:25]
	v_mov_b32_e32 v24, 0xffff
	v_mov_b32_e32 v25, 0
	v_cmp_gt_u64_e64 s[0:1], s[14:15], v[24:25]
	s_or_b64 s[0:1], vcc, s[0:1]
	v_mov_b32_e32 v23, s18
	v_add_co_u32_e32 v2, vcc, s20, v2
	v_addc_co_u32_e32 v1, vcc, v1, v23, vcc
	v_add_co_u32_e32 v4, vcc, s20, v4
	v_addc_co_u32_e32 v3, vcc, v3, v23, vcc
	;; [unrolled: 2-line block ×8, first 2 shown]
	s_and_b64 vcc, exec, s[0:1]
	s_cbranch_vccnz .LBB260_25
.LBB260_9:                              ; =>This Inner Loop Header: Depth=1
	v_mov_b32_e32 v23, s15
	v_add_co_u32_e32 v24, vcc, s14, v0
	v_addc_co_u32_e32 v25, vcc, 0, v23, vcc
	v_cmp_gt_u64_e32 vcc, s[12:13], v[24:25]
	v_mov_b32_e32 v23, 0
	s_and_saveexec_b64 s[2:3], vcc
	s_cbranch_execz .LBB260_11
; %bb.10:                               ;   in Loop: Header=BB260_9 Depth=1
	v_mov_b32_e32 v23, s9
	v_add_co_u32_e64 v24, s[0:1], s8, v2
	v_addc_co_u32_e64 v25, s[0:1], v1, v23, s[0:1]
	global_load_ushort v23, v[24:25], off
.LBB260_11:                             ;   in Loop: Header=BB260_9 Depth=1
	s_or_b64 exec, exec, s[2:3]
	v_mov_b32_e32 v25, s15
	v_add_co_u32_e64 v24, s[0:1], s14, v21
	v_addc_co_u32_e64 v25, s[0:1], v22, v25, s[0:1]
	v_cmp_gt_u64_e64 s[0:1], s[12:13], v[24:25]
	v_mov_b32_e32 v25, 0
	s_and_saveexec_b64 s[4:5], s[0:1]
	s_cbranch_execz .LBB260_13
; %bb.12:                               ;   in Loop: Header=BB260_9 Depth=1
	v_mov_b32_e32 v25, s9
	v_add_co_u32_e64 v24, s[2:3], s8, v14
	v_addc_co_u32_e64 v25, s[2:3], v13, v25, s[2:3]
	global_load_ushort v25, v[24:25], off
.LBB260_13:                             ;   in Loop: Header=BB260_9 Depth=1
	s_or_b64 exec, exec, s[4:5]
	v_mov_b32_e32 v24, s15
	v_add_co_u32_e64 v26, s[2:3], s14, v19
	v_addc_co_u32_e64 v27, s[2:3], v20, v24, s[2:3]
	v_cmp_gt_u64_e64 s[2:3], s[12:13], v[26:27]
	v_mov_b32_e32 v24, 0
	v_mov_b32_e32 v26, 0
	s_and_saveexec_b64 s[6:7], s[2:3]
	s_cbranch_execz .LBB260_15
; %bb.14:                               ;   in Loop: Header=BB260_9 Depth=1
	v_mov_b32_e32 v27, s9
	v_add_co_u32_e64 v26, s[4:5], s8, v10
	v_addc_co_u32_e64 v27, s[4:5], v9, v27, s[4:5]
	global_load_ushort v26, v[26:27], off
.LBB260_15:                             ;   in Loop: Header=BB260_9 Depth=1
	s_or_b64 exec, exec, s[6:7]
	v_mov_b32_e32 v27, s15
	v_add_co_u32_e64 v28, s[4:5], s14, v17
	v_addc_co_u32_e64 v29, s[4:5], v18, v27, s[4:5]
	v_cmp_gt_u64_e64 s[4:5], s[12:13], v[28:29]
	s_and_saveexec_b64 s[16:17], s[4:5]
	s_cbranch_execnz .LBB260_20
; %bb.16:                               ;   in Loop: Header=BB260_9 Depth=1
	s_or_b64 exec, exec, s[16:17]
	s_and_saveexec_b64 s[6:7], vcc
	s_cbranch_execnz .LBB260_21
.LBB260_17:                             ;   in Loop: Header=BB260_9 Depth=1
	s_or_b64 exec, exec, s[6:7]
	s_and_saveexec_b64 s[6:7], s[0:1]
	s_cbranch_execnz .LBB260_22
.LBB260_18:                             ;   in Loop: Header=BB260_9 Depth=1
	s_or_b64 exec, exec, s[6:7]
	s_and_saveexec_b64 s[0:1], s[2:3]
	s_cbranch_execnz .LBB260_23
.LBB260_19:                             ;   in Loop: Header=BB260_9 Depth=1
	s_or_b64 exec, exec, s[0:1]
	s_and_saveexec_b64 s[0:1], s[4:5]
	s_cbranch_execz .LBB260_8
	s_branch .LBB260_24
.LBB260_20:                             ;   in Loop: Header=BB260_9 Depth=1
	v_mov_b32_e32 v24, s9
	v_add_co_u32_e64 v28, s[6:7], s8, v6
	v_addc_co_u32_e64 v29, s[6:7], v5, v24, s[6:7]
	global_load_ushort v24, v[28:29], off
	s_or_b64 exec, exec, s[16:17]
	s_and_saveexec_b64 s[6:7], vcc
	s_cbranch_execz .LBB260_17
.LBB260_21:                             ;   in Loop: Header=BB260_9 Depth=1
	v_mov_b32_e32 v27, s9
	v_add_co_u32_e32 v28, vcc, s8, v4
	v_addc_co_u32_e32 v29, vcc, v3, v27, vcc
	s_waitcnt vmcnt(0)
	v_rndne_f16_e32 v23, v23
	global_store_short v[28:29], v23, off
	s_or_b64 exec, exec, s[6:7]
	s_and_saveexec_b64 s[6:7], s[0:1]
	s_cbranch_execz .LBB260_18
.LBB260_22:                             ;   in Loop: Header=BB260_9 Depth=1
	s_waitcnt vmcnt(0)
	v_rndne_f16_e32 v23, v25
	v_mov_b32_e32 v25, s9
	v_add_co_u32_e32 v28, vcc, s8, v16
	v_addc_co_u32_e32 v29, vcc, v15, v25, vcc
	global_store_short v[28:29], v23, off
	s_or_b64 exec, exec, s[6:7]
	s_and_saveexec_b64 s[0:1], s[2:3]
	s_cbranch_execz .LBB260_19
.LBB260_23:                             ;   in Loop: Header=BB260_9 Depth=1
	s_waitcnt vmcnt(0)
	v_rndne_f16_e32 v23, v26
	v_mov_b32_e32 v25, s9
	v_add_co_u32_e32 v26, vcc, s8, v12
	v_addc_co_u32_e32 v27, vcc, v11, v25, vcc
	global_store_short v[26:27], v23, off
	s_or_b64 exec, exec, s[0:1]
	s_and_saveexec_b64 s[0:1], s[4:5]
	s_cbranch_execz .LBB260_8
.LBB260_24:                             ;   in Loop: Header=BB260_9 Depth=1
	s_waitcnt vmcnt(0)
	v_rndne_f16_e32 v23, v24
	v_mov_b32_e32 v25, s9
	v_add_co_u32_e32 v24, vcc, s8, v8
	v_addc_co_u32_e32 v25, vcc, v7, v25, vcc
	global_store_short v[24:25], v23, off
	s_branch .LBB260_8
.LBB260_25:
	s_endpgm
	.section	.rodata,"a",@progbits
	.p2align	6, 0x0
	.amdhsa_kernel _ZN2at6native12_GLOBAL__N_125multi_tensor_apply_kernelINS1_18TensorListMetadataILi2EEENS1_14UnaryOpFunctorIN3c104HalfELi2ELi1ELi1EEEJNS0_5RoundIfEEEEEvT_T0_DpT1_
		.amdhsa_group_segment_fixed_size 0
		.amdhsa_private_segment_fixed_size 0
		.amdhsa_kernarg_size 3408
		.amdhsa_user_sgpr_count 6
		.amdhsa_user_sgpr_private_segment_buffer 1
		.amdhsa_user_sgpr_dispatch_ptr 0
		.amdhsa_user_sgpr_queue_ptr 0
		.amdhsa_user_sgpr_kernarg_segment_ptr 1
		.amdhsa_user_sgpr_dispatch_id 0
		.amdhsa_user_sgpr_flat_scratch_init 0
		.amdhsa_user_sgpr_kernarg_preload_length 0
		.amdhsa_user_sgpr_kernarg_preload_offset 0
		.amdhsa_user_sgpr_private_segment_size 0
		.amdhsa_uses_dynamic_stack 0
		.amdhsa_system_sgpr_private_segment_wavefront_offset 0
		.amdhsa_system_sgpr_workgroup_id_x 1
		.amdhsa_system_sgpr_workgroup_id_y 0
		.amdhsa_system_sgpr_workgroup_id_z 0
		.amdhsa_system_sgpr_workgroup_info 0
		.amdhsa_system_vgpr_workitem_id 0
		.amdhsa_next_free_vgpr 30
		.amdhsa_next_free_sgpr 26
		.amdhsa_accum_offset 32
		.amdhsa_reserve_vcc 1
		.amdhsa_reserve_flat_scratch 0
		.amdhsa_float_round_mode_32 0
		.amdhsa_float_round_mode_16_64 0
		.amdhsa_float_denorm_mode_32 3
		.amdhsa_float_denorm_mode_16_64 3
		.amdhsa_dx10_clamp 1
		.amdhsa_ieee_mode 1
		.amdhsa_fp16_overflow 0
		.amdhsa_tg_split 0
		.amdhsa_exception_fp_ieee_invalid_op 0
		.amdhsa_exception_fp_denorm_src 0
		.amdhsa_exception_fp_ieee_div_zero 0
		.amdhsa_exception_fp_ieee_overflow 0
		.amdhsa_exception_fp_ieee_underflow 0
		.amdhsa_exception_fp_ieee_inexact 0
		.amdhsa_exception_int_div_zero 0
	.end_amdhsa_kernel
	.section	.text._ZN2at6native12_GLOBAL__N_125multi_tensor_apply_kernelINS1_18TensorListMetadataILi2EEENS1_14UnaryOpFunctorIN3c104HalfELi2ELi1ELi1EEEJNS0_5RoundIfEEEEEvT_T0_DpT1_,"axG",@progbits,_ZN2at6native12_GLOBAL__N_125multi_tensor_apply_kernelINS1_18TensorListMetadataILi2EEENS1_14UnaryOpFunctorIN3c104HalfELi2ELi1ELi1EEEJNS0_5RoundIfEEEEEvT_T0_DpT1_,comdat
.Lfunc_end260:
	.size	_ZN2at6native12_GLOBAL__N_125multi_tensor_apply_kernelINS1_18TensorListMetadataILi2EEENS1_14UnaryOpFunctorIN3c104HalfELi2ELi1ELi1EEEJNS0_5RoundIfEEEEEvT_T0_DpT1_, .Lfunc_end260-_ZN2at6native12_GLOBAL__N_125multi_tensor_apply_kernelINS1_18TensorListMetadataILi2EEENS1_14UnaryOpFunctorIN3c104HalfELi2ELi1ELi1EEEJNS0_5RoundIfEEEEEvT_T0_DpT1_
                                        ; -- End function
	.section	.AMDGPU.csdata,"",@progbits
; Kernel info:
; codeLenInByte = 1272
; NumSgprs: 30
; NumVgprs: 30
; NumAgprs: 0
; TotalNumVgprs: 30
; ScratchSize: 0
; MemoryBound: 0
; FloatMode: 240
; IeeeMode: 1
; LDSByteSize: 0 bytes/workgroup (compile time only)
; SGPRBlocks: 3
; VGPRBlocks: 3
; NumSGPRsForWavesPerEU: 30
; NumVGPRsForWavesPerEU: 30
; AccumOffset: 32
; Occupancy: 8
; WaveLimiterHint : 0
; COMPUTE_PGM_RSRC2:SCRATCH_EN: 0
; COMPUTE_PGM_RSRC2:USER_SGPR: 6
; COMPUTE_PGM_RSRC2:TRAP_HANDLER: 0
; COMPUTE_PGM_RSRC2:TGID_X_EN: 1
; COMPUTE_PGM_RSRC2:TGID_Y_EN: 0
; COMPUTE_PGM_RSRC2:TGID_Z_EN: 0
; COMPUTE_PGM_RSRC2:TIDIG_COMP_CNT: 0
; COMPUTE_PGM_RSRC3_GFX90A:ACCUM_OFFSET: 7
; COMPUTE_PGM_RSRC3_GFX90A:TG_SPLIT: 0
	.section	.text._ZN2at6native12_GLOBAL__N_125multi_tensor_apply_kernelINS1_18TensorListMetadataILi2EEENS1_14UnaryOpFunctorIN3c108BFloat16ELi2ELi1ELi1EEEJNS0_5RoundIfEEEEEvT_T0_DpT1_,"axG",@progbits,_ZN2at6native12_GLOBAL__N_125multi_tensor_apply_kernelINS1_18TensorListMetadataILi2EEENS1_14UnaryOpFunctorIN3c108BFloat16ELi2ELi1ELi1EEEJNS0_5RoundIfEEEEEvT_T0_DpT1_,comdat
	.globl	_ZN2at6native12_GLOBAL__N_125multi_tensor_apply_kernelINS1_18TensorListMetadataILi2EEENS1_14UnaryOpFunctorIN3c108BFloat16ELi2ELi1ELi1EEEJNS0_5RoundIfEEEEEvT_T0_DpT1_ ; -- Begin function _ZN2at6native12_GLOBAL__N_125multi_tensor_apply_kernelINS1_18TensorListMetadataILi2EEENS1_14UnaryOpFunctorIN3c108BFloat16ELi2ELi1ELi1EEEJNS0_5RoundIfEEEEEvT_T0_DpT1_
	.p2align	8
	.type	_ZN2at6native12_GLOBAL__N_125multi_tensor_apply_kernelINS1_18TensorListMetadataILi2EEENS1_14UnaryOpFunctorIN3c108BFloat16ELi2ELi1ELi1EEEJNS0_5RoundIfEEEEEvT_T0_DpT1_,@function
_ZN2at6native12_GLOBAL__N_125multi_tensor_apply_kernelINS1_18TensorListMetadataILi2EEENS1_14UnaryOpFunctorIN3c108BFloat16ELi2ELi1ELi1EEEJNS0_5RoundIfEEEEEvT_T0_DpT1_: ; @_ZN2at6native12_GLOBAL__N_125multi_tensor_apply_kernelINS1_18TensorListMetadataILi2EEENS1_14UnaryOpFunctorIN3c108BFloat16ELi2ELi1ELi1EEEJNS0_5RoundIfEEEEEvT_T0_DpT1_
; %bb.0:
	v_mov_b32_e32 v1, s6
	global_load_ubyte v1, v1, s[4:5] offset:1536
	s_add_u32 s0, s4, s6
	s_mul_hi_u32 s2, s6, 3
	s_mul_i32 s6, s6, 3
	s_addc_u32 s7, s5, 0
	s_add_u32 s8, s0, s6
	s_addc_u32 s9, s7, s2
	s_mov_b32 s1, 0
	s_mov_b32 s17, s1
	;; [unrolled: 1-line block ×3, first 2 shown]
	s_waitcnt vmcnt(0)
	v_readfirstlane_b32 s0, v1
	s_lshl_b32 s0, s0, 3
	s_load_dword s10, s[8:9], 0x740
	s_load_dwordx2 s[14:15], s[4:5], s0 offset:0x0
	s_load_dwordx2 s[12:13], s[4:5], s0 offset:0x400
	;; [unrolled: 1-line block ×3, first 2 shown]
	s_waitcnt lgkmcnt(0)
	s_ashr_i32 s11, s10, 31
	s_and_b32 s0, s14, 7
	s_and_b32 s16, s12, 3
	;; [unrolled: 1-line block ×3, first 2 shown]
	s_or_b64 s[16:17], s[0:1], s[16:17]
	s_lshl_b64 s[8:9], s[10:11], 17
	s_or_b64 s[2:3], s[2:3], s[16:17]
	s_lshl_b64 s[10:11], s[10:11], 16
	s_sub_u32 s10, s12, s10
	s_subb_u32 s11, s13, s11
	s_cmp_eq_u64 s[2:3], 0
	s_mov_b64 s[2:3], -1
	s_cbranch_scc0 .LBB261_5
; %bb.1:
	v_mov_b32_e32 v3, 0
	v_lshlrev_b32_e32 v2, 2, v0
	v_cmp_gt_i64_e32 vcc, s[10:11], v[2:3]
	s_and_saveexec_b64 s[12:13], vcc
	s_cbranch_execz .LBB261_4
; %bb.2:
	s_load_dword s0, s[4:5], 0xc5c
	v_lshlrev_b32_e32 v1, 3, v0
	v_mov_b32_e32 v2, s9
	v_add_co_u32_e32 v4, vcc, s8, v1
	s_waitcnt lgkmcnt(0)
	s_and_b32 s0, s0, 0xffff
	v_addc_co_u32_e32 v1, vcc, 0, v2, vcc
	s_lshl_b32 s20, s0, 3
	v_add_lshl_u32 v2, v0, s0, 2
	s_lshl_b32 s21, s0, 2
	s_mov_b64 s[16:17], 0
	v_mov_b32_e32 v5, s15
	s_movk_i32 s22, 0x7fff
	v_mov_b32_e32 v6, s7
	v_mov_b32_e32 v7, 0x7fc00000
	;; [unrolled: 1-line block ×3, first 2 shown]
	s_mov_b64 s[18:19], 0xffff
	v_mov_b32_e32 v9, s1
	v_mov_b32_e32 v10, s1
.LBB261_3:                              ; =>This Inner Loop Header: Depth=1
	v_add_co_u32_e32 v12, vcc, s14, v4
	v_addc_co_u32_e32 v13, vcc, v5, v1, vcc
	global_load_dwordx2 v[12:13], v[12:13], off
	v_add_co_u32_e32 v14, vcc, s6, v4
	v_addc_co_u32_e32 v15, vcc, v6, v1, vcc
	v_cmp_le_i64_e32 vcc, s[10:11], v[2:3]
	v_cmp_lt_u64_e64 s[0:1], s[18:19], v[2:3]
	v_add_co_u32_e64 v4, s[2:3], s20, v4
	v_addc_co_u32_e64 v1, s[2:3], v1, v9, s[2:3]
	s_or_b64 s[0:1], vcc, s[0:1]
	v_add_co_u32_e64 v2, s[2:3], s21, v2
	s_and_b64 s[0:1], exec, s[0:1]
	v_addc_co_u32_e64 v3, s[2:3], v3, v10, s[2:3]
	s_or_b64 s[16:17], s[0:1], s[16:17]
	s_waitcnt vmcnt(0)
	v_and_b32_e32 v11, 0xffff0000, v12
	v_lshlrev_b32_e32 v16, 16, v12
	v_alignbit_b32 v12, v13, v12, 16
	v_and_b32_e32 v13, 0xffff0000, v13
	v_rndne_f32_e32 v16, v16
	v_rndne_f32_e32 v11, v11
	v_and_b32_e32 v12, 0xffff0000, v12
	v_rndne_f32_e32 v13, v13
	v_bfe_u32 v17, v16, 16, 1
	v_bfe_u32 v18, v11, 16, 1
	v_rndne_f32_e32 v12, v12
	v_bfe_u32 v19, v13, 16, 1
	v_add3_u32 v17, v16, v17, s22
	v_add3_u32 v18, v11, v18, s22
	v_bfe_u32 v20, v12, 16, 1
	v_add3_u32 v19, v13, v19, s22
	v_lshrrev_b32_e32 v17, 16, v17
	v_and_b32_e32 v18, 0xffff0000, v18
	v_add3_u32 v20, v12, v20, s22
	v_cmp_o_f32_e32 vcc, v11, v11
	v_cmp_o_f32_e64 s[0:1], v16, v16
	v_and_b32_e32 v19, 0xffff0000, v19
	v_cmp_o_f32_e64 s[2:3], v13, v13
	v_lshrrev_b32_e32 v11, 16, v20
	v_cndmask_b32_e32 v16, v7, v18, vcc
	v_cndmask_b32_e64 v17, v8, v17, s[0:1]
	v_cmp_o_f32_e32 vcc, v12, v12
	v_cndmask_b32_e64 v13, v7, v19, s[2:3]
	v_cndmask_b32_e32 v11, v8, v11, vcc
	v_or_b32_e32 v12, v17, v16
	v_or3_b32 v13, 0, v11, v13
	v_or3_b32 v12, v12, 0, 0
	global_store_dwordx2 v[14:15], v[12:13], off
	s_andn2_b64 exec, exec, s[16:17]
	s_cbranch_execnz .LBB261_3
.LBB261_4:
	s_or_b64 exec, exec, s[12:13]
	s_mov_b64 s[2:3], 0
.LBB261_5:
	s_andn2_b64 vcc, exec, s[2:3]
	s_cbranch_vccnz .LBB261_25
; %bb.6:
	v_cmp_lt_i64_e64 s[0:1], s[10:11], 1
	s_and_b64 vcc, exec, s[0:1]
	s_cbranch_vccnz .LBB261_25
; %bb.7:
	s_load_dword s0, s[4:5], 0xc5c
	v_mov_b32_e32 v2, 0x10000
	v_mov_b32_e32 v3, 0
	v_cmp_lt_u64_e32 vcc, s[10:11], v[2:3]
	v_lshlrev_b32_e32 v10, 1, v0
	s_waitcnt lgkmcnt(0)
	s_and_b32 s2, s0, 0xffff
	s_and_b64 s[0:1], vcc, exec
	v_mov_b32_e32 v13, s15
	v_add_co_u32_e32 v2, vcc, s14, v10
	v_addc_co_u32_e32 v1, vcc, 0, v13, vcc
	v_mov_b32_e32 v11, 0
	v_mov_b32_e32 v15, s7
	v_add_co_u32_e32 v4, vcc, s6, v10
	v_addc_co_u32_e32 v3, vcc, 0, v15, vcc
	v_mad_u64_u32 v[8:9], s[0:1], s2, 6, v[10:11]
	v_add_co_u32_e32 v6, vcc, s14, v8
	v_addc_co_u32_e32 v5, vcc, v13, v9, vcc
	v_add_co_u32_e32 v8, vcc, s6, v8
	s_mul_i32 s4, s2, 3
	v_addc_co_u32_e32 v7, vcc, v15, v9, vcc
	s_cselect_b32 s13, s11, 0
	s_cselect_b32 s12, s10, 0x10000
	s_lshl_b32 s19, s2, 2
	v_add_co_u32_e32 v17, vcc, s4, v0
	v_addc_co_u32_e64 v18, s[0:1], 0, 0, vcc
	v_add_co_u32_e32 v11, vcc, s19, v10
	v_addc_co_u32_e64 v14, s[0:1], 0, 0, vcc
	v_add_co_u32_e32 v10, vcc, s14, v11
	v_addc_co_u32_e32 v9, vcc, v13, v14, vcc
	v_add_co_u32_e32 v12, vcc, s6, v11
	s_lshl_b32 s3, s2, 1
	v_addc_co_u32_e32 v11, vcc, v15, v14, vcc
	v_add_co_u32_e32 v19, vcc, s3, v0
	v_addc_co_u32_e64 v20, s[0:1], 0, 0, vcc
	v_add_co_u32_e32 v21, vcc, s2, v0
	v_lshlrev_b32_e32 v16, 1, v21
	v_addc_co_u32_e64 v22, s[0:1], 0, 0, vcc
	v_add_co_u32_e32 v14, vcc, s14, v16
	v_addc_co_u32_e32 v13, vcc, 0, v13, vcc
	v_add_co_u32_e32 v16, vcc, s6, v16
	s_mov_b32 s18, 0
	s_lshl_b32 s20, s2, 3
	v_addc_co_u32_e32 v15, vcc, 0, v15, vcc
	s_mov_b64 s[14:15], 0
	s_movk_i32 s21, 0x7fff
	v_mov_b32_e32 v23, 0x7fc0
	s_branch .LBB261_9
.LBB261_8:                              ;   in Loop: Header=BB261_9 Depth=1
	s_or_b64 exec, exec, s[0:1]
	s_add_u32 s14, s14, s19
	s_addc_u32 s15, s15, 0
	s_waitcnt vmcnt(0)
	v_pk_mov_b32 v[24:25], s[10:11], s[10:11] op_sel:[0,1]
	v_cmp_ge_i64_e32 vcc, s[14:15], v[24:25]
	v_mov_b32_e32 v24, 0xffff
	v_mov_b32_e32 v25, 0
	v_cmp_gt_u64_e64 s[0:1], s[14:15], v[24:25]
	s_or_b64 s[0:1], vcc, s[0:1]
	v_mov_b32_e32 v24, s18
	v_add_co_u32_e32 v2, vcc, s20, v2
	v_addc_co_u32_e32 v1, vcc, v1, v24, vcc
	v_add_co_u32_e32 v4, vcc, s20, v4
	v_addc_co_u32_e32 v3, vcc, v3, v24, vcc
	v_add_co_u32_e32 v6, vcc, s20, v6
	v_addc_co_u32_e32 v5, vcc, v5, v24, vcc
	v_add_co_u32_e32 v8, vcc, s20, v8
	v_addc_co_u32_e32 v7, vcc, v7, v24, vcc
	v_add_co_u32_e32 v10, vcc, s20, v10
	v_addc_co_u32_e32 v9, vcc, v9, v24, vcc
	v_add_co_u32_e32 v12, vcc, s20, v12
	v_addc_co_u32_e32 v11, vcc, v11, v24, vcc
	v_add_co_u32_e32 v14, vcc, s20, v14
	v_addc_co_u32_e32 v13, vcc, v13, v24, vcc
	v_add_co_u32_e32 v16, vcc, s20, v16
	v_addc_co_u32_e32 v15, vcc, v15, v24, vcc
	s_and_b64 vcc, exec, s[0:1]
	s_cbranch_vccnz .LBB261_25
.LBB261_9:                              ; =>This Inner Loop Header: Depth=1
	v_mov_b32_e32 v25, s15
	v_add_co_u32_e32 v24, vcc, s14, v0
	v_addc_co_u32_e32 v25, vcc, 0, v25, vcc
	v_cmp_gt_u64_e32 vcc, s[12:13], v[24:25]
	v_mov_b32_e32 v25, 0
	s_and_saveexec_b64 s[2:3], vcc
	s_cbranch_execz .LBB261_11
; %bb.10:                               ;   in Loop: Header=BB261_9 Depth=1
	v_mov_b32_e32 v25, s9
	v_add_co_u32_e64 v24, s[0:1], s8, v2
	v_addc_co_u32_e64 v25, s[0:1], v1, v25, s[0:1]
	global_load_ushort v25, v[24:25], off
.LBB261_11:                             ;   in Loop: Header=BB261_9 Depth=1
	s_or_b64 exec, exec, s[2:3]
	v_mov_b32_e32 v24, s15
	v_add_co_u32_e64 v26, s[0:1], s14, v21
	v_addc_co_u32_e64 v27, s[0:1], v22, v24, s[0:1]
	v_cmp_gt_u64_e64 s[0:1], s[12:13], v[26:27]
	v_mov_b32_e32 v26, 0
	s_and_saveexec_b64 s[4:5], s[0:1]
	s_cbranch_execz .LBB261_13
; %bb.12:                               ;   in Loop: Header=BB261_9 Depth=1
	v_mov_b32_e32 v24, s9
	v_add_co_u32_e64 v26, s[2:3], s8, v14
	v_addc_co_u32_e64 v27, s[2:3], v13, v24, s[2:3]
	global_load_ushort v26, v[26:27], off
.LBB261_13:                             ;   in Loop: Header=BB261_9 Depth=1
	s_or_b64 exec, exec, s[4:5]
	v_mov_b32_e32 v24, s15
	v_add_co_u32_e64 v28, s[2:3], s14, v19
	v_addc_co_u32_e64 v29, s[2:3], v20, v24, s[2:3]
	v_cmp_gt_u64_e64 s[2:3], s[12:13], v[28:29]
	v_mov_b32_e32 v24, 0
	v_mov_b32_e32 v27, 0
	s_and_saveexec_b64 s[6:7], s[2:3]
	s_cbranch_execz .LBB261_15
; %bb.14:                               ;   in Loop: Header=BB261_9 Depth=1
	v_mov_b32_e32 v27, s9
	v_add_co_u32_e64 v28, s[4:5], s8, v10
	v_addc_co_u32_e64 v29, s[4:5], v9, v27, s[4:5]
	global_load_ushort v27, v[28:29], off
.LBB261_15:                             ;   in Loop: Header=BB261_9 Depth=1
	s_or_b64 exec, exec, s[6:7]
	v_mov_b32_e32 v29, s15
	v_add_co_u32_e64 v28, s[4:5], s14, v17
	v_addc_co_u32_e64 v29, s[4:5], v18, v29, s[4:5]
	v_cmp_gt_u64_e64 s[4:5], s[12:13], v[28:29]
	s_and_saveexec_b64 s[16:17], s[4:5]
	s_cbranch_execnz .LBB261_20
; %bb.16:                               ;   in Loop: Header=BB261_9 Depth=1
	s_or_b64 exec, exec, s[16:17]
	s_and_saveexec_b64 s[6:7], vcc
	s_cbranch_execnz .LBB261_21
.LBB261_17:                             ;   in Loop: Header=BB261_9 Depth=1
	s_or_b64 exec, exec, s[6:7]
	s_and_saveexec_b64 s[6:7], s[0:1]
	s_cbranch_execnz .LBB261_22
.LBB261_18:                             ;   in Loop: Header=BB261_9 Depth=1
	s_or_b64 exec, exec, s[6:7]
	s_and_saveexec_b64 s[0:1], s[2:3]
	s_cbranch_execnz .LBB261_23
.LBB261_19:                             ;   in Loop: Header=BB261_9 Depth=1
	s_or_b64 exec, exec, s[0:1]
	s_and_saveexec_b64 s[0:1], s[4:5]
	s_cbranch_execz .LBB261_8
	s_branch .LBB261_24
.LBB261_20:                             ;   in Loop: Header=BB261_9 Depth=1
	v_mov_b32_e32 v24, s9
	v_add_co_u32_e64 v28, s[6:7], s8, v6
	v_addc_co_u32_e64 v29, s[6:7], v5, v24, s[6:7]
	global_load_ushort v24, v[28:29], off
	s_or_b64 exec, exec, s[16:17]
	s_and_saveexec_b64 s[6:7], vcc
	s_cbranch_execz .LBB261_17
.LBB261_21:                             ;   in Loop: Header=BB261_9 Depth=1
	s_waitcnt vmcnt(0)
	v_lshlrev_b32_e32 v25, 16, v25
	v_rndne_f32_e32 v25, v25
	v_bfe_u32 v28, v25, 16, 1
	v_add3_u32 v28, v25, v28, s21
	v_lshrrev_b32_e32 v28, 16, v28
	v_cmp_o_f32_e32 vcc, v25, v25
	v_cndmask_b32_e32 v25, v23, v28, vcc
	v_mov_b32_e32 v29, s9
	v_add_co_u32_e32 v28, vcc, s8, v4
	v_addc_co_u32_e32 v29, vcc, v3, v29, vcc
	global_store_short v[28:29], v25, off
	s_or_b64 exec, exec, s[6:7]
	s_and_saveexec_b64 s[6:7], s[0:1]
	s_cbranch_execz .LBB261_18
.LBB261_22:                             ;   in Loop: Header=BB261_9 Depth=1
	s_waitcnt vmcnt(0)
	v_lshlrev_b32_e32 v25, 16, v26
	v_rndne_f32_e32 v25, v25
	v_bfe_u32 v26, v25, 16, 1
	v_add3_u32 v26, v25, v26, s21
	v_lshrrev_b32_e32 v26, 16, v26
	v_cmp_o_f32_e32 vcc, v25, v25
	v_cndmask_b32_e32 v25, v23, v26, vcc
	v_mov_b32_e32 v26, s9
	v_add_co_u32_e32 v28, vcc, s8, v16
	v_addc_co_u32_e32 v29, vcc, v15, v26, vcc
	global_store_short v[28:29], v25, off
	s_or_b64 exec, exec, s[6:7]
	s_and_saveexec_b64 s[0:1], s[2:3]
	s_cbranch_execz .LBB261_19
.LBB261_23:                             ;   in Loop: Header=BB261_9 Depth=1
	s_waitcnt vmcnt(0)
	v_lshlrev_b32_e32 v25, 16, v27
	v_rndne_f32_e32 v25, v25
	v_bfe_u32 v26, v25, 16, 1
	v_add3_u32 v26, v25, v26, s21
	v_lshrrev_b32_e32 v26, 16, v26
	v_cmp_o_f32_e32 vcc, v25, v25
	v_cndmask_b32_e32 v25, v23, v26, vcc
	v_mov_b32_e32 v27, s9
	v_add_co_u32_e32 v26, vcc, s8, v12
	v_addc_co_u32_e32 v27, vcc, v11, v27, vcc
	global_store_short v[26:27], v25, off
	s_or_b64 exec, exec, s[0:1]
	s_and_saveexec_b64 s[0:1], s[4:5]
	s_cbranch_execz .LBB261_8
.LBB261_24:                             ;   in Loop: Header=BB261_9 Depth=1
	s_waitcnt vmcnt(0)
	v_lshlrev_b32_e32 v24, 16, v24
	v_rndne_f32_e32 v24, v24
	v_bfe_u32 v25, v24, 16, 1
	v_add3_u32 v25, v24, v25, s21
	v_lshrrev_b32_e32 v25, 16, v25
	v_cmp_o_f32_e32 vcc, v24, v24
	v_cndmask_b32_e32 v26, v23, v25, vcc
	v_mov_b32_e32 v25, s9
	v_add_co_u32_e32 v24, vcc, s8, v8
	v_addc_co_u32_e32 v25, vcc, v7, v25, vcc
	global_store_short v[24:25], v26, off
	s_branch .LBB261_8
.LBB261_25:
	s_endpgm
	.section	.rodata,"a",@progbits
	.p2align	6, 0x0
	.amdhsa_kernel _ZN2at6native12_GLOBAL__N_125multi_tensor_apply_kernelINS1_18TensorListMetadataILi2EEENS1_14UnaryOpFunctorIN3c108BFloat16ELi2ELi1ELi1EEEJNS0_5RoundIfEEEEEvT_T0_DpT1_
		.amdhsa_group_segment_fixed_size 0
		.amdhsa_private_segment_fixed_size 0
		.amdhsa_kernarg_size 3408
		.amdhsa_user_sgpr_count 6
		.amdhsa_user_sgpr_private_segment_buffer 1
		.amdhsa_user_sgpr_dispatch_ptr 0
		.amdhsa_user_sgpr_queue_ptr 0
		.amdhsa_user_sgpr_kernarg_segment_ptr 1
		.amdhsa_user_sgpr_dispatch_id 0
		.amdhsa_user_sgpr_flat_scratch_init 0
		.amdhsa_user_sgpr_kernarg_preload_length 0
		.amdhsa_user_sgpr_kernarg_preload_offset 0
		.amdhsa_user_sgpr_private_segment_size 0
		.amdhsa_uses_dynamic_stack 0
		.amdhsa_system_sgpr_private_segment_wavefront_offset 0
		.amdhsa_system_sgpr_workgroup_id_x 1
		.amdhsa_system_sgpr_workgroup_id_y 0
		.amdhsa_system_sgpr_workgroup_id_z 0
		.amdhsa_system_sgpr_workgroup_info 0
		.amdhsa_system_vgpr_workitem_id 0
		.amdhsa_next_free_vgpr 30
		.amdhsa_next_free_sgpr 23
		.amdhsa_accum_offset 32
		.amdhsa_reserve_vcc 1
		.amdhsa_reserve_flat_scratch 0
		.amdhsa_float_round_mode_32 0
		.amdhsa_float_round_mode_16_64 0
		.amdhsa_float_denorm_mode_32 3
		.amdhsa_float_denorm_mode_16_64 3
		.amdhsa_dx10_clamp 1
		.amdhsa_ieee_mode 1
		.amdhsa_fp16_overflow 0
		.amdhsa_tg_split 0
		.amdhsa_exception_fp_ieee_invalid_op 0
		.amdhsa_exception_fp_denorm_src 0
		.amdhsa_exception_fp_ieee_div_zero 0
		.amdhsa_exception_fp_ieee_overflow 0
		.amdhsa_exception_fp_ieee_underflow 0
		.amdhsa_exception_fp_ieee_inexact 0
		.amdhsa_exception_int_div_zero 0
	.end_amdhsa_kernel
	.section	.text._ZN2at6native12_GLOBAL__N_125multi_tensor_apply_kernelINS1_18TensorListMetadataILi2EEENS1_14UnaryOpFunctorIN3c108BFloat16ELi2ELi1ELi1EEEJNS0_5RoundIfEEEEEvT_T0_DpT1_,"axG",@progbits,_ZN2at6native12_GLOBAL__N_125multi_tensor_apply_kernelINS1_18TensorListMetadataILi2EEENS1_14UnaryOpFunctorIN3c108BFloat16ELi2ELi1ELi1EEEJNS0_5RoundIfEEEEEvT_T0_DpT1_,comdat
.Lfunc_end261:
	.size	_ZN2at6native12_GLOBAL__N_125multi_tensor_apply_kernelINS1_18TensorListMetadataILi2EEENS1_14UnaryOpFunctorIN3c108BFloat16ELi2ELi1ELi1EEEJNS0_5RoundIfEEEEEvT_T0_DpT1_, .Lfunc_end261-_ZN2at6native12_GLOBAL__N_125multi_tensor_apply_kernelINS1_18TensorListMetadataILi2EEENS1_14UnaryOpFunctorIN3c108BFloat16ELi2ELi1ELi1EEEJNS0_5RoundIfEEEEEvT_T0_DpT1_
                                        ; -- End function
	.section	.AMDGPU.csdata,"",@progbits
; Kernel info:
; codeLenInByte = 1588
; NumSgprs: 27
; NumVgprs: 30
; NumAgprs: 0
; TotalNumVgprs: 30
; ScratchSize: 0
; MemoryBound: 0
; FloatMode: 240
; IeeeMode: 1
; LDSByteSize: 0 bytes/workgroup (compile time only)
; SGPRBlocks: 3
; VGPRBlocks: 3
; NumSGPRsForWavesPerEU: 27
; NumVGPRsForWavesPerEU: 30
; AccumOffset: 32
; Occupancy: 8
; WaveLimiterHint : 0
; COMPUTE_PGM_RSRC2:SCRATCH_EN: 0
; COMPUTE_PGM_RSRC2:USER_SGPR: 6
; COMPUTE_PGM_RSRC2:TRAP_HANDLER: 0
; COMPUTE_PGM_RSRC2:TGID_X_EN: 1
; COMPUTE_PGM_RSRC2:TGID_Y_EN: 0
; COMPUTE_PGM_RSRC2:TGID_Z_EN: 0
; COMPUTE_PGM_RSRC2:TIDIG_COMP_CNT: 0
; COMPUTE_PGM_RSRC3_GFX90A:ACCUM_OFFSET: 7
; COMPUTE_PGM_RSRC3_GFX90A:TG_SPLIT: 0
	.section	.text._ZN2at6native12_GLOBAL__N_125multi_tensor_apply_kernelINS1_18TensorListMetadataILi1EEENS1_14UnaryOpFunctorIdLi1ELi1ELi0EEEJNS0_5RoundIdEEEEEvT_T0_DpT1_,"axG",@progbits,_ZN2at6native12_GLOBAL__N_125multi_tensor_apply_kernelINS1_18TensorListMetadataILi1EEENS1_14UnaryOpFunctorIdLi1ELi1ELi0EEEJNS0_5RoundIdEEEEEvT_T0_DpT1_,comdat
	.globl	_ZN2at6native12_GLOBAL__N_125multi_tensor_apply_kernelINS1_18TensorListMetadataILi1EEENS1_14UnaryOpFunctorIdLi1ELi1ELi0EEEJNS0_5RoundIdEEEEEvT_T0_DpT1_ ; -- Begin function _ZN2at6native12_GLOBAL__N_125multi_tensor_apply_kernelINS1_18TensorListMetadataILi1EEENS1_14UnaryOpFunctorIdLi1ELi1ELi0EEEJNS0_5RoundIdEEEEEvT_T0_DpT1_
	.p2align	8
	.type	_ZN2at6native12_GLOBAL__N_125multi_tensor_apply_kernelINS1_18TensorListMetadataILi1EEENS1_14UnaryOpFunctorIdLi1ELi1ELi0EEEJNS0_5RoundIdEEEEEvT_T0_DpT1_,@function
_ZN2at6native12_GLOBAL__N_125multi_tensor_apply_kernelINS1_18TensorListMetadataILi1EEENS1_14UnaryOpFunctorIdLi1ELi1ELi0EEEJNS0_5RoundIdEEEEEvT_T0_DpT1_: ; @_ZN2at6native12_GLOBAL__N_125multi_tensor_apply_kernelINS1_18TensorListMetadataILi1EEENS1_14UnaryOpFunctorIdLi1ELi1ELi0EEEJNS0_5RoundIdEEEEEvT_T0_DpT1_
; %bb.0:
	v_mov_b32_e32 v1, s6
	global_load_ubyte v1, v1, s[4:5] offset:1760
	s_add_u32 s0, s4, s6
	s_mul_hi_u32 s1, s6, 3
	s_mul_i32 s6, s6, 3
	s_addc_u32 s2, s5, 0
	s_add_u32 s0, s0, s6
	s_addc_u32 s1, s2, s1
	s_load_dword s0, s[0:1], 0x820
	s_mov_b32 s7, 0
	s_waitcnt vmcnt(0)
	v_readfirstlane_b32 s2, v1
	s_lshl_b32 s1, s2, 3
	s_load_dwordx2 s[2:3], s[4:5], s1 offset:0x370
	s_load_dwordx2 s[12:13], s[4:5], s1 offset:0x0
	s_waitcnt lgkmcnt(0)
	s_ashr_i32 s1, s0, 31
	s_lshl_b64 s[14:15], s[0:1], 19
	s_lshl_b64 s[0:1], s[0:1], 16
	s_and_b32 s6, s12, 31
	s_sub_u32 s10, s2, s0
	s_subb_u32 s11, s3, s1
	s_and_b32 s0, s2, 3
	s_mov_b32 s1, s7
	s_or_b64 s[0:1], s[6:7], s[0:1]
	s_cmp_eq_u64 s[0:1], 0
	s_cbranch_scc1 .LBB262_21
; %bb.1:
	v_cmp_lt_i64_e64 s[0:1], s[10:11], 1
	s_and_b64 vcc, exec, s[0:1]
	s_cbranch_vccnz .LBB262_20
; %bb.2:
	s_load_dword s0, s[4:5], 0xd3c
	v_mov_b32_e32 v2, 0x10000
	v_mov_b32_e32 v3, 0
	v_cmp_lt_u64_e32 vcc, s[10:11], v[2:3]
	v_lshlrev_b32_e32 v1, 3, v0
	s_waitcnt lgkmcnt(0)
	s_and_b32 s3, s0, 0xffff
	s_and_b64 s[0:1], vcc, exec
	s_cselect_b32 s17, s11, 0
	s_cselect_b32 s16, s10, 0x10000
	s_lshl_b32 s6, s3, 1
	s_lshl_b32 s22, s3, 2
	s_add_u32 s7, s12, s14
	s_addc_u32 s8, s13, s15
	v_mov_b32_e32 v5, s8
	v_add_co_u32_e32 v4, vcc, s7, v1
	s_mul_i32 s0, s3, 3
	v_addc_co_u32_e32 v5, vcc, 0, v5, vcc
	v_add_co_u32_e32 v1, vcc, s0, v0
	v_addc_co_u32_e64 v18, s[0:1], 0, 0, vcc
	v_add_co_u32_e32 v19, vcc, s6, v0
	v_addc_co_u32_e64 v20, s[0:1], 0, 0, vcc
	v_add_co_u32_e32 v21, vcc, s3, v0
	v_lshlrev_b32_e32 v6, 3, v21
	s_mov_b32 s2, 0
	v_addc_co_u32_e64 v22, s[0:1], 0, 0, vcc
	v_mov_b32_e32 v7, s8
	v_add_co_u32_e32 v6, vcc, s7, v6
	s_lshl_b32 s23, s3, 5
	s_mul_i32 s24, s3, 24
	s_mov_b32 s25, s2
	s_lshl_b32 s26, s3, 4
	s_mov_b32 s27, s2
	v_addc_co_u32_e32 v7, vcc, 0, v7, vcc
	s_mov_b64 s[18:19], 0
	v_pk_mov_b32 v[8:9], s[10:11], s[10:11] op_sel:[0,1]
	v_mov_b32_e32 v23, s2
	s_branch .LBB262_4
.LBB262_3:                              ;   in Loop: Header=BB262_4 Depth=1
	s_or_b64 exec, exec, s[0:1]
	s_add_u32 s18, s18, s22
	s_addc_u32 s19, s19, 0
	v_cmp_lt_i64_e32 vcc, s[18:19], v[8:9]
	v_cmp_lt_u64_e64 s[0:1], s[18:19], v[2:3]
	s_and_b64 s[0:1], vcc, s[0:1]
	v_add_co_u32_e32 v4, vcc, s23, v4
	v_addc_co_u32_e32 v5, vcc, v5, v23, vcc
	v_add_co_u32_e32 v6, vcc, s23, v6
	v_addc_co_u32_e32 v7, vcc, v7, v23, vcc
	s_and_b64 vcc, exec, s[0:1]
	s_cbranch_vccz .LBB262_20
.LBB262_4:                              ; =>This Inner Loop Header: Depth=1
	s_waitcnt vmcnt(0)
	v_mov_b32_e32 v11, s19
	v_add_co_u32_e32 v10, vcc, s18, v0
	v_addc_co_u32_e32 v11, vcc, 0, v11, vcc
	v_cmp_gt_u64_e32 vcc, s[16:17], v[10:11]
	v_pk_mov_b32 v[10:11], 0, 0
	v_pk_mov_b32 v[12:13], v[10:11], v[10:11] op_sel:[0,1]
	s_and_saveexec_b64 s[0:1], vcc
	s_cbranch_execz .LBB262_6
; %bb.5:                                ;   in Loop: Header=BB262_4 Depth=1
	global_load_dwordx2 v[12:13], v[4:5], off
.LBB262_6:                              ;   in Loop: Header=BB262_4 Depth=1
	s_or_b64 exec, exec, s[0:1]
	v_mov_b32_e32 v15, s19
	v_add_co_u32_e64 v14, s[0:1], s18, v21
	v_addc_co_u32_e64 v15, s[0:1], v22, v15, s[0:1]
	v_cmp_gt_u64_e64 s[0:1], s[16:17], v[14:15]
	s_and_saveexec_b64 s[2:3], s[0:1]
	s_cbranch_execz .LBB262_8
; %bb.7:                                ;   in Loop: Header=BB262_4 Depth=1
	global_load_dwordx2 v[10:11], v[6:7], off
.LBB262_8:                              ;   in Loop: Header=BB262_4 Depth=1
	s_or_b64 exec, exec, s[2:3]
	v_mov_b32_e32 v15, s19
	v_add_co_u32_e64 v14, s[2:3], s18, v19
	v_addc_co_u32_e64 v15, s[2:3], v20, v15, s[2:3]
	v_cmp_gt_u64_e64 s[2:3], s[16:17], v[14:15]
	v_pk_mov_b32 v[14:15], 0, 0
	v_pk_mov_b32 v[16:17], v[14:15], v[14:15] op_sel:[0,1]
	s_and_saveexec_b64 s[8:9], s[2:3]
	s_cbranch_execz .LBB262_10
; %bb.9:                                ;   in Loop: Header=BB262_4 Depth=1
	v_mov_b32_e32 v17, s27
	v_add_co_u32_e64 v16, s[6:7], s26, v4
	v_addc_co_u32_e64 v17, s[6:7], v5, v17, s[6:7]
	global_load_dwordx2 v[16:17], v[16:17], off
.LBB262_10:                             ;   in Loop: Header=BB262_4 Depth=1
	s_or_b64 exec, exec, s[8:9]
	v_mov_b32_e32 v25, s19
	v_add_co_u32_e64 v24, s[6:7], s18, v1
	v_addc_co_u32_e64 v25, s[6:7], v18, v25, s[6:7]
	v_cmp_gt_u64_e64 s[6:7], s[16:17], v[24:25]
	s_and_saveexec_b64 s[20:21], s[6:7]
	s_cbranch_execnz .LBB262_15
; %bb.11:                               ;   in Loop: Header=BB262_4 Depth=1
	s_or_b64 exec, exec, s[20:21]
	s_and_saveexec_b64 s[8:9], vcc
	s_cbranch_execnz .LBB262_16
.LBB262_12:                             ;   in Loop: Header=BB262_4 Depth=1
	s_or_b64 exec, exec, s[8:9]
	s_and_saveexec_b64 s[8:9], s[0:1]
	s_cbranch_execnz .LBB262_17
.LBB262_13:                             ;   in Loop: Header=BB262_4 Depth=1
	s_or_b64 exec, exec, s[8:9]
	s_and_saveexec_b64 s[0:1], s[2:3]
	s_cbranch_execnz .LBB262_18
.LBB262_14:                             ;   in Loop: Header=BB262_4 Depth=1
	s_or_b64 exec, exec, s[0:1]
	s_and_saveexec_b64 s[0:1], s[6:7]
	s_cbranch_execz .LBB262_3
	s_branch .LBB262_19
.LBB262_15:                             ;   in Loop: Header=BB262_4 Depth=1
	v_mov_b32_e32 v15, s25
	v_add_co_u32_e64 v14, s[8:9], s24, v4
	v_addc_co_u32_e64 v15, s[8:9], v5, v15, s[8:9]
	global_load_dwordx2 v[14:15], v[14:15], off
	s_or_b64 exec, exec, s[20:21]
	s_and_saveexec_b64 s[8:9], vcc
	s_cbranch_execz .LBB262_12
.LBB262_16:                             ;   in Loop: Header=BB262_4 Depth=1
	s_waitcnt vmcnt(0)
	v_rndne_f64_e32 v[12:13], v[12:13]
	global_store_dwordx2 v[4:5], v[12:13], off
	s_or_b64 exec, exec, s[8:9]
	s_and_saveexec_b64 s[8:9], s[0:1]
	s_cbranch_execz .LBB262_13
.LBB262_17:                             ;   in Loop: Header=BB262_4 Depth=1
	s_waitcnt vmcnt(0)
	v_rndne_f64_e32 v[10:11], v[10:11]
	global_store_dwordx2 v[6:7], v[10:11], off
	s_or_b64 exec, exec, s[8:9]
	s_and_saveexec_b64 s[0:1], s[2:3]
	s_cbranch_execz .LBB262_14
.LBB262_18:                             ;   in Loop: Header=BB262_4 Depth=1
	s_waitcnt vmcnt(0)
	v_mov_b32_e32 v13, s27
	v_add_co_u32_e32 v12, vcc, s26, v4
	v_rndne_f64_e32 v[10:11], v[16:17]
	v_addc_co_u32_e32 v13, vcc, v5, v13, vcc
	global_store_dwordx2 v[12:13], v[10:11], off
	s_or_b64 exec, exec, s[0:1]
	s_and_saveexec_b64 s[0:1], s[6:7]
	s_cbranch_execz .LBB262_3
.LBB262_19:                             ;   in Loop: Header=BB262_4 Depth=1
	s_waitcnt vmcnt(0)
	v_mov_b32_e32 v13, s25
	v_add_co_u32_e32 v12, vcc, s24, v4
	v_rndne_f64_e32 v[10:11], v[14:15]
	v_addc_co_u32_e32 v13, vcc, v5, v13, vcc
	global_store_dwordx2 v[12:13], v[10:11], off
	s_branch .LBB262_3
.LBB262_20:
	s_cbranch_execz .LBB262_22
	s_branch .LBB262_25
.LBB262_21:
.LBB262_22:
	v_mov_b32_e32 v3, 0
	v_lshlrev_b32_e32 v2, 2, v0
	s_mov_b32 s0, 0
	v_cmp_gt_i64_e32 vcc, s[10:11], v[2:3]
	s_and_saveexec_b64 s[2:3], vcc
	s_cbranch_execz .LBB262_25
; %bb.23:
	s_load_dword s1, s[4:5], 0xd3c
	v_lshlrev_b32_e32 v1, 5, v0
	s_mov_b64 s[4:5], 0
	s_mov_b64 s[6:7], 0xffff
	v_mov_b32_e32 v5, s0
	s_waitcnt lgkmcnt(0)
	s_and_b32 s1, s1, 0xffff
	s_lshl_b32 s8, s1, 2
	s_add_u32 s2, s12, s14
	s_addc_u32 s3, s13, s15
	v_add_lshl_u32 v2, v0, s1, 2
	v_mov_b32_e32 v0, s3
	v_add_co_u32_e32 v1, vcc, s2, v1
	v_addc_co_u32_e32 v4, vcc, 0, v0, vcc
	v_add_co_u32_e32 v0, vcc, 16, v1
	v_addc_co_u32_e32 v1, vcc, 0, v4, vcc
	s_lshl_b32 s9, s1, 5
	v_mov_b32_e32 v4, s0
.LBB262_24:                             ; =>This Inner Loop Header: Depth=1
	global_load_dwordx4 v[6:9], v[0:1], off offset:-16
	global_load_dwordx4 v[10:13], v[0:1], off
	v_cmp_le_i64_e32 vcc, s[10:11], v[2:3]
	v_cmp_lt_u64_e64 s[0:1], s[6:7], v[2:3]
	s_or_b64 s[0:1], vcc, s[0:1]
	v_add_co_u32_e64 v2, s[2:3], s8, v2
	s_and_b64 s[0:1], exec, s[0:1]
	v_addc_co_u32_e64 v3, s[2:3], v3, v4, s[2:3]
	s_or_b64 s[4:5], s[0:1], s[4:5]
	s_waitcnt vmcnt(1)
	v_rndne_f64_e32 v[6:7], v[6:7]
	v_rndne_f64_e32 v[8:9], v[8:9]
	s_waitcnt vmcnt(0)
	v_rndne_f64_e32 v[10:11], v[10:11]
	v_rndne_f64_e32 v[12:13], v[12:13]
	global_store_dwordx4 v[0:1], v[6:9], off offset:-16
	global_store_dwordx4 v[0:1], v[10:13], off
	v_add_co_u32_e32 v0, vcc, s9, v0
	v_addc_co_u32_e32 v1, vcc, v1, v5, vcc
	s_andn2_b64 exec, exec, s[4:5]
	s_cbranch_execnz .LBB262_24
.LBB262_25:
	s_endpgm
	.section	.rodata,"a",@progbits
	.p2align	6, 0x0
	.amdhsa_kernel _ZN2at6native12_GLOBAL__N_125multi_tensor_apply_kernelINS1_18TensorListMetadataILi1EEENS1_14UnaryOpFunctorIdLi1ELi1ELi0EEEJNS0_5RoundIdEEEEEvT_T0_DpT1_
		.amdhsa_group_segment_fixed_size 0
		.amdhsa_private_segment_fixed_size 0
		.amdhsa_kernarg_size 3632
		.amdhsa_user_sgpr_count 6
		.amdhsa_user_sgpr_private_segment_buffer 1
		.amdhsa_user_sgpr_dispatch_ptr 0
		.amdhsa_user_sgpr_queue_ptr 0
		.amdhsa_user_sgpr_kernarg_segment_ptr 1
		.amdhsa_user_sgpr_dispatch_id 0
		.amdhsa_user_sgpr_flat_scratch_init 0
		.amdhsa_user_sgpr_kernarg_preload_length 0
		.amdhsa_user_sgpr_kernarg_preload_offset 0
		.amdhsa_user_sgpr_private_segment_size 0
		.amdhsa_uses_dynamic_stack 0
		.amdhsa_system_sgpr_private_segment_wavefront_offset 0
		.amdhsa_system_sgpr_workgroup_id_x 1
		.amdhsa_system_sgpr_workgroup_id_y 0
		.amdhsa_system_sgpr_workgroup_id_z 0
		.amdhsa_system_sgpr_workgroup_info 0
		.amdhsa_system_vgpr_workitem_id 0
		.amdhsa_next_free_vgpr 26
		.amdhsa_next_free_sgpr 28
		.amdhsa_accum_offset 28
		.amdhsa_reserve_vcc 1
		.amdhsa_reserve_flat_scratch 0
		.amdhsa_float_round_mode_32 0
		.amdhsa_float_round_mode_16_64 0
		.amdhsa_float_denorm_mode_32 3
		.amdhsa_float_denorm_mode_16_64 3
		.amdhsa_dx10_clamp 1
		.amdhsa_ieee_mode 1
		.amdhsa_fp16_overflow 0
		.amdhsa_tg_split 0
		.amdhsa_exception_fp_ieee_invalid_op 0
		.amdhsa_exception_fp_denorm_src 0
		.amdhsa_exception_fp_ieee_div_zero 0
		.amdhsa_exception_fp_ieee_overflow 0
		.amdhsa_exception_fp_ieee_underflow 0
		.amdhsa_exception_fp_ieee_inexact 0
		.amdhsa_exception_int_div_zero 0
	.end_amdhsa_kernel
	.section	.text._ZN2at6native12_GLOBAL__N_125multi_tensor_apply_kernelINS1_18TensorListMetadataILi1EEENS1_14UnaryOpFunctorIdLi1ELi1ELi0EEEJNS0_5RoundIdEEEEEvT_T0_DpT1_,"axG",@progbits,_ZN2at6native12_GLOBAL__N_125multi_tensor_apply_kernelINS1_18TensorListMetadataILi1EEENS1_14UnaryOpFunctorIdLi1ELi1ELi0EEEJNS0_5RoundIdEEEEEvT_T0_DpT1_,comdat
.Lfunc_end262:
	.size	_ZN2at6native12_GLOBAL__N_125multi_tensor_apply_kernelINS1_18TensorListMetadataILi1EEENS1_14UnaryOpFunctorIdLi1ELi1ELi0EEEJNS0_5RoundIdEEEEEvT_T0_DpT1_, .Lfunc_end262-_ZN2at6native12_GLOBAL__N_125multi_tensor_apply_kernelINS1_18TensorListMetadataILi1EEENS1_14UnaryOpFunctorIdLi1ELi1ELi0EEEJNS0_5RoundIdEEEEEvT_T0_DpT1_
                                        ; -- End function
	.section	.AMDGPU.csdata,"",@progbits
; Kernel info:
; codeLenInByte = 1056
; NumSgprs: 32
; NumVgprs: 26
; NumAgprs: 0
; TotalNumVgprs: 26
; ScratchSize: 0
; MemoryBound: 0
; FloatMode: 240
; IeeeMode: 1
; LDSByteSize: 0 bytes/workgroup (compile time only)
; SGPRBlocks: 3
; VGPRBlocks: 3
; NumSGPRsForWavesPerEU: 32
; NumVGPRsForWavesPerEU: 26
; AccumOffset: 28
; Occupancy: 8
; WaveLimiterHint : 0
; COMPUTE_PGM_RSRC2:SCRATCH_EN: 0
; COMPUTE_PGM_RSRC2:USER_SGPR: 6
; COMPUTE_PGM_RSRC2:TRAP_HANDLER: 0
; COMPUTE_PGM_RSRC2:TGID_X_EN: 1
; COMPUTE_PGM_RSRC2:TGID_Y_EN: 0
; COMPUTE_PGM_RSRC2:TGID_Z_EN: 0
; COMPUTE_PGM_RSRC2:TIDIG_COMP_CNT: 0
; COMPUTE_PGM_RSRC3_GFX90A:ACCUM_OFFSET: 6
; COMPUTE_PGM_RSRC3_GFX90A:TG_SPLIT: 0
	.section	.text._ZN2at6native12_GLOBAL__N_125multi_tensor_apply_kernelINS1_18TensorListMetadataILi1EEENS1_14UnaryOpFunctorIfLi1ELi1ELi0EEEJNS0_5RoundIfEEEEEvT_T0_DpT1_,"axG",@progbits,_ZN2at6native12_GLOBAL__N_125multi_tensor_apply_kernelINS1_18TensorListMetadataILi1EEENS1_14UnaryOpFunctorIfLi1ELi1ELi0EEEJNS0_5RoundIfEEEEEvT_T0_DpT1_,comdat
	.globl	_ZN2at6native12_GLOBAL__N_125multi_tensor_apply_kernelINS1_18TensorListMetadataILi1EEENS1_14UnaryOpFunctorIfLi1ELi1ELi0EEEJNS0_5RoundIfEEEEEvT_T0_DpT1_ ; -- Begin function _ZN2at6native12_GLOBAL__N_125multi_tensor_apply_kernelINS1_18TensorListMetadataILi1EEENS1_14UnaryOpFunctorIfLi1ELi1ELi0EEEJNS0_5RoundIfEEEEEvT_T0_DpT1_
	.p2align	8
	.type	_ZN2at6native12_GLOBAL__N_125multi_tensor_apply_kernelINS1_18TensorListMetadataILi1EEENS1_14UnaryOpFunctorIfLi1ELi1ELi0EEEJNS0_5RoundIfEEEEEvT_T0_DpT1_,@function
_ZN2at6native12_GLOBAL__N_125multi_tensor_apply_kernelINS1_18TensorListMetadataILi1EEENS1_14UnaryOpFunctorIfLi1ELi1ELi0EEEJNS0_5RoundIfEEEEEvT_T0_DpT1_: ; @_ZN2at6native12_GLOBAL__N_125multi_tensor_apply_kernelINS1_18TensorListMetadataILi1EEENS1_14UnaryOpFunctorIfLi1ELi1ELi0EEEJNS0_5RoundIfEEEEEvT_T0_DpT1_
; %bb.0:
	v_mov_b32_e32 v1, s6
	global_load_ubyte v1, v1, s[4:5] offset:1760
	s_add_u32 s0, s4, s6
	s_mul_hi_u32 s1, s6, 3
	s_mul_i32 s6, s6, 3
	s_addc_u32 s2, s5, 0
	s_add_u32 s0, s0, s6
	s_addc_u32 s1, s2, s1
	s_load_dword s0, s[0:1], 0x820
	s_mov_b32 s7, 0
	s_waitcnt vmcnt(0)
	v_readfirstlane_b32 s2, v1
	s_lshl_b32 s1, s2, 3
	s_load_dwordx2 s[2:3], s[4:5], s1 offset:0x370
	s_load_dwordx2 s[12:13], s[4:5], s1 offset:0x0
	s_waitcnt lgkmcnt(0)
	s_ashr_i32 s1, s0, 31
	s_lshl_b64 s[14:15], s[0:1], 18
	s_lshl_b64 s[0:1], s[0:1], 16
	s_and_b32 s6, s12, 15
	s_sub_u32 s10, s2, s0
	s_subb_u32 s11, s3, s1
	s_and_b32 s0, s2, 3
	s_mov_b32 s1, s7
	s_or_b64 s[0:1], s[6:7], s[0:1]
	s_cmp_eq_u64 s[0:1], 0
	s_cbranch_scc1 .LBB263_21
; %bb.1:
	v_cmp_lt_i64_e64 s[0:1], s[10:11], 1
	s_and_b64 vcc, exec, s[0:1]
	s_cbranch_vccnz .LBB263_20
; %bb.2:
	s_load_dword s0, s[4:5], 0xd3c
	v_mov_b32_e32 v2, 0x10000
	v_mov_b32_e32 v3, 0
	v_cmp_lt_u64_e32 vcc, s[10:11], v[2:3]
	v_lshlrev_b32_e32 v1, 2, v0
	s_waitcnt lgkmcnt(0)
	s_and_b32 s3, s0, 0xffff
	s_and_b64 s[0:1], vcc, exec
	s_cselect_b32 s17, s11, 0
	s_cselect_b32 s16, s10, 0x10000
	s_lshl_b32 s6, s3, 1
	s_lshl_b32 s22, s3, 2
	s_add_u32 s7, s12, s14
	s_addc_u32 s8, s13, s15
	v_mov_b32_e32 v5, s8
	v_add_co_u32_e32 v4, vcc, s7, v1
	s_mul_i32 s0, s3, 3
	v_addc_co_u32_e32 v5, vcc, 0, v5, vcc
	v_add_co_u32_e32 v1, vcc, s0, v0
	v_addc_co_u32_e64 v10, s[0:1], 0, 0, vcc
	v_add_co_u32_e32 v11, vcc, s6, v0
	v_addc_co_u32_e64 v12, s[0:1], 0, 0, vcc
	v_add_co_u32_e32 v13, vcc, s3, v0
	v_lshlrev_b32_e32 v6, 2, v13
	s_mov_b32 s2, 0
	v_addc_co_u32_e64 v14, s[0:1], 0, 0, vcc
	v_mov_b32_e32 v7, s8
	v_add_co_u32_e32 v6, vcc, s7, v6
	s_lshl_b32 s23, s3, 4
	s_mul_i32 s24, s3, 12
	s_mov_b32 s25, s2
	s_lshl_b32 s26, s3, 3
	s_mov_b32 s27, s2
	v_addc_co_u32_e32 v7, vcc, 0, v7, vcc
	s_mov_b64 s[18:19], 0
	v_pk_mov_b32 v[8:9], s[10:11], s[10:11] op_sel:[0,1]
	v_mov_b32_e32 v15, s2
	s_branch .LBB263_4
.LBB263_3:                              ;   in Loop: Header=BB263_4 Depth=1
	s_or_b64 exec, exec, s[0:1]
	s_add_u32 s18, s18, s22
	s_addc_u32 s19, s19, 0
	v_cmp_lt_i64_e32 vcc, s[18:19], v[8:9]
	v_cmp_lt_u64_e64 s[0:1], s[18:19], v[2:3]
	s_and_b64 s[0:1], vcc, s[0:1]
	v_add_co_u32_e32 v4, vcc, s23, v4
	v_addc_co_u32_e32 v5, vcc, v5, v15, vcc
	v_add_co_u32_e32 v6, vcc, s23, v6
	v_addc_co_u32_e32 v7, vcc, v7, v15, vcc
	s_and_b64 vcc, exec, s[0:1]
	s_cbranch_vccz .LBB263_20
.LBB263_4:                              ; =>This Inner Loop Header: Depth=1
	s_waitcnt vmcnt(0)
	v_mov_b32_e32 v17, s19
	v_add_co_u32_e32 v16, vcc, s18, v0
	v_addc_co_u32_e32 v17, vcc, 0, v17, vcc
	v_cmp_gt_u64_e32 vcc, s[16:17], v[16:17]
	v_mov_b32_e32 v16, 0
	s_and_saveexec_b64 s[0:1], vcc
	s_cbranch_execz .LBB263_6
; %bb.5:                                ;   in Loop: Header=BB263_4 Depth=1
	global_load_dword v16, v[4:5], off
.LBB263_6:                              ;   in Loop: Header=BB263_4 Depth=1
	s_or_b64 exec, exec, s[0:1]
	v_mov_b32_e32 v17, s19
	v_add_co_u32_e64 v18, s[0:1], s18, v13
	v_addc_co_u32_e64 v19, s[0:1], v14, v17, s[0:1]
	v_cmp_gt_u64_e64 s[0:1], s[16:17], v[18:19]
	v_mov_b32_e32 v18, 0
	s_and_saveexec_b64 s[2:3], s[0:1]
	s_cbranch_execz .LBB263_8
; %bb.7:                                ;   in Loop: Header=BB263_4 Depth=1
	global_load_dword v18, v[6:7], off
.LBB263_8:                              ;   in Loop: Header=BB263_4 Depth=1
	s_or_b64 exec, exec, s[2:3]
	v_mov_b32_e32 v17, s19
	v_add_co_u32_e64 v20, s[2:3], s18, v11
	v_addc_co_u32_e64 v21, s[2:3], v12, v17, s[2:3]
	v_cmp_gt_u64_e64 s[2:3], s[16:17], v[20:21]
	v_mov_b32_e32 v17, 0
	v_mov_b32_e32 v19, 0
	s_and_saveexec_b64 s[8:9], s[2:3]
	s_cbranch_execz .LBB263_10
; %bb.9:                                ;   in Loop: Header=BB263_4 Depth=1
	v_mov_b32_e32 v19, s27
	v_add_co_u32_e64 v20, s[6:7], s26, v4
	v_addc_co_u32_e64 v21, s[6:7], v5, v19, s[6:7]
	global_load_dword v19, v[20:21], off
.LBB263_10:                             ;   in Loop: Header=BB263_4 Depth=1
	s_or_b64 exec, exec, s[8:9]
	v_mov_b32_e32 v21, s19
	v_add_co_u32_e64 v20, s[6:7], s18, v1
	v_addc_co_u32_e64 v21, s[6:7], v10, v21, s[6:7]
	v_cmp_gt_u64_e64 s[6:7], s[16:17], v[20:21]
	s_and_saveexec_b64 s[20:21], s[6:7]
	s_cbranch_execnz .LBB263_15
; %bb.11:                               ;   in Loop: Header=BB263_4 Depth=1
	s_or_b64 exec, exec, s[20:21]
	s_and_saveexec_b64 s[8:9], vcc
	s_cbranch_execnz .LBB263_16
.LBB263_12:                             ;   in Loop: Header=BB263_4 Depth=1
	s_or_b64 exec, exec, s[8:9]
	s_and_saveexec_b64 s[8:9], s[0:1]
	s_cbranch_execnz .LBB263_17
.LBB263_13:                             ;   in Loop: Header=BB263_4 Depth=1
	s_or_b64 exec, exec, s[8:9]
	s_and_saveexec_b64 s[0:1], s[2:3]
	s_cbranch_execnz .LBB263_18
.LBB263_14:                             ;   in Loop: Header=BB263_4 Depth=1
	s_or_b64 exec, exec, s[0:1]
	s_and_saveexec_b64 s[0:1], s[6:7]
	s_cbranch_execz .LBB263_3
	s_branch .LBB263_19
.LBB263_15:                             ;   in Loop: Header=BB263_4 Depth=1
	v_mov_b32_e32 v17, s25
	v_add_co_u32_e64 v20, s[8:9], s24, v4
	v_addc_co_u32_e64 v21, s[8:9], v5, v17, s[8:9]
	global_load_dword v17, v[20:21], off
	s_or_b64 exec, exec, s[20:21]
	s_and_saveexec_b64 s[8:9], vcc
	s_cbranch_execz .LBB263_12
.LBB263_16:                             ;   in Loop: Header=BB263_4 Depth=1
	s_waitcnt vmcnt(0)
	v_rndne_f32_e32 v16, v16
	global_store_dword v[4:5], v16, off
	s_or_b64 exec, exec, s[8:9]
	s_and_saveexec_b64 s[8:9], s[0:1]
	s_cbranch_execz .LBB263_13
.LBB263_17:                             ;   in Loop: Header=BB263_4 Depth=1
	s_waitcnt vmcnt(0)
	v_rndne_f32_e32 v16, v18
	global_store_dword v[6:7], v16, off
	s_or_b64 exec, exec, s[8:9]
	s_and_saveexec_b64 s[0:1], s[2:3]
	s_cbranch_execz .LBB263_14
.LBB263_18:                             ;   in Loop: Header=BB263_4 Depth=1
	s_waitcnt vmcnt(0)
	v_rndne_f32_e32 v16, v19
	v_mov_b32_e32 v19, s27
	v_add_co_u32_e32 v18, vcc, s26, v4
	v_addc_co_u32_e32 v19, vcc, v5, v19, vcc
	global_store_dword v[18:19], v16, off
	s_or_b64 exec, exec, s[0:1]
	s_and_saveexec_b64 s[0:1], s[6:7]
	s_cbranch_execz .LBB263_3
.LBB263_19:                             ;   in Loop: Header=BB263_4 Depth=1
	s_waitcnt vmcnt(0)
	v_rndne_f32_e32 v18, v17
	v_mov_b32_e32 v17, s25
	v_add_co_u32_e32 v16, vcc, s24, v4
	v_addc_co_u32_e32 v17, vcc, v5, v17, vcc
	global_store_dword v[16:17], v18, off
	s_branch .LBB263_3
.LBB263_20:
	s_cbranch_execz .LBB263_22
	s_branch .LBB263_25
.LBB263_21:
.LBB263_22:
	v_mov_b32_e32 v3, 0
	v_lshlrev_b32_e32 v2, 2, v0
	s_mov_b32 s0, 0
	v_cmp_gt_i64_e32 vcc, s[10:11], v[2:3]
	s_and_saveexec_b64 s[2:3], vcc
	s_cbranch_execz .LBB263_25
; %bb.23:
	s_load_dword s1, s[4:5], 0xd3c
	v_lshlrev_b32_e32 v1, 4, v0
	s_mov_b64 s[4:5], 0xffff
	s_waitcnt lgkmcnt(0)
	s_and_b32 s1, s1, 0xffff
	s_add_u32 s2, s12, s14
	s_addc_u32 s3, s13, s15
	v_mov_b32_e32 v2, s3
	v_add_co_u32_e32 v1, vcc, s2, v1
	v_addc_co_u32_e32 v2, vcc, 0, v2, vcc
	v_add_co_u32_e32 v4, vcc, 8, v1
	v_addc_co_u32_e32 v5, vcc, 0, v2, vcc
	s_lshl_b32 s6, s1, 4
	v_add_lshl_u32 v2, v0, s1, 2
	s_lshl_b32 s7, s1, 2
	s_mov_b64 s[2:3], 0
	v_mov_b32_e32 v0, s0
	v_mov_b32_e32 v1, s0
.LBB263_24:                             ; =>This Inner Loop Header: Depth=1
	global_load_dwordx4 v[6:9], v[4:5], off offset:-8
	v_cmp_le_i64_e32 vcc, s[10:11], v[2:3]
	v_cmp_lt_u64_e64 s[0:1], s[4:5], v[2:3]
	s_or_b64 s[0:1], vcc, s[0:1]
	s_and_b64 s[0:1], exec, s[0:1]
	s_or_b64 s[2:3], s[0:1], s[2:3]
	s_waitcnt vmcnt(0)
	v_rndne_f32_e32 v7, v7
	v_rndne_f32_e32 v6, v6
	;; [unrolled: 1-line block ×4, first 2 shown]
	global_store_dwordx4 v[4:5], v[6:9], off offset:-8
	v_add_co_u32_e32 v4, vcc, s6, v4
	v_addc_co_u32_e32 v5, vcc, v5, v0, vcc
	v_add_co_u32_e32 v2, vcc, s7, v2
	v_addc_co_u32_e32 v3, vcc, v3, v1, vcc
	s_andn2_b64 exec, exec, s[2:3]
	s_cbranch_execnz .LBB263_24
.LBB263_25:
	s_endpgm
	.section	.rodata,"a",@progbits
	.p2align	6, 0x0
	.amdhsa_kernel _ZN2at6native12_GLOBAL__N_125multi_tensor_apply_kernelINS1_18TensorListMetadataILi1EEENS1_14UnaryOpFunctorIfLi1ELi1ELi0EEEJNS0_5RoundIfEEEEEvT_T0_DpT1_
		.amdhsa_group_segment_fixed_size 0
		.amdhsa_private_segment_fixed_size 0
		.amdhsa_kernarg_size 3632
		.amdhsa_user_sgpr_count 6
		.amdhsa_user_sgpr_private_segment_buffer 1
		.amdhsa_user_sgpr_dispatch_ptr 0
		.amdhsa_user_sgpr_queue_ptr 0
		.amdhsa_user_sgpr_kernarg_segment_ptr 1
		.amdhsa_user_sgpr_dispatch_id 0
		.amdhsa_user_sgpr_flat_scratch_init 0
		.amdhsa_user_sgpr_kernarg_preload_length 0
		.amdhsa_user_sgpr_kernarg_preload_offset 0
		.amdhsa_user_sgpr_private_segment_size 0
		.amdhsa_uses_dynamic_stack 0
		.amdhsa_system_sgpr_private_segment_wavefront_offset 0
		.amdhsa_system_sgpr_workgroup_id_x 1
		.amdhsa_system_sgpr_workgroup_id_y 0
		.amdhsa_system_sgpr_workgroup_id_z 0
		.amdhsa_system_sgpr_workgroup_info 0
		.amdhsa_system_vgpr_workitem_id 0
		.amdhsa_next_free_vgpr 22
		.amdhsa_next_free_sgpr 28
		.amdhsa_accum_offset 24
		.amdhsa_reserve_vcc 1
		.amdhsa_reserve_flat_scratch 0
		.amdhsa_float_round_mode_32 0
		.amdhsa_float_round_mode_16_64 0
		.amdhsa_float_denorm_mode_32 3
		.amdhsa_float_denorm_mode_16_64 3
		.amdhsa_dx10_clamp 1
		.amdhsa_ieee_mode 1
		.amdhsa_fp16_overflow 0
		.amdhsa_tg_split 0
		.amdhsa_exception_fp_ieee_invalid_op 0
		.amdhsa_exception_fp_denorm_src 0
		.amdhsa_exception_fp_ieee_div_zero 0
		.amdhsa_exception_fp_ieee_overflow 0
		.amdhsa_exception_fp_ieee_underflow 0
		.amdhsa_exception_fp_ieee_inexact 0
		.amdhsa_exception_int_div_zero 0
	.end_amdhsa_kernel
	.section	.text._ZN2at6native12_GLOBAL__N_125multi_tensor_apply_kernelINS1_18TensorListMetadataILi1EEENS1_14UnaryOpFunctorIfLi1ELi1ELi0EEEJNS0_5RoundIfEEEEEvT_T0_DpT1_,"axG",@progbits,_ZN2at6native12_GLOBAL__N_125multi_tensor_apply_kernelINS1_18TensorListMetadataILi1EEENS1_14UnaryOpFunctorIfLi1ELi1ELi0EEEJNS0_5RoundIfEEEEEvT_T0_DpT1_,comdat
.Lfunc_end263:
	.size	_ZN2at6native12_GLOBAL__N_125multi_tensor_apply_kernelINS1_18TensorListMetadataILi1EEENS1_14UnaryOpFunctorIfLi1ELi1ELi0EEEJNS0_5RoundIfEEEEEvT_T0_DpT1_, .Lfunc_end263-_ZN2at6native12_GLOBAL__N_125multi_tensor_apply_kernelINS1_18TensorListMetadataILi1EEENS1_14UnaryOpFunctorIfLi1ELi1ELi0EEEJNS0_5RoundIfEEEEEvT_T0_DpT1_
                                        ; -- End function
	.section	.AMDGPU.csdata,"",@progbits
; Kernel info:
; codeLenInByte = 1012
; NumSgprs: 32
; NumVgprs: 22
; NumAgprs: 0
; TotalNumVgprs: 22
; ScratchSize: 0
; MemoryBound: 0
; FloatMode: 240
; IeeeMode: 1
; LDSByteSize: 0 bytes/workgroup (compile time only)
; SGPRBlocks: 3
; VGPRBlocks: 2
; NumSGPRsForWavesPerEU: 32
; NumVGPRsForWavesPerEU: 22
; AccumOffset: 24
; Occupancy: 8
; WaveLimiterHint : 0
; COMPUTE_PGM_RSRC2:SCRATCH_EN: 0
; COMPUTE_PGM_RSRC2:USER_SGPR: 6
; COMPUTE_PGM_RSRC2:TRAP_HANDLER: 0
; COMPUTE_PGM_RSRC2:TGID_X_EN: 1
; COMPUTE_PGM_RSRC2:TGID_Y_EN: 0
; COMPUTE_PGM_RSRC2:TGID_Z_EN: 0
; COMPUTE_PGM_RSRC2:TIDIG_COMP_CNT: 0
; COMPUTE_PGM_RSRC3_GFX90A:ACCUM_OFFSET: 5
; COMPUTE_PGM_RSRC3_GFX90A:TG_SPLIT: 0
	.section	.text._ZN2at6native12_GLOBAL__N_125multi_tensor_apply_kernelINS1_18TensorListMetadataILi1EEENS1_14UnaryOpFunctorIN3c104HalfELi1ELi1ELi0EEEJNS0_5RoundIfEEEEEvT_T0_DpT1_,"axG",@progbits,_ZN2at6native12_GLOBAL__N_125multi_tensor_apply_kernelINS1_18TensorListMetadataILi1EEENS1_14UnaryOpFunctorIN3c104HalfELi1ELi1ELi0EEEJNS0_5RoundIfEEEEEvT_T0_DpT1_,comdat
	.globl	_ZN2at6native12_GLOBAL__N_125multi_tensor_apply_kernelINS1_18TensorListMetadataILi1EEENS1_14UnaryOpFunctorIN3c104HalfELi1ELi1ELi0EEEJNS0_5RoundIfEEEEEvT_T0_DpT1_ ; -- Begin function _ZN2at6native12_GLOBAL__N_125multi_tensor_apply_kernelINS1_18TensorListMetadataILi1EEENS1_14UnaryOpFunctorIN3c104HalfELi1ELi1ELi0EEEJNS0_5RoundIfEEEEEvT_T0_DpT1_
	.p2align	8
	.type	_ZN2at6native12_GLOBAL__N_125multi_tensor_apply_kernelINS1_18TensorListMetadataILi1EEENS1_14UnaryOpFunctorIN3c104HalfELi1ELi1ELi0EEEJNS0_5RoundIfEEEEEvT_T0_DpT1_,@function
_ZN2at6native12_GLOBAL__N_125multi_tensor_apply_kernelINS1_18TensorListMetadataILi1EEENS1_14UnaryOpFunctorIN3c104HalfELi1ELi1ELi0EEEJNS0_5RoundIfEEEEEvT_T0_DpT1_: ; @_ZN2at6native12_GLOBAL__N_125multi_tensor_apply_kernelINS1_18TensorListMetadataILi1EEENS1_14UnaryOpFunctorIN3c104HalfELi1ELi1ELi0EEEJNS0_5RoundIfEEEEEvT_T0_DpT1_
; %bb.0:
	v_mov_b32_e32 v1, s6
	global_load_ubyte v1, v1, s[4:5] offset:1760
	s_add_u32 s0, s4, s6
	s_mul_hi_u32 s1, s6, 3
	s_mul_i32 s6, s6, 3
	s_addc_u32 s2, s5, 0
	s_add_u32 s0, s0, s6
	s_addc_u32 s1, s2, s1
	s_load_dword s0, s[0:1], 0x820
	s_mov_b32 s7, 0
	s_waitcnt vmcnt(0)
	v_readfirstlane_b32 s2, v1
	s_lshl_b32 s1, s2, 3
	s_load_dwordx2 s[2:3], s[4:5], s1 offset:0x370
	s_load_dwordx2 s[12:13], s[4:5], s1 offset:0x0
	s_waitcnt lgkmcnt(0)
	s_ashr_i32 s1, s0, 31
	s_lshl_b64 s[14:15], s[0:1], 17
	s_lshl_b64 s[0:1], s[0:1], 16
	s_and_b32 s6, s12, 7
	s_sub_u32 s10, s2, s0
	s_subb_u32 s11, s3, s1
	s_and_b32 s0, s2, 3
	s_mov_b32 s1, s7
	s_or_b64 s[0:1], s[6:7], s[0:1]
	s_cmp_eq_u64 s[0:1], 0
	s_cbranch_scc1 .LBB264_21
; %bb.1:
	v_cmp_lt_i64_e64 s[0:1], s[10:11], 1
	s_and_b64 vcc, exec, s[0:1]
	s_cbranch_vccnz .LBB264_20
; %bb.2:
	s_load_dword s0, s[4:5], 0xd3c
	v_mov_b32_e32 v2, 0x10000
	v_mov_b32_e32 v3, 0
	v_cmp_lt_u64_e32 vcc, s[10:11], v[2:3]
	v_lshlrev_b32_e32 v1, 1, v0
	s_waitcnt lgkmcnt(0)
	s_and_b32 s2, s0, 0xffff
	s_and_b64 s[0:1], vcc, exec
	s_cselect_b32 s17, s11, 0
	s_cselect_b32 s16, s10, 0x10000
	s_lshl_b32 s3, s2, 1
	s_lshl_b32 s23, s2, 2
	s_add_u32 s6, s12, s14
	s_addc_u32 s7, s13, s15
	v_mov_b32_e32 v5, s7
	v_add_co_u32_e32 v4, vcc, s6, v1
	s_mul_i32 s0, s2, 3
	v_addc_co_u32_e32 v5, vcc, 0, v5, vcc
	v_add_co_u32_e32 v1, vcc, s0, v0
	v_addc_co_u32_e64 v10, s[0:1], 0, 0, vcc
	v_add_co_u32_e32 v11, vcc, s3, v0
	v_addc_co_u32_e64 v12, s[0:1], 0, 0, vcc
	v_add_co_u32_e32 v13, vcc, s2, v0
	v_lshlrev_b32_e32 v6, 1, v13
	s_mov_b32 s22, 0
	v_addc_co_u32_e64 v14, s[0:1], 0, 0, vcc
	v_mov_b32_e32 v7, s7
	v_add_co_u32_e32 v6, vcc, s6, v6
	s_lshl_b32 s24, s2, 3
	s_mul_i32 s25, s2, 6
	s_mov_b32 s26, s22
	v_addc_co_u32_e32 v7, vcc, 0, v7, vcc
	s_mov_b64 s[18:19], 0
	v_pk_mov_b32 v[8:9], s[10:11], s[10:11] op_sel:[0,1]
	v_mov_b32_e32 v15, s22
	s_branch .LBB264_4
.LBB264_3:                              ;   in Loop: Header=BB264_4 Depth=1
	s_or_b64 exec, exec, s[0:1]
	s_add_u32 s18, s18, s23
	s_addc_u32 s19, s19, 0
	v_cmp_lt_i64_e32 vcc, s[18:19], v[8:9]
	v_cmp_lt_u64_e64 s[0:1], s[18:19], v[2:3]
	s_and_b64 s[0:1], vcc, s[0:1]
	v_add_co_u32_e32 v4, vcc, s24, v4
	v_addc_co_u32_e32 v5, vcc, v5, v15, vcc
	v_add_co_u32_e32 v6, vcc, s24, v6
	v_addc_co_u32_e32 v7, vcc, v7, v15, vcc
	s_and_b64 vcc, exec, s[0:1]
	s_cbranch_vccz .LBB264_20
.LBB264_4:                              ; =>This Inner Loop Header: Depth=1
	s_waitcnt vmcnt(0)
	v_mov_b32_e32 v17, s19
	v_add_co_u32_e32 v16, vcc, s18, v0
	v_addc_co_u32_e32 v17, vcc, 0, v17, vcc
	v_cmp_gt_u64_e32 vcc, s[16:17], v[16:17]
	v_mov_b32_e32 v16, 0
	s_and_saveexec_b64 s[0:1], vcc
	s_cbranch_execz .LBB264_6
; %bb.5:                                ;   in Loop: Header=BB264_4 Depth=1
	global_load_ushort v16, v[4:5], off
.LBB264_6:                              ;   in Loop: Header=BB264_4 Depth=1
	s_or_b64 exec, exec, s[0:1]
	v_mov_b32_e32 v17, s19
	v_add_co_u32_e64 v18, s[0:1], s18, v13
	v_addc_co_u32_e64 v19, s[0:1], v14, v17, s[0:1]
	v_cmp_gt_u64_e64 s[0:1], s[16:17], v[18:19]
	v_mov_b32_e32 v18, 0
	s_and_saveexec_b64 s[2:3], s[0:1]
	s_cbranch_execz .LBB264_8
; %bb.7:                                ;   in Loop: Header=BB264_4 Depth=1
	global_load_ushort v18, v[6:7], off
.LBB264_8:                              ;   in Loop: Header=BB264_4 Depth=1
	s_or_b64 exec, exec, s[2:3]
	v_mov_b32_e32 v17, s19
	v_add_co_u32_e64 v20, s[2:3], s18, v11
	v_addc_co_u32_e64 v21, s[2:3], v12, v17, s[2:3]
	v_cmp_gt_u64_e64 s[2:3], s[16:17], v[20:21]
	v_mov_b32_e32 v17, 0
	v_mov_b32_e32 v19, 0
	s_and_saveexec_b64 s[8:9], s[2:3]
	s_cbranch_execz .LBB264_10
; %bb.9:                                ;   in Loop: Header=BB264_4 Depth=1
	v_mov_b32_e32 v19, s22
	v_add_co_u32_e64 v20, s[6:7], s23, v4
	v_addc_co_u32_e64 v21, s[6:7], v5, v19, s[6:7]
	global_load_ushort v19, v[20:21], off
.LBB264_10:                             ;   in Loop: Header=BB264_4 Depth=1
	s_or_b64 exec, exec, s[8:9]
	v_mov_b32_e32 v21, s19
	v_add_co_u32_e64 v20, s[6:7], s18, v1
	v_addc_co_u32_e64 v21, s[6:7], v10, v21, s[6:7]
	v_cmp_gt_u64_e64 s[6:7], s[16:17], v[20:21]
	s_and_saveexec_b64 s[20:21], s[6:7]
	s_cbranch_execnz .LBB264_15
; %bb.11:                               ;   in Loop: Header=BB264_4 Depth=1
	s_or_b64 exec, exec, s[20:21]
	s_and_saveexec_b64 s[8:9], vcc
	s_cbranch_execnz .LBB264_16
.LBB264_12:                             ;   in Loop: Header=BB264_4 Depth=1
	s_or_b64 exec, exec, s[8:9]
	s_and_saveexec_b64 s[8:9], s[0:1]
	s_cbranch_execnz .LBB264_17
.LBB264_13:                             ;   in Loop: Header=BB264_4 Depth=1
	s_or_b64 exec, exec, s[8:9]
	s_and_saveexec_b64 s[0:1], s[2:3]
	s_cbranch_execnz .LBB264_18
.LBB264_14:                             ;   in Loop: Header=BB264_4 Depth=1
	s_or_b64 exec, exec, s[0:1]
	s_and_saveexec_b64 s[0:1], s[6:7]
	s_cbranch_execz .LBB264_3
	s_branch .LBB264_19
.LBB264_15:                             ;   in Loop: Header=BB264_4 Depth=1
	v_mov_b32_e32 v17, s26
	v_add_co_u32_e64 v20, s[8:9], s25, v4
	v_addc_co_u32_e64 v21, s[8:9], v5, v17, s[8:9]
	global_load_ushort v17, v[20:21], off
	s_or_b64 exec, exec, s[20:21]
	s_and_saveexec_b64 s[8:9], vcc
	s_cbranch_execz .LBB264_12
.LBB264_16:                             ;   in Loop: Header=BB264_4 Depth=1
	s_waitcnt vmcnt(0)
	v_rndne_f16_e32 v16, v16
	global_store_short v[4:5], v16, off
	s_or_b64 exec, exec, s[8:9]
	s_and_saveexec_b64 s[8:9], s[0:1]
	s_cbranch_execz .LBB264_13
.LBB264_17:                             ;   in Loop: Header=BB264_4 Depth=1
	s_waitcnt vmcnt(0)
	v_rndne_f16_e32 v16, v18
	global_store_short v[6:7], v16, off
	s_or_b64 exec, exec, s[8:9]
	s_and_saveexec_b64 s[0:1], s[2:3]
	s_cbranch_execz .LBB264_14
.LBB264_18:                             ;   in Loop: Header=BB264_4 Depth=1
	s_waitcnt vmcnt(0)
	v_rndne_f16_e32 v16, v19
	v_mov_b32_e32 v19, s22
	v_add_co_u32_e32 v18, vcc, s23, v4
	v_addc_co_u32_e32 v19, vcc, v5, v19, vcc
	global_store_short v[18:19], v16, off
	s_or_b64 exec, exec, s[0:1]
	s_and_saveexec_b64 s[0:1], s[6:7]
	s_cbranch_execz .LBB264_3
.LBB264_19:                             ;   in Loop: Header=BB264_4 Depth=1
	s_waitcnt vmcnt(0)
	v_rndne_f16_e32 v18, v17
	v_mov_b32_e32 v17, s26
	v_add_co_u32_e32 v16, vcc, s25, v4
	v_addc_co_u32_e32 v17, vcc, v5, v17, vcc
	global_store_short v[16:17], v18, off
	s_branch .LBB264_3
.LBB264_20:
	s_cbranch_execz .LBB264_22
	s_branch .LBB264_25
.LBB264_21:
.LBB264_22:
	v_mov_b32_e32 v3, 0
	v_lshlrev_b32_e32 v2, 2, v0
	s_mov_b32 s0, 0
	v_cmp_gt_i64_e32 vcc, s[10:11], v[2:3]
	s_and_saveexec_b64 s[2:3], vcc
	s_cbranch_execz .LBB264_25
; %bb.23:
	s_load_dword s1, s[4:5], 0xd3c
	v_lshlrev_b32_e32 v1, 3, v0
	s_mov_b64 s[4:5], 0
	s_mov_b64 s[6:7], 0xffff
	v_mov_b32_e32 v5, s0
	s_waitcnt lgkmcnt(0)
	s_and_b32 s1, s1, 0xffff
	s_lshl_b32 s8, s1, 2
	s_add_u32 s2, s12, s14
	s_addc_u32 s3, s13, s15
	v_add_lshl_u32 v2, v0, s1, 2
	v_mov_b32_e32 v0, s3
	v_add_co_u32_e32 v1, vcc, s2, v1
	v_addc_co_u32_e32 v4, vcc, 0, v0, vcc
	v_add_co_u32_e32 v0, vcc, 4, v1
	v_addc_co_u32_e32 v1, vcc, 0, v4, vcc
	s_lshl_b32 s9, s1, 3
	v_mov_b32_e32 v4, s0
.LBB264_24:                             ; =>This Inner Loop Header: Depth=1
	global_load_dwordx2 v[6:7], v[0:1], off offset:-4
	v_cmp_le_i64_e32 vcc, s[10:11], v[2:3]
	v_cmp_lt_u64_e64 s[0:1], s[6:7], v[2:3]
	s_or_b64 s[0:1], vcc, s[0:1]
	v_add_co_u32_e64 v2, s[2:3], s8, v2
	s_and_b64 s[0:1], exec, s[0:1]
	v_addc_co_u32_e64 v3, s[2:3], v3, v4, s[2:3]
	s_or_b64 s[4:5], s[0:1], s[4:5]
	s_waitcnt vmcnt(0)
	v_rndne_f16_e32 v8, v6
	v_rndne_f16_sdwa v6, v6 dst_sel:DWORD dst_unused:UNUSED_PAD src0_sel:WORD_1
	v_rndne_f16_e32 v9, v7
	v_rndne_f16_sdwa v7, v7 dst_sel:DWORD dst_unused:UNUSED_PAD src0_sel:WORD_1
	v_pack_b32_f16 v7, v9, v7
	v_pack_b32_f16 v6, v8, v6
	global_store_dwordx2 v[0:1], v[6:7], off offset:-4
	v_add_co_u32_e32 v0, vcc, s9, v0
	v_addc_co_u32_e32 v1, vcc, v1, v5, vcc
	s_andn2_b64 exec, exec, s[4:5]
	s_cbranch_execnz .LBB264_24
.LBB264_25:
	s_endpgm
	.section	.rodata,"a",@progbits
	.p2align	6, 0x0
	.amdhsa_kernel _ZN2at6native12_GLOBAL__N_125multi_tensor_apply_kernelINS1_18TensorListMetadataILi1EEENS1_14UnaryOpFunctorIN3c104HalfELi1ELi1ELi0EEEJNS0_5RoundIfEEEEEvT_T0_DpT1_
		.amdhsa_group_segment_fixed_size 0
		.amdhsa_private_segment_fixed_size 0
		.amdhsa_kernarg_size 3632
		.amdhsa_user_sgpr_count 6
		.amdhsa_user_sgpr_private_segment_buffer 1
		.amdhsa_user_sgpr_dispatch_ptr 0
		.amdhsa_user_sgpr_queue_ptr 0
		.amdhsa_user_sgpr_kernarg_segment_ptr 1
		.amdhsa_user_sgpr_dispatch_id 0
		.amdhsa_user_sgpr_flat_scratch_init 0
		.amdhsa_user_sgpr_kernarg_preload_length 0
		.amdhsa_user_sgpr_kernarg_preload_offset 0
		.amdhsa_user_sgpr_private_segment_size 0
		.amdhsa_uses_dynamic_stack 0
		.amdhsa_system_sgpr_private_segment_wavefront_offset 0
		.amdhsa_system_sgpr_workgroup_id_x 1
		.amdhsa_system_sgpr_workgroup_id_y 0
		.amdhsa_system_sgpr_workgroup_id_z 0
		.amdhsa_system_sgpr_workgroup_info 0
		.amdhsa_system_vgpr_workitem_id 0
		.amdhsa_next_free_vgpr 22
		.amdhsa_next_free_sgpr 27
		.amdhsa_accum_offset 24
		.amdhsa_reserve_vcc 1
		.amdhsa_reserve_flat_scratch 0
		.amdhsa_float_round_mode_32 0
		.amdhsa_float_round_mode_16_64 0
		.amdhsa_float_denorm_mode_32 3
		.amdhsa_float_denorm_mode_16_64 3
		.amdhsa_dx10_clamp 1
		.amdhsa_ieee_mode 1
		.amdhsa_fp16_overflow 0
		.amdhsa_tg_split 0
		.amdhsa_exception_fp_ieee_invalid_op 0
		.amdhsa_exception_fp_denorm_src 0
		.amdhsa_exception_fp_ieee_div_zero 0
		.amdhsa_exception_fp_ieee_overflow 0
		.amdhsa_exception_fp_ieee_underflow 0
		.amdhsa_exception_fp_ieee_inexact 0
		.amdhsa_exception_int_div_zero 0
	.end_amdhsa_kernel
	.section	.text._ZN2at6native12_GLOBAL__N_125multi_tensor_apply_kernelINS1_18TensorListMetadataILi1EEENS1_14UnaryOpFunctorIN3c104HalfELi1ELi1ELi0EEEJNS0_5RoundIfEEEEEvT_T0_DpT1_,"axG",@progbits,_ZN2at6native12_GLOBAL__N_125multi_tensor_apply_kernelINS1_18TensorListMetadataILi1EEENS1_14UnaryOpFunctorIN3c104HalfELi1ELi1ELi0EEEJNS0_5RoundIfEEEEEvT_T0_DpT1_,comdat
.Lfunc_end264:
	.size	_ZN2at6native12_GLOBAL__N_125multi_tensor_apply_kernelINS1_18TensorListMetadataILi1EEENS1_14UnaryOpFunctorIN3c104HalfELi1ELi1ELi0EEEJNS0_5RoundIfEEEEEvT_T0_DpT1_, .Lfunc_end264-_ZN2at6native12_GLOBAL__N_125multi_tensor_apply_kernelINS1_18TensorListMetadataILi1EEENS1_14UnaryOpFunctorIN3c104HalfELi1ELi1ELi0EEEJNS0_5RoundIfEEEEEvT_T0_DpT1_
                                        ; -- End function
	.section	.AMDGPU.csdata,"",@progbits
; Kernel info:
; codeLenInByte = 1036
; NumSgprs: 31
; NumVgprs: 22
; NumAgprs: 0
; TotalNumVgprs: 22
; ScratchSize: 0
; MemoryBound: 0
; FloatMode: 240
; IeeeMode: 1
; LDSByteSize: 0 bytes/workgroup (compile time only)
; SGPRBlocks: 3
; VGPRBlocks: 2
; NumSGPRsForWavesPerEU: 31
; NumVGPRsForWavesPerEU: 22
; AccumOffset: 24
; Occupancy: 8
; WaveLimiterHint : 0
; COMPUTE_PGM_RSRC2:SCRATCH_EN: 0
; COMPUTE_PGM_RSRC2:USER_SGPR: 6
; COMPUTE_PGM_RSRC2:TRAP_HANDLER: 0
; COMPUTE_PGM_RSRC2:TGID_X_EN: 1
; COMPUTE_PGM_RSRC2:TGID_Y_EN: 0
; COMPUTE_PGM_RSRC2:TGID_Z_EN: 0
; COMPUTE_PGM_RSRC2:TIDIG_COMP_CNT: 0
; COMPUTE_PGM_RSRC3_GFX90A:ACCUM_OFFSET: 5
; COMPUTE_PGM_RSRC3_GFX90A:TG_SPLIT: 0
	.section	.text._ZN2at6native12_GLOBAL__N_125multi_tensor_apply_kernelINS1_18TensorListMetadataILi1EEENS1_14UnaryOpFunctorIN3c108BFloat16ELi1ELi1ELi0EEEJNS0_5RoundIfEEEEEvT_T0_DpT1_,"axG",@progbits,_ZN2at6native12_GLOBAL__N_125multi_tensor_apply_kernelINS1_18TensorListMetadataILi1EEENS1_14UnaryOpFunctorIN3c108BFloat16ELi1ELi1ELi0EEEJNS0_5RoundIfEEEEEvT_T0_DpT1_,comdat
	.globl	_ZN2at6native12_GLOBAL__N_125multi_tensor_apply_kernelINS1_18TensorListMetadataILi1EEENS1_14UnaryOpFunctorIN3c108BFloat16ELi1ELi1ELi0EEEJNS0_5RoundIfEEEEEvT_T0_DpT1_ ; -- Begin function _ZN2at6native12_GLOBAL__N_125multi_tensor_apply_kernelINS1_18TensorListMetadataILi1EEENS1_14UnaryOpFunctorIN3c108BFloat16ELi1ELi1ELi0EEEJNS0_5RoundIfEEEEEvT_T0_DpT1_
	.p2align	8
	.type	_ZN2at6native12_GLOBAL__N_125multi_tensor_apply_kernelINS1_18TensorListMetadataILi1EEENS1_14UnaryOpFunctorIN3c108BFloat16ELi1ELi1ELi0EEEJNS0_5RoundIfEEEEEvT_T0_DpT1_,@function
_ZN2at6native12_GLOBAL__N_125multi_tensor_apply_kernelINS1_18TensorListMetadataILi1EEENS1_14UnaryOpFunctorIN3c108BFloat16ELi1ELi1ELi0EEEJNS0_5RoundIfEEEEEvT_T0_DpT1_: ; @_ZN2at6native12_GLOBAL__N_125multi_tensor_apply_kernelINS1_18TensorListMetadataILi1EEENS1_14UnaryOpFunctorIN3c108BFloat16ELi1ELi1ELi0EEEJNS0_5RoundIfEEEEEvT_T0_DpT1_
; %bb.0:
	v_mov_b32_e32 v1, s6
	global_load_ubyte v1, v1, s[4:5] offset:1760
	s_add_u32 s0, s4, s6
	s_mul_hi_u32 s1, s6, 3
	s_mul_i32 s6, s6, 3
	s_addc_u32 s2, s5, 0
	s_add_u32 s0, s0, s6
	s_addc_u32 s1, s2, s1
	s_load_dword s0, s[0:1], 0x820
	s_mov_b32 s7, 0
	s_waitcnt vmcnt(0)
	v_readfirstlane_b32 s2, v1
	s_lshl_b32 s1, s2, 3
	s_load_dwordx2 s[2:3], s[4:5], s1 offset:0x370
	s_load_dwordx2 s[12:13], s[4:5], s1 offset:0x0
	s_waitcnt lgkmcnt(0)
	s_ashr_i32 s1, s0, 31
	s_lshl_b64 s[14:15], s[0:1], 17
	s_lshl_b64 s[0:1], s[0:1], 16
	s_and_b32 s6, s12, 7
	s_sub_u32 s10, s2, s0
	s_subb_u32 s11, s3, s1
	s_and_b32 s0, s2, 3
	s_mov_b32 s1, s7
	s_or_b64 s[0:1], s[6:7], s[0:1]
	s_cmp_eq_u64 s[0:1], 0
	s_cbranch_scc1 .LBB265_21
; %bb.1:
	v_cmp_lt_i64_e64 s[0:1], s[10:11], 1
	s_and_b64 vcc, exec, s[0:1]
	s_cbranch_vccnz .LBB265_20
; %bb.2:
	s_load_dword s0, s[4:5], 0xd3c
	v_mov_b32_e32 v2, 0x10000
	v_mov_b32_e32 v3, 0
	v_cmp_lt_u64_e32 vcc, s[10:11], v[2:3]
	v_lshlrev_b32_e32 v1, 1, v0
	s_waitcnt lgkmcnt(0)
	s_and_b32 s2, s0, 0xffff
	s_and_b64 s[0:1], vcc, exec
	s_cselect_b32 s17, s11, 0
	s_cselect_b32 s16, s10, 0x10000
	s_lshl_b32 s3, s2, 1
	s_lshl_b32 s23, s2, 2
	s_add_u32 s6, s12, s14
	s_addc_u32 s7, s13, s15
	v_mov_b32_e32 v5, s7
	v_add_co_u32_e32 v4, vcc, s6, v1
	s_mul_i32 s0, s2, 3
	v_addc_co_u32_e32 v5, vcc, 0, v5, vcc
	v_add_co_u32_e32 v1, vcc, s0, v0
	v_addc_co_u32_e64 v10, s[0:1], 0, 0, vcc
	v_add_co_u32_e32 v11, vcc, s3, v0
	v_addc_co_u32_e64 v12, s[0:1], 0, 0, vcc
	v_add_co_u32_e32 v13, vcc, s2, v0
	v_lshlrev_b32_e32 v6, 1, v13
	s_mov_b32 s22, 0
	v_addc_co_u32_e64 v14, s[0:1], 0, 0, vcc
	v_mov_b32_e32 v7, s7
	v_add_co_u32_e32 v6, vcc, s6, v6
	s_lshl_b32 s24, s2, 3
	s_mul_i32 s25, s2, 6
	s_mov_b32 s26, s22
	v_addc_co_u32_e32 v7, vcc, 0, v7, vcc
	s_mov_b64 s[18:19], 0
	s_movk_i32 s27, 0x7fff
	v_pk_mov_b32 v[8:9], s[10:11], s[10:11] op_sel:[0,1]
	v_mov_b32_e32 v15, s22
	v_mov_b32_e32 v16, 0x7fc0
	s_branch .LBB265_4
.LBB265_3:                              ;   in Loop: Header=BB265_4 Depth=1
	s_or_b64 exec, exec, s[0:1]
	s_add_u32 s18, s18, s23
	s_addc_u32 s19, s19, 0
	v_cmp_lt_i64_e32 vcc, s[18:19], v[8:9]
	v_cmp_lt_u64_e64 s[0:1], s[18:19], v[2:3]
	s_and_b64 s[0:1], vcc, s[0:1]
	v_add_co_u32_e32 v4, vcc, s24, v4
	v_addc_co_u32_e32 v5, vcc, v5, v15, vcc
	v_add_co_u32_e32 v6, vcc, s24, v6
	v_addc_co_u32_e32 v7, vcc, v7, v15, vcc
	s_and_b64 vcc, exec, s[0:1]
	s_cbranch_vccz .LBB265_20
.LBB265_4:                              ; =>This Inner Loop Header: Depth=1
	s_waitcnt vmcnt(0)
	v_mov_b32_e32 v17, s19
	v_add_co_u32_e32 v18, vcc, s18, v0
	v_addc_co_u32_e32 v19, vcc, 0, v17, vcc
	v_cmp_gt_u64_e32 vcc, s[16:17], v[18:19]
	v_mov_b32_e32 v18, 0
	s_and_saveexec_b64 s[0:1], vcc
	s_cbranch_execz .LBB265_6
; %bb.5:                                ;   in Loop: Header=BB265_4 Depth=1
	global_load_ushort v18, v[4:5], off
.LBB265_6:                              ;   in Loop: Header=BB265_4 Depth=1
	s_or_b64 exec, exec, s[0:1]
	v_mov_b32_e32 v17, s19
	v_add_co_u32_e64 v20, s[0:1], s18, v13
	v_addc_co_u32_e64 v21, s[0:1], v14, v17, s[0:1]
	v_cmp_gt_u64_e64 s[0:1], s[16:17], v[20:21]
	v_mov_b32_e32 v19, 0
	s_and_saveexec_b64 s[2:3], s[0:1]
	s_cbranch_execz .LBB265_8
; %bb.7:                                ;   in Loop: Header=BB265_4 Depth=1
	global_load_ushort v19, v[6:7], off
.LBB265_8:                              ;   in Loop: Header=BB265_4 Depth=1
	s_or_b64 exec, exec, s[2:3]
	v_mov_b32_e32 v17, s19
	v_add_co_u32_e64 v20, s[2:3], s18, v11
	v_addc_co_u32_e64 v21, s[2:3], v12, v17, s[2:3]
	v_cmp_gt_u64_e64 s[2:3], s[16:17], v[20:21]
	v_mov_b32_e32 v17, 0
	v_mov_b32_e32 v20, 0
	s_and_saveexec_b64 s[8:9], s[2:3]
	s_cbranch_execz .LBB265_10
; %bb.9:                                ;   in Loop: Header=BB265_4 Depth=1
	v_mov_b32_e32 v21, s22
	v_add_co_u32_e64 v20, s[6:7], s23, v4
	v_addc_co_u32_e64 v21, s[6:7], v5, v21, s[6:7]
	global_load_ushort v20, v[20:21], off
.LBB265_10:                             ;   in Loop: Header=BB265_4 Depth=1
	s_or_b64 exec, exec, s[8:9]
	v_mov_b32_e32 v21, s19
	v_add_co_u32_e64 v22, s[6:7], s18, v1
	v_addc_co_u32_e64 v23, s[6:7], v10, v21, s[6:7]
	v_cmp_gt_u64_e64 s[6:7], s[16:17], v[22:23]
	s_and_saveexec_b64 s[20:21], s[6:7]
	s_cbranch_execnz .LBB265_15
; %bb.11:                               ;   in Loop: Header=BB265_4 Depth=1
	s_or_b64 exec, exec, s[20:21]
	s_and_saveexec_b64 s[8:9], vcc
	s_cbranch_execnz .LBB265_16
.LBB265_12:                             ;   in Loop: Header=BB265_4 Depth=1
	s_or_b64 exec, exec, s[8:9]
	s_and_saveexec_b64 s[8:9], s[0:1]
	s_cbranch_execnz .LBB265_17
.LBB265_13:                             ;   in Loop: Header=BB265_4 Depth=1
	s_or_b64 exec, exec, s[8:9]
	s_and_saveexec_b64 s[0:1], s[2:3]
	s_cbranch_execnz .LBB265_18
.LBB265_14:                             ;   in Loop: Header=BB265_4 Depth=1
	s_or_b64 exec, exec, s[0:1]
	s_and_saveexec_b64 s[0:1], s[6:7]
	s_cbranch_execz .LBB265_3
	s_branch .LBB265_19
.LBB265_15:                             ;   in Loop: Header=BB265_4 Depth=1
	v_mov_b32_e32 v17, s26
	v_add_co_u32_e64 v22, s[8:9], s25, v4
	v_addc_co_u32_e64 v23, s[8:9], v5, v17, s[8:9]
	global_load_ushort v17, v[22:23], off
	s_or_b64 exec, exec, s[20:21]
	s_and_saveexec_b64 s[8:9], vcc
	s_cbranch_execz .LBB265_12
.LBB265_16:                             ;   in Loop: Header=BB265_4 Depth=1
	s_waitcnt vmcnt(0)
	v_lshlrev_b32_e32 v18, 16, v18
	v_rndne_f32_e32 v18, v18
	v_bfe_u32 v21, v18, 16, 1
	v_add3_u32 v21, v18, v21, s27
	v_lshrrev_b32_e32 v21, 16, v21
	v_cmp_o_f32_e32 vcc, v18, v18
	v_cndmask_b32_e32 v18, v16, v21, vcc
	global_store_short v[4:5], v18, off
	s_or_b64 exec, exec, s[8:9]
	s_and_saveexec_b64 s[8:9], s[0:1]
	s_cbranch_execz .LBB265_13
.LBB265_17:                             ;   in Loop: Header=BB265_4 Depth=1
	s_waitcnt vmcnt(0)
	v_lshlrev_b32_e32 v18, 16, v19
	v_rndne_f32_e32 v18, v18
	v_bfe_u32 v19, v18, 16, 1
	v_add3_u32 v19, v18, v19, s27
	v_lshrrev_b32_e32 v19, 16, v19
	v_cmp_o_f32_e32 vcc, v18, v18
	v_cndmask_b32_e32 v18, v16, v19, vcc
	global_store_short v[6:7], v18, off
	s_or_b64 exec, exec, s[8:9]
	s_and_saveexec_b64 s[0:1], s[2:3]
	s_cbranch_execz .LBB265_14
.LBB265_18:                             ;   in Loop: Header=BB265_4 Depth=1
	s_waitcnt vmcnt(0)
	v_lshlrev_b32_e32 v18, 16, v20
	v_rndne_f32_e32 v18, v18
	v_bfe_u32 v19, v18, 16, 1
	v_add3_u32 v19, v18, v19, s27
	v_lshrrev_b32_e32 v19, 16, v19
	v_cmp_o_f32_e32 vcc, v18, v18
	v_cndmask_b32_e32 v20, v16, v19, vcc
	v_mov_b32_e32 v19, s22
	v_add_co_u32_e32 v18, vcc, s23, v4
	v_addc_co_u32_e32 v19, vcc, v5, v19, vcc
	global_store_short v[18:19], v20, off
	s_or_b64 exec, exec, s[0:1]
	s_and_saveexec_b64 s[0:1], s[6:7]
	s_cbranch_execz .LBB265_3
.LBB265_19:                             ;   in Loop: Header=BB265_4 Depth=1
	s_waitcnt vmcnt(0)
	v_lshlrev_b32_e32 v17, 16, v17
	v_rndne_f32_e32 v17, v17
	v_bfe_u32 v18, v17, 16, 1
	v_add3_u32 v18, v17, v18, s27
	v_lshrrev_b32_e32 v18, 16, v18
	v_cmp_o_f32_e32 vcc, v17, v17
	v_cndmask_b32_e32 v17, v16, v18, vcc
	v_mov_b32_e32 v19, s26
	v_add_co_u32_e32 v18, vcc, s25, v4
	v_addc_co_u32_e32 v19, vcc, v5, v19, vcc
	global_store_short v[18:19], v17, off
	s_branch .LBB265_3
.LBB265_20:
	s_cbranch_execz .LBB265_22
	s_branch .LBB265_25
.LBB265_21:
.LBB265_22:
	v_mov_b32_e32 v3, 0
	v_lshlrev_b32_e32 v2, 2, v0
	s_mov_b32 s0, 0
	v_cmp_gt_i64_e32 vcc, s[10:11], v[2:3]
	s_and_saveexec_b64 s[2:3], vcc
	s_cbranch_execz .LBB265_25
; %bb.23:
	s_load_dword s1, s[4:5], 0xd3c
	v_lshlrev_b32_e32 v1, 3, v0
	s_movk_i32 s8, 0x7fff
	s_mov_b64 s[4:5], 0xffff
	v_mov_b32_e32 v6, s0
	s_waitcnt lgkmcnt(0)
	s_and_b32 s1, s1, 0xffff
	s_add_u32 s2, s12, s14
	s_addc_u32 s3, s13, s15
	v_mov_b32_e32 v2, s3
	v_add_co_u32_e32 v4, vcc, s2, v1
	v_addc_co_u32_e32 v5, vcc, 0, v2, vcc
	s_lshl_b32 s6, s1, 3
	v_add_lshl_u32 v2, v0, s1, 2
	s_lshl_b32 s7, s1, 2
	s_mov_b64 s[2:3], 0
	v_mov_b32_e32 v0, 0x7fc00000
	v_mov_b32_e32 v1, 0x7fc0
	;; [unrolled: 1-line block ×3, first 2 shown]
.LBB265_24:                             ; =>This Inner Loop Header: Depth=1
	global_load_dwordx2 v[8:9], v[4:5], off
	v_cmp_le_i64_e32 vcc, s[10:11], v[2:3]
	v_cmp_lt_u64_e64 s[0:1], s[4:5], v[2:3]
	s_or_b64 s[0:1], vcc, s[0:1]
	s_and_b64 s[0:1], exec, s[0:1]
	s_or_b64 s[2:3], s[0:1], s[2:3]
	s_waitcnt vmcnt(0)
	v_and_b32_e32 v10, 0xffff0000, v8
	v_lshlrev_b32_e32 v11, 16, v8
	v_alignbit_b32 v8, v9, v8, 16
	v_and_b32_e32 v9, 0xffff0000, v9
	v_rndne_f32_e32 v9, v9
	v_rndne_f32_e32 v10, v10
	v_bfe_u32 v14, v9, 16, 1
	v_rndne_f32_e32 v11, v11
	v_and_b32_e32 v8, 0xffff0000, v8
	v_bfe_u32 v13, v10, 16, 1
	v_add3_u32 v14, v9, v14, s8
	v_bfe_u32 v12, v11, 16, 1
	v_rndne_f32_e32 v8, v8
	v_add3_u32 v13, v10, v13, s8
	v_and_b32_e32 v14, 0xffff0000, v14
	v_cmp_o_f32_e32 vcc, v9, v9
	v_add3_u32 v12, v11, v12, s8
	v_bfe_u32 v15, v8, 16, 1
	v_and_b32_e32 v13, 0xffff0000, v13
	v_cndmask_b32_e32 v9, v0, v14, vcc
	v_cmp_o_f32_e32 vcc, v10, v10
	v_lshrrev_b32_e32 v12, 16, v12
	v_add3_u32 v15, v8, v15, s8
	v_cndmask_b32_e32 v10, v0, v13, vcc
	v_cmp_o_f32_e32 vcc, v11, v11
	v_lshrrev_b32_e32 v15, 16, v15
	v_cndmask_b32_e32 v11, v1, v12, vcc
	v_cmp_o_f32_e32 vcc, v8, v8
	v_cndmask_b32_e32 v8, v1, v15, vcc
	v_or_b32_e32 v10, v11, v10
	v_or3_b32 v9, 0, v8, v9
	v_or3_b32 v8, v10, 0, 0
	global_store_dwordx2 v[4:5], v[8:9], off
	v_add_co_u32_e32 v4, vcc, s6, v4
	v_addc_co_u32_e32 v5, vcc, v5, v6, vcc
	v_add_co_u32_e32 v2, vcc, s7, v2
	v_addc_co_u32_e32 v3, vcc, v3, v7, vcc
	s_andn2_b64 exec, exec, s[2:3]
	s_cbranch_execnz .LBB265_24
.LBB265_25:
	s_endpgm
	.section	.rodata,"a",@progbits
	.p2align	6, 0x0
	.amdhsa_kernel _ZN2at6native12_GLOBAL__N_125multi_tensor_apply_kernelINS1_18TensorListMetadataILi1EEENS1_14UnaryOpFunctorIN3c108BFloat16ELi1ELi1ELi0EEEJNS0_5RoundIfEEEEEvT_T0_DpT1_
		.amdhsa_group_segment_fixed_size 0
		.amdhsa_private_segment_fixed_size 0
		.amdhsa_kernarg_size 3632
		.amdhsa_user_sgpr_count 6
		.amdhsa_user_sgpr_private_segment_buffer 1
		.amdhsa_user_sgpr_dispatch_ptr 0
		.amdhsa_user_sgpr_queue_ptr 0
		.amdhsa_user_sgpr_kernarg_segment_ptr 1
		.amdhsa_user_sgpr_dispatch_id 0
		.amdhsa_user_sgpr_flat_scratch_init 0
		.amdhsa_user_sgpr_kernarg_preload_length 0
		.amdhsa_user_sgpr_kernarg_preload_offset 0
		.amdhsa_user_sgpr_private_segment_size 0
		.amdhsa_uses_dynamic_stack 0
		.amdhsa_system_sgpr_private_segment_wavefront_offset 0
		.amdhsa_system_sgpr_workgroup_id_x 1
		.amdhsa_system_sgpr_workgroup_id_y 0
		.amdhsa_system_sgpr_workgroup_id_z 0
		.amdhsa_system_sgpr_workgroup_info 0
		.amdhsa_system_vgpr_workitem_id 0
		.amdhsa_next_free_vgpr 24
		.amdhsa_next_free_sgpr 28
		.amdhsa_accum_offset 24
		.amdhsa_reserve_vcc 1
		.amdhsa_reserve_flat_scratch 0
		.amdhsa_float_round_mode_32 0
		.amdhsa_float_round_mode_16_64 0
		.amdhsa_float_denorm_mode_32 3
		.amdhsa_float_denorm_mode_16_64 3
		.amdhsa_dx10_clamp 1
		.amdhsa_ieee_mode 1
		.amdhsa_fp16_overflow 0
		.amdhsa_tg_split 0
		.amdhsa_exception_fp_ieee_invalid_op 0
		.amdhsa_exception_fp_denorm_src 0
		.amdhsa_exception_fp_ieee_div_zero 0
		.amdhsa_exception_fp_ieee_overflow 0
		.amdhsa_exception_fp_ieee_underflow 0
		.amdhsa_exception_fp_ieee_inexact 0
		.amdhsa_exception_int_div_zero 0
	.end_amdhsa_kernel
	.section	.text._ZN2at6native12_GLOBAL__N_125multi_tensor_apply_kernelINS1_18TensorListMetadataILi1EEENS1_14UnaryOpFunctorIN3c108BFloat16ELi1ELi1ELi0EEEJNS0_5RoundIfEEEEEvT_T0_DpT1_,"axG",@progbits,_ZN2at6native12_GLOBAL__N_125multi_tensor_apply_kernelINS1_18TensorListMetadataILi1EEENS1_14UnaryOpFunctorIN3c108BFloat16ELi1ELi1ELi0EEEJNS0_5RoundIfEEEEEvT_T0_DpT1_,comdat
.Lfunc_end265:
	.size	_ZN2at6native12_GLOBAL__N_125multi_tensor_apply_kernelINS1_18TensorListMetadataILi1EEENS1_14UnaryOpFunctorIN3c108BFloat16ELi1ELi1ELi0EEEJNS0_5RoundIfEEEEEvT_T0_DpT1_, .Lfunc_end265-_ZN2at6native12_GLOBAL__N_125multi_tensor_apply_kernelINS1_18TensorListMetadataILi1EEENS1_14UnaryOpFunctorIN3c108BFloat16ELi1ELi1ELi0EEEJNS0_5RoundIfEEEEEvT_T0_DpT1_
                                        ; -- End function
	.section	.AMDGPU.csdata,"",@progbits
; Kernel info:
; codeLenInByte = 1332
; NumSgprs: 32
; NumVgprs: 24
; NumAgprs: 0
; TotalNumVgprs: 24
; ScratchSize: 0
; MemoryBound: 0
; FloatMode: 240
; IeeeMode: 1
; LDSByteSize: 0 bytes/workgroup (compile time only)
; SGPRBlocks: 3
; VGPRBlocks: 2
; NumSGPRsForWavesPerEU: 32
; NumVGPRsForWavesPerEU: 24
; AccumOffset: 24
; Occupancy: 8
; WaveLimiterHint : 0
; COMPUTE_PGM_RSRC2:SCRATCH_EN: 0
; COMPUTE_PGM_RSRC2:USER_SGPR: 6
; COMPUTE_PGM_RSRC2:TRAP_HANDLER: 0
; COMPUTE_PGM_RSRC2:TGID_X_EN: 1
; COMPUTE_PGM_RSRC2:TGID_Y_EN: 0
; COMPUTE_PGM_RSRC2:TGID_Z_EN: 0
; COMPUTE_PGM_RSRC2:TIDIG_COMP_CNT: 0
; COMPUTE_PGM_RSRC3_GFX90A:ACCUM_OFFSET: 5
; COMPUTE_PGM_RSRC3_GFX90A:TG_SPLIT: 0
	.section	.text._ZN2at6native12_GLOBAL__N_125multi_tensor_apply_kernelINS1_18TensorListMetadataILi2EEENS1_14UnaryOpFunctorIdLi2ELi1ELi1EEEJNS0_5TruncIdEEEEEvT_T0_DpT1_,"axG",@progbits,_ZN2at6native12_GLOBAL__N_125multi_tensor_apply_kernelINS1_18TensorListMetadataILi2EEENS1_14UnaryOpFunctorIdLi2ELi1ELi1EEEJNS0_5TruncIdEEEEEvT_T0_DpT1_,comdat
	.globl	_ZN2at6native12_GLOBAL__N_125multi_tensor_apply_kernelINS1_18TensorListMetadataILi2EEENS1_14UnaryOpFunctorIdLi2ELi1ELi1EEEJNS0_5TruncIdEEEEEvT_T0_DpT1_ ; -- Begin function _ZN2at6native12_GLOBAL__N_125multi_tensor_apply_kernelINS1_18TensorListMetadataILi2EEENS1_14UnaryOpFunctorIdLi2ELi1ELi1EEEJNS0_5TruncIdEEEEEvT_T0_DpT1_
	.p2align	8
	.type	_ZN2at6native12_GLOBAL__N_125multi_tensor_apply_kernelINS1_18TensorListMetadataILi2EEENS1_14UnaryOpFunctorIdLi2ELi1ELi1EEEJNS0_5TruncIdEEEEEvT_T0_DpT1_,@function
_ZN2at6native12_GLOBAL__N_125multi_tensor_apply_kernelINS1_18TensorListMetadataILi2EEENS1_14UnaryOpFunctorIdLi2ELi1ELi1EEEJNS0_5TruncIdEEEEEvT_T0_DpT1_: ; @_ZN2at6native12_GLOBAL__N_125multi_tensor_apply_kernelINS1_18TensorListMetadataILi2EEENS1_14UnaryOpFunctorIdLi2ELi1ELi1EEEJNS0_5TruncIdEEEEEvT_T0_DpT1_
; %bb.0:
	v_mov_b32_e32 v1, s6
	global_load_ubyte v1, v1, s[4:5] offset:1536
	s_add_u32 s0, s4, s6
	s_mul_hi_u32 s2, s6, 3
	s_mul_i32 s6, s6, 3
	s_addc_u32 s7, s5, 0
	s_add_u32 s6, s0, s6
	s_addc_u32 s7, s7, s2
	s_load_dword s12, s[6:7], 0x740
	s_mov_b32 s1, 0
	s_mov_b32 s11, s1
	;; [unrolled: 1-line block ×3, first 2 shown]
	s_waitcnt lgkmcnt(0)
	s_ashr_i32 s13, s12, 31
	s_lshl_b64 s[8:9], s[12:13], 19
	s_waitcnt vmcnt(0)
	v_readfirstlane_b32 s0, v1
	s_lshl_b32 s0, s0, 3
	s_load_dwordx2 s[14:15], s[4:5], s0 offset:0x0
	s_load_dwordx2 s[16:17], s[4:5], s0 offset:0x400
	;; [unrolled: 1-line block ×3, first 2 shown]
	s_waitcnt lgkmcnt(0)
	s_add_u32 s20, s14, s8
	s_addc_u32 s21, s15, s9
	s_and_b32 s0, s20, 31
	s_add_u32 s22, s6, s8
	s_addc_u32 s23, s7, s9
	s_and_b32 s10, s16, 3
	s_and_b32 s2, s22, 31
	s_or_b64 s[10:11], s[0:1], s[10:11]
	s_or_b64 s[2:3], s[2:3], s[10:11]
	s_lshl_b64 s[10:11], s[12:13], 16
	s_sub_u32 s10, s16, s10
	s_subb_u32 s11, s17, s11
	s_cmp_eq_u64 s[2:3], 0
	s_mov_b64 s[2:3], -1
	s_cbranch_scc0 .LBB266_5
; %bb.1:
	v_mov_b32_e32 v3, 0
	v_lshlrev_b32_e32 v2, 2, v0
	v_cmp_gt_i64_e32 vcc, s[10:11], v[2:3]
	s_and_saveexec_b64 s[12:13], vcc
	s_cbranch_execz .LBB266_4
; %bb.2:
	s_load_dword s0, s[4:5], 0xc5c
	v_lshlrev_b32_e32 v4, 5, v0
	s_mov_b64 s[16:17], 0
	s_mov_b64 s[18:19], 0xffff
	v_mov_b32_e32 v1, s1
	s_waitcnt lgkmcnt(0)
	s_and_b32 s0, s0, 0xffff
	v_add_lshl_u32 v2, v0, s0, 2
	s_lshl_b32 s24, s0, 2
	s_lshl_b32 s25, s0, 5
.LBB266_3:                              ; =>This Inner Loop Header: Depth=1
	v_mov_b32_e32 v5, s21
	v_add_co_u32_e32 v14, vcc, s20, v4
	v_addc_co_u32_e32 v15, vcc, 0, v5, vcc
	global_load_dwordx4 v[6:9], v[14:15], off
	global_load_dwordx4 v[10:13], v[14:15], off offset:16
	v_cmp_le_i64_e32 vcc, s[10:11], v[2:3]
	v_cmp_lt_u64_e64 s[0:1], s[18:19], v[2:3]
	s_or_b64 s[0:1], vcc, s[0:1]
	v_add_co_u32_e64 v2, s[2:3], s24, v2
	s_add_u32 s20, s20, s25
	v_addc_co_u32_e64 v3, s[2:3], v3, v1, s[2:3]
	s_addc_u32 s21, s21, 0
	v_add_co_u32_e64 v14, s[2:3], s22, v4
	s_add_u32 s22, s22, s25
	v_mov_b32_e32 v5, s23
	s_addc_u32 s23, s23, 0
	s_and_b64 s[0:1], exec, s[0:1]
	v_addc_co_u32_e64 v15, s[2:3], 0, v5, s[2:3]
	s_or_b64 s[16:17], s[0:1], s[16:17]
	s_waitcnt vmcnt(1)
	v_trunc_f64_e32 v[16:17], v[6:7]
	v_trunc_f64_e32 v[18:19], v[8:9]
	s_waitcnt vmcnt(0)
	v_trunc_f64_e32 v[20:21], v[10:11]
	v_trunc_f64_e32 v[22:23], v[12:13]
	v_add_f64 v[6:7], v[6:7], -v[16:17]
	v_add_f64 v[8:9], v[8:9], -v[18:19]
	;; [unrolled: 1-line block ×4, first 2 shown]
	global_store_dwordx4 v[14:15], v[6:9], off
	global_store_dwordx4 v[14:15], v[10:13], off offset:16
	s_andn2_b64 exec, exec, s[16:17]
	s_cbranch_execnz .LBB266_3
.LBB266_4:
	s_or_b64 exec, exec, s[12:13]
	s_mov_b64 s[2:3], 0
.LBB266_5:
	s_andn2_b64 vcc, exec, s[2:3]
	s_cbranch_vccnz .LBB266_25
; %bb.6:
	v_cmp_lt_i64_e64 s[0:1], s[10:11], 1
	s_and_b64 vcc, exec, s[0:1]
	s_cbranch_vccnz .LBB266_25
; %bb.7:
	s_load_dword s0, s[4:5], 0xc5c
	v_mov_b32_e32 v2, 0x10000
	v_mov_b32_e32 v3, 0
	v_cmp_lt_u64_e32 vcc, s[10:11], v[2:3]
	v_lshlrev_b32_e32 v10, 3, v0
	s_waitcnt lgkmcnt(0)
	s_and_b32 s2, s0, 0xffff
	s_and_b64 s[0:1], vcc, exec
	v_mov_b32_e32 v13, s15
	v_add_co_u32_e32 v2, vcc, s14, v10
	v_addc_co_u32_e32 v1, vcc, 0, v13, vcc
	v_mov_b32_e32 v11, 0
	v_mov_b32_e32 v15, s7
	v_add_co_u32_e32 v4, vcc, s6, v10
	v_addc_co_u32_e32 v3, vcc, 0, v15, vcc
	v_mad_u64_u32 v[8:9], s[0:1], s2, 24, v[10:11]
	v_add_co_u32_e32 v6, vcc, s14, v8
	v_addc_co_u32_e32 v5, vcc, v13, v9, vcc
	v_add_co_u32_e32 v8, vcc, s6, v8
	s_mul_i32 s4, s2, 3
	v_addc_co_u32_e32 v7, vcc, v15, v9, vcc
	v_add_co_u32_e32 v17, vcc, s4, v0
	v_addc_co_u32_e64 v26, s[0:1], 0, 0, vcc
	s_cselect_b32 s13, s11, 0
	s_cselect_b32 s12, s10, 0x10000
	s_lshl_b32 s0, s2, 4
	v_add_co_u32_e32 v11, vcc, s0, v10
	v_addc_co_u32_e64 v14, s[0:1], 0, 0, vcc
	v_add_co_u32_e32 v10, vcc, s14, v11
	v_addc_co_u32_e32 v9, vcc, v13, v14, vcc
	v_add_co_u32_e32 v12, vcc, s6, v11
	s_lshl_b32 s3, s2, 1
	v_addc_co_u32_e32 v11, vcc, v15, v14, vcc
	v_add_co_u32_e32 v27, vcc, s3, v0
	v_addc_co_u32_e64 v28, s[0:1], 0, 0, vcc
	v_add_co_u32_e32 v29, vcc, s2, v0
	v_lshlrev_b32_e32 v16, 3, v29
	v_addc_co_u32_e64 v30, s[0:1], 0, 0, vcc
	v_add_co_u32_e32 v14, vcc, s14, v16
	v_addc_co_u32_e32 v13, vcc, 0, v13, vcc
	v_add_co_u32_e32 v16, vcc, s6, v16
	s_mov_b32 s18, 0
	s_lshl_b32 s19, s2, 2
	s_lshl_b32 s20, s2, 5
	v_addc_co_u32_e32 v15, vcc, 0, v15, vcc
	s_mov_b64 s[14:15], 0
	s_branch .LBB266_9
.LBB266_8:                              ;   in Loop: Header=BB266_9 Depth=1
	s_or_b64 exec, exec, s[0:1]
	s_add_u32 s14, s14, s19
	s_addc_u32 s15, s15, 0
	s_waitcnt vmcnt(0)
	v_pk_mov_b32 v[18:19], s[10:11], s[10:11] op_sel:[0,1]
	v_cmp_ge_i64_e32 vcc, s[14:15], v[18:19]
	v_mov_b32_e32 v18, 0xffff
	v_mov_b32_e32 v19, 0
	v_cmp_gt_u64_e64 s[0:1], s[14:15], v[18:19]
	s_or_b64 s[0:1], vcc, s[0:1]
	v_mov_b32_e32 v18, s18
	v_add_co_u32_e32 v2, vcc, s20, v2
	v_addc_co_u32_e32 v1, vcc, v1, v18, vcc
	v_add_co_u32_e32 v4, vcc, s20, v4
	v_addc_co_u32_e32 v3, vcc, v3, v18, vcc
	;; [unrolled: 2-line block ×8, first 2 shown]
	s_and_b64 vcc, exec, s[0:1]
	s_cbranch_vccnz .LBB266_25
.LBB266_9:                              ; =>This Inner Loop Header: Depth=1
	v_mov_b32_e32 v19, s15
	v_add_co_u32_e32 v18, vcc, s14, v0
	v_addc_co_u32_e32 v19, vcc, 0, v19, vcc
	v_cmp_gt_u64_e32 vcc, s[12:13], v[18:19]
	v_pk_mov_b32 v[18:19], 0, 0
	v_pk_mov_b32 v[20:21], v[18:19], v[18:19] op_sel:[0,1]
	s_and_saveexec_b64 s[2:3], vcc
	s_cbranch_execz .LBB266_11
; %bb.10:                               ;   in Loop: Header=BB266_9 Depth=1
	v_mov_b32_e32 v21, s9
	v_add_co_u32_e64 v20, s[0:1], s8, v2
	v_addc_co_u32_e64 v21, s[0:1], v1, v21, s[0:1]
	global_load_dwordx2 v[20:21], v[20:21], off
.LBB266_11:                             ;   in Loop: Header=BB266_9 Depth=1
	s_or_b64 exec, exec, s[2:3]
	v_mov_b32_e32 v23, s15
	v_add_co_u32_e64 v22, s[0:1], s14, v29
	v_addc_co_u32_e64 v23, s[0:1], v30, v23, s[0:1]
	v_cmp_gt_u64_e64 s[0:1], s[12:13], v[22:23]
	s_and_saveexec_b64 s[4:5], s[0:1]
	s_cbranch_execz .LBB266_13
; %bb.12:                               ;   in Loop: Header=BB266_9 Depth=1
	v_mov_b32_e32 v19, s9
	v_add_co_u32_e64 v18, s[2:3], s8, v14
	v_addc_co_u32_e64 v19, s[2:3], v13, v19, s[2:3]
	global_load_dwordx2 v[18:19], v[18:19], off
.LBB266_13:                             ;   in Loop: Header=BB266_9 Depth=1
	s_or_b64 exec, exec, s[4:5]
	v_mov_b32_e32 v23, s15
	v_add_co_u32_e64 v22, s[2:3], s14, v27
	v_addc_co_u32_e64 v23, s[2:3], v28, v23, s[2:3]
	v_cmp_gt_u64_e64 s[2:3], s[12:13], v[22:23]
	v_pk_mov_b32 v[22:23], 0, 0
	v_pk_mov_b32 v[24:25], v[22:23], v[22:23] op_sel:[0,1]
	s_and_saveexec_b64 s[6:7], s[2:3]
	s_cbranch_execz .LBB266_15
; %bb.14:                               ;   in Loop: Header=BB266_9 Depth=1
	v_mov_b32_e32 v25, s9
	v_add_co_u32_e64 v24, s[4:5], s8, v10
	v_addc_co_u32_e64 v25, s[4:5], v9, v25, s[4:5]
	global_load_dwordx2 v[24:25], v[24:25], off
.LBB266_15:                             ;   in Loop: Header=BB266_9 Depth=1
	s_or_b64 exec, exec, s[6:7]
	v_mov_b32_e32 v31, s15
	v_add_co_u32_e64 v32, s[4:5], s14, v17
	v_addc_co_u32_e64 v33, s[4:5], v26, v31, s[4:5]
	v_cmp_gt_u64_e64 s[4:5], s[12:13], v[32:33]
	s_and_saveexec_b64 s[16:17], s[4:5]
	s_cbranch_execnz .LBB266_20
; %bb.16:                               ;   in Loop: Header=BB266_9 Depth=1
	s_or_b64 exec, exec, s[16:17]
	s_and_saveexec_b64 s[6:7], vcc
	s_cbranch_execnz .LBB266_21
.LBB266_17:                             ;   in Loop: Header=BB266_9 Depth=1
	s_or_b64 exec, exec, s[6:7]
	s_and_saveexec_b64 s[6:7], s[0:1]
	s_cbranch_execnz .LBB266_22
.LBB266_18:                             ;   in Loop: Header=BB266_9 Depth=1
	s_or_b64 exec, exec, s[6:7]
	s_and_saveexec_b64 s[0:1], s[2:3]
	s_cbranch_execnz .LBB266_23
.LBB266_19:                             ;   in Loop: Header=BB266_9 Depth=1
	s_or_b64 exec, exec, s[0:1]
	s_and_saveexec_b64 s[0:1], s[4:5]
	s_cbranch_execz .LBB266_8
	s_branch .LBB266_24
.LBB266_20:                             ;   in Loop: Header=BB266_9 Depth=1
	v_mov_b32_e32 v23, s9
	v_add_co_u32_e64 v22, s[6:7], s8, v6
	v_addc_co_u32_e64 v23, s[6:7], v5, v23, s[6:7]
	global_load_dwordx2 v[22:23], v[22:23], off
	s_or_b64 exec, exec, s[16:17]
	s_and_saveexec_b64 s[6:7], vcc
	s_cbranch_execz .LBB266_17
.LBB266_21:                             ;   in Loop: Header=BB266_9 Depth=1
	v_mov_b32_e32 v31, s9
	v_add_co_u32_e32 v32, vcc, s8, v4
	s_waitcnt vmcnt(0)
	v_trunc_f64_e32 v[34:35], v[20:21]
	v_addc_co_u32_e32 v33, vcc, v3, v31, vcc
	v_add_f64 v[20:21], v[20:21], -v[34:35]
	global_store_dwordx2 v[32:33], v[20:21], off
	s_or_b64 exec, exec, s[6:7]
	s_and_saveexec_b64 s[6:7], s[0:1]
	s_cbranch_execz .LBB266_18
.LBB266_22:                             ;   in Loop: Header=BB266_9 Depth=1
	s_waitcnt vmcnt(0)
	v_trunc_f64_e32 v[20:21], v[18:19]
	v_add_f64 v[18:19], v[18:19], -v[20:21]
	v_mov_b32_e32 v21, s9
	v_add_co_u32_e32 v20, vcc, s8, v16
	v_addc_co_u32_e32 v21, vcc, v15, v21, vcc
	global_store_dwordx2 v[20:21], v[18:19], off
	s_or_b64 exec, exec, s[6:7]
	s_and_saveexec_b64 s[0:1], s[2:3]
	s_cbranch_execz .LBB266_19
.LBB266_23:                             ;   in Loop: Header=BB266_9 Depth=1
	s_waitcnt vmcnt(0)
	v_trunc_f64_e32 v[18:19], v[24:25]
	v_mov_b32_e32 v21, s9
	v_add_co_u32_e32 v20, vcc, s8, v12
	v_add_f64 v[18:19], v[24:25], -v[18:19]
	v_addc_co_u32_e32 v21, vcc, v11, v21, vcc
	global_store_dwordx2 v[20:21], v[18:19], off
	s_or_b64 exec, exec, s[0:1]
	s_and_saveexec_b64 s[0:1], s[4:5]
	s_cbranch_execz .LBB266_8
.LBB266_24:                             ;   in Loop: Header=BB266_9 Depth=1
	s_waitcnt vmcnt(0)
	v_trunc_f64_e32 v[18:19], v[22:23]
	v_mov_b32_e32 v21, s9
	v_add_co_u32_e32 v20, vcc, s8, v8
	v_add_f64 v[18:19], v[22:23], -v[18:19]
	v_addc_co_u32_e32 v21, vcc, v7, v21, vcc
	global_store_dwordx2 v[20:21], v[18:19], off
	s_branch .LBB266_8
.LBB266_25:
	s_endpgm
	.section	.rodata,"a",@progbits
	.p2align	6, 0x0
	.amdhsa_kernel _ZN2at6native12_GLOBAL__N_125multi_tensor_apply_kernelINS1_18TensorListMetadataILi2EEENS1_14UnaryOpFunctorIdLi2ELi1ELi1EEEJNS0_5TruncIdEEEEEvT_T0_DpT1_
		.amdhsa_group_segment_fixed_size 0
		.amdhsa_private_segment_fixed_size 0
		.amdhsa_kernarg_size 3408
		.amdhsa_user_sgpr_count 6
		.amdhsa_user_sgpr_private_segment_buffer 1
		.amdhsa_user_sgpr_dispatch_ptr 0
		.amdhsa_user_sgpr_queue_ptr 0
		.amdhsa_user_sgpr_kernarg_segment_ptr 1
		.amdhsa_user_sgpr_dispatch_id 0
		.amdhsa_user_sgpr_flat_scratch_init 0
		.amdhsa_user_sgpr_kernarg_preload_length 0
		.amdhsa_user_sgpr_kernarg_preload_offset 0
		.amdhsa_user_sgpr_private_segment_size 0
		.amdhsa_uses_dynamic_stack 0
		.amdhsa_system_sgpr_private_segment_wavefront_offset 0
		.amdhsa_system_sgpr_workgroup_id_x 1
		.amdhsa_system_sgpr_workgroup_id_y 0
		.amdhsa_system_sgpr_workgroup_id_z 0
		.amdhsa_system_sgpr_workgroup_info 0
		.amdhsa_system_vgpr_workitem_id 0
		.amdhsa_next_free_vgpr 36
		.amdhsa_next_free_sgpr 26
		.amdhsa_accum_offset 36
		.amdhsa_reserve_vcc 1
		.amdhsa_reserve_flat_scratch 0
		.amdhsa_float_round_mode_32 0
		.amdhsa_float_round_mode_16_64 0
		.amdhsa_float_denorm_mode_32 3
		.amdhsa_float_denorm_mode_16_64 3
		.amdhsa_dx10_clamp 1
		.amdhsa_ieee_mode 1
		.amdhsa_fp16_overflow 0
		.amdhsa_tg_split 0
		.amdhsa_exception_fp_ieee_invalid_op 0
		.amdhsa_exception_fp_denorm_src 0
		.amdhsa_exception_fp_ieee_div_zero 0
		.amdhsa_exception_fp_ieee_overflow 0
		.amdhsa_exception_fp_ieee_underflow 0
		.amdhsa_exception_fp_ieee_inexact 0
		.amdhsa_exception_int_div_zero 0
	.end_amdhsa_kernel
	.section	.text._ZN2at6native12_GLOBAL__N_125multi_tensor_apply_kernelINS1_18TensorListMetadataILi2EEENS1_14UnaryOpFunctorIdLi2ELi1ELi1EEEJNS0_5TruncIdEEEEEvT_T0_DpT1_,"axG",@progbits,_ZN2at6native12_GLOBAL__N_125multi_tensor_apply_kernelINS1_18TensorListMetadataILi2EEENS1_14UnaryOpFunctorIdLi2ELi1ELi1EEEJNS0_5TruncIdEEEEEvT_T0_DpT1_,comdat
.Lfunc_end266:
	.size	_ZN2at6native12_GLOBAL__N_125multi_tensor_apply_kernelINS1_18TensorListMetadataILi2EEENS1_14UnaryOpFunctorIdLi2ELi1ELi1EEEJNS0_5TruncIdEEEEEvT_T0_DpT1_, .Lfunc_end266-_ZN2at6native12_GLOBAL__N_125multi_tensor_apply_kernelINS1_18TensorListMetadataILi2EEENS1_14UnaryOpFunctorIdLi2ELi1ELi1EEEJNS0_5TruncIdEEEEEvT_T0_DpT1_
                                        ; -- End function
	.section	.AMDGPU.csdata,"",@progbits
; Kernel info:
; codeLenInByte = 1352
; NumSgprs: 30
; NumVgprs: 36
; NumAgprs: 0
; TotalNumVgprs: 36
; ScratchSize: 0
; MemoryBound: 0
; FloatMode: 240
; IeeeMode: 1
; LDSByteSize: 0 bytes/workgroup (compile time only)
; SGPRBlocks: 3
; VGPRBlocks: 4
; NumSGPRsForWavesPerEU: 30
; NumVGPRsForWavesPerEU: 36
; AccumOffset: 36
; Occupancy: 8
; WaveLimiterHint : 0
; COMPUTE_PGM_RSRC2:SCRATCH_EN: 0
; COMPUTE_PGM_RSRC2:USER_SGPR: 6
; COMPUTE_PGM_RSRC2:TRAP_HANDLER: 0
; COMPUTE_PGM_RSRC2:TGID_X_EN: 1
; COMPUTE_PGM_RSRC2:TGID_Y_EN: 0
; COMPUTE_PGM_RSRC2:TGID_Z_EN: 0
; COMPUTE_PGM_RSRC2:TIDIG_COMP_CNT: 0
; COMPUTE_PGM_RSRC3_GFX90A:ACCUM_OFFSET: 8
; COMPUTE_PGM_RSRC3_GFX90A:TG_SPLIT: 0
	.section	.text._ZN2at6native12_GLOBAL__N_125multi_tensor_apply_kernelINS1_18TensorListMetadataILi2EEENS1_14UnaryOpFunctorIfLi2ELi1ELi1EEEJNS0_5TruncIfEEEEEvT_T0_DpT1_,"axG",@progbits,_ZN2at6native12_GLOBAL__N_125multi_tensor_apply_kernelINS1_18TensorListMetadataILi2EEENS1_14UnaryOpFunctorIfLi2ELi1ELi1EEEJNS0_5TruncIfEEEEEvT_T0_DpT1_,comdat
	.globl	_ZN2at6native12_GLOBAL__N_125multi_tensor_apply_kernelINS1_18TensorListMetadataILi2EEENS1_14UnaryOpFunctorIfLi2ELi1ELi1EEEJNS0_5TruncIfEEEEEvT_T0_DpT1_ ; -- Begin function _ZN2at6native12_GLOBAL__N_125multi_tensor_apply_kernelINS1_18TensorListMetadataILi2EEENS1_14UnaryOpFunctorIfLi2ELi1ELi1EEEJNS0_5TruncIfEEEEEvT_T0_DpT1_
	.p2align	8
	.type	_ZN2at6native12_GLOBAL__N_125multi_tensor_apply_kernelINS1_18TensorListMetadataILi2EEENS1_14UnaryOpFunctorIfLi2ELi1ELi1EEEJNS0_5TruncIfEEEEEvT_T0_DpT1_,@function
_ZN2at6native12_GLOBAL__N_125multi_tensor_apply_kernelINS1_18TensorListMetadataILi2EEENS1_14UnaryOpFunctorIfLi2ELi1ELi1EEEJNS0_5TruncIfEEEEEvT_T0_DpT1_: ; @_ZN2at6native12_GLOBAL__N_125multi_tensor_apply_kernelINS1_18TensorListMetadataILi2EEENS1_14UnaryOpFunctorIfLi2ELi1ELi1EEEJNS0_5TruncIfEEEEEvT_T0_DpT1_
; %bb.0:
	v_mov_b32_e32 v1, s6
	global_load_ubyte v1, v1, s[4:5] offset:1536
	s_add_u32 s0, s4, s6
	s_mul_hi_u32 s2, s6, 3
	s_mul_i32 s6, s6, 3
	s_addc_u32 s7, s5, 0
	s_add_u32 s8, s0, s6
	s_addc_u32 s9, s7, s2
	s_mov_b32 s1, 0
	s_mov_b32 s17, s1
	;; [unrolled: 1-line block ×3, first 2 shown]
	s_waitcnt vmcnt(0)
	v_readfirstlane_b32 s0, v1
	s_lshl_b32 s0, s0, 3
	s_load_dword s10, s[8:9], 0x740
	s_load_dwordx2 s[14:15], s[4:5], s0 offset:0x0
	s_load_dwordx2 s[12:13], s[4:5], s0 offset:0x400
	;; [unrolled: 1-line block ×3, first 2 shown]
	s_waitcnt lgkmcnt(0)
	s_ashr_i32 s11, s10, 31
	s_and_b32 s0, s14, 15
	s_and_b32 s16, s12, 3
	s_and_b32 s2, s6, 15
	s_or_b64 s[16:17], s[0:1], s[16:17]
	s_lshl_b64 s[8:9], s[10:11], 18
	s_or_b64 s[2:3], s[2:3], s[16:17]
	s_lshl_b64 s[10:11], s[10:11], 16
	s_sub_u32 s10, s12, s10
	s_subb_u32 s11, s13, s11
	s_cmp_eq_u64 s[2:3], 0
	s_mov_b64 s[2:3], -1
	s_cbranch_scc0 .LBB267_5
; %bb.1:
	v_mov_b32_e32 v3, 0
	v_lshlrev_b32_e32 v2, 2, v0
	v_cmp_gt_i64_e32 vcc, s[10:11], v[2:3]
	s_and_saveexec_b64 s[12:13], vcc
	s_cbranch_execz .LBB267_4
; %bb.2:
	s_load_dword s0, s[4:5], 0xc5c
	v_lshlrev_b32_e32 v1, 4, v0
	v_mov_b32_e32 v4, s9
	v_add_co_u32_e32 v1, vcc, s8, v1
	v_addc_co_u32_e32 v5, vcc, 0, v4, vcc
	s_waitcnt lgkmcnt(0)
	s_and_b32 s0, s0, 0xffff
	v_add_co_u32_e32 v4, vcc, 8, v1
	v_add_lshl_u32 v2, v0, s0, 2
	s_lshl_b32 s20, s0, 2
	v_addc_co_u32_e32 v1, vcc, 0, v5, vcc
	s_lshl_b32 s21, s0, 4
	s_mov_b64 s[16:17], 0
	v_mov_b32_e32 v5, s15
	v_mov_b32_e32 v6, s7
	s_mov_b64 s[18:19], 0xffff
	v_mov_b32_e32 v7, s1
	v_mov_b32_e32 v8, s1
.LBB267_3:                              ; =>This Inner Loop Header: Depth=1
	v_add_co_u32_e32 v10, vcc, s14, v4
	v_addc_co_u32_e32 v11, vcc, v5, v1, vcc
	global_load_dwordx4 v[10:13], v[10:11], off offset:-8
	v_add_co_u32_e32 v14, vcc, s6, v4
	v_addc_co_u32_e32 v15, vcc, v6, v1, vcc
	v_cmp_le_i64_e32 vcc, s[10:11], v[2:3]
	v_cmp_lt_u64_e64 s[0:1], s[18:19], v[2:3]
	v_add_co_u32_e64 v2, s[2:3], s20, v2
	v_addc_co_u32_e64 v3, s[2:3], v3, v7, s[2:3]
	s_or_b64 s[0:1], vcc, s[0:1]
	v_add_co_u32_e64 v4, s[2:3], s21, v4
	s_and_b64 s[0:1], exec, s[0:1]
	v_addc_co_u32_e64 v1, s[2:3], v1, v8, s[2:3]
	s_or_b64 s[16:17], s[0:1], s[16:17]
	s_waitcnt vmcnt(0)
	v_trunc_f32_e32 v17, v11
	v_trunc_f32_e32 v16, v10
	;; [unrolled: 1-line block ×4, first 2 shown]
	v_pk_add_f32 v[10:11], v[10:11], v[16:17] neg_lo:[0,1] neg_hi:[0,1]
	v_pk_add_f32 v[12:13], v[12:13], v[18:19] neg_lo:[0,1] neg_hi:[0,1]
	global_store_dwordx4 v[14:15], v[10:13], off offset:-8
	s_andn2_b64 exec, exec, s[16:17]
	s_cbranch_execnz .LBB267_3
.LBB267_4:
	s_or_b64 exec, exec, s[12:13]
	s_mov_b64 s[2:3], 0
.LBB267_5:
	s_andn2_b64 vcc, exec, s[2:3]
	s_cbranch_vccnz .LBB267_25
; %bb.6:
	v_cmp_lt_i64_e64 s[0:1], s[10:11], 1
	s_and_b64 vcc, exec, s[0:1]
	s_cbranch_vccnz .LBB267_25
; %bb.7:
	s_load_dword s0, s[4:5], 0xc5c
	v_mov_b32_e32 v2, 0x10000
	v_mov_b32_e32 v3, 0
	v_cmp_lt_u64_e32 vcc, s[10:11], v[2:3]
	v_lshlrev_b32_e32 v10, 2, v0
	s_waitcnt lgkmcnt(0)
	s_and_b32 s2, s0, 0xffff
	s_and_b64 s[0:1], vcc, exec
	v_mov_b32_e32 v13, s15
	v_add_co_u32_e32 v2, vcc, s14, v10
	v_addc_co_u32_e32 v1, vcc, 0, v13, vcc
	v_mov_b32_e32 v11, 0
	v_mov_b32_e32 v15, s7
	v_add_co_u32_e32 v4, vcc, s6, v10
	v_addc_co_u32_e32 v3, vcc, 0, v15, vcc
	v_mad_u64_u32 v[8:9], s[0:1], s2, 12, v[10:11]
	v_add_co_u32_e32 v6, vcc, s14, v8
	v_addc_co_u32_e32 v5, vcc, v13, v9, vcc
	v_add_co_u32_e32 v8, vcc, s6, v8
	s_mul_i32 s4, s2, 3
	v_addc_co_u32_e32 v7, vcc, v15, v9, vcc
	v_add_co_u32_e32 v17, vcc, s4, v0
	v_addc_co_u32_e64 v18, s[0:1], 0, 0, vcc
	s_cselect_b32 s13, s11, 0
	s_cselect_b32 s12, s10, 0x10000
	s_lshl_b32 s0, s2, 3
	v_add_co_u32_e32 v11, vcc, s0, v10
	v_addc_co_u32_e64 v14, s[0:1], 0, 0, vcc
	v_add_co_u32_e32 v10, vcc, s14, v11
	v_addc_co_u32_e32 v9, vcc, v13, v14, vcc
	v_add_co_u32_e32 v12, vcc, s6, v11
	s_lshl_b32 s3, s2, 1
	v_addc_co_u32_e32 v11, vcc, v15, v14, vcc
	v_add_co_u32_e32 v19, vcc, s3, v0
	v_addc_co_u32_e64 v20, s[0:1], 0, 0, vcc
	v_add_co_u32_e32 v21, vcc, s2, v0
	v_lshlrev_b32_e32 v16, 2, v21
	v_addc_co_u32_e64 v22, s[0:1], 0, 0, vcc
	v_add_co_u32_e32 v14, vcc, s14, v16
	v_addc_co_u32_e32 v13, vcc, 0, v13, vcc
	v_add_co_u32_e32 v16, vcc, s6, v16
	s_mov_b32 s18, 0
	s_lshl_b32 s19, s2, 2
	s_lshl_b32 s20, s2, 4
	v_addc_co_u32_e32 v15, vcc, 0, v15, vcc
	s_mov_b64 s[14:15], 0
	s_branch .LBB267_9
.LBB267_8:                              ;   in Loop: Header=BB267_9 Depth=1
	s_or_b64 exec, exec, s[0:1]
	s_add_u32 s14, s14, s19
	s_addc_u32 s15, s15, 0
	s_waitcnt vmcnt(0)
	v_pk_mov_b32 v[24:25], s[10:11], s[10:11] op_sel:[0,1]
	v_cmp_ge_i64_e32 vcc, s[14:15], v[24:25]
	v_mov_b32_e32 v24, 0xffff
	v_mov_b32_e32 v25, 0
	v_cmp_gt_u64_e64 s[0:1], s[14:15], v[24:25]
	s_or_b64 s[0:1], vcc, s[0:1]
	v_mov_b32_e32 v23, s18
	v_add_co_u32_e32 v2, vcc, s20, v2
	v_addc_co_u32_e32 v1, vcc, v1, v23, vcc
	v_add_co_u32_e32 v4, vcc, s20, v4
	v_addc_co_u32_e32 v3, vcc, v3, v23, vcc
	;; [unrolled: 2-line block ×8, first 2 shown]
	s_and_b64 vcc, exec, s[0:1]
	s_cbranch_vccnz .LBB267_25
.LBB267_9:                              ; =>This Inner Loop Header: Depth=1
	v_mov_b32_e32 v23, s15
	v_add_co_u32_e32 v24, vcc, s14, v0
	v_addc_co_u32_e32 v25, vcc, 0, v23, vcc
	v_cmp_gt_u64_e32 vcc, s[12:13], v[24:25]
	v_mov_b32_e32 v23, 0
	s_and_saveexec_b64 s[2:3], vcc
	s_cbranch_execz .LBB267_11
; %bb.10:                               ;   in Loop: Header=BB267_9 Depth=1
	v_mov_b32_e32 v23, s9
	v_add_co_u32_e64 v24, s[0:1], s8, v2
	v_addc_co_u32_e64 v25, s[0:1], v1, v23, s[0:1]
	global_load_dword v23, v[24:25], off
.LBB267_11:                             ;   in Loop: Header=BB267_9 Depth=1
	s_or_b64 exec, exec, s[2:3]
	v_mov_b32_e32 v25, s15
	v_add_co_u32_e64 v24, s[0:1], s14, v21
	v_addc_co_u32_e64 v25, s[0:1], v22, v25, s[0:1]
	v_cmp_gt_u64_e64 s[0:1], s[12:13], v[24:25]
	v_mov_b32_e32 v25, 0
	s_and_saveexec_b64 s[4:5], s[0:1]
	s_cbranch_execz .LBB267_13
; %bb.12:                               ;   in Loop: Header=BB267_9 Depth=1
	v_mov_b32_e32 v25, s9
	v_add_co_u32_e64 v24, s[2:3], s8, v14
	v_addc_co_u32_e64 v25, s[2:3], v13, v25, s[2:3]
	global_load_dword v25, v[24:25], off
.LBB267_13:                             ;   in Loop: Header=BB267_9 Depth=1
	s_or_b64 exec, exec, s[4:5]
	v_mov_b32_e32 v24, s15
	v_add_co_u32_e64 v26, s[2:3], s14, v19
	v_addc_co_u32_e64 v27, s[2:3], v20, v24, s[2:3]
	v_cmp_gt_u64_e64 s[2:3], s[12:13], v[26:27]
	v_mov_b32_e32 v24, 0
	v_mov_b32_e32 v26, 0
	s_and_saveexec_b64 s[6:7], s[2:3]
	s_cbranch_execz .LBB267_15
; %bb.14:                               ;   in Loop: Header=BB267_9 Depth=1
	v_mov_b32_e32 v27, s9
	v_add_co_u32_e64 v26, s[4:5], s8, v10
	v_addc_co_u32_e64 v27, s[4:5], v9, v27, s[4:5]
	global_load_dword v26, v[26:27], off
.LBB267_15:                             ;   in Loop: Header=BB267_9 Depth=1
	s_or_b64 exec, exec, s[6:7]
	v_mov_b32_e32 v27, s15
	v_add_co_u32_e64 v28, s[4:5], s14, v17
	v_addc_co_u32_e64 v29, s[4:5], v18, v27, s[4:5]
	v_cmp_gt_u64_e64 s[4:5], s[12:13], v[28:29]
	s_and_saveexec_b64 s[16:17], s[4:5]
	s_cbranch_execnz .LBB267_20
; %bb.16:                               ;   in Loop: Header=BB267_9 Depth=1
	s_or_b64 exec, exec, s[16:17]
	s_and_saveexec_b64 s[6:7], vcc
	s_cbranch_execnz .LBB267_21
.LBB267_17:                             ;   in Loop: Header=BB267_9 Depth=1
	s_or_b64 exec, exec, s[6:7]
	s_and_saveexec_b64 s[6:7], s[0:1]
	s_cbranch_execnz .LBB267_22
.LBB267_18:                             ;   in Loop: Header=BB267_9 Depth=1
	s_or_b64 exec, exec, s[6:7]
	s_and_saveexec_b64 s[0:1], s[2:3]
	s_cbranch_execnz .LBB267_23
.LBB267_19:                             ;   in Loop: Header=BB267_9 Depth=1
	s_or_b64 exec, exec, s[0:1]
	s_and_saveexec_b64 s[0:1], s[4:5]
	s_cbranch_execz .LBB267_8
	s_branch .LBB267_24
.LBB267_20:                             ;   in Loop: Header=BB267_9 Depth=1
	v_mov_b32_e32 v24, s9
	v_add_co_u32_e64 v28, s[6:7], s8, v6
	v_addc_co_u32_e64 v29, s[6:7], v5, v24, s[6:7]
	global_load_dword v24, v[28:29], off
	s_or_b64 exec, exec, s[16:17]
	s_and_saveexec_b64 s[6:7], vcc
	s_cbranch_execz .LBB267_17
.LBB267_21:                             ;   in Loop: Header=BB267_9 Depth=1
	v_mov_b32_e32 v27, s9
	v_add_co_u32_e32 v28, vcc, s8, v4
	v_addc_co_u32_e32 v29, vcc, v3, v27, vcc
	s_waitcnt vmcnt(0)
	v_trunc_f32_e32 v27, v23
	v_sub_f32_e32 v23, v23, v27
	global_store_dword v[28:29], v23, off
	s_or_b64 exec, exec, s[6:7]
	s_and_saveexec_b64 s[6:7], s[0:1]
	s_cbranch_execz .LBB267_18
.LBB267_22:                             ;   in Loop: Header=BB267_9 Depth=1
	s_waitcnt vmcnt(0)
	v_trunc_f32_e32 v23, v25
	v_sub_f32_e32 v23, v25, v23
	v_mov_b32_e32 v25, s9
	v_add_co_u32_e32 v28, vcc, s8, v16
	v_addc_co_u32_e32 v29, vcc, v15, v25, vcc
	global_store_dword v[28:29], v23, off
	s_or_b64 exec, exec, s[6:7]
	s_and_saveexec_b64 s[0:1], s[2:3]
	s_cbranch_execz .LBB267_19
.LBB267_23:                             ;   in Loop: Header=BB267_9 Depth=1
	s_waitcnt vmcnt(0)
	v_trunc_f32_e32 v23, v26
	v_sub_f32_e32 v23, v26, v23
	v_mov_b32_e32 v25, s9
	v_add_co_u32_e32 v26, vcc, s8, v12
	v_addc_co_u32_e32 v27, vcc, v11, v25, vcc
	global_store_dword v[26:27], v23, off
	s_or_b64 exec, exec, s[0:1]
	s_and_saveexec_b64 s[0:1], s[4:5]
	s_cbranch_execz .LBB267_8
.LBB267_24:                             ;   in Loop: Header=BB267_9 Depth=1
	s_waitcnt vmcnt(0)
	v_trunc_f32_e32 v23, v24
	v_sub_f32_e32 v23, v24, v23
	v_mov_b32_e32 v25, s9
	v_add_co_u32_e32 v24, vcc, s8, v8
	v_addc_co_u32_e32 v25, vcc, v7, v25, vcc
	global_store_dword v[24:25], v23, off
	s_branch .LBB267_8
.LBB267_25:
	s_endpgm
	.section	.rodata,"a",@progbits
	.p2align	6, 0x0
	.amdhsa_kernel _ZN2at6native12_GLOBAL__N_125multi_tensor_apply_kernelINS1_18TensorListMetadataILi2EEENS1_14UnaryOpFunctorIfLi2ELi1ELi1EEEJNS0_5TruncIfEEEEEvT_T0_DpT1_
		.amdhsa_group_segment_fixed_size 0
		.amdhsa_private_segment_fixed_size 0
		.amdhsa_kernarg_size 3408
		.amdhsa_user_sgpr_count 6
		.amdhsa_user_sgpr_private_segment_buffer 1
		.amdhsa_user_sgpr_dispatch_ptr 0
		.amdhsa_user_sgpr_queue_ptr 0
		.amdhsa_user_sgpr_kernarg_segment_ptr 1
		.amdhsa_user_sgpr_dispatch_id 0
		.amdhsa_user_sgpr_flat_scratch_init 0
		.amdhsa_user_sgpr_kernarg_preload_length 0
		.amdhsa_user_sgpr_kernarg_preload_offset 0
		.amdhsa_user_sgpr_private_segment_size 0
		.amdhsa_uses_dynamic_stack 0
		.amdhsa_system_sgpr_private_segment_wavefront_offset 0
		.amdhsa_system_sgpr_workgroup_id_x 1
		.amdhsa_system_sgpr_workgroup_id_y 0
		.amdhsa_system_sgpr_workgroup_id_z 0
		.amdhsa_system_sgpr_workgroup_info 0
		.amdhsa_system_vgpr_workitem_id 0
		.amdhsa_next_free_vgpr 30
		.amdhsa_next_free_sgpr 22
		.amdhsa_accum_offset 32
		.amdhsa_reserve_vcc 1
		.amdhsa_reserve_flat_scratch 0
		.amdhsa_float_round_mode_32 0
		.amdhsa_float_round_mode_16_64 0
		.amdhsa_float_denorm_mode_32 3
		.amdhsa_float_denorm_mode_16_64 3
		.amdhsa_dx10_clamp 1
		.amdhsa_ieee_mode 1
		.amdhsa_fp16_overflow 0
		.amdhsa_tg_split 0
		.amdhsa_exception_fp_ieee_invalid_op 0
		.amdhsa_exception_fp_denorm_src 0
		.amdhsa_exception_fp_ieee_div_zero 0
		.amdhsa_exception_fp_ieee_overflow 0
		.amdhsa_exception_fp_ieee_underflow 0
		.amdhsa_exception_fp_ieee_inexact 0
		.amdhsa_exception_int_div_zero 0
	.end_amdhsa_kernel
	.section	.text._ZN2at6native12_GLOBAL__N_125multi_tensor_apply_kernelINS1_18TensorListMetadataILi2EEENS1_14UnaryOpFunctorIfLi2ELi1ELi1EEEJNS0_5TruncIfEEEEEvT_T0_DpT1_,"axG",@progbits,_ZN2at6native12_GLOBAL__N_125multi_tensor_apply_kernelINS1_18TensorListMetadataILi2EEENS1_14UnaryOpFunctorIfLi2ELi1ELi1EEEJNS0_5TruncIfEEEEEvT_T0_DpT1_,comdat
.Lfunc_end267:
	.size	_ZN2at6native12_GLOBAL__N_125multi_tensor_apply_kernelINS1_18TensorListMetadataILi2EEENS1_14UnaryOpFunctorIfLi2ELi1ELi1EEEJNS0_5TruncIfEEEEEvT_T0_DpT1_, .Lfunc_end267-_ZN2at6native12_GLOBAL__N_125multi_tensor_apply_kernelINS1_18TensorListMetadataILi2EEENS1_14UnaryOpFunctorIfLi2ELi1ELi1EEEJNS0_5TruncIfEEEEEvT_T0_DpT1_
                                        ; -- End function
	.section	.AMDGPU.csdata,"",@progbits
; Kernel info:
; codeLenInByte = 1280
; NumSgprs: 26
; NumVgprs: 30
; NumAgprs: 0
; TotalNumVgprs: 30
; ScratchSize: 0
; MemoryBound: 0
; FloatMode: 240
; IeeeMode: 1
; LDSByteSize: 0 bytes/workgroup (compile time only)
; SGPRBlocks: 3
; VGPRBlocks: 3
; NumSGPRsForWavesPerEU: 26
; NumVGPRsForWavesPerEU: 30
; AccumOffset: 32
; Occupancy: 8
; WaveLimiterHint : 0
; COMPUTE_PGM_RSRC2:SCRATCH_EN: 0
; COMPUTE_PGM_RSRC2:USER_SGPR: 6
; COMPUTE_PGM_RSRC2:TRAP_HANDLER: 0
; COMPUTE_PGM_RSRC2:TGID_X_EN: 1
; COMPUTE_PGM_RSRC2:TGID_Y_EN: 0
; COMPUTE_PGM_RSRC2:TGID_Z_EN: 0
; COMPUTE_PGM_RSRC2:TIDIG_COMP_CNT: 0
; COMPUTE_PGM_RSRC3_GFX90A:ACCUM_OFFSET: 7
; COMPUTE_PGM_RSRC3_GFX90A:TG_SPLIT: 0
	.section	.text._ZN2at6native12_GLOBAL__N_125multi_tensor_apply_kernelINS1_18TensorListMetadataILi2EEENS1_14UnaryOpFunctorIN3c104HalfELi2ELi1ELi1EEEJNS0_5TruncIfEEEEEvT_T0_DpT1_,"axG",@progbits,_ZN2at6native12_GLOBAL__N_125multi_tensor_apply_kernelINS1_18TensorListMetadataILi2EEENS1_14UnaryOpFunctorIN3c104HalfELi2ELi1ELi1EEEJNS0_5TruncIfEEEEEvT_T0_DpT1_,comdat
	.globl	_ZN2at6native12_GLOBAL__N_125multi_tensor_apply_kernelINS1_18TensorListMetadataILi2EEENS1_14UnaryOpFunctorIN3c104HalfELi2ELi1ELi1EEEJNS0_5TruncIfEEEEEvT_T0_DpT1_ ; -- Begin function _ZN2at6native12_GLOBAL__N_125multi_tensor_apply_kernelINS1_18TensorListMetadataILi2EEENS1_14UnaryOpFunctorIN3c104HalfELi2ELi1ELi1EEEJNS0_5TruncIfEEEEEvT_T0_DpT1_
	.p2align	8
	.type	_ZN2at6native12_GLOBAL__N_125multi_tensor_apply_kernelINS1_18TensorListMetadataILi2EEENS1_14UnaryOpFunctorIN3c104HalfELi2ELi1ELi1EEEJNS0_5TruncIfEEEEEvT_T0_DpT1_,@function
_ZN2at6native12_GLOBAL__N_125multi_tensor_apply_kernelINS1_18TensorListMetadataILi2EEENS1_14UnaryOpFunctorIN3c104HalfELi2ELi1ELi1EEEJNS0_5TruncIfEEEEEvT_T0_DpT1_: ; @_ZN2at6native12_GLOBAL__N_125multi_tensor_apply_kernelINS1_18TensorListMetadataILi2EEENS1_14UnaryOpFunctorIN3c104HalfELi2ELi1ELi1EEEJNS0_5TruncIfEEEEEvT_T0_DpT1_
; %bb.0:
	v_mov_b32_e32 v1, s6
	global_load_ubyte v1, v1, s[4:5] offset:1536
	s_add_u32 s0, s4, s6
	s_mul_hi_u32 s2, s6, 3
	s_mul_i32 s6, s6, 3
	s_addc_u32 s7, s5, 0
	s_add_u32 s8, s0, s6
	s_addc_u32 s9, s7, s2
	s_mov_b32 s1, 0
	s_mov_b32 s17, s1
	;; [unrolled: 1-line block ×3, first 2 shown]
	s_waitcnt vmcnt(0)
	v_readfirstlane_b32 s0, v1
	s_lshl_b32 s0, s0, 3
	s_load_dword s10, s[8:9], 0x740
	s_load_dwordx2 s[14:15], s[4:5], s0 offset:0x0
	s_load_dwordx2 s[12:13], s[4:5], s0 offset:0x400
	;; [unrolled: 1-line block ×3, first 2 shown]
	s_waitcnt lgkmcnt(0)
	s_ashr_i32 s11, s10, 31
	s_and_b32 s0, s14, 7
	s_and_b32 s16, s12, 3
	;; [unrolled: 1-line block ×3, first 2 shown]
	s_or_b64 s[16:17], s[0:1], s[16:17]
	s_lshl_b64 s[8:9], s[10:11], 17
	s_or_b64 s[2:3], s[2:3], s[16:17]
	s_lshl_b64 s[10:11], s[10:11], 16
	s_sub_u32 s10, s12, s10
	s_subb_u32 s11, s13, s11
	s_cmp_eq_u64 s[2:3], 0
	s_mov_b64 s[2:3], -1
	s_cbranch_scc0 .LBB268_5
; %bb.1:
	v_mov_b32_e32 v3, 0
	v_lshlrev_b32_e32 v2, 2, v0
	v_cmp_gt_i64_e32 vcc, s[10:11], v[2:3]
	s_and_saveexec_b64 s[12:13], vcc
	s_cbranch_execz .LBB268_4
; %bb.2:
	s_load_dword s0, s[4:5], 0xc5c
	v_lshlrev_b32_e32 v1, 3, v0
	v_mov_b32_e32 v2, s9
	v_add_co_u32_e32 v4, vcc, s8, v1
	s_waitcnt lgkmcnt(0)
	s_and_b32 s0, s0, 0xffff
	v_addc_co_u32_e32 v1, vcc, 0, v2, vcc
	s_lshl_b32 s20, s0, 3
	v_add_lshl_u32 v2, v0, s0, 2
	s_lshl_b32 s21, s0, 2
	s_mov_b64 s[16:17], 0
	v_mov_b32_e32 v5, s15
	v_mov_b32_e32 v6, s7
	s_mov_b64 s[18:19], 0xffff
	v_mov_b32_e32 v7, s1
	v_mov_b32_e32 v8, s1
.LBB268_3:                              ; =>This Inner Loop Header: Depth=1
	v_add_co_u32_e32 v10, vcc, s14, v4
	v_addc_co_u32_e32 v11, vcc, v5, v1, vcc
	global_load_dwordx2 v[10:11], v[10:11], off
	v_add_co_u32_e32 v12, vcc, s6, v4
	v_addc_co_u32_e32 v13, vcc, v6, v1, vcc
	v_cmp_le_i64_e32 vcc, s[10:11], v[2:3]
	v_cmp_lt_u64_e64 s[0:1], s[18:19], v[2:3]
	v_add_co_u32_e64 v4, s[2:3], s20, v4
	v_addc_co_u32_e64 v1, s[2:3], v1, v7, s[2:3]
	s_or_b64 s[0:1], vcc, s[0:1]
	v_add_co_u32_e64 v2, s[2:3], s21, v2
	s_and_b64 s[0:1], exec, s[0:1]
	v_addc_co_u32_e64 v3, s[2:3], v3, v8, s[2:3]
	s_or_b64 s[16:17], s[0:1], s[16:17]
	s_waitcnt vmcnt(0)
	v_cvt_f32_f16_e32 v9, v11
	v_cvt_f32_f16_sdwa v11, v11 dst_sel:DWORD dst_unused:UNUSED_PAD src0_sel:WORD_1
	v_cvt_f32_f16_e32 v14, v10
	v_cvt_f32_f16_sdwa v10, v10 dst_sel:DWORD dst_unused:UNUSED_PAD src0_sel:WORD_1
	v_trunc_f32_e32 v15, v9
	v_trunc_f32_e32 v16, v11
	;; [unrolled: 1-line block ×4, first 2 shown]
	v_sub_f32_e32 v10, v10, v18
	v_sub_f32_e32 v14, v14, v17
	;; [unrolled: 1-line block ×4, first 2 shown]
	v_cvt_f16_f32_e32 v9, v9
	v_cvt_f16_f32_e32 v11, v11
	;; [unrolled: 1-line block ×4, first 2 shown]
	v_pack_b32_f16 v11, v9, v11
	v_pack_b32_f16 v10, v14, v10
	global_store_dwordx2 v[12:13], v[10:11], off
	s_andn2_b64 exec, exec, s[16:17]
	s_cbranch_execnz .LBB268_3
.LBB268_4:
	s_or_b64 exec, exec, s[12:13]
	s_mov_b64 s[2:3], 0
.LBB268_5:
	s_andn2_b64 vcc, exec, s[2:3]
	s_cbranch_vccnz .LBB268_25
; %bb.6:
	v_cmp_lt_i64_e64 s[0:1], s[10:11], 1
	s_and_b64 vcc, exec, s[0:1]
	s_cbranch_vccnz .LBB268_25
; %bb.7:
	s_load_dword s0, s[4:5], 0xc5c
	v_mov_b32_e32 v2, 0x10000
	v_mov_b32_e32 v3, 0
	v_cmp_lt_u64_e32 vcc, s[10:11], v[2:3]
	v_lshlrev_b32_e32 v10, 1, v0
	s_waitcnt lgkmcnt(0)
	s_and_b32 s2, s0, 0xffff
	s_and_b64 s[0:1], vcc, exec
	v_mov_b32_e32 v13, s15
	v_add_co_u32_e32 v2, vcc, s14, v10
	v_addc_co_u32_e32 v1, vcc, 0, v13, vcc
	v_mov_b32_e32 v11, 0
	v_mov_b32_e32 v15, s7
	v_add_co_u32_e32 v4, vcc, s6, v10
	v_addc_co_u32_e32 v3, vcc, 0, v15, vcc
	v_mad_u64_u32 v[8:9], s[0:1], s2, 6, v[10:11]
	v_add_co_u32_e32 v6, vcc, s14, v8
	v_addc_co_u32_e32 v5, vcc, v13, v9, vcc
	v_add_co_u32_e32 v8, vcc, s6, v8
	s_mul_i32 s4, s2, 3
	v_addc_co_u32_e32 v7, vcc, v15, v9, vcc
	s_cselect_b32 s13, s11, 0
	s_cselect_b32 s12, s10, 0x10000
	s_lshl_b32 s19, s2, 2
	v_add_co_u32_e32 v17, vcc, s4, v0
	v_addc_co_u32_e64 v18, s[0:1], 0, 0, vcc
	v_add_co_u32_e32 v11, vcc, s19, v10
	v_addc_co_u32_e64 v14, s[0:1], 0, 0, vcc
	v_add_co_u32_e32 v10, vcc, s14, v11
	v_addc_co_u32_e32 v9, vcc, v13, v14, vcc
	v_add_co_u32_e32 v12, vcc, s6, v11
	s_lshl_b32 s3, s2, 1
	v_addc_co_u32_e32 v11, vcc, v15, v14, vcc
	v_add_co_u32_e32 v19, vcc, s3, v0
	v_addc_co_u32_e64 v20, s[0:1], 0, 0, vcc
	v_add_co_u32_e32 v21, vcc, s2, v0
	v_lshlrev_b32_e32 v16, 1, v21
	v_addc_co_u32_e64 v22, s[0:1], 0, 0, vcc
	v_add_co_u32_e32 v14, vcc, s14, v16
	v_addc_co_u32_e32 v13, vcc, 0, v13, vcc
	v_add_co_u32_e32 v16, vcc, s6, v16
	s_mov_b32 s18, 0
	s_lshl_b32 s20, s2, 3
	v_addc_co_u32_e32 v15, vcc, 0, v15, vcc
	s_mov_b64 s[14:15], 0
	s_branch .LBB268_9
.LBB268_8:                              ;   in Loop: Header=BB268_9 Depth=1
	s_or_b64 exec, exec, s[0:1]
	s_add_u32 s14, s14, s19
	s_addc_u32 s15, s15, 0
	s_waitcnt vmcnt(0)
	v_pk_mov_b32 v[24:25], s[10:11], s[10:11] op_sel:[0,1]
	v_cmp_ge_i64_e32 vcc, s[14:15], v[24:25]
	v_mov_b32_e32 v24, 0xffff
	v_mov_b32_e32 v25, 0
	v_cmp_gt_u64_e64 s[0:1], s[14:15], v[24:25]
	s_or_b64 s[0:1], vcc, s[0:1]
	v_mov_b32_e32 v23, s18
	v_add_co_u32_e32 v2, vcc, s20, v2
	v_addc_co_u32_e32 v1, vcc, v1, v23, vcc
	v_add_co_u32_e32 v4, vcc, s20, v4
	v_addc_co_u32_e32 v3, vcc, v3, v23, vcc
	;; [unrolled: 2-line block ×8, first 2 shown]
	s_and_b64 vcc, exec, s[0:1]
	s_cbranch_vccnz .LBB268_25
.LBB268_9:                              ; =>This Inner Loop Header: Depth=1
	v_mov_b32_e32 v23, s15
	v_add_co_u32_e32 v24, vcc, s14, v0
	v_addc_co_u32_e32 v25, vcc, 0, v23, vcc
	v_cmp_gt_u64_e32 vcc, s[12:13], v[24:25]
	v_mov_b32_e32 v24, 0
	s_and_saveexec_b64 s[2:3], vcc
	s_cbranch_execz .LBB268_11
; %bb.10:                               ;   in Loop: Header=BB268_9 Depth=1
	v_mov_b32_e32 v23, s9
	v_add_co_u32_e64 v24, s[0:1], s8, v2
	v_addc_co_u32_e64 v25, s[0:1], v1, v23, s[0:1]
	global_load_ushort v24, v[24:25], off
.LBB268_11:                             ;   in Loop: Header=BB268_9 Depth=1
	s_or_b64 exec, exec, s[2:3]
	v_mov_b32_e32 v23, s15
	v_add_co_u32_e64 v26, s[0:1], s14, v21
	v_addc_co_u32_e64 v27, s[0:1], v22, v23, s[0:1]
	v_cmp_gt_u64_e64 s[0:1], s[12:13], v[26:27]
	v_mov_b32_e32 v25, 0
	s_and_saveexec_b64 s[4:5], s[0:1]
	s_cbranch_execz .LBB268_13
; %bb.12:                               ;   in Loop: Header=BB268_9 Depth=1
	v_mov_b32_e32 v23, s9
	v_add_co_u32_e64 v26, s[2:3], s8, v14
	v_addc_co_u32_e64 v27, s[2:3], v13, v23, s[2:3]
	global_load_ushort v25, v[26:27], off
.LBB268_13:                             ;   in Loop: Header=BB268_9 Depth=1
	s_or_b64 exec, exec, s[4:5]
	v_mov_b32_e32 v23, s15
	v_add_co_u32_e64 v26, s[2:3], s14, v19
	v_addc_co_u32_e64 v27, s[2:3], v20, v23, s[2:3]
	v_cmp_gt_u64_e64 s[2:3], s[12:13], v[26:27]
	v_mov_b32_e32 v23, 0
	v_mov_b32_e32 v26, 0
	s_and_saveexec_b64 s[6:7], s[2:3]
	s_cbranch_execz .LBB268_15
; %bb.14:                               ;   in Loop: Header=BB268_9 Depth=1
	v_mov_b32_e32 v27, s9
	v_add_co_u32_e64 v26, s[4:5], s8, v10
	v_addc_co_u32_e64 v27, s[4:5], v9, v27, s[4:5]
	global_load_ushort v26, v[26:27], off
.LBB268_15:                             ;   in Loop: Header=BB268_9 Depth=1
	s_or_b64 exec, exec, s[6:7]
	v_mov_b32_e32 v27, s15
	v_add_co_u32_e64 v28, s[4:5], s14, v17
	v_addc_co_u32_e64 v29, s[4:5], v18, v27, s[4:5]
	v_cmp_gt_u64_e64 s[4:5], s[12:13], v[28:29]
	s_and_saveexec_b64 s[16:17], s[4:5]
	s_cbranch_execnz .LBB268_20
; %bb.16:                               ;   in Loop: Header=BB268_9 Depth=1
	s_or_b64 exec, exec, s[16:17]
	s_and_saveexec_b64 s[6:7], vcc
	s_cbranch_execnz .LBB268_21
.LBB268_17:                             ;   in Loop: Header=BB268_9 Depth=1
	s_or_b64 exec, exec, s[6:7]
	s_and_saveexec_b64 s[6:7], s[0:1]
	s_cbranch_execnz .LBB268_22
.LBB268_18:                             ;   in Loop: Header=BB268_9 Depth=1
	s_or_b64 exec, exec, s[6:7]
	s_and_saveexec_b64 s[0:1], s[2:3]
	s_cbranch_execnz .LBB268_23
.LBB268_19:                             ;   in Loop: Header=BB268_9 Depth=1
	s_or_b64 exec, exec, s[0:1]
	s_and_saveexec_b64 s[0:1], s[4:5]
	s_cbranch_execz .LBB268_8
	s_branch .LBB268_24
.LBB268_20:                             ;   in Loop: Header=BB268_9 Depth=1
	v_mov_b32_e32 v23, s9
	v_add_co_u32_e64 v28, s[6:7], s8, v6
	v_addc_co_u32_e64 v29, s[6:7], v5, v23, s[6:7]
	global_load_ushort v23, v[28:29], off
	s_or_b64 exec, exec, s[16:17]
	s_and_saveexec_b64 s[6:7], vcc
	s_cbranch_execz .LBB268_17
.LBB268_21:                             ;   in Loop: Header=BB268_9 Depth=1
	s_waitcnt vmcnt(0)
	v_cvt_f32_f16_e32 v24, v24
	v_mov_b32_e32 v27, s9
	v_trunc_f32_e32 v28, v24
	v_sub_f32_e32 v24, v24, v28
	v_cvt_f16_f32_e32 v24, v24
	v_add_co_u32_e32 v28, vcc, s8, v4
	v_addc_co_u32_e32 v29, vcc, v3, v27, vcc
	global_store_short v[28:29], v24, off
	s_or_b64 exec, exec, s[6:7]
	s_and_saveexec_b64 s[6:7], s[0:1]
	s_cbranch_execz .LBB268_18
.LBB268_22:                             ;   in Loop: Header=BB268_9 Depth=1
	s_waitcnt vmcnt(0)
	v_cvt_f32_f16_e32 v24, v25
	v_mov_b32_e32 v25, s9
	v_trunc_f32_e32 v27, v24
	v_sub_f32_e32 v24, v24, v27
	v_cvt_f16_f32_e32 v27, v24
	v_add_co_u32_e32 v24, vcc, s8, v16
	v_addc_co_u32_e32 v25, vcc, v15, v25, vcc
	global_store_short v[24:25], v27, off
	s_or_b64 exec, exec, s[6:7]
	s_and_saveexec_b64 s[0:1], s[2:3]
	s_cbranch_execz .LBB268_19
.LBB268_23:                             ;   in Loop: Header=BB268_9 Depth=1
	s_waitcnt vmcnt(0)
	v_cvt_f32_f16_e32 v24, v26
	v_mov_b32_e32 v25, s9
	v_trunc_f32_e32 v26, v24
	v_sub_f32_e32 v24, v24, v26
	v_cvt_f16_f32_e32 v26, v24
	v_add_co_u32_e32 v24, vcc, s8, v12
	v_addc_co_u32_e32 v25, vcc, v11, v25, vcc
	global_store_short v[24:25], v26, off
	s_or_b64 exec, exec, s[0:1]
	s_and_saveexec_b64 s[0:1], s[4:5]
	s_cbranch_execz .LBB268_8
.LBB268_24:                             ;   in Loop: Header=BB268_9 Depth=1
	s_waitcnt vmcnt(0)
	v_cvt_f32_f16_e32 v23, v23
	v_mov_b32_e32 v25, s9
	v_trunc_f32_e32 v24, v23
	v_sub_f32_e32 v23, v23, v24
	v_cvt_f16_f32_e32 v23, v23
	v_add_co_u32_e32 v24, vcc, s8, v8
	v_addc_co_u32_e32 v25, vcc, v7, v25, vcc
	global_store_short v[24:25], v23, off
	s_branch .LBB268_8
.LBB268_25:
	s_endpgm
	.section	.rodata,"a",@progbits
	.p2align	6, 0x0
	.amdhsa_kernel _ZN2at6native12_GLOBAL__N_125multi_tensor_apply_kernelINS1_18TensorListMetadataILi2EEENS1_14UnaryOpFunctorIN3c104HalfELi2ELi1ELi1EEEJNS0_5TruncIfEEEEEvT_T0_DpT1_
		.amdhsa_group_segment_fixed_size 0
		.amdhsa_private_segment_fixed_size 0
		.amdhsa_kernarg_size 3408
		.amdhsa_user_sgpr_count 6
		.amdhsa_user_sgpr_private_segment_buffer 1
		.amdhsa_user_sgpr_dispatch_ptr 0
		.amdhsa_user_sgpr_queue_ptr 0
		.amdhsa_user_sgpr_kernarg_segment_ptr 1
		.amdhsa_user_sgpr_dispatch_id 0
		.amdhsa_user_sgpr_flat_scratch_init 0
		.amdhsa_user_sgpr_kernarg_preload_length 0
		.amdhsa_user_sgpr_kernarg_preload_offset 0
		.amdhsa_user_sgpr_private_segment_size 0
		.amdhsa_uses_dynamic_stack 0
		.amdhsa_system_sgpr_private_segment_wavefront_offset 0
		.amdhsa_system_sgpr_workgroup_id_x 1
		.amdhsa_system_sgpr_workgroup_id_y 0
		.amdhsa_system_sgpr_workgroup_id_z 0
		.amdhsa_system_sgpr_workgroup_info 0
		.amdhsa_system_vgpr_workitem_id 0
		.amdhsa_next_free_vgpr 30
		.amdhsa_next_free_sgpr 22
		.amdhsa_accum_offset 32
		.amdhsa_reserve_vcc 1
		.amdhsa_reserve_flat_scratch 0
		.amdhsa_float_round_mode_32 0
		.amdhsa_float_round_mode_16_64 0
		.amdhsa_float_denorm_mode_32 3
		.amdhsa_float_denorm_mode_16_64 3
		.amdhsa_dx10_clamp 1
		.amdhsa_ieee_mode 1
		.amdhsa_fp16_overflow 0
		.amdhsa_tg_split 0
		.amdhsa_exception_fp_ieee_invalid_op 0
		.amdhsa_exception_fp_denorm_src 0
		.amdhsa_exception_fp_ieee_div_zero 0
		.amdhsa_exception_fp_ieee_overflow 0
		.amdhsa_exception_fp_ieee_underflow 0
		.amdhsa_exception_fp_ieee_inexact 0
		.amdhsa_exception_int_div_zero 0
	.end_amdhsa_kernel
	.section	.text._ZN2at6native12_GLOBAL__N_125multi_tensor_apply_kernelINS1_18TensorListMetadataILi2EEENS1_14UnaryOpFunctorIN3c104HalfELi2ELi1ELi1EEEJNS0_5TruncIfEEEEEvT_T0_DpT1_,"axG",@progbits,_ZN2at6native12_GLOBAL__N_125multi_tensor_apply_kernelINS1_18TensorListMetadataILi2EEENS1_14UnaryOpFunctorIN3c104HalfELi2ELi1ELi1EEEJNS0_5TruncIfEEEEEvT_T0_DpT1_,comdat
.Lfunc_end268:
	.size	_ZN2at6native12_GLOBAL__N_125multi_tensor_apply_kernelINS1_18TensorListMetadataILi2EEENS1_14UnaryOpFunctorIN3c104HalfELi2ELi1ELi1EEEJNS0_5TruncIfEEEEEvT_T0_DpT1_, .Lfunc_end268-_ZN2at6native12_GLOBAL__N_125multi_tensor_apply_kernelINS1_18TensorListMetadataILi2EEENS1_14UnaryOpFunctorIN3c104HalfELi2ELi1ELi1EEEJNS0_5TruncIfEEEEEvT_T0_DpT1_
                                        ; -- End function
	.section	.AMDGPU.csdata,"",@progbits
; Kernel info:
; codeLenInByte = 1356
; NumSgprs: 26
; NumVgprs: 30
; NumAgprs: 0
; TotalNumVgprs: 30
; ScratchSize: 0
; MemoryBound: 0
; FloatMode: 240
; IeeeMode: 1
; LDSByteSize: 0 bytes/workgroup (compile time only)
; SGPRBlocks: 3
; VGPRBlocks: 3
; NumSGPRsForWavesPerEU: 26
; NumVGPRsForWavesPerEU: 30
; AccumOffset: 32
; Occupancy: 8
; WaveLimiterHint : 0
; COMPUTE_PGM_RSRC2:SCRATCH_EN: 0
; COMPUTE_PGM_RSRC2:USER_SGPR: 6
; COMPUTE_PGM_RSRC2:TRAP_HANDLER: 0
; COMPUTE_PGM_RSRC2:TGID_X_EN: 1
; COMPUTE_PGM_RSRC2:TGID_Y_EN: 0
; COMPUTE_PGM_RSRC2:TGID_Z_EN: 0
; COMPUTE_PGM_RSRC2:TIDIG_COMP_CNT: 0
; COMPUTE_PGM_RSRC3_GFX90A:ACCUM_OFFSET: 7
; COMPUTE_PGM_RSRC3_GFX90A:TG_SPLIT: 0
	.section	.text._ZN2at6native12_GLOBAL__N_125multi_tensor_apply_kernelINS1_18TensorListMetadataILi2EEENS1_14UnaryOpFunctorIN3c108BFloat16ELi2ELi1ELi1EEEJNS0_5TruncIfEEEEEvT_T0_DpT1_,"axG",@progbits,_ZN2at6native12_GLOBAL__N_125multi_tensor_apply_kernelINS1_18TensorListMetadataILi2EEENS1_14UnaryOpFunctorIN3c108BFloat16ELi2ELi1ELi1EEEJNS0_5TruncIfEEEEEvT_T0_DpT1_,comdat
	.globl	_ZN2at6native12_GLOBAL__N_125multi_tensor_apply_kernelINS1_18TensorListMetadataILi2EEENS1_14UnaryOpFunctorIN3c108BFloat16ELi2ELi1ELi1EEEJNS0_5TruncIfEEEEEvT_T0_DpT1_ ; -- Begin function _ZN2at6native12_GLOBAL__N_125multi_tensor_apply_kernelINS1_18TensorListMetadataILi2EEENS1_14UnaryOpFunctorIN3c108BFloat16ELi2ELi1ELi1EEEJNS0_5TruncIfEEEEEvT_T0_DpT1_
	.p2align	8
	.type	_ZN2at6native12_GLOBAL__N_125multi_tensor_apply_kernelINS1_18TensorListMetadataILi2EEENS1_14UnaryOpFunctorIN3c108BFloat16ELi2ELi1ELi1EEEJNS0_5TruncIfEEEEEvT_T0_DpT1_,@function
_ZN2at6native12_GLOBAL__N_125multi_tensor_apply_kernelINS1_18TensorListMetadataILi2EEENS1_14UnaryOpFunctorIN3c108BFloat16ELi2ELi1ELi1EEEJNS0_5TruncIfEEEEEvT_T0_DpT1_: ; @_ZN2at6native12_GLOBAL__N_125multi_tensor_apply_kernelINS1_18TensorListMetadataILi2EEENS1_14UnaryOpFunctorIN3c108BFloat16ELi2ELi1ELi1EEEJNS0_5TruncIfEEEEEvT_T0_DpT1_
; %bb.0:
	v_mov_b32_e32 v1, s6
	global_load_ubyte v1, v1, s[4:5] offset:1536
	s_add_u32 s0, s4, s6
	s_mul_hi_u32 s2, s6, 3
	s_mul_i32 s6, s6, 3
	s_addc_u32 s7, s5, 0
	s_add_u32 s8, s0, s6
	s_addc_u32 s9, s7, s2
	s_mov_b32 s1, 0
	s_mov_b32 s17, s1
	;; [unrolled: 1-line block ×3, first 2 shown]
	s_waitcnt vmcnt(0)
	v_readfirstlane_b32 s0, v1
	s_lshl_b32 s0, s0, 3
	s_load_dword s10, s[8:9], 0x740
	s_load_dwordx2 s[14:15], s[4:5], s0 offset:0x0
	s_load_dwordx2 s[12:13], s[4:5], s0 offset:0x400
	;; [unrolled: 1-line block ×3, first 2 shown]
	s_waitcnt lgkmcnt(0)
	s_ashr_i32 s11, s10, 31
	s_and_b32 s0, s14, 7
	s_and_b32 s16, s12, 3
	;; [unrolled: 1-line block ×3, first 2 shown]
	s_or_b64 s[16:17], s[0:1], s[16:17]
	s_lshl_b64 s[8:9], s[10:11], 17
	s_or_b64 s[2:3], s[2:3], s[16:17]
	s_lshl_b64 s[10:11], s[10:11], 16
	s_sub_u32 s10, s12, s10
	s_subb_u32 s11, s13, s11
	s_cmp_eq_u64 s[2:3], 0
	s_mov_b64 s[2:3], -1
	s_cbranch_scc0 .LBB269_5
; %bb.1:
	v_mov_b32_e32 v3, 0
	v_lshlrev_b32_e32 v2, 2, v0
	v_cmp_gt_i64_e32 vcc, s[10:11], v[2:3]
	s_and_saveexec_b64 s[12:13], vcc
	s_cbranch_execz .LBB269_4
; %bb.2:
	s_load_dword s0, s[4:5], 0xc5c
	v_lshlrev_b32_e32 v1, 3, v0
	v_mov_b32_e32 v2, s9
	v_add_co_u32_e32 v4, vcc, s8, v1
	s_waitcnt lgkmcnt(0)
	s_and_b32 s0, s0, 0xffff
	v_addc_co_u32_e32 v1, vcc, 0, v2, vcc
	s_lshl_b32 s20, s0, 3
	v_add_lshl_u32 v2, v0, s0, 2
	s_lshl_b32 s21, s0, 2
	s_mov_b64 s[16:17], 0
	v_mov_b32_e32 v5, s15
	s_movk_i32 s22, 0x7fff
	v_mov_b32_e32 v6, s7
	v_mov_b32_e32 v7, 0x7fc00000
	;; [unrolled: 1-line block ×3, first 2 shown]
	s_mov_b64 s[18:19], 0xffff
	v_mov_b32_e32 v9, s1
	v_mov_b32_e32 v10, s1
.LBB269_3:                              ; =>This Inner Loop Header: Depth=1
	v_add_co_u32_e32 v12, vcc, s14, v4
	v_addc_co_u32_e32 v13, vcc, v5, v1, vcc
	global_load_dwordx2 v[12:13], v[12:13], off
	v_add_co_u32_e32 v14, vcc, s6, v4
	v_addc_co_u32_e32 v15, vcc, v6, v1, vcc
	v_add_co_u32_e64 v4, s[2:3], s20, v4
	v_cmp_le_i64_e32 vcc, s[10:11], v[2:3]
	v_cmp_lt_u64_e64 s[0:1], s[18:19], v[2:3]
	v_addc_co_u32_e64 v1, s[2:3], v1, v9, s[2:3]
	v_add_co_u32_e64 v2, s[2:3], s21, v2
	s_or_b64 s[0:1], vcc, s[0:1]
	v_addc_co_u32_e64 v3, s[2:3], v3, v10, s[2:3]
	s_and_b64 s[0:1], exec, s[0:1]
	s_or_b64 s[16:17], s[0:1], s[16:17]
	s_waitcnt vmcnt(0)
	v_and_b32_e32 v11, 0xffff0000, v12
	v_lshlrev_b32_e32 v16, 16, v12
	v_alignbit_b32 v12, v13, v12, 16
	v_and_b32_e32 v13, 0xffff0000, v13
	v_trunc_f32_e32 v17, v16
	v_trunc_f32_e32 v18, v11
	v_and_b32_e32 v12, 0xffff0000, v12
	v_trunc_f32_e32 v19, v13
	v_sub_f32_e32 v16, v16, v17
	v_sub_f32_e32 v11, v11, v18
	v_trunc_f32_e32 v17, v12
	v_sub_f32_e32 v13, v13, v19
	v_bfe_u32 v18, v16, 16, 1
	v_bfe_u32 v19, v11, 16, 1
	v_sub_f32_e32 v12, v12, v17
	v_bfe_u32 v17, v13, 16, 1
	v_add3_u32 v18, v16, v18, s22
	v_add3_u32 v19, v11, v19, s22
	v_bfe_u32 v20, v12, 16, 1
	v_add3_u32 v17, v13, v17, s22
	v_lshrrev_b32_e32 v18, 16, v18
	v_and_b32_e32 v19, 0xffff0000, v19
	v_add3_u32 v20, v12, v20, s22
	v_and_b32_e32 v17, 0xffff0000, v17
	v_cmp_o_f32_e32 vcc, v11, v11
	v_cmp_o_f32_e64 s[0:1], v16, v16
	v_cmp_o_f32_e64 s[2:3], v13, v13
	v_lshrrev_b32_e32 v11, 16, v20
	v_cndmask_b32_e64 v13, v7, v17, s[2:3]
	v_cndmask_b32_e32 v16, v7, v19, vcc
	v_cndmask_b32_e64 v17, v8, v18, s[0:1]
	v_cmp_o_f32_e32 vcc, v12, v12
	v_cndmask_b32_e32 v11, v8, v11, vcc
	v_or_b32_e32 v12, v17, v16
	v_or3_b32 v13, 0, v11, v13
	v_or3_b32 v12, v12, 0, 0
	global_store_dwordx2 v[14:15], v[12:13], off
	s_andn2_b64 exec, exec, s[16:17]
	s_cbranch_execnz .LBB269_3
.LBB269_4:
	s_or_b64 exec, exec, s[12:13]
	s_mov_b64 s[2:3], 0
.LBB269_5:
	s_andn2_b64 vcc, exec, s[2:3]
	s_cbranch_vccnz .LBB269_25
; %bb.6:
	v_cmp_lt_i64_e64 s[0:1], s[10:11], 1
	s_and_b64 vcc, exec, s[0:1]
	s_cbranch_vccnz .LBB269_25
; %bb.7:
	s_load_dword s0, s[4:5], 0xc5c
	v_mov_b32_e32 v2, 0x10000
	v_mov_b32_e32 v3, 0
	v_cmp_lt_u64_e32 vcc, s[10:11], v[2:3]
	v_lshlrev_b32_e32 v10, 1, v0
	s_waitcnt lgkmcnt(0)
	s_and_b32 s2, s0, 0xffff
	s_and_b64 s[0:1], vcc, exec
	v_mov_b32_e32 v13, s15
	v_add_co_u32_e32 v2, vcc, s14, v10
	v_addc_co_u32_e32 v1, vcc, 0, v13, vcc
	v_mov_b32_e32 v11, 0
	v_mov_b32_e32 v15, s7
	v_add_co_u32_e32 v4, vcc, s6, v10
	v_addc_co_u32_e32 v3, vcc, 0, v15, vcc
	v_mad_u64_u32 v[8:9], s[0:1], s2, 6, v[10:11]
	v_add_co_u32_e32 v6, vcc, s14, v8
	v_addc_co_u32_e32 v5, vcc, v13, v9, vcc
	v_add_co_u32_e32 v8, vcc, s6, v8
	s_mul_i32 s4, s2, 3
	v_addc_co_u32_e32 v7, vcc, v15, v9, vcc
	s_cselect_b32 s13, s11, 0
	s_cselect_b32 s12, s10, 0x10000
	s_lshl_b32 s19, s2, 2
	v_add_co_u32_e32 v17, vcc, s4, v0
	v_addc_co_u32_e64 v18, s[0:1], 0, 0, vcc
	v_add_co_u32_e32 v11, vcc, s19, v10
	v_addc_co_u32_e64 v14, s[0:1], 0, 0, vcc
	v_add_co_u32_e32 v10, vcc, s14, v11
	v_addc_co_u32_e32 v9, vcc, v13, v14, vcc
	v_add_co_u32_e32 v12, vcc, s6, v11
	s_lshl_b32 s3, s2, 1
	v_addc_co_u32_e32 v11, vcc, v15, v14, vcc
	v_add_co_u32_e32 v19, vcc, s3, v0
	v_addc_co_u32_e64 v20, s[0:1], 0, 0, vcc
	v_add_co_u32_e32 v21, vcc, s2, v0
	v_lshlrev_b32_e32 v16, 1, v21
	v_addc_co_u32_e64 v22, s[0:1], 0, 0, vcc
	v_add_co_u32_e32 v14, vcc, s14, v16
	v_addc_co_u32_e32 v13, vcc, 0, v13, vcc
	v_add_co_u32_e32 v16, vcc, s6, v16
	s_mov_b32 s18, 0
	s_lshl_b32 s20, s2, 3
	v_addc_co_u32_e32 v15, vcc, 0, v15, vcc
	s_mov_b64 s[14:15], 0
	s_movk_i32 s21, 0x7fff
	v_mov_b32_e32 v23, 0x7fc0
	s_branch .LBB269_9
.LBB269_8:                              ;   in Loop: Header=BB269_9 Depth=1
	s_or_b64 exec, exec, s[0:1]
	s_add_u32 s14, s14, s19
	s_addc_u32 s15, s15, 0
	s_waitcnt vmcnt(0)
	v_pk_mov_b32 v[24:25], s[10:11], s[10:11] op_sel:[0,1]
	v_cmp_ge_i64_e32 vcc, s[14:15], v[24:25]
	v_mov_b32_e32 v24, 0xffff
	v_mov_b32_e32 v25, 0
	v_cmp_gt_u64_e64 s[0:1], s[14:15], v[24:25]
	s_or_b64 s[0:1], vcc, s[0:1]
	v_mov_b32_e32 v24, s18
	v_add_co_u32_e32 v2, vcc, s20, v2
	v_addc_co_u32_e32 v1, vcc, v1, v24, vcc
	v_add_co_u32_e32 v4, vcc, s20, v4
	v_addc_co_u32_e32 v3, vcc, v3, v24, vcc
	v_add_co_u32_e32 v6, vcc, s20, v6
	v_addc_co_u32_e32 v5, vcc, v5, v24, vcc
	v_add_co_u32_e32 v8, vcc, s20, v8
	v_addc_co_u32_e32 v7, vcc, v7, v24, vcc
	v_add_co_u32_e32 v10, vcc, s20, v10
	v_addc_co_u32_e32 v9, vcc, v9, v24, vcc
	v_add_co_u32_e32 v12, vcc, s20, v12
	v_addc_co_u32_e32 v11, vcc, v11, v24, vcc
	v_add_co_u32_e32 v14, vcc, s20, v14
	v_addc_co_u32_e32 v13, vcc, v13, v24, vcc
	v_add_co_u32_e32 v16, vcc, s20, v16
	v_addc_co_u32_e32 v15, vcc, v15, v24, vcc
	s_and_b64 vcc, exec, s[0:1]
	s_cbranch_vccnz .LBB269_25
.LBB269_9:                              ; =>This Inner Loop Header: Depth=1
	v_mov_b32_e32 v25, s15
	v_add_co_u32_e32 v24, vcc, s14, v0
	v_addc_co_u32_e32 v25, vcc, 0, v25, vcc
	v_cmp_gt_u64_e32 vcc, s[12:13], v[24:25]
	v_mov_b32_e32 v25, 0
	s_and_saveexec_b64 s[2:3], vcc
	s_cbranch_execz .LBB269_11
; %bb.10:                               ;   in Loop: Header=BB269_9 Depth=1
	v_mov_b32_e32 v25, s9
	v_add_co_u32_e64 v24, s[0:1], s8, v2
	v_addc_co_u32_e64 v25, s[0:1], v1, v25, s[0:1]
	global_load_ushort v25, v[24:25], off
.LBB269_11:                             ;   in Loop: Header=BB269_9 Depth=1
	s_or_b64 exec, exec, s[2:3]
	v_mov_b32_e32 v24, s15
	v_add_co_u32_e64 v26, s[0:1], s14, v21
	v_addc_co_u32_e64 v27, s[0:1], v22, v24, s[0:1]
	v_cmp_gt_u64_e64 s[0:1], s[12:13], v[26:27]
	v_mov_b32_e32 v26, 0
	s_and_saveexec_b64 s[4:5], s[0:1]
	s_cbranch_execz .LBB269_13
; %bb.12:                               ;   in Loop: Header=BB269_9 Depth=1
	v_mov_b32_e32 v24, s9
	v_add_co_u32_e64 v26, s[2:3], s8, v14
	v_addc_co_u32_e64 v27, s[2:3], v13, v24, s[2:3]
	global_load_ushort v26, v[26:27], off
.LBB269_13:                             ;   in Loop: Header=BB269_9 Depth=1
	s_or_b64 exec, exec, s[4:5]
	v_mov_b32_e32 v24, s15
	v_add_co_u32_e64 v28, s[2:3], s14, v19
	v_addc_co_u32_e64 v29, s[2:3], v20, v24, s[2:3]
	v_cmp_gt_u64_e64 s[2:3], s[12:13], v[28:29]
	v_mov_b32_e32 v24, 0
	v_mov_b32_e32 v27, 0
	s_and_saveexec_b64 s[6:7], s[2:3]
	s_cbranch_execz .LBB269_15
; %bb.14:                               ;   in Loop: Header=BB269_9 Depth=1
	v_mov_b32_e32 v27, s9
	v_add_co_u32_e64 v28, s[4:5], s8, v10
	v_addc_co_u32_e64 v29, s[4:5], v9, v27, s[4:5]
	global_load_ushort v27, v[28:29], off
.LBB269_15:                             ;   in Loop: Header=BB269_9 Depth=1
	s_or_b64 exec, exec, s[6:7]
	v_mov_b32_e32 v29, s15
	v_add_co_u32_e64 v28, s[4:5], s14, v17
	v_addc_co_u32_e64 v29, s[4:5], v18, v29, s[4:5]
	v_cmp_gt_u64_e64 s[4:5], s[12:13], v[28:29]
	s_and_saveexec_b64 s[16:17], s[4:5]
	s_cbranch_execnz .LBB269_20
; %bb.16:                               ;   in Loop: Header=BB269_9 Depth=1
	s_or_b64 exec, exec, s[16:17]
	s_and_saveexec_b64 s[6:7], vcc
	s_cbranch_execnz .LBB269_21
.LBB269_17:                             ;   in Loop: Header=BB269_9 Depth=1
	s_or_b64 exec, exec, s[6:7]
	s_and_saveexec_b64 s[6:7], s[0:1]
	s_cbranch_execnz .LBB269_22
.LBB269_18:                             ;   in Loop: Header=BB269_9 Depth=1
	s_or_b64 exec, exec, s[6:7]
	s_and_saveexec_b64 s[0:1], s[2:3]
	s_cbranch_execnz .LBB269_23
.LBB269_19:                             ;   in Loop: Header=BB269_9 Depth=1
	s_or_b64 exec, exec, s[0:1]
	s_and_saveexec_b64 s[0:1], s[4:5]
	s_cbranch_execz .LBB269_8
	s_branch .LBB269_24
.LBB269_20:                             ;   in Loop: Header=BB269_9 Depth=1
	v_mov_b32_e32 v24, s9
	v_add_co_u32_e64 v28, s[6:7], s8, v6
	v_addc_co_u32_e64 v29, s[6:7], v5, v24, s[6:7]
	global_load_ushort v24, v[28:29], off
	s_or_b64 exec, exec, s[16:17]
	s_and_saveexec_b64 s[6:7], vcc
	s_cbranch_execz .LBB269_17
.LBB269_21:                             ;   in Loop: Header=BB269_9 Depth=1
	s_waitcnt vmcnt(0)
	v_lshlrev_b32_e32 v25, 16, v25
	v_trunc_f32_e32 v28, v25
	v_sub_f32_e32 v25, v25, v28
	v_bfe_u32 v28, v25, 16, 1
	v_add3_u32 v28, v25, v28, s21
	v_lshrrev_b32_e32 v28, 16, v28
	v_cmp_o_f32_e32 vcc, v25, v25
	v_cndmask_b32_e32 v25, v23, v28, vcc
	v_mov_b32_e32 v29, s9
	v_add_co_u32_e32 v28, vcc, s8, v4
	v_addc_co_u32_e32 v29, vcc, v3, v29, vcc
	global_store_short v[28:29], v25, off
	s_or_b64 exec, exec, s[6:7]
	s_and_saveexec_b64 s[6:7], s[0:1]
	s_cbranch_execz .LBB269_18
.LBB269_22:                             ;   in Loop: Header=BB269_9 Depth=1
	s_waitcnt vmcnt(0)
	v_lshlrev_b32_e32 v25, 16, v26
	v_trunc_f32_e32 v26, v25
	v_sub_f32_e32 v25, v25, v26
	v_bfe_u32 v26, v25, 16, 1
	v_add3_u32 v26, v25, v26, s21
	v_lshrrev_b32_e32 v26, 16, v26
	v_cmp_o_f32_e32 vcc, v25, v25
	v_cndmask_b32_e32 v25, v23, v26, vcc
	v_mov_b32_e32 v26, s9
	v_add_co_u32_e32 v28, vcc, s8, v16
	v_addc_co_u32_e32 v29, vcc, v15, v26, vcc
	global_store_short v[28:29], v25, off
	s_or_b64 exec, exec, s[6:7]
	s_and_saveexec_b64 s[0:1], s[2:3]
	s_cbranch_execz .LBB269_19
.LBB269_23:                             ;   in Loop: Header=BB269_9 Depth=1
	s_waitcnt vmcnt(0)
	v_lshlrev_b32_e32 v25, 16, v27
	v_trunc_f32_e32 v26, v25
	v_sub_f32_e32 v25, v25, v26
	v_bfe_u32 v26, v25, 16, 1
	v_add3_u32 v26, v25, v26, s21
	v_lshrrev_b32_e32 v26, 16, v26
	v_cmp_o_f32_e32 vcc, v25, v25
	v_cndmask_b32_e32 v25, v23, v26, vcc
	v_mov_b32_e32 v27, s9
	v_add_co_u32_e32 v26, vcc, s8, v12
	v_addc_co_u32_e32 v27, vcc, v11, v27, vcc
	global_store_short v[26:27], v25, off
	s_or_b64 exec, exec, s[0:1]
	s_and_saveexec_b64 s[0:1], s[4:5]
	s_cbranch_execz .LBB269_8
.LBB269_24:                             ;   in Loop: Header=BB269_9 Depth=1
	s_waitcnt vmcnt(0)
	v_lshlrev_b32_e32 v24, 16, v24
	v_trunc_f32_e32 v25, v24
	v_sub_f32_e32 v24, v24, v25
	v_bfe_u32 v25, v24, 16, 1
	v_add3_u32 v25, v24, v25, s21
	v_lshrrev_b32_e32 v25, 16, v25
	v_cmp_o_f32_e32 vcc, v24, v24
	v_cndmask_b32_e32 v26, v23, v25, vcc
	v_mov_b32_e32 v25, s9
	v_add_co_u32_e32 v24, vcc, s8, v8
	v_addc_co_u32_e32 v25, vcc, v7, v25, vcc
	global_store_short v[24:25], v26, off
	s_branch .LBB269_8
.LBB269_25:
	s_endpgm
	.section	.rodata,"a",@progbits
	.p2align	6, 0x0
	.amdhsa_kernel _ZN2at6native12_GLOBAL__N_125multi_tensor_apply_kernelINS1_18TensorListMetadataILi2EEENS1_14UnaryOpFunctorIN3c108BFloat16ELi2ELi1ELi1EEEJNS0_5TruncIfEEEEEvT_T0_DpT1_
		.amdhsa_group_segment_fixed_size 0
		.amdhsa_private_segment_fixed_size 0
		.amdhsa_kernarg_size 3408
		.amdhsa_user_sgpr_count 6
		.amdhsa_user_sgpr_private_segment_buffer 1
		.amdhsa_user_sgpr_dispatch_ptr 0
		.amdhsa_user_sgpr_queue_ptr 0
		.amdhsa_user_sgpr_kernarg_segment_ptr 1
		.amdhsa_user_sgpr_dispatch_id 0
		.amdhsa_user_sgpr_flat_scratch_init 0
		.amdhsa_user_sgpr_kernarg_preload_length 0
		.amdhsa_user_sgpr_kernarg_preload_offset 0
		.amdhsa_user_sgpr_private_segment_size 0
		.amdhsa_uses_dynamic_stack 0
		.amdhsa_system_sgpr_private_segment_wavefront_offset 0
		.amdhsa_system_sgpr_workgroup_id_x 1
		.amdhsa_system_sgpr_workgroup_id_y 0
		.amdhsa_system_sgpr_workgroup_id_z 0
		.amdhsa_system_sgpr_workgroup_info 0
		.amdhsa_system_vgpr_workitem_id 0
		.amdhsa_next_free_vgpr 30
		.amdhsa_next_free_sgpr 23
		.amdhsa_accum_offset 32
		.amdhsa_reserve_vcc 1
		.amdhsa_reserve_flat_scratch 0
		.amdhsa_float_round_mode_32 0
		.amdhsa_float_round_mode_16_64 0
		.amdhsa_float_denorm_mode_32 3
		.amdhsa_float_denorm_mode_16_64 3
		.amdhsa_dx10_clamp 1
		.amdhsa_ieee_mode 1
		.amdhsa_fp16_overflow 0
		.amdhsa_tg_split 0
		.amdhsa_exception_fp_ieee_invalid_op 0
		.amdhsa_exception_fp_denorm_src 0
		.amdhsa_exception_fp_ieee_div_zero 0
		.amdhsa_exception_fp_ieee_overflow 0
		.amdhsa_exception_fp_ieee_underflow 0
		.amdhsa_exception_fp_ieee_inexact 0
		.amdhsa_exception_int_div_zero 0
	.end_amdhsa_kernel
	.section	.text._ZN2at6native12_GLOBAL__N_125multi_tensor_apply_kernelINS1_18TensorListMetadataILi2EEENS1_14UnaryOpFunctorIN3c108BFloat16ELi2ELi1ELi1EEEJNS0_5TruncIfEEEEEvT_T0_DpT1_,"axG",@progbits,_ZN2at6native12_GLOBAL__N_125multi_tensor_apply_kernelINS1_18TensorListMetadataILi2EEENS1_14UnaryOpFunctorIN3c108BFloat16ELi2ELi1ELi1EEEJNS0_5TruncIfEEEEEvT_T0_DpT1_,comdat
.Lfunc_end269:
	.size	_ZN2at6native12_GLOBAL__N_125multi_tensor_apply_kernelINS1_18TensorListMetadataILi2EEENS1_14UnaryOpFunctorIN3c108BFloat16ELi2ELi1ELi1EEEJNS0_5TruncIfEEEEEvT_T0_DpT1_, .Lfunc_end269-_ZN2at6native12_GLOBAL__N_125multi_tensor_apply_kernelINS1_18TensorListMetadataILi2EEENS1_14UnaryOpFunctorIN3c108BFloat16ELi2ELi1ELi1EEEJNS0_5TruncIfEEEEEvT_T0_DpT1_
                                        ; -- End function
	.section	.AMDGPU.csdata,"",@progbits
; Kernel info:
; codeLenInByte = 1620
; NumSgprs: 27
; NumVgprs: 30
; NumAgprs: 0
; TotalNumVgprs: 30
; ScratchSize: 0
; MemoryBound: 0
; FloatMode: 240
; IeeeMode: 1
; LDSByteSize: 0 bytes/workgroup (compile time only)
; SGPRBlocks: 3
; VGPRBlocks: 3
; NumSGPRsForWavesPerEU: 27
; NumVGPRsForWavesPerEU: 30
; AccumOffset: 32
; Occupancy: 8
; WaveLimiterHint : 0
; COMPUTE_PGM_RSRC2:SCRATCH_EN: 0
; COMPUTE_PGM_RSRC2:USER_SGPR: 6
; COMPUTE_PGM_RSRC2:TRAP_HANDLER: 0
; COMPUTE_PGM_RSRC2:TGID_X_EN: 1
; COMPUTE_PGM_RSRC2:TGID_Y_EN: 0
; COMPUTE_PGM_RSRC2:TGID_Z_EN: 0
; COMPUTE_PGM_RSRC2:TIDIG_COMP_CNT: 0
; COMPUTE_PGM_RSRC3_GFX90A:ACCUM_OFFSET: 7
; COMPUTE_PGM_RSRC3_GFX90A:TG_SPLIT: 0
	.section	.text._ZN2at6native12_GLOBAL__N_125multi_tensor_apply_kernelINS1_18TensorListMetadataILi1EEENS1_14UnaryOpFunctorIdLi1ELi1ELi0EEEJNS0_5TruncIdEEEEEvT_T0_DpT1_,"axG",@progbits,_ZN2at6native12_GLOBAL__N_125multi_tensor_apply_kernelINS1_18TensorListMetadataILi1EEENS1_14UnaryOpFunctorIdLi1ELi1ELi0EEEJNS0_5TruncIdEEEEEvT_T0_DpT1_,comdat
	.globl	_ZN2at6native12_GLOBAL__N_125multi_tensor_apply_kernelINS1_18TensorListMetadataILi1EEENS1_14UnaryOpFunctorIdLi1ELi1ELi0EEEJNS0_5TruncIdEEEEEvT_T0_DpT1_ ; -- Begin function _ZN2at6native12_GLOBAL__N_125multi_tensor_apply_kernelINS1_18TensorListMetadataILi1EEENS1_14UnaryOpFunctorIdLi1ELi1ELi0EEEJNS0_5TruncIdEEEEEvT_T0_DpT1_
	.p2align	8
	.type	_ZN2at6native12_GLOBAL__N_125multi_tensor_apply_kernelINS1_18TensorListMetadataILi1EEENS1_14UnaryOpFunctorIdLi1ELi1ELi0EEEJNS0_5TruncIdEEEEEvT_T0_DpT1_,@function
_ZN2at6native12_GLOBAL__N_125multi_tensor_apply_kernelINS1_18TensorListMetadataILi1EEENS1_14UnaryOpFunctorIdLi1ELi1ELi0EEEJNS0_5TruncIdEEEEEvT_T0_DpT1_: ; @_ZN2at6native12_GLOBAL__N_125multi_tensor_apply_kernelINS1_18TensorListMetadataILi1EEENS1_14UnaryOpFunctorIdLi1ELi1ELi0EEEJNS0_5TruncIdEEEEEvT_T0_DpT1_
; %bb.0:
	v_mov_b32_e32 v1, s6
	global_load_ubyte v1, v1, s[4:5] offset:1760
	s_add_u32 s0, s4, s6
	s_mul_hi_u32 s1, s6, 3
	s_mul_i32 s6, s6, 3
	s_addc_u32 s2, s5, 0
	s_add_u32 s0, s0, s6
	s_addc_u32 s1, s2, s1
	s_load_dword s0, s[0:1], 0x820
	s_mov_b32 s7, 0
	s_waitcnt vmcnt(0)
	v_readfirstlane_b32 s2, v1
	s_lshl_b32 s1, s2, 3
	s_load_dwordx2 s[2:3], s[4:5], s1 offset:0x370
	s_load_dwordx2 s[12:13], s[4:5], s1 offset:0x0
	s_waitcnt lgkmcnt(0)
	s_ashr_i32 s1, s0, 31
	s_lshl_b64 s[14:15], s[0:1], 19
	s_lshl_b64 s[0:1], s[0:1], 16
	s_and_b32 s6, s12, 31
	s_sub_u32 s10, s2, s0
	s_subb_u32 s11, s3, s1
	s_and_b32 s0, s2, 3
	s_mov_b32 s1, s7
	s_or_b64 s[0:1], s[6:7], s[0:1]
	s_cmp_eq_u64 s[0:1], 0
	s_cbranch_scc1 .LBB270_21
; %bb.1:
	v_cmp_lt_i64_e64 s[0:1], s[10:11], 1
	s_and_b64 vcc, exec, s[0:1]
	s_cbranch_vccnz .LBB270_20
; %bb.2:
	s_load_dword s0, s[4:5], 0xd3c
	v_mov_b32_e32 v2, 0x10000
	v_mov_b32_e32 v3, 0
	v_cmp_lt_u64_e32 vcc, s[10:11], v[2:3]
	v_lshlrev_b32_e32 v1, 3, v0
	s_waitcnt lgkmcnt(0)
	s_and_b32 s3, s0, 0xffff
	s_and_b64 s[0:1], vcc, exec
	s_cselect_b32 s17, s11, 0
	s_cselect_b32 s16, s10, 0x10000
	s_lshl_b32 s6, s3, 1
	s_lshl_b32 s22, s3, 2
	s_add_u32 s7, s12, s14
	s_addc_u32 s8, s13, s15
	v_mov_b32_e32 v3, s8
	v_add_co_u32_e32 v2, vcc, s7, v1
	s_mul_i32 s0, s3, 3
	v_addc_co_u32_e32 v3, vcc, 0, v3, vcc
	v_add_co_u32_e32 v1, vcc, s0, v0
	v_addc_co_u32_e64 v16, s[0:1], 0, 0, vcc
	v_add_co_u32_e32 v17, vcc, s6, v0
	v_addc_co_u32_e64 v18, s[0:1], 0, 0, vcc
	v_add_co_u32_e32 v19, vcc, s3, v0
	v_lshlrev_b32_e32 v4, 3, v19
	s_mov_b32 s2, 0
	v_addc_co_u32_e64 v20, s[0:1], 0, 0, vcc
	v_mov_b32_e32 v5, s8
	v_add_co_u32_e32 v4, vcc, s7, v4
	s_lshl_b32 s23, s3, 5
	s_mul_i32 s24, s3, 24
	s_mov_b32 s25, s2
	s_lshl_b32 s26, s3, 4
	s_mov_b32 s27, s2
	v_addc_co_u32_e32 v5, vcc, 0, v5, vcc
	s_mov_b64 s[18:19], 0
	v_pk_mov_b32 v[6:7], s[10:11], s[10:11] op_sel:[0,1]
	v_mov_b32_e32 v21, s2
	s_branch .LBB270_4
.LBB270_3:                              ;   in Loop: Header=BB270_4 Depth=1
	s_or_b64 exec, exec, s[0:1]
	s_add_u32 s18, s18, s22
	s_waitcnt vmcnt(0)
	v_mov_b32_e32 v8, 0x10000
	s_addc_u32 s19, s19, 0
	v_mov_b32_e32 v9, 0
	v_cmp_lt_i64_e32 vcc, s[18:19], v[6:7]
	v_cmp_lt_u64_e64 s[0:1], s[18:19], v[8:9]
	s_and_b64 s[0:1], vcc, s[0:1]
	v_add_co_u32_e32 v2, vcc, s23, v2
	v_addc_co_u32_e32 v3, vcc, v3, v21, vcc
	v_add_co_u32_e32 v4, vcc, s23, v4
	v_addc_co_u32_e32 v5, vcc, v5, v21, vcc
	s_and_b64 vcc, exec, s[0:1]
	s_cbranch_vccz .LBB270_20
.LBB270_4:                              ; =>This Inner Loop Header: Depth=1
	v_mov_b32_e32 v9, s19
	v_add_co_u32_e32 v8, vcc, s18, v0
	v_addc_co_u32_e32 v9, vcc, 0, v9, vcc
	v_cmp_gt_u64_e32 vcc, s[16:17], v[8:9]
	v_pk_mov_b32 v[8:9], 0, 0
	v_pk_mov_b32 v[10:11], v[8:9], v[8:9] op_sel:[0,1]
	s_and_saveexec_b64 s[0:1], vcc
	s_cbranch_execz .LBB270_6
; %bb.5:                                ;   in Loop: Header=BB270_4 Depth=1
	global_load_dwordx2 v[10:11], v[2:3], off
.LBB270_6:                              ;   in Loop: Header=BB270_4 Depth=1
	s_or_b64 exec, exec, s[0:1]
	v_mov_b32_e32 v13, s19
	v_add_co_u32_e64 v12, s[0:1], s18, v19
	v_addc_co_u32_e64 v13, s[0:1], v20, v13, s[0:1]
	v_cmp_gt_u64_e64 s[0:1], s[16:17], v[12:13]
	s_and_saveexec_b64 s[2:3], s[0:1]
	s_cbranch_execz .LBB270_8
; %bb.7:                                ;   in Loop: Header=BB270_4 Depth=1
	global_load_dwordx2 v[8:9], v[4:5], off
.LBB270_8:                              ;   in Loop: Header=BB270_4 Depth=1
	s_or_b64 exec, exec, s[2:3]
	v_mov_b32_e32 v13, s19
	v_add_co_u32_e64 v12, s[2:3], s18, v17
	v_addc_co_u32_e64 v13, s[2:3], v18, v13, s[2:3]
	v_cmp_gt_u64_e64 s[2:3], s[16:17], v[12:13]
	v_pk_mov_b32 v[12:13], 0, 0
	v_pk_mov_b32 v[14:15], v[12:13], v[12:13] op_sel:[0,1]
	s_and_saveexec_b64 s[8:9], s[2:3]
	s_cbranch_execz .LBB270_10
; %bb.9:                                ;   in Loop: Header=BB270_4 Depth=1
	v_mov_b32_e32 v15, s27
	v_add_co_u32_e64 v14, s[6:7], s26, v2
	v_addc_co_u32_e64 v15, s[6:7], v3, v15, s[6:7]
	global_load_dwordx2 v[14:15], v[14:15], off
.LBB270_10:                             ;   in Loop: Header=BB270_4 Depth=1
	s_or_b64 exec, exec, s[8:9]
	v_mov_b32_e32 v23, s19
	v_add_co_u32_e64 v22, s[6:7], s18, v1
	v_addc_co_u32_e64 v23, s[6:7], v16, v23, s[6:7]
	v_cmp_gt_u64_e64 s[6:7], s[16:17], v[22:23]
	s_and_saveexec_b64 s[20:21], s[6:7]
	s_cbranch_execnz .LBB270_15
; %bb.11:                               ;   in Loop: Header=BB270_4 Depth=1
	s_or_b64 exec, exec, s[20:21]
	s_and_saveexec_b64 s[8:9], vcc
	s_cbranch_execnz .LBB270_16
.LBB270_12:                             ;   in Loop: Header=BB270_4 Depth=1
	s_or_b64 exec, exec, s[8:9]
	s_and_saveexec_b64 s[8:9], s[0:1]
	s_cbranch_execnz .LBB270_17
.LBB270_13:                             ;   in Loop: Header=BB270_4 Depth=1
	s_or_b64 exec, exec, s[8:9]
	s_and_saveexec_b64 s[0:1], s[2:3]
	s_cbranch_execnz .LBB270_18
.LBB270_14:                             ;   in Loop: Header=BB270_4 Depth=1
	s_or_b64 exec, exec, s[0:1]
	s_and_saveexec_b64 s[0:1], s[6:7]
	s_cbranch_execz .LBB270_3
	s_branch .LBB270_19
.LBB270_15:                             ;   in Loop: Header=BB270_4 Depth=1
	v_mov_b32_e32 v13, s25
	v_add_co_u32_e64 v12, s[8:9], s24, v2
	v_addc_co_u32_e64 v13, s[8:9], v3, v13, s[8:9]
	global_load_dwordx2 v[12:13], v[12:13], off
	s_or_b64 exec, exec, s[20:21]
	s_and_saveexec_b64 s[8:9], vcc
	s_cbranch_execz .LBB270_12
.LBB270_16:                             ;   in Loop: Header=BB270_4 Depth=1
	s_waitcnt vmcnt(0)
	v_trunc_f64_e32 v[22:23], v[10:11]
	v_add_f64 v[10:11], v[10:11], -v[22:23]
	global_store_dwordx2 v[2:3], v[10:11], off
	s_or_b64 exec, exec, s[8:9]
	s_and_saveexec_b64 s[8:9], s[0:1]
	s_cbranch_execz .LBB270_13
.LBB270_17:                             ;   in Loop: Header=BB270_4 Depth=1
	s_waitcnt vmcnt(0)
	v_trunc_f64_e32 v[10:11], v[8:9]
	v_add_f64 v[8:9], v[8:9], -v[10:11]
	global_store_dwordx2 v[4:5], v[8:9], off
	s_or_b64 exec, exec, s[8:9]
	s_and_saveexec_b64 s[0:1], s[2:3]
	s_cbranch_execz .LBB270_14
.LBB270_18:                             ;   in Loop: Header=BB270_4 Depth=1
	s_waitcnt vmcnt(0)
	v_trunc_f64_e32 v[8:9], v[14:15]
	v_mov_b32_e32 v11, s27
	v_add_co_u32_e32 v10, vcc, s26, v2
	v_add_f64 v[8:9], v[14:15], -v[8:9]
	v_addc_co_u32_e32 v11, vcc, v3, v11, vcc
	global_store_dwordx2 v[10:11], v[8:9], off
	s_or_b64 exec, exec, s[0:1]
	s_and_saveexec_b64 s[0:1], s[6:7]
	s_cbranch_execz .LBB270_3
.LBB270_19:                             ;   in Loop: Header=BB270_4 Depth=1
	s_waitcnt vmcnt(0)
	v_trunc_f64_e32 v[8:9], v[12:13]
	v_mov_b32_e32 v11, s25
	v_add_co_u32_e32 v10, vcc, s24, v2
	v_add_f64 v[8:9], v[12:13], -v[8:9]
	v_addc_co_u32_e32 v11, vcc, v3, v11, vcc
	global_store_dwordx2 v[10:11], v[8:9], off
	s_branch .LBB270_3
.LBB270_20:
	s_cbranch_execz .LBB270_22
	s_branch .LBB270_25
.LBB270_21:
.LBB270_22:
	v_mov_b32_e32 v3, 0
	v_lshlrev_b32_e32 v2, 2, v0
	s_mov_b32 s0, 0
	v_cmp_gt_i64_e32 vcc, s[10:11], v[2:3]
	s_and_saveexec_b64 s[2:3], vcc
	s_cbranch_execz .LBB270_25
; %bb.23:
	s_load_dword s1, s[4:5], 0xd3c
	v_lshlrev_b32_e32 v1, 5, v0
	s_mov_b64 s[4:5], 0
	s_mov_b64 s[6:7], 0xffff
	v_mov_b32_e32 v5, s0
	s_waitcnt lgkmcnt(0)
	s_and_b32 s1, s1, 0xffff
	s_lshl_b32 s8, s1, 2
	s_add_u32 s2, s12, s14
	s_addc_u32 s3, s13, s15
	v_add_lshl_u32 v2, v0, s1, 2
	v_mov_b32_e32 v0, s3
	v_add_co_u32_e32 v1, vcc, s2, v1
	v_addc_co_u32_e32 v4, vcc, 0, v0, vcc
	v_add_co_u32_e32 v0, vcc, 16, v1
	v_addc_co_u32_e32 v1, vcc, 0, v4, vcc
	s_lshl_b32 s9, s1, 5
	v_mov_b32_e32 v4, s0
.LBB270_24:                             ; =>This Inner Loop Header: Depth=1
	global_load_dwordx4 v[6:9], v[0:1], off offset:-16
	global_load_dwordx4 v[10:13], v[0:1], off
	v_cmp_le_i64_e32 vcc, s[10:11], v[2:3]
	v_cmp_lt_u64_e64 s[0:1], s[6:7], v[2:3]
	s_or_b64 s[0:1], vcc, s[0:1]
	v_add_co_u32_e64 v2, s[2:3], s8, v2
	s_and_b64 s[0:1], exec, s[0:1]
	v_addc_co_u32_e64 v3, s[2:3], v3, v4, s[2:3]
	s_or_b64 s[4:5], s[0:1], s[4:5]
	s_waitcnt vmcnt(1)
	v_trunc_f64_e32 v[14:15], v[6:7]
	v_trunc_f64_e32 v[16:17], v[8:9]
	s_waitcnt vmcnt(0)
	v_trunc_f64_e32 v[18:19], v[10:11]
	v_trunc_f64_e32 v[20:21], v[12:13]
	v_add_f64 v[6:7], v[6:7], -v[14:15]
	v_add_f64 v[8:9], v[8:9], -v[16:17]
	;; [unrolled: 1-line block ×4, first 2 shown]
	global_store_dwordx4 v[0:1], v[6:9], off offset:-16
	global_store_dwordx4 v[0:1], v[10:13], off
	v_add_co_u32_e32 v0, vcc, s9, v0
	v_addc_co_u32_e32 v1, vcc, v1, v5, vcc
	s_andn2_b64 exec, exec, s[4:5]
	s_cbranch_execnz .LBB270_24
.LBB270_25:
	s_endpgm
	.section	.rodata,"a",@progbits
	.p2align	6, 0x0
	.amdhsa_kernel _ZN2at6native12_GLOBAL__N_125multi_tensor_apply_kernelINS1_18TensorListMetadataILi1EEENS1_14UnaryOpFunctorIdLi1ELi1ELi0EEEJNS0_5TruncIdEEEEEvT_T0_DpT1_
		.amdhsa_group_segment_fixed_size 0
		.amdhsa_private_segment_fixed_size 0
		.amdhsa_kernarg_size 3632
		.amdhsa_user_sgpr_count 6
		.amdhsa_user_sgpr_private_segment_buffer 1
		.amdhsa_user_sgpr_dispatch_ptr 0
		.amdhsa_user_sgpr_queue_ptr 0
		.amdhsa_user_sgpr_kernarg_segment_ptr 1
		.amdhsa_user_sgpr_dispatch_id 0
		.amdhsa_user_sgpr_flat_scratch_init 0
		.amdhsa_user_sgpr_kernarg_preload_length 0
		.amdhsa_user_sgpr_kernarg_preload_offset 0
		.amdhsa_user_sgpr_private_segment_size 0
		.amdhsa_uses_dynamic_stack 0
		.amdhsa_system_sgpr_private_segment_wavefront_offset 0
		.amdhsa_system_sgpr_workgroup_id_x 1
		.amdhsa_system_sgpr_workgroup_id_y 0
		.amdhsa_system_sgpr_workgroup_id_z 0
		.amdhsa_system_sgpr_workgroup_info 0
		.amdhsa_system_vgpr_workitem_id 0
		.amdhsa_next_free_vgpr 24
		.amdhsa_next_free_sgpr 28
		.amdhsa_accum_offset 24
		.amdhsa_reserve_vcc 1
		.amdhsa_reserve_flat_scratch 0
		.amdhsa_float_round_mode_32 0
		.amdhsa_float_round_mode_16_64 0
		.amdhsa_float_denorm_mode_32 3
		.amdhsa_float_denorm_mode_16_64 3
		.amdhsa_dx10_clamp 1
		.amdhsa_ieee_mode 1
		.amdhsa_fp16_overflow 0
		.amdhsa_tg_split 0
		.amdhsa_exception_fp_ieee_invalid_op 0
		.amdhsa_exception_fp_denorm_src 0
		.amdhsa_exception_fp_ieee_div_zero 0
		.amdhsa_exception_fp_ieee_overflow 0
		.amdhsa_exception_fp_ieee_underflow 0
		.amdhsa_exception_fp_ieee_inexact 0
		.amdhsa_exception_int_div_zero 0
	.end_amdhsa_kernel
	.section	.text._ZN2at6native12_GLOBAL__N_125multi_tensor_apply_kernelINS1_18TensorListMetadataILi1EEENS1_14UnaryOpFunctorIdLi1ELi1ELi0EEEJNS0_5TruncIdEEEEEvT_T0_DpT1_,"axG",@progbits,_ZN2at6native12_GLOBAL__N_125multi_tensor_apply_kernelINS1_18TensorListMetadataILi1EEENS1_14UnaryOpFunctorIdLi1ELi1ELi0EEEJNS0_5TruncIdEEEEEvT_T0_DpT1_,comdat
.Lfunc_end270:
	.size	_ZN2at6native12_GLOBAL__N_125multi_tensor_apply_kernelINS1_18TensorListMetadataILi1EEENS1_14UnaryOpFunctorIdLi1ELi1ELi0EEEJNS0_5TruncIdEEEEEvT_T0_DpT1_, .Lfunc_end270-_ZN2at6native12_GLOBAL__N_125multi_tensor_apply_kernelINS1_18TensorListMetadataILi1EEENS1_14UnaryOpFunctorIdLi1ELi1ELi0EEEJNS0_5TruncIdEEEEEvT_T0_DpT1_
                                        ; -- End function
	.section	.AMDGPU.csdata,"",@progbits
; Kernel info:
; codeLenInByte = 1132
; NumSgprs: 32
; NumVgprs: 24
; NumAgprs: 0
; TotalNumVgprs: 24
; ScratchSize: 0
; MemoryBound: 0
; FloatMode: 240
; IeeeMode: 1
; LDSByteSize: 0 bytes/workgroup (compile time only)
; SGPRBlocks: 3
; VGPRBlocks: 2
; NumSGPRsForWavesPerEU: 32
; NumVGPRsForWavesPerEU: 24
; AccumOffset: 24
; Occupancy: 8
; WaveLimiterHint : 0
; COMPUTE_PGM_RSRC2:SCRATCH_EN: 0
; COMPUTE_PGM_RSRC2:USER_SGPR: 6
; COMPUTE_PGM_RSRC2:TRAP_HANDLER: 0
; COMPUTE_PGM_RSRC2:TGID_X_EN: 1
; COMPUTE_PGM_RSRC2:TGID_Y_EN: 0
; COMPUTE_PGM_RSRC2:TGID_Z_EN: 0
; COMPUTE_PGM_RSRC2:TIDIG_COMP_CNT: 0
; COMPUTE_PGM_RSRC3_GFX90A:ACCUM_OFFSET: 5
; COMPUTE_PGM_RSRC3_GFX90A:TG_SPLIT: 0
	.section	.text._ZN2at6native12_GLOBAL__N_125multi_tensor_apply_kernelINS1_18TensorListMetadataILi1EEENS1_14UnaryOpFunctorIfLi1ELi1ELi0EEEJNS0_5TruncIfEEEEEvT_T0_DpT1_,"axG",@progbits,_ZN2at6native12_GLOBAL__N_125multi_tensor_apply_kernelINS1_18TensorListMetadataILi1EEENS1_14UnaryOpFunctorIfLi1ELi1ELi0EEEJNS0_5TruncIfEEEEEvT_T0_DpT1_,comdat
	.globl	_ZN2at6native12_GLOBAL__N_125multi_tensor_apply_kernelINS1_18TensorListMetadataILi1EEENS1_14UnaryOpFunctorIfLi1ELi1ELi0EEEJNS0_5TruncIfEEEEEvT_T0_DpT1_ ; -- Begin function _ZN2at6native12_GLOBAL__N_125multi_tensor_apply_kernelINS1_18TensorListMetadataILi1EEENS1_14UnaryOpFunctorIfLi1ELi1ELi0EEEJNS0_5TruncIfEEEEEvT_T0_DpT1_
	.p2align	8
	.type	_ZN2at6native12_GLOBAL__N_125multi_tensor_apply_kernelINS1_18TensorListMetadataILi1EEENS1_14UnaryOpFunctorIfLi1ELi1ELi0EEEJNS0_5TruncIfEEEEEvT_T0_DpT1_,@function
_ZN2at6native12_GLOBAL__N_125multi_tensor_apply_kernelINS1_18TensorListMetadataILi1EEENS1_14UnaryOpFunctorIfLi1ELi1ELi0EEEJNS0_5TruncIfEEEEEvT_T0_DpT1_: ; @_ZN2at6native12_GLOBAL__N_125multi_tensor_apply_kernelINS1_18TensorListMetadataILi1EEENS1_14UnaryOpFunctorIfLi1ELi1ELi0EEEJNS0_5TruncIfEEEEEvT_T0_DpT1_
; %bb.0:
	v_mov_b32_e32 v1, s6
	global_load_ubyte v1, v1, s[4:5] offset:1760
	s_add_u32 s0, s4, s6
	s_mul_hi_u32 s1, s6, 3
	s_mul_i32 s6, s6, 3
	s_addc_u32 s2, s5, 0
	s_add_u32 s0, s0, s6
	s_addc_u32 s1, s2, s1
	s_load_dword s0, s[0:1], 0x820
	s_mov_b32 s7, 0
	s_waitcnt vmcnt(0)
	v_readfirstlane_b32 s2, v1
	s_lshl_b32 s1, s2, 3
	s_load_dwordx2 s[2:3], s[4:5], s1 offset:0x370
	s_load_dwordx2 s[12:13], s[4:5], s1 offset:0x0
	s_waitcnt lgkmcnt(0)
	s_ashr_i32 s1, s0, 31
	s_lshl_b64 s[14:15], s[0:1], 18
	s_lshl_b64 s[0:1], s[0:1], 16
	s_and_b32 s6, s12, 15
	s_sub_u32 s10, s2, s0
	s_subb_u32 s11, s3, s1
	s_and_b32 s0, s2, 3
	s_mov_b32 s1, s7
	s_or_b64 s[0:1], s[6:7], s[0:1]
	s_cmp_eq_u64 s[0:1], 0
	s_cbranch_scc1 .LBB271_21
; %bb.1:
	v_cmp_lt_i64_e64 s[0:1], s[10:11], 1
	s_and_b64 vcc, exec, s[0:1]
	s_cbranch_vccnz .LBB271_20
; %bb.2:
	s_load_dword s0, s[4:5], 0xd3c
	v_mov_b32_e32 v2, 0x10000
	v_mov_b32_e32 v3, 0
	v_cmp_lt_u64_e32 vcc, s[10:11], v[2:3]
	v_lshlrev_b32_e32 v1, 2, v0
	s_waitcnt lgkmcnt(0)
	s_and_b32 s3, s0, 0xffff
	s_and_b64 s[0:1], vcc, exec
	s_cselect_b32 s17, s11, 0
	s_cselect_b32 s16, s10, 0x10000
	s_lshl_b32 s6, s3, 1
	s_lshl_b32 s22, s3, 2
	s_add_u32 s7, s12, s14
	s_addc_u32 s8, s13, s15
	v_mov_b32_e32 v5, s8
	v_add_co_u32_e32 v4, vcc, s7, v1
	s_mul_i32 s0, s3, 3
	v_addc_co_u32_e32 v5, vcc, 0, v5, vcc
	v_add_co_u32_e32 v1, vcc, s0, v0
	v_addc_co_u32_e64 v10, s[0:1], 0, 0, vcc
	v_add_co_u32_e32 v11, vcc, s6, v0
	v_addc_co_u32_e64 v12, s[0:1], 0, 0, vcc
	v_add_co_u32_e32 v13, vcc, s3, v0
	v_lshlrev_b32_e32 v6, 2, v13
	s_mov_b32 s2, 0
	v_addc_co_u32_e64 v14, s[0:1], 0, 0, vcc
	v_mov_b32_e32 v7, s8
	v_add_co_u32_e32 v6, vcc, s7, v6
	s_lshl_b32 s23, s3, 4
	s_mul_i32 s24, s3, 12
	s_mov_b32 s25, s2
	s_lshl_b32 s26, s3, 3
	s_mov_b32 s27, s2
	v_addc_co_u32_e32 v7, vcc, 0, v7, vcc
	s_mov_b64 s[18:19], 0
	v_pk_mov_b32 v[8:9], s[10:11], s[10:11] op_sel:[0,1]
	v_mov_b32_e32 v15, s2
	s_branch .LBB271_4
.LBB271_3:                              ;   in Loop: Header=BB271_4 Depth=1
	s_or_b64 exec, exec, s[0:1]
	s_add_u32 s18, s18, s22
	s_addc_u32 s19, s19, 0
	v_cmp_lt_i64_e32 vcc, s[18:19], v[8:9]
	v_cmp_lt_u64_e64 s[0:1], s[18:19], v[2:3]
	s_and_b64 s[0:1], vcc, s[0:1]
	v_add_co_u32_e32 v4, vcc, s23, v4
	v_addc_co_u32_e32 v5, vcc, v5, v15, vcc
	v_add_co_u32_e32 v6, vcc, s23, v6
	v_addc_co_u32_e32 v7, vcc, v7, v15, vcc
	s_and_b64 vcc, exec, s[0:1]
	s_cbranch_vccz .LBB271_20
.LBB271_4:                              ; =>This Inner Loop Header: Depth=1
	s_waitcnt vmcnt(0)
	v_mov_b32_e32 v17, s19
	v_add_co_u32_e32 v16, vcc, s18, v0
	v_addc_co_u32_e32 v17, vcc, 0, v17, vcc
	v_cmp_gt_u64_e32 vcc, s[16:17], v[16:17]
	v_mov_b32_e32 v16, 0
	s_and_saveexec_b64 s[0:1], vcc
	s_cbranch_execz .LBB271_6
; %bb.5:                                ;   in Loop: Header=BB271_4 Depth=1
	global_load_dword v16, v[4:5], off
.LBB271_6:                              ;   in Loop: Header=BB271_4 Depth=1
	s_or_b64 exec, exec, s[0:1]
	v_mov_b32_e32 v17, s19
	v_add_co_u32_e64 v18, s[0:1], s18, v13
	v_addc_co_u32_e64 v19, s[0:1], v14, v17, s[0:1]
	v_cmp_gt_u64_e64 s[0:1], s[16:17], v[18:19]
	v_mov_b32_e32 v18, 0
	s_and_saveexec_b64 s[2:3], s[0:1]
	s_cbranch_execz .LBB271_8
; %bb.7:                                ;   in Loop: Header=BB271_4 Depth=1
	global_load_dword v18, v[6:7], off
.LBB271_8:                              ;   in Loop: Header=BB271_4 Depth=1
	s_or_b64 exec, exec, s[2:3]
	v_mov_b32_e32 v17, s19
	v_add_co_u32_e64 v20, s[2:3], s18, v11
	v_addc_co_u32_e64 v21, s[2:3], v12, v17, s[2:3]
	v_cmp_gt_u64_e64 s[2:3], s[16:17], v[20:21]
	v_mov_b32_e32 v17, 0
	v_mov_b32_e32 v19, 0
	s_and_saveexec_b64 s[8:9], s[2:3]
	s_cbranch_execz .LBB271_10
; %bb.9:                                ;   in Loop: Header=BB271_4 Depth=1
	v_mov_b32_e32 v19, s27
	v_add_co_u32_e64 v20, s[6:7], s26, v4
	v_addc_co_u32_e64 v21, s[6:7], v5, v19, s[6:7]
	global_load_dword v19, v[20:21], off
.LBB271_10:                             ;   in Loop: Header=BB271_4 Depth=1
	s_or_b64 exec, exec, s[8:9]
	v_mov_b32_e32 v21, s19
	v_add_co_u32_e64 v20, s[6:7], s18, v1
	v_addc_co_u32_e64 v21, s[6:7], v10, v21, s[6:7]
	v_cmp_gt_u64_e64 s[6:7], s[16:17], v[20:21]
	s_and_saveexec_b64 s[20:21], s[6:7]
	s_cbranch_execnz .LBB271_15
; %bb.11:                               ;   in Loop: Header=BB271_4 Depth=1
	s_or_b64 exec, exec, s[20:21]
	s_and_saveexec_b64 s[8:9], vcc
	s_cbranch_execnz .LBB271_16
.LBB271_12:                             ;   in Loop: Header=BB271_4 Depth=1
	s_or_b64 exec, exec, s[8:9]
	s_and_saveexec_b64 s[8:9], s[0:1]
	s_cbranch_execnz .LBB271_17
.LBB271_13:                             ;   in Loop: Header=BB271_4 Depth=1
	s_or_b64 exec, exec, s[8:9]
	s_and_saveexec_b64 s[0:1], s[2:3]
	s_cbranch_execnz .LBB271_18
.LBB271_14:                             ;   in Loop: Header=BB271_4 Depth=1
	s_or_b64 exec, exec, s[0:1]
	s_and_saveexec_b64 s[0:1], s[6:7]
	s_cbranch_execz .LBB271_3
	s_branch .LBB271_19
.LBB271_15:                             ;   in Loop: Header=BB271_4 Depth=1
	v_mov_b32_e32 v17, s25
	v_add_co_u32_e64 v20, s[8:9], s24, v4
	v_addc_co_u32_e64 v21, s[8:9], v5, v17, s[8:9]
	global_load_dword v17, v[20:21], off
	s_or_b64 exec, exec, s[20:21]
	s_and_saveexec_b64 s[8:9], vcc
	s_cbranch_execz .LBB271_12
.LBB271_16:                             ;   in Loop: Header=BB271_4 Depth=1
	s_waitcnt vmcnt(0)
	v_trunc_f32_e32 v20, v16
	v_sub_f32_e32 v16, v16, v20
	global_store_dword v[4:5], v16, off
	s_or_b64 exec, exec, s[8:9]
	s_and_saveexec_b64 s[8:9], s[0:1]
	s_cbranch_execz .LBB271_13
.LBB271_17:                             ;   in Loop: Header=BB271_4 Depth=1
	s_waitcnt vmcnt(0)
	v_trunc_f32_e32 v16, v18
	v_sub_f32_e32 v16, v18, v16
	global_store_dword v[6:7], v16, off
	s_or_b64 exec, exec, s[8:9]
	s_and_saveexec_b64 s[0:1], s[2:3]
	s_cbranch_execz .LBB271_14
.LBB271_18:                             ;   in Loop: Header=BB271_4 Depth=1
	s_waitcnt vmcnt(0)
	v_trunc_f32_e32 v16, v19
	v_sub_f32_e32 v16, v19, v16
	v_mov_b32_e32 v19, s27
	v_add_co_u32_e32 v18, vcc, s26, v4
	v_addc_co_u32_e32 v19, vcc, v5, v19, vcc
	global_store_dword v[18:19], v16, off
	s_or_b64 exec, exec, s[0:1]
	s_and_saveexec_b64 s[0:1], s[6:7]
	s_cbranch_execz .LBB271_3
.LBB271_19:                             ;   in Loop: Header=BB271_4 Depth=1
	s_waitcnt vmcnt(0)
	v_trunc_f32_e32 v16, v17
	v_sub_f32_e32 v18, v17, v16
	v_mov_b32_e32 v17, s25
	v_add_co_u32_e32 v16, vcc, s24, v4
	v_addc_co_u32_e32 v17, vcc, v5, v17, vcc
	global_store_dword v[16:17], v18, off
	s_branch .LBB271_3
.LBB271_20:
	s_cbranch_execz .LBB271_22
	s_branch .LBB271_25
.LBB271_21:
.LBB271_22:
	v_mov_b32_e32 v3, 0
	v_lshlrev_b32_e32 v2, 2, v0
	s_mov_b32 s0, 0
	v_cmp_gt_i64_e32 vcc, s[10:11], v[2:3]
	s_and_saveexec_b64 s[2:3], vcc
	s_cbranch_execz .LBB271_25
; %bb.23:
	s_load_dword s1, s[4:5], 0xd3c
	v_lshlrev_b32_e32 v1, 4, v0
	s_mov_b64 s[4:5], 0xffff
	s_waitcnt lgkmcnt(0)
	s_and_b32 s1, s1, 0xffff
	s_add_u32 s2, s12, s14
	s_addc_u32 s3, s13, s15
	v_mov_b32_e32 v2, s3
	v_add_co_u32_e32 v1, vcc, s2, v1
	v_addc_co_u32_e32 v2, vcc, 0, v2, vcc
	v_add_co_u32_e32 v4, vcc, 8, v1
	v_addc_co_u32_e32 v5, vcc, 0, v2, vcc
	s_lshl_b32 s6, s1, 4
	v_add_lshl_u32 v2, v0, s1, 2
	s_lshl_b32 s7, s1, 2
	s_mov_b64 s[2:3], 0
	v_mov_b32_e32 v0, s0
	v_mov_b32_e32 v1, s0
.LBB271_24:                             ; =>This Inner Loop Header: Depth=1
	global_load_dwordx4 v[6:9], v[4:5], off offset:-8
	v_cmp_le_i64_e32 vcc, s[10:11], v[2:3]
	v_cmp_lt_u64_e64 s[0:1], s[4:5], v[2:3]
	s_or_b64 s[0:1], vcc, s[0:1]
	s_and_b64 s[0:1], exec, s[0:1]
	s_or_b64 s[2:3], s[0:1], s[2:3]
	s_waitcnt vmcnt(0)
	v_trunc_f32_e32 v11, v7
	v_trunc_f32_e32 v10, v6
	;; [unrolled: 1-line block ×4, first 2 shown]
	v_pk_add_f32 v[6:7], v[6:7], v[10:11] neg_lo:[0,1] neg_hi:[0,1]
	v_pk_add_f32 v[8:9], v[8:9], v[12:13] neg_lo:[0,1] neg_hi:[0,1]
	global_store_dwordx4 v[4:5], v[6:9], off offset:-8
	v_add_co_u32_e32 v4, vcc, s6, v4
	v_addc_co_u32_e32 v5, vcc, v5, v0, vcc
	v_add_co_u32_e32 v2, vcc, s7, v2
	v_addc_co_u32_e32 v3, vcc, v3, v1, vcc
	s_andn2_b64 exec, exec, s[2:3]
	s_cbranch_execnz .LBB271_24
.LBB271_25:
	s_endpgm
	.section	.rodata,"a",@progbits
	.p2align	6, 0x0
	.amdhsa_kernel _ZN2at6native12_GLOBAL__N_125multi_tensor_apply_kernelINS1_18TensorListMetadataILi1EEENS1_14UnaryOpFunctorIfLi1ELi1ELi0EEEJNS0_5TruncIfEEEEEvT_T0_DpT1_
		.amdhsa_group_segment_fixed_size 0
		.amdhsa_private_segment_fixed_size 0
		.amdhsa_kernarg_size 3632
		.amdhsa_user_sgpr_count 6
		.amdhsa_user_sgpr_private_segment_buffer 1
		.amdhsa_user_sgpr_dispatch_ptr 0
		.amdhsa_user_sgpr_queue_ptr 0
		.amdhsa_user_sgpr_kernarg_segment_ptr 1
		.amdhsa_user_sgpr_dispatch_id 0
		.amdhsa_user_sgpr_flat_scratch_init 0
		.amdhsa_user_sgpr_kernarg_preload_length 0
		.amdhsa_user_sgpr_kernarg_preload_offset 0
		.amdhsa_user_sgpr_private_segment_size 0
		.amdhsa_uses_dynamic_stack 0
		.amdhsa_system_sgpr_private_segment_wavefront_offset 0
		.amdhsa_system_sgpr_workgroup_id_x 1
		.amdhsa_system_sgpr_workgroup_id_y 0
		.amdhsa_system_sgpr_workgroup_id_z 0
		.amdhsa_system_sgpr_workgroup_info 0
		.amdhsa_system_vgpr_workitem_id 0
		.amdhsa_next_free_vgpr 22
		.amdhsa_next_free_sgpr 28
		.amdhsa_accum_offset 24
		.amdhsa_reserve_vcc 1
		.amdhsa_reserve_flat_scratch 0
		.amdhsa_float_round_mode_32 0
		.amdhsa_float_round_mode_16_64 0
		.amdhsa_float_denorm_mode_32 3
		.amdhsa_float_denorm_mode_16_64 3
		.amdhsa_dx10_clamp 1
		.amdhsa_ieee_mode 1
		.amdhsa_fp16_overflow 0
		.amdhsa_tg_split 0
		.amdhsa_exception_fp_ieee_invalid_op 0
		.amdhsa_exception_fp_denorm_src 0
		.amdhsa_exception_fp_ieee_div_zero 0
		.amdhsa_exception_fp_ieee_overflow 0
		.amdhsa_exception_fp_ieee_underflow 0
		.amdhsa_exception_fp_ieee_inexact 0
		.amdhsa_exception_int_div_zero 0
	.end_amdhsa_kernel
	.section	.text._ZN2at6native12_GLOBAL__N_125multi_tensor_apply_kernelINS1_18TensorListMetadataILi1EEENS1_14UnaryOpFunctorIfLi1ELi1ELi0EEEJNS0_5TruncIfEEEEEvT_T0_DpT1_,"axG",@progbits,_ZN2at6native12_GLOBAL__N_125multi_tensor_apply_kernelINS1_18TensorListMetadataILi1EEENS1_14UnaryOpFunctorIfLi1ELi1ELi0EEEJNS0_5TruncIfEEEEEvT_T0_DpT1_,comdat
.Lfunc_end271:
	.size	_ZN2at6native12_GLOBAL__N_125multi_tensor_apply_kernelINS1_18TensorListMetadataILi1EEENS1_14UnaryOpFunctorIfLi1ELi1ELi0EEEJNS0_5TruncIfEEEEEvT_T0_DpT1_, .Lfunc_end271-_ZN2at6native12_GLOBAL__N_125multi_tensor_apply_kernelINS1_18TensorListMetadataILi1EEENS1_14UnaryOpFunctorIfLi1ELi1ELi0EEEJNS0_5TruncIfEEEEEvT_T0_DpT1_
                                        ; -- End function
	.section	.AMDGPU.csdata,"",@progbits
; Kernel info:
; codeLenInByte = 1044
; NumSgprs: 32
; NumVgprs: 22
; NumAgprs: 0
; TotalNumVgprs: 22
; ScratchSize: 0
; MemoryBound: 0
; FloatMode: 240
; IeeeMode: 1
; LDSByteSize: 0 bytes/workgroup (compile time only)
; SGPRBlocks: 3
; VGPRBlocks: 2
; NumSGPRsForWavesPerEU: 32
; NumVGPRsForWavesPerEU: 22
; AccumOffset: 24
; Occupancy: 8
; WaveLimiterHint : 0
; COMPUTE_PGM_RSRC2:SCRATCH_EN: 0
; COMPUTE_PGM_RSRC2:USER_SGPR: 6
; COMPUTE_PGM_RSRC2:TRAP_HANDLER: 0
; COMPUTE_PGM_RSRC2:TGID_X_EN: 1
; COMPUTE_PGM_RSRC2:TGID_Y_EN: 0
; COMPUTE_PGM_RSRC2:TGID_Z_EN: 0
; COMPUTE_PGM_RSRC2:TIDIG_COMP_CNT: 0
; COMPUTE_PGM_RSRC3_GFX90A:ACCUM_OFFSET: 5
; COMPUTE_PGM_RSRC3_GFX90A:TG_SPLIT: 0
	.section	.text._ZN2at6native12_GLOBAL__N_125multi_tensor_apply_kernelINS1_18TensorListMetadataILi1EEENS1_14UnaryOpFunctorIN3c104HalfELi1ELi1ELi0EEEJNS0_5TruncIfEEEEEvT_T0_DpT1_,"axG",@progbits,_ZN2at6native12_GLOBAL__N_125multi_tensor_apply_kernelINS1_18TensorListMetadataILi1EEENS1_14UnaryOpFunctorIN3c104HalfELi1ELi1ELi0EEEJNS0_5TruncIfEEEEEvT_T0_DpT1_,comdat
	.globl	_ZN2at6native12_GLOBAL__N_125multi_tensor_apply_kernelINS1_18TensorListMetadataILi1EEENS1_14UnaryOpFunctorIN3c104HalfELi1ELi1ELi0EEEJNS0_5TruncIfEEEEEvT_T0_DpT1_ ; -- Begin function _ZN2at6native12_GLOBAL__N_125multi_tensor_apply_kernelINS1_18TensorListMetadataILi1EEENS1_14UnaryOpFunctorIN3c104HalfELi1ELi1ELi0EEEJNS0_5TruncIfEEEEEvT_T0_DpT1_
	.p2align	8
	.type	_ZN2at6native12_GLOBAL__N_125multi_tensor_apply_kernelINS1_18TensorListMetadataILi1EEENS1_14UnaryOpFunctorIN3c104HalfELi1ELi1ELi0EEEJNS0_5TruncIfEEEEEvT_T0_DpT1_,@function
_ZN2at6native12_GLOBAL__N_125multi_tensor_apply_kernelINS1_18TensorListMetadataILi1EEENS1_14UnaryOpFunctorIN3c104HalfELi1ELi1ELi0EEEJNS0_5TruncIfEEEEEvT_T0_DpT1_: ; @_ZN2at6native12_GLOBAL__N_125multi_tensor_apply_kernelINS1_18TensorListMetadataILi1EEENS1_14UnaryOpFunctorIN3c104HalfELi1ELi1ELi0EEEJNS0_5TruncIfEEEEEvT_T0_DpT1_
; %bb.0:
	v_mov_b32_e32 v1, s6
	global_load_ubyte v1, v1, s[4:5] offset:1760
	s_add_u32 s0, s4, s6
	s_mul_hi_u32 s1, s6, 3
	s_mul_i32 s6, s6, 3
	s_addc_u32 s2, s5, 0
	s_add_u32 s0, s0, s6
	s_addc_u32 s1, s2, s1
	s_load_dword s0, s[0:1], 0x820
	s_mov_b32 s7, 0
	s_waitcnt vmcnt(0)
	v_readfirstlane_b32 s2, v1
	s_lshl_b32 s1, s2, 3
	s_load_dwordx2 s[2:3], s[4:5], s1 offset:0x370
	s_load_dwordx2 s[12:13], s[4:5], s1 offset:0x0
	s_waitcnt lgkmcnt(0)
	s_ashr_i32 s1, s0, 31
	s_lshl_b64 s[14:15], s[0:1], 17
	s_lshl_b64 s[0:1], s[0:1], 16
	s_and_b32 s6, s12, 7
	s_sub_u32 s10, s2, s0
	s_subb_u32 s11, s3, s1
	s_and_b32 s0, s2, 3
	s_mov_b32 s1, s7
	s_or_b64 s[0:1], s[6:7], s[0:1]
	s_cmp_eq_u64 s[0:1], 0
	s_cbranch_scc1 .LBB272_21
; %bb.1:
	v_cmp_lt_i64_e64 s[0:1], s[10:11], 1
	s_and_b64 vcc, exec, s[0:1]
	s_cbranch_vccnz .LBB272_20
; %bb.2:
	s_load_dword s0, s[4:5], 0xd3c
	v_mov_b32_e32 v2, 0x10000
	v_mov_b32_e32 v3, 0
	v_cmp_lt_u64_e32 vcc, s[10:11], v[2:3]
	v_lshlrev_b32_e32 v1, 1, v0
	s_waitcnt lgkmcnt(0)
	s_and_b32 s2, s0, 0xffff
	s_and_b64 s[0:1], vcc, exec
	s_cselect_b32 s17, s11, 0
	s_cselect_b32 s16, s10, 0x10000
	s_lshl_b32 s3, s2, 1
	s_lshl_b32 s23, s2, 2
	s_add_u32 s6, s12, s14
	s_addc_u32 s7, s13, s15
	v_mov_b32_e32 v5, s7
	v_add_co_u32_e32 v4, vcc, s6, v1
	s_mul_i32 s0, s2, 3
	v_addc_co_u32_e32 v5, vcc, 0, v5, vcc
	v_add_co_u32_e32 v1, vcc, s0, v0
	v_addc_co_u32_e64 v10, s[0:1], 0, 0, vcc
	v_add_co_u32_e32 v11, vcc, s3, v0
	v_addc_co_u32_e64 v12, s[0:1], 0, 0, vcc
	v_add_co_u32_e32 v13, vcc, s2, v0
	v_lshlrev_b32_e32 v6, 1, v13
	s_mov_b32 s22, 0
	v_addc_co_u32_e64 v14, s[0:1], 0, 0, vcc
	v_mov_b32_e32 v7, s7
	v_add_co_u32_e32 v6, vcc, s6, v6
	s_lshl_b32 s24, s2, 3
	s_mul_i32 s25, s2, 6
	s_mov_b32 s26, s22
	v_addc_co_u32_e32 v7, vcc, 0, v7, vcc
	s_mov_b64 s[18:19], 0
	v_pk_mov_b32 v[8:9], s[10:11], s[10:11] op_sel:[0,1]
	v_mov_b32_e32 v15, s22
	s_branch .LBB272_4
.LBB272_3:                              ;   in Loop: Header=BB272_4 Depth=1
	s_or_b64 exec, exec, s[0:1]
	s_add_u32 s18, s18, s23
	s_addc_u32 s19, s19, 0
	v_cmp_lt_i64_e32 vcc, s[18:19], v[8:9]
	v_cmp_lt_u64_e64 s[0:1], s[18:19], v[2:3]
	s_and_b64 s[0:1], vcc, s[0:1]
	v_add_co_u32_e32 v4, vcc, s24, v4
	v_addc_co_u32_e32 v5, vcc, v5, v15, vcc
	v_add_co_u32_e32 v6, vcc, s24, v6
	v_addc_co_u32_e32 v7, vcc, v7, v15, vcc
	s_and_b64 vcc, exec, s[0:1]
	s_cbranch_vccz .LBB272_20
.LBB272_4:                              ; =>This Inner Loop Header: Depth=1
	s_waitcnt vmcnt(0)
	v_mov_b32_e32 v17, s19
	v_add_co_u32_e32 v16, vcc, s18, v0
	v_addc_co_u32_e32 v17, vcc, 0, v17, vcc
	v_cmp_gt_u64_e32 vcc, s[16:17], v[16:17]
	v_mov_b32_e32 v17, 0
	s_and_saveexec_b64 s[0:1], vcc
	s_cbranch_execz .LBB272_6
; %bb.5:                                ;   in Loop: Header=BB272_4 Depth=1
	global_load_ushort v17, v[4:5], off
.LBB272_6:                              ;   in Loop: Header=BB272_4 Depth=1
	s_or_b64 exec, exec, s[0:1]
	v_mov_b32_e32 v16, s19
	v_add_co_u32_e64 v18, s[0:1], s18, v13
	v_addc_co_u32_e64 v19, s[0:1], v14, v16, s[0:1]
	v_cmp_gt_u64_e64 s[0:1], s[16:17], v[18:19]
	v_mov_b32_e32 v18, 0
	s_and_saveexec_b64 s[2:3], s[0:1]
	s_cbranch_execz .LBB272_8
; %bb.7:                                ;   in Loop: Header=BB272_4 Depth=1
	global_load_ushort v18, v[6:7], off
.LBB272_8:                              ;   in Loop: Header=BB272_4 Depth=1
	s_or_b64 exec, exec, s[2:3]
	v_mov_b32_e32 v16, s19
	v_add_co_u32_e64 v20, s[2:3], s18, v11
	v_addc_co_u32_e64 v21, s[2:3], v12, v16, s[2:3]
	v_cmp_gt_u64_e64 s[2:3], s[16:17], v[20:21]
	v_mov_b32_e32 v16, 0
	v_mov_b32_e32 v19, 0
	s_and_saveexec_b64 s[8:9], s[2:3]
	s_cbranch_execz .LBB272_10
; %bb.9:                                ;   in Loop: Header=BB272_4 Depth=1
	v_mov_b32_e32 v19, s22
	v_add_co_u32_e64 v20, s[6:7], s23, v4
	v_addc_co_u32_e64 v21, s[6:7], v5, v19, s[6:7]
	global_load_ushort v19, v[20:21], off
.LBB272_10:                             ;   in Loop: Header=BB272_4 Depth=1
	s_or_b64 exec, exec, s[8:9]
	v_mov_b32_e32 v21, s19
	v_add_co_u32_e64 v20, s[6:7], s18, v1
	v_addc_co_u32_e64 v21, s[6:7], v10, v21, s[6:7]
	v_cmp_gt_u64_e64 s[6:7], s[16:17], v[20:21]
	s_and_saveexec_b64 s[20:21], s[6:7]
	s_cbranch_execnz .LBB272_15
; %bb.11:                               ;   in Loop: Header=BB272_4 Depth=1
	s_or_b64 exec, exec, s[20:21]
	s_and_saveexec_b64 s[8:9], vcc
	s_cbranch_execnz .LBB272_16
.LBB272_12:                             ;   in Loop: Header=BB272_4 Depth=1
	s_or_b64 exec, exec, s[8:9]
	s_and_saveexec_b64 s[8:9], s[0:1]
	s_cbranch_execnz .LBB272_17
.LBB272_13:                             ;   in Loop: Header=BB272_4 Depth=1
	s_or_b64 exec, exec, s[8:9]
	s_and_saveexec_b64 s[0:1], s[2:3]
	s_cbranch_execnz .LBB272_18
.LBB272_14:                             ;   in Loop: Header=BB272_4 Depth=1
	s_or_b64 exec, exec, s[0:1]
	s_and_saveexec_b64 s[0:1], s[6:7]
	s_cbranch_execz .LBB272_3
	s_branch .LBB272_19
.LBB272_15:                             ;   in Loop: Header=BB272_4 Depth=1
	v_mov_b32_e32 v16, s26
	v_add_co_u32_e64 v20, s[8:9], s25, v4
	v_addc_co_u32_e64 v21, s[8:9], v5, v16, s[8:9]
	global_load_ushort v16, v[20:21], off
	s_or_b64 exec, exec, s[20:21]
	s_and_saveexec_b64 s[8:9], vcc
	s_cbranch_execz .LBB272_12
.LBB272_16:                             ;   in Loop: Header=BB272_4 Depth=1
	s_waitcnt vmcnt(0)
	v_cvt_f32_f16_e32 v17, v17
	v_trunc_f32_e32 v20, v17
	v_sub_f32_e32 v17, v17, v20
	v_cvt_f16_f32_e32 v17, v17
	global_store_short v[4:5], v17, off
	s_or_b64 exec, exec, s[8:9]
	s_and_saveexec_b64 s[8:9], s[0:1]
	s_cbranch_execz .LBB272_13
.LBB272_17:                             ;   in Loop: Header=BB272_4 Depth=1
	s_waitcnt vmcnt(0)
	v_cvt_f32_f16_e32 v17, v18
	v_trunc_f32_e32 v18, v17
	v_sub_f32_e32 v17, v17, v18
	v_cvt_f16_f32_e32 v17, v17
	global_store_short v[6:7], v17, off
	s_or_b64 exec, exec, s[8:9]
	s_and_saveexec_b64 s[0:1], s[2:3]
	s_cbranch_execz .LBB272_14
.LBB272_18:                             ;   in Loop: Header=BB272_4 Depth=1
	s_waitcnt vmcnt(0)
	v_cvt_f32_f16_e32 v17, v19
	v_mov_b32_e32 v19, s22
	v_trunc_f32_e32 v18, v17
	v_sub_f32_e32 v17, v17, v18
	v_cvt_f16_f32_e32 v17, v17
	v_add_co_u32_e32 v18, vcc, s23, v4
	v_addc_co_u32_e32 v19, vcc, v5, v19, vcc
	global_store_short v[18:19], v17, off
	s_or_b64 exec, exec, s[0:1]
	s_and_saveexec_b64 s[0:1], s[6:7]
	s_cbranch_execz .LBB272_3
.LBB272_19:                             ;   in Loop: Header=BB272_4 Depth=1
	s_waitcnt vmcnt(0)
	v_cvt_f32_f16_e32 v16, v16
	v_mov_b32_e32 v17, s26
	v_trunc_f32_e32 v18, v16
	v_sub_f32_e32 v16, v16, v18
	v_cvt_f16_f32_e32 v18, v16
	v_add_co_u32_e32 v16, vcc, s25, v4
	v_addc_co_u32_e32 v17, vcc, v5, v17, vcc
	global_store_short v[16:17], v18, off
	s_branch .LBB272_3
.LBB272_20:
	s_cbranch_execz .LBB272_22
	s_branch .LBB272_25
.LBB272_21:
.LBB272_22:
	v_mov_b32_e32 v3, 0
	v_lshlrev_b32_e32 v2, 2, v0
	s_mov_b32 s0, 0
	v_cmp_gt_i64_e32 vcc, s[10:11], v[2:3]
	s_and_saveexec_b64 s[2:3], vcc
	s_cbranch_execz .LBB272_25
; %bb.23:
	s_load_dword s1, s[4:5], 0xd3c
	v_lshlrev_b32_e32 v1, 3, v0
	s_mov_b64 s[4:5], 0xffff
	s_waitcnt lgkmcnt(0)
	s_and_b32 s1, s1, 0xffff
	s_add_u32 s2, s12, s14
	s_addc_u32 s3, s13, s15
	v_mov_b32_e32 v2, s3
	v_add_co_u32_e32 v4, vcc, s2, v1
	v_addc_co_u32_e32 v5, vcc, 0, v2, vcc
	s_lshl_b32 s6, s1, 3
	v_add_lshl_u32 v2, v0, s1, 2
	s_lshl_b32 s7, s1, 2
	s_mov_b64 s[2:3], 0
	v_mov_b32_e32 v0, s0
	v_mov_b32_e32 v1, s0
.LBB272_24:                             ; =>This Inner Loop Header: Depth=1
	global_load_dwordx2 v[6:7], v[4:5], off
	v_cmp_le_i64_e32 vcc, s[10:11], v[2:3]
	v_cmp_lt_u64_e64 s[0:1], s[4:5], v[2:3]
	s_or_b64 s[0:1], vcc, s[0:1]
	s_and_b64 s[0:1], exec, s[0:1]
	s_or_b64 s[2:3], s[0:1], s[2:3]
	s_waitcnt vmcnt(0)
	v_cvt_f32_f16_sdwa v8, v7 dst_sel:DWORD dst_unused:UNUSED_PAD src0_sel:WORD_1
	v_cvt_f32_f16_sdwa v9, v6 dst_sel:DWORD dst_unused:UNUSED_PAD src0_sel:WORD_1
	v_cvt_f32_f16_e32 v7, v7
	v_cvt_f32_f16_e32 v6, v6
	v_trunc_f32_e32 v10, v8
	v_trunc_f32_e32 v11, v9
	;; [unrolled: 1-line block ×4, first 2 shown]
	v_sub_f32_e32 v9, v9, v11
	v_sub_f32_e32 v8, v8, v10
	;; [unrolled: 1-line block ×4, first 2 shown]
	v_cvt_f16_f32_e32 v8, v8
	v_cvt_f16_f32_e32 v7, v7
	;; [unrolled: 1-line block ×4, first 2 shown]
	v_pack_b32_f16 v7, v7, v8
	v_pack_b32_f16 v6, v6, v9
	global_store_dwordx2 v[4:5], v[6:7], off
	v_add_co_u32_e32 v4, vcc, s6, v4
	v_addc_co_u32_e32 v5, vcc, v5, v0, vcc
	v_add_co_u32_e32 v2, vcc, s7, v2
	v_addc_co_u32_e32 v3, vcc, v3, v1, vcc
	s_andn2_b64 exec, exec, s[2:3]
	s_cbranch_execnz .LBB272_24
.LBB272_25:
	s_endpgm
	.section	.rodata,"a",@progbits
	.p2align	6, 0x0
	.amdhsa_kernel _ZN2at6native12_GLOBAL__N_125multi_tensor_apply_kernelINS1_18TensorListMetadataILi1EEENS1_14UnaryOpFunctorIN3c104HalfELi1ELi1ELi0EEEJNS0_5TruncIfEEEEEvT_T0_DpT1_
		.amdhsa_group_segment_fixed_size 0
		.amdhsa_private_segment_fixed_size 0
		.amdhsa_kernarg_size 3632
		.amdhsa_user_sgpr_count 6
		.amdhsa_user_sgpr_private_segment_buffer 1
		.amdhsa_user_sgpr_dispatch_ptr 0
		.amdhsa_user_sgpr_queue_ptr 0
		.amdhsa_user_sgpr_kernarg_segment_ptr 1
		.amdhsa_user_sgpr_dispatch_id 0
		.amdhsa_user_sgpr_flat_scratch_init 0
		.amdhsa_user_sgpr_kernarg_preload_length 0
		.amdhsa_user_sgpr_kernarg_preload_offset 0
		.amdhsa_user_sgpr_private_segment_size 0
		.amdhsa_uses_dynamic_stack 0
		.amdhsa_system_sgpr_private_segment_wavefront_offset 0
		.amdhsa_system_sgpr_workgroup_id_x 1
		.amdhsa_system_sgpr_workgroup_id_y 0
		.amdhsa_system_sgpr_workgroup_id_z 0
		.amdhsa_system_sgpr_workgroup_info 0
		.amdhsa_system_vgpr_workitem_id 0
		.amdhsa_next_free_vgpr 22
		.amdhsa_next_free_sgpr 27
		.amdhsa_accum_offset 24
		.amdhsa_reserve_vcc 1
		.amdhsa_reserve_flat_scratch 0
		.amdhsa_float_round_mode_32 0
		.amdhsa_float_round_mode_16_64 0
		.amdhsa_float_denorm_mode_32 3
		.amdhsa_float_denorm_mode_16_64 3
		.amdhsa_dx10_clamp 1
		.amdhsa_ieee_mode 1
		.amdhsa_fp16_overflow 0
		.amdhsa_tg_split 0
		.amdhsa_exception_fp_ieee_invalid_op 0
		.amdhsa_exception_fp_denorm_src 0
		.amdhsa_exception_fp_ieee_div_zero 0
		.amdhsa_exception_fp_ieee_overflow 0
		.amdhsa_exception_fp_ieee_underflow 0
		.amdhsa_exception_fp_ieee_inexact 0
		.amdhsa_exception_int_div_zero 0
	.end_amdhsa_kernel
	.section	.text._ZN2at6native12_GLOBAL__N_125multi_tensor_apply_kernelINS1_18TensorListMetadataILi1EEENS1_14UnaryOpFunctorIN3c104HalfELi1ELi1ELi0EEEJNS0_5TruncIfEEEEEvT_T0_DpT1_,"axG",@progbits,_ZN2at6native12_GLOBAL__N_125multi_tensor_apply_kernelINS1_18TensorListMetadataILi1EEENS1_14UnaryOpFunctorIN3c104HalfELi1ELi1ELi0EEEJNS0_5TruncIfEEEEEvT_T0_DpT1_,comdat
.Lfunc_end272:
	.size	_ZN2at6native12_GLOBAL__N_125multi_tensor_apply_kernelINS1_18TensorListMetadataILi1EEENS1_14UnaryOpFunctorIN3c104HalfELi1ELi1ELi0EEEJNS0_5TruncIfEEEEEvT_T0_DpT1_, .Lfunc_end272-_ZN2at6native12_GLOBAL__N_125multi_tensor_apply_kernelINS1_18TensorListMetadataILi1EEENS1_14UnaryOpFunctorIN3c104HalfELi1ELi1ELi0EEEJNS0_5TruncIfEEEEEvT_T0_DpT1_
                                        ; -- End function
	.section	.AMDGPU.csdata,"",@progbits
; Kernel info:
; codeLenInByte = 1116
; NumSgprs: 31
; NumVgprs: 22
; NumAgprs: 0
; TotalNumVgprs: 22
; ScratchSize: 0
; MemoryBound: 0
; FloatMode: 240
; IeeeMode: 1
; LDSByteSize: 0 bytes/workgroup (compile time only)
; SGPRBlocks: 3
; VGPRBlocks: 2
; NumSGPRsForWavesPerEU: 31
; NumVGPRsForWavesPerEU: 22
; AccumOffset: 24
; Occupancy: 8
; WaveLimiterHint : 0
; COMPUTE_PGM_RSRC2:SCRATCH_EN: 0
; COMPUTE_PGM_RSRC2:USER_SGPR: 6
; COMPUTE_PGM_RSRC2:TRAP_HANDLER: 0
; COMPUTE_PGM_RSRC2:TGID_X_EN: 1
; COMPUTE_PGM_RSRC2:TGID_Y_EN: 0
; COMPUTE_PGM_RSRC2:TGID_Z_EN: 0
; COMPUTE_PGM_RSRC2:TIDIG_COMP_CNT: 0
; COMPUTE_PGM_RSRC3_GFX90A:ACCUM_OFFSET: 5
; COMPUTE_PGM_RSRC3_GFX90A:TG_SPLIT: 0
	.section	.text._ZN2at6native12_GLOBAL__N_125multi_tensor_apply_kernelINS1_18TensorListMetadataILi1EEENS1_14UnaryOpFunctorIN3c108BFloat16ELi1ELi1ELi0EEEJNS0_5TruncIfEEEEEvT_T0_DpT1_,"axG",@progbits,_ZN2at6native12_GLOBAL__N_125multi_tensor_apply_kernelINS1_18TensorListMetadataILi1EEENS1_14UnaryOpFunctorIN3c108BFloat16ELi1ELi1ELi0EEEJNS0_5TruncIfEEEEEvT_T0_DpT1_,comdat
	.globl	_ZN2at6native12_GLOBAL__N_125multi_tensor_apply_kernelINS1_18TensorListMetadataILi1EEENS1_14UnaryOpFunctorIN3c108BFloat16ELi1ELi1ELi0EEEJNS0_5TruncIfEEEEEvT_T0_DpT1_ ; -- Begin function _ZN2at6native12_GLOBAL__N_125multi_tensor_apply_kernelINS1_18TensorListMetadataILi1EEENS1_14UnaryOpFunctorIN3c108BFloat16ELi1ELi1ELi0EEEJNS0_5TruncIfEEEEEvT_T0_DpT1_
	.p2align	8
	.type	_ZN2at6native12_GLOBAL__N_125multi_tensor_apply_kernelINS1_18TensorListMetadataILi1EEENS1_14UnaryOpFunctorIN3c108BFloat16ELi1ELi1ELi0EEEJNS0_5TruncIfEEEEEvT_T0_DpT1_,@function
_ZN2at6native12_GLOBAL__N_125multi_tensor_apply_kernelINS1_18TensorListMetadataILi1EEENS1_14UnaryOpFunctorIN3c108BFloat16ELi1ELi1ELi0EEEJNS0_5TruncIfEEEEEvT_T0_DpT1_: ; @_ZN2at6native12_GLOBAL__N_125multi_tensor_apply_kernelINS1_18TensorListMetadataILi1EEENS1_14UnaryOpFunctorIN3c108BFloat16ELi1ELi1ELi0EEEJNS0_5TruncIfEEEEEvT_T0_DpT1_
; %bb.0:
	v_mov_b32_e32 v1, s6
	global_load_ubyte v1, v1, s[4:5] offset:1760
	s_add_u32 s0, s4, s6
	s_mul_hi_u32 s1, s6, 3
	s_mul_i32 s6, s6, 3
	s_addc_u32 s2, s5, 0
	s_add_u32 s0, s0, s6
	s_addc_u32 s1, s2, s1
	s_load_dword s0, s[0:1], 0x820
	s_mov_b32 s7, 0
	s_waitcnt vmcnt(0)
	v_readfirstlane_b32 s2, v1
	s_lshl_b32 s1, s2, 3
	s_load_dwordx2 s[2:3], s[4:5], s1 offset:0x370
	s_load_dwordx2 s[12:13], s[4:5], s1 offset:0x0
	s_waitcnt lgkmcnt(0)
	s_ashr_i32 s1, s0, 31
	s_lshl_b64 s[14:15], s[0:1], 17
	s_lshl_b64 s[0:1], s[0:1], 16
	s_and_b32 s6, s12, 7
	s_sub_u32 s10, s2, s0
	s_subb_u32 s11, s3, s1
	s_and_b32 s0, s2, 3
	s_mov_b32 s1, s7
	s_or_b64 s[0:1], s[6:7], s[0:1]
	s_cmp_eq_u64 s[0:1], 0
	s_cbranch_scc1 .LBB273_21
; %bb.1:
	v_cmp_lt_i64_e64 s[0:1], s[10:11], 1
	s_and_b64 vcc, exec, s[0:1]
	s_cbranch_vccnz .LBB273_20
; %bb.2:
	s_load_dword s0, s[4:5], 0xd3c
	v_mov_b32_e32 v2, 0x10000
	v_mov_b32_e32 v3, 0
	v_cmp_lt_u64_e32 vcc, s[10:11], v[2:3]
	v_lshlrev_b32_e32 v1, 1, v0
	s_waitcnt lgkmcnt(0)
	s_and_b32 s2, s0, 0xffff
	s_and_b64 s[0:1], vcc, exec
	s_cselect_b32 s17, s11, 0
	s_cselect_b32 s16, s10, 0x10000
	s_lshl_b32 s3, s2, 1
	s_lshl_b32 s23, s2, 2
	s_add_u32 s6, s12, s14
	s_addc_u32 s7, s13, s15
	v_mov_b32_e32 v5, s7
	v_add_co_u32_e32 v4, vcc, s6, v1
	s_mul_i32 s0, s2, 3
	v_addc_co_u32_e32 v5, vcc, 0, v5, vcc
	v_add_co_u32_e32 v1, vcc, s0, v0
	v_addc_co_u32_e64 v10, s[0:1], 0, 0, vcc
	v_add_co_u32_e32 v11, vcc, s3, v0
	v_addc_co_u32_e64 v12, s[0:1], 0, 0, vcc
	v_add_co_u32_e32 v13, vcc, s2, v0
	v_lshlrev_b32_e32 v6, 1, v13
	s_mov_b32 s22, 0
	v_addc_co_u32_e64 v14, s[0:1], 0, 0, vcc
	v_mov_b32_e32 v7, s7
	v_add_co_u32_e32 v6, vcc, s6, v6
	s_lshl_b32 s24, s2, 3
	s_mul_i32 s25, s2, 6
	s_mov_b32 s26, s22
	v_addc_co_u32_e32 v7, vcc, 0, v7, vcc
	s_mov_b64 s[18:19], 0
	s_movk_i32 s27, 0x7fff
	v_pk_mov_b32 v[8:9], s[10:11], s[10:11] op_sel:[0,1]
	v_mov_b32_e32 v15, s22
	v_mov_b32_e32 v16, 0x7fc0
	s_branch .LBB273_4
.LBB273_3:                              ;   in Loop: Header=BB273_4 Depth=1
	s_or_b64 exec, exec, s[0:1]
	s_add_u32 s18, s18, s23
	s_addc_u32 s19, s19, 0
	v_cmp_lt_i64_e32 vcc, s[18:19], v[8:9]
	v_cmp_lt_u64_e64 s[0:1], s[18:19], v[2:3]
	s_and_b64 s[0:1], vcc, s[0:1]
	v_add_co_u32_e32 v4, vcc, s24, v4
	v_addc_co_u32_e32 v5, vcc, v5, v15, vcc
	v_add_co_u32_e32 v6, vcc, s24, v6
	v_addc_co_u32_e32 v7, vcc, v7, v15, vcc
	s_and_b64 vcc, exec, s[0:1]
	s_cbranch_vccz .LBB273_20
.LBB273_4:                              ; =>This Inner Loop Header: Depth=1
	s_waitcnt vmcnt(0)
	v_mov_b32_e32 v17, s19
	v_add_co_u32_e32 v18, vcc, s18, v0
	v_addc_co_u32_e32 v19, vcc, 0, v17, vcc
	v_cmp_gt_u64_e32 vcc, s[16:17], v[18:19]
	v_mov_b32_e32 v18, 0
	s_and_saveexec_b64 s[0:1], vcc
	s_cbranch_execz .LBB273_6
; %bb.5:                                ;   in Loop: Header=BB273_4 Depth=1
	global_load_ushort v18, v[4:5], off
.LBB273_6:                              ;   in Loop: Header=BB273_4 Depth=1
	s_or_b64 exec, exec, s[0:1]
	v_mov_b32_e32 v17, s19
	v_add_co_u32_e64 v20, s[0:1], s18, v13
	v_addc_co_u32_e64 v21, s[0:1], v14, v17, s[0:1]
	v_cmp_gt_u64_e64 s[0:1], s[16:17], v[20:21]
	v_mov_b32_e32 v19, 0
	s_and_saveexec_b64 s[2:3], s[0:1]
	s_cbranch_execz .LBB273_8
; %bb.7:                                ;   in Loop: Header=BB273_4 Depth=1
	global_load_ushort v19, v[6:7], off
.LBB273_8:                              ;   in Loop: Header=BB273_4 Depth=1
	s_or_b64 exec, exec, s[2:3]
	v_mov_b32_e32 v17, s19
	v_add_co_u32_e64 v20, s[2:3], s18, v11
	v_addc_co_u32_e64 v21, s[2:3], v12, v17, s[2:3]
	v_cmp_gt_u64_e64 s[2:3], s[16:17], v[20:21]
	v_mov_b32_e32 v17, 0
	v_mov_b32_e32 v20, 0
	s_and_saveexec_b64 s[8:9], s[2:3]
	s_cbranch_execz .LBB273_10
; %bb.9:                                ;   in Loop: Header=BB273_4 Depth=1
	v_mov_b32_e32 v21, s22
	v_add_co_u32_e64 v20, s[6:7], s23, v4
	v_addc_co_u32_e64 v21, s[6:7], v5, v21, s[6:7]
	global_load_ushort v20, v[20:21], off
.LBB273_10:                             ;   in Loop: Header=BB273_4 Depth=1
	s_or_b64 exec, exec, s[8:9]
	v_mov_b32_e32 v21, s19
	v_add_co_u32_e64 v22, s[6:7], s18, v1
	v_addc_co_u32_e64 v23, s[6:7], v10, v21, s[6:7]
	v_cmp_gt_u64_e64 s[6:7], s[16:17], v[22:23]
	s_and_saveexec_b64 s[20:21], s[6:7]
	s_cbranch_execnz .LBB273_15
; %bb.11:                               ;   in Loop: Header=BB273_4 Depth=1
	s_or_b64 exec, exec, s[20:21]
	s_and_saveexec_b64 s[8:9], vcc
	s_cbranch_execnz .LBB273_16
.LBB273_12:                             ;   in Loop: Header=BB273_4 Depth=1
	s_or_b64 exec, exec, s[8:9]
	s_and_saveexec_b64 s[8:9], s[0:1]
	s_cbranch_execnz .LBB273_17
.LBB273_13:                             ;   in Loop: Header=BB273_4 Depth=1
	s_or_b64 exec, exec, s[8:9]
	s_and_saveexec_b64 s[0:1], s[2:3]
	s_cbranch_execnz .LBB273_18
.LBB273_14:                             ;   in Loop: Header=BB273_4 Depth=1
	s_or_b64 exec, exec, s[0:1]
	s_and_saveexec_b64 s[0:1], s[6:7]
	s_cbranch_execz .LBB273_3
	s_branch .LBB273_19
.LBB273_15:                             ;   in Loop: Header=BB273_4 Depth=1
	v_mov_b32_e32 v17, s26
	v_add_co_u32_e64 v22, s[8:9], s25, v4
	v_addc_co_u32_e64 v23, s[8:9], v5, v17, s[8:9]
	global_load_ushort v17, v[22:23], off
	s_or_b64 exec, exec, s[20:21]
	s_and_saveexec_b64 s[8:9], vcc
	s_cbranch_execz .LBB273_12
.LBB273_16:                             ;   in Loop: Header=BB273_4 Depth=1
	s_waitcnt vmcnt(0)
	v_lshlrev_b32_e32 v18, 16, v18
	v_trunc_f32_e32 v21, v18
	v_sub_f32_e32 v18, v18, v21
	v_bfe_u32 v21, v18, 16, 1
	v_add3_u32 v21, v18, v21, s27
	v_lshrrev_b32_e32 v21, 16, v21
	v_cmp_o_f32_e32 vcc, v18, v18
	v_cndmask_b32_e32 v18, v16, v21, vcc
	global_store_short v[4:5], v18, off
	s_or_b64 exec, exec, s[8:9]
	s_and_saveexec_b64 s[8:9], s[0:1]
	s_cbranch_execz .LBB273_13
.LBB273_17:                             ;   in Loop: Header=BB273_4 Depth=1
	s_waitcnt vmcnt(0)
	v_lshlrev_b32_e32 v18, 16, v19
	v_trunc_f32_e32 v19, v18
	v_sub_f32_e32 v18, v18, v19
	v_bfe_u32 v19, v18, 16, 1
	v_add3_u32 v19, v18, v19, s27
	v_lshrrev_b32_e32 v19, 16, v19
	v_cmp_o_f32_e32 vcc, v18, v18
	v_cndmask_b32_e32 v18, v16, v19, vcc
	global_store_short v[6:7], v18, off
	s_or_b64 exec, exec, s[8:9]
	s_and_saveexec_b64 s[0:1], s[2:3]
	s_cbranch_execz .LBB273_14
.LBB273_18:                             ;   in Loop: Header=BB273_4 Depth=1
	s_waitcnt vmcnt(0)
	v_lshlrev_b32_e32 v18, 16, v20
	v_trunc_f32_e32 v19, v18
	v_sub_f32_e32 v18, v18, v19
	v_bfe_u32 v19, v18, 16, 1
	v_add3_u32 v19, v18, v19, s27
	v_lshrrev_b32_e32 v19, 16, v19
	v_cmp_o_f32_e32 vcc, v18, v18
	v_cndmask_b32_e32 v20, v16, v19, vcc
	v_mov_b32_e32 v19, s22
	v_add_co_u32_e32 v18, vcc, s23, v4
	v_addc_co_u32_e32 v19, vcc, v5, v19, vcc
	global_store_short v[18:19], v20, off
	s_or_b64 exec, exec, s[0:1]
	s_and_saveexec_b64 s[0:1], s[6:7]
	s_cbranch_execz .LBB273_3
.LBB273_19:                             ;   in Loop: Header=BB273_4 Depth=1
	s_waitcnt vmcnt(0)
	v_lshlrev_b32_e32 v17, 16, v17
	v_trunc_f32_e32 v18, v17
	v_sub_f32_e32 v17, v17, v18
	v_bfe_u32 v18, v17, 16, 1
	v_add3_u32 v18, v17, v18, s27
	v_lshrrev_b32_e32 v18, 16, v18
	v_cmp_o_f32_e32 vcc, v17, v17
	v_cndmask_b32_e32 v17, v16, v18, vcc
	v_mov_b32_e32 v19, s26
	v_add_co_u32_e32 v18, vcc, s25, v4
	v_addc_co_u32_e32 v19, vcc, v5, v19, vcc
	global_store_short v[18:19], v17, off
	s_branch .LBB273_3
.LBB273_20:
	s_cbranch_execz .LBB273_22
	s_branch .LBB273_25
.LBB273_21:
.LBB273_22:
	v_mov_b32_e32 v3, 0
	v_lshlrev_b32_e32 v2, 2, v0
	s_mov_b32 s0, 0
	v_cmp_gt_i64_e32 vcc, s[10:11], v[2:3]
	s_and_saveexec_b64 s[2:3], vcc
	s_cbranch_execz .LBB273_25
; %bb.23:
	s_load_dword s1, s[4:5], 0xd3c
	v_lshlrev_b32_e32 v1, 3, v0
	s_movk_i32 s8, 0x7fff
	s_mov_b64 s[4:5], 0xffff
	v_mov_b32_e32 v6, s0
	s_waitcnt lgkmcnt(0)
	s_and_b32 s1, s1, 0xffff
	s_add_u32 s2, s12, s14
	s_addc_u32 s3, s13, s15
	v_mov_b32_e32 v2, s3
	v_add_co_u32_e32 v4, vcc, s2, v1
	v_addc_co_u32_e32 v5, vcc, 0, v2, vcc
	s_lshl_b32 s6, s1, 3
	v_add_lshl_u32 v2, v0, s1, 2
	s_lshl_b32 s7, s1, 2
	s_mov_b64 s[2:3], 0
	v_mov_b32_e32 v0, 0x7fc00000
	v_mov_b32_e32 v1, 0x7fc0
	;; [unrolled: 1-line block ×3, first 2 shown]
.LBB273_24:                             ; =>This Inner Loop Header: Depth=1
	global_load_dwordx2 v[8:9], v[4:5], off
	v_cmp_le_i64_e32 vcc, s[10:11], v[2:3]
	v_cmp_lt_u64_e64 s[0:1], s[4:5], v[2:3]
	s_or_b64 s[0:1], vcc, s[0:1]
	s_and_b64 s[0:1], exec, s[0:1]
	s_or_b64 s[2:3], s[0:1], s[2:3]
	s_waitcnt vmcnt(0)
	v_and_b32_e32 v10, 0xffff0000, v8
	v_lshlrev_b32_e32 v11, 16, v8
	v_alignbit_b32 v8, v9, v8, 16
	v_and_b32_e32 v9, 0xffff0000, v9
	v_trunc_f32_e32 v12, v11
	v_and_b32_e32 v8, 0xffff0000, v8
	v_trunc_f32_e32 v14, v9
	v_trunc_f32_e32 v13, v10
	v_sub_f32_e32 v11, v11, v12
	v_trunc_f32_e32 v12, v8
	v_sub_f32_e32 v9, v9, v14
	v_sub_f32_e32 v10, v10, v13
	;; [unrolled: 1-line block ×3, first 2 shown]
	v_bfe_u32 v12, v9, 16, 1
	v_bfe_u32 v14, v10, 16, 1
	v_add3_u32 v12, v9, v12, s8
	v_bfe_u32 v13, v11, 16, 1
	v_add3_u32 v14, v10, v14, s8
	v_and_b32_e32 v12, 0xffff0000, v12
	v_cmp_o_f32_e32 vcc, v9, v9
	v_add3_u32 v13, v11, v13, s8
	v_bfe_u32 v15, v8, 16, 1
	v_and_b32_e32 v14, 0xffff0000, v14
	v_cndmask_b32_e32 v9, v0, v12, vcc
	v_cmp_o_f32_e32 vcc, v10, v10
	v_lshrrev_b32_e32 v13, 16, v13
	v_add3_u32 v15, v8, v15, s8
	v_cndmask_b32_e32 v10, v0, v14, vcc
	v_cmp_o_f32_e32 vcc, v11, v11
	v_lshrrev_b32_e32 v15, 16, v15
	v_cndmask_b32_e32 v11, v1, v13, vcc
	v_cmp_o_f32_e32 vcc, v8, v8
	v_cndmask_b32_e32 v8, v1, v15, vcc
	v_or_b32_e32 v10, v11, v10
	v_or3_b32 v9, 0, v8, v9
	v_or3_b32 v8, v10, 0, 0
	global_store_dwordx2 v[4:5], v[8:9], off
	v_add_co_u32_e32 v4, vcc, s6, v4
	v_addc_co_u32_e32 v5, vcc, v5, v6, vcc
	v_add_co_u32_e32 v2, vcc, s7, v2
	v_addc_co_u32_e32 v3, vcc, v3, v7, vcc
	s_andn2_b64 exec, exec, s[2:3]
	s_cbranch_execnz .LBB273_24
.LBB273_25:
	s_endpgm
	.section	.rodata,"a",@progbits
	.p2align	6, 0x0
	.amdhsa_kernel _ZN2at6native12_GLOBAL__N_125multi_tensor_apply_kernelINS1_18TensorListMetadataILi1EEENS1_14UnaryOpFunctorIN3c108BFloat16ELi1ELi1ELi0EEEJNS0_5TruncIfEEEEEvT_T0_DpT1_
		.amdhsa_group_segment_fixed_size 0
		.amdhsa_private_segment_fixed_size 0
		.amdhsa_kernarg_size 3632
		.amdhsa_user_sgpr_count 6
		.amdhsa_user_sgpr_private_segment_buffer 1
		.amdhsa_user_sgpr_dispatch_ptr 0
		.amdhsa_user_sgpr_queue_ptr 0
		.amdhsa_user_sgpr_kernarg_segment_ptr 1
		.amdhsa_user_sgpr_dispatch_id 0
		.amdhsa_user_sgpr_flat_scratch_init 0
		.amdhsa_user_sgpr_kernarg_preload_length 0
		.amdhsa_user_sgpr_kernarg_preload_offset 0
		.amdhsa_user_sgpr_private_segment_size 0
		.amdhsa_uses_dynamic_stack 0
		.amdhsa_system_sgpr_private_segment_wavefront_offset 0
		.amdhsa_system_sgpr_workgroup_id_x 1
		.amdhsa_system_sgpr_workgroup_id_y 0
		.amdhsa_system_sgpr_workgroup_id_z 0
		.amdhsa_system_sgpr_workgroup_info 0
		.amdhsa_system_vgpr_workitem_id 0
		.amdhsa_next_free_vgpr 24
		.amdhsa_next_free_sgpr 28
		.amdhsa_accum_offset 24
		.amdhsa_reserve_vcc 1
		.amdhsa_reserve_flat_scratch 0
		.amdhsa_float_round_mode_32 0
		.amdhsa_float_round_mode_16_64 0
		.amdhsa_float_denorm_mode_32 3
		.amdhsa_float_denorm_mode_16_64 3
		.amdhsa_dx10_clamp 1
		.amdhsa_ieee_mode 1
		.amdhsa_fp16_overflow 0
		.amdhsa_tg_split 0
		.amdhsa_exception_fp_ieee_invalid_op 0
		.amdhsa_exception_fp_denorm_src 0
		.amdhsa_exception_fp_ieee_div_zero 0
		.amdhsa_exception_fp_ieee_overflow 0
		.amdhsa_exception_fp_ieee_underflow 0
		.amdhsa_exception_fp_ieee_inexact 0
		.amdhsa_exception_int_div_zero 0
	.end_amdhsa_kernel
	.section	.text._ZN2at6native12_GLOBAL__N_125multi_tensor_apply_kernelINS1_18TensorListMetadataILi1EEENS1_14UnaryOpFunctorIN3c108BFloat16ELi1ELi1ELi0EEEJNS0_5TruncIfEEEEEvT_T0_DpT1_,"axG",@progbits,_ZN2at6native12_GLOBAL__N_125multi_tensor_apply_kernelINS1_18TensorListMetadataILi1EEENS1_14UnaryOpFunctorIN3c108BFloat16ELi1ELi1ELi0EEEJNS0_5TruncIfEEEEEvT_T0_DpT1_,comdat
.Lfunc_end273:
	.size	_ZN2at6native12_GLOBAL__N_125multi_tensor_apply_kernelINS1_18TensorListMetadataILi1EEENS1_14UnaryOpFunctorIN3c108BFloat16ELi1ELi1ELi0EEEJNS0_5TruncIfEEEEEvT_T0_DpT1_, .Lfunc_end273-_ZN2at6native12_GLOBAL__N_125multi_tensor_apply_kernelINS1_18TensorListMetadataILi1EEENS1_14UnaryOpFunctorIN3c108BFloat16ELi1ELi1ELi0EEEJNS0_5TruncIfEEEEEvT_T0_DpT1_
                                        ; -- End function
	.section	.AMDGPU.csdata,"",@progbits
; Kernel info:
; codeLenInByte = 1364
; NumSgprs: 32
; NumVgprs: 24
; NumAgprs: 0
; TotalNumVgprs: 24
; ScratchSize: 0
; MemoryBound: 0
; FloatMode: 240
; IeeeMode: 1
; LDSByteSize: 0 bytes/workgroup (compile time only)
; SGPRBlocks: 3
; VGPRBlocks: 2
; NumSGPRsForWavesPerEU: 32
; NumVGPRsForWavesPerEU: 24
; AccumOffset: 24
; Occupancy: 8
; WaveLimiterHint : 0
; COMPUTE_PGM_RSRC2:SCRATCH_EN: 0
; COMPUTE_PGM_RSRC2:USER_SGPR: 6
; COMPUTE_PGM_RSRC2:TRAP_HANDLER: 0
; COMPUTE_PGM_RSRC2:TGID_X_EN: 1
; COMPUTE_PGM_RSRC2:TGID_Y_EN: 0
; COMPUTE_PGM_RSRC2:TGID_Z_EN: 0
; COMPUTE_PGM_RSRC2:TIDIG_COMP_CNT: 0
; COMPUTE_PGM_RSRC3_GFX90A:ACCUM_OFFSET: 5
; COMPUTE_PGM_RSRC3_GFX90A:TG_SPLIT: 0
	.section	.text._ZN2at6native12_GLOBAL__N_125multi_tensor_apply_kernelINS1_18TensorListMetadataILi2EEENS1_14UnaryOpFunctorIdLi2ELi1ELi1EEEJNS0_10ReciprocalIdEEEEEvT_T0_DpT1_,"axG",@progbits,_ZN2at6native12_GLOBAL__N_125multi_tensor_apply_kernelINS1_18TensorListMetadataILi2EEENS1_14UnaryOpFunctorIdLi2ELi1ELi1EEEJNS0_10ReciprocalIdEEEEEvT_T0_DpT1_,comdat
	.globl	_ZN2at6native12_GLOBAL__N_125multi_tensor_apply_kernelINS1_18TensorListMetadataILi2EEENS1_14UnaryOpFunctorIdLi2ELi1ELi1EEEJNS0_10ReciprocalIdEEEEEvT_T0_DpT1_ ; -- Begin function _ZN2at6native12_GLOBAL__N_125multi_tensor_apply_kernelINS1_18TensorListMetadataILi2EEENS1_14UnaryOpFunctorIdLi2ELi1ELi1EEEJNS0_10ReciprocalIdEEEEEvT_T0_DpT1_
	.p2align	8
	.type	_ZN2at6native12_GLOBAL__N_125multi_tensor_apply_kernelINS1_18TensorListMetadataILi2EEENS1_14UnaryOpFunctorIdLi2ELi1ELi1EEEJNS0_10ReciprocalIdEEEEEvT_T0_DpT1_,@function
_ZN2at6native12_GLOBAL__N_125multi_tensor_apply_kernelINS1_18TensorListMetadataILi2EEENS1_14UnaryOpFunctorIdLi2ELi1ELi1EEEJNS0_10ReciprocalIdEEEEEvT_T0_DpT1_: ; @_ZN2at6native12_GLOBAL__N_125multi_tensor_apply_kernelINS1_18TensorListMetadataILi2EEENS1_14UnaryOpFunctorIdLi2ELi1ELi1EEEJNS0_10ReciprocalIdEEEEEvT_T0_DpT1_
; %bb.0:
	v_mov_b32_e32 v1, s6
	global_load_ubyte v1, v1, s[4:5] offset:1536
	s_add_u32 s0, s4, s6
	s_mul_hi_u32 s1, s6, 3
	s_mul_i32 s6, s6, 3
	s_addc_u32 s2, s5, 0
	s_add_u32 s0, s0, s6
	s_addc_u32 s1, s2, s1
	s_load_dword s2, s[0:1], 0x740
	s_mov_b32 s1, 0
	s_mov_b32 s13, s1
	;; [unrolled: 1-line block ×3, first 2 shown]
	s_waitcnt lgkmcnt(0)
	s_ashr_i32 s3, s2, 31
	s_lshl_b64 s[10:11], s[2:3], 19
	s_waitcnt vmcnt(0)
	v_readfirstlane_b32 s0, v1
	s_lshl_b32 s0, s0, 3
	s_load_dwordx2 s[18:19], s[4:5], s0 offset:0x0
	s_load_dwordx2 s[8:9], s[4:5], 0xc50
	s_load_dwordx2 s[14:15], s[4:5], s0 offset:0x400
	s_load_dwordx2 s[16:17], s[4:5], s0 offset:0x200
	s_waitcnt lgkmcnt(0)
	s_add_u32 s24, s18, s10
	s_addc_u32 s25, s19, s11
	s_and_b32 s0, s24, 31
	s_add_u32 s26, s16, s10
	s_addc_u32 s27, s17, s11
	s_and_b32 s12, s14, 3
	s_and_b32 s6, s26, 31
	s_or_b64 s[12:13], s[0:1], s[12:13]
	s_or_b64 s[6:7], s[6:7], s[12:13]
	s_lshl_b64 s[2:3], s[2:3], 16
	s_sub_u32 s12, s14, s2
	s_subb_u32 s13, s15, s3
	s_cmp_eq_u64 s[6:7], 0
	s_mov_b64 s[2:3], -1
	s_cbranch_scc0 .LBB274_5
; %bb.1:
	v_mov_b32_e32 v3, 0
	v_lshlrev_b32_e32 v2, 2, v0
	v_cmp_gt_i64_e32 vcc, s[12:13], v[2:3]
	s_and_saveexec_b64 s[14:15], vcc
	s_cbranch_execz .LBB274_4
; %bb.2:
	s_load_dword s0, s[4:5], 0xc64
	v_lshlrev_b32_e32 v4, 5, v0
	s_mov_b64 s[20:21], 0
	s_mov_b64 s[22:23], 0xffff
	v_mov_b32_e32 v1, s1
	s_waitcnt lgkmcnt(0)
	s_and_b32 s0, s0, 0xffff
	v_add_lshl_u32 v2, v0, s0, 2
	s_lshl_b32 s28, s0, 2
	s_lshl_b32 s29, s0, 5
.LBB274_3:                              ; =>This Inner Loop Header: Depth=1
	v_mov_b32_e32 v5, s25
	v_add_co_u32_e32 v14, vcc, s24, v4
	v_addc_co_u32_e32 v15, vcc, 0, v5, vcc
	global_load_dwordx4 v[6:9], v[14:15], off
	global_load_dwordx4 v[10:13], v[14:15], off offset:16
	v_cmp_le_i64_e32 vcc, s[12:13], v[2:3]
	v_cmp_lt_u64_e64 s[0:1], s[22:23], v[2:3]
	s_or_b64 s[0:1], vcc, s[0:1]
	v_add_co_u32_e64 v2, s[2:3], s28, v2
	s_add_u32 s24, s24, s29
	v_addc_co_u32_e64 v3, s[2:3], v3, v1, s[2:3]
	s_addc_u32 s25, s25, 0
	v_add_co_u32_e64 v14, s[2:3], s26, v4
	s_add_u32 s26, s26, s29
	v_mov_b32_e32 v5, s27
	s_addc_u32 s27, s27, 0
	s_and_b64 s[0:1], exec, s[0:1]
	s_or_b64 s[20:21], s[0:1], s[20:21]
	v_addc_co_u32_e64 v15, s[2:3], 0, v5, s[2:3]
	s_waitcnt vmcnt(1)
	v_div_scale_f64 v[16:17], s[0:1], v[6:7], v[6:7], s[8:9]
	v_div_scale_f64 v[20:21], s[0:1], v[8:9], v[8:9], s[8:9]
	v_rcp_f64_e32 v[32:33], v[16:17]
	s_waitcnt vmcnt(0)
	v_div_scale_f64 v[24:25], s[2:3], v[10:11], v[10:11], s[8:9]
	v_rcp_f64_e32 v[34:35], v[20:21]
	v_div_scale_f64 v[28:29], s[6:7], v[12:13], v[12:13], s[8:9]
	v_rcp_f64_e32 v[36:37], v[24:25]
	v_rcp_f64_e32 v[38:39], v[28:29]
	v_fma_f64 v[40:41], -v[16:17], v[32:33], 1.0
	v_fma_f64 v[42:43], -v[20:21], v[34:35], 1.0
	v_fmac_f64_e32 v[32:33], v[32:33], v[40:41]
	v_fma_f64 v[44:45], -v[24:25], v[36:37], 1.0
	v_fmac_f64_e32 v[34:35], v[34:35], v[42:43]
	v_fma_f64 v[40:41], -v[16:17], v[32:33], 1.0
	v_div_scale_f64 v[18:19], vcc, s[8:9], v[6:7], s[8:9]
	v_fma_f64 v[46:47], -v[28:29], v[38:39], 1.0
	v_fmac_f64_e32 v[36:37], v[36:37], v[44:45]
	v_fma_f64 v[42:43], -v[20:21], v[34:35], 1.0
	v_fmac_f64_e32 v[32:33], v[32:33], v[40:41]
	v_div_scale_f64 v[22:23], s[0:1], s[8:9], v[8:9], s[8:9]
	v_fmac_f64_e32 v[38:39], v[38:39], v[46:47]
	v_fma_f64 v[44:45], -v[24:25], v[36:37], 1.0
	v_fmac_f64_e32 v[34:35], v[34:35], v[42:43]
	v_mul_f64 v[40:41], v[18:19], v[32:33]
	v_div_scale_f64 v[26:27], s[2:3], s[8:9], v[10:11], s[8:9]
	v_fma_f64 v[46:47], -v[28:29], v[38:39], 1.0
	v_fmac_f64_e32 v[36:37], v[36:37], v[44:45]
	v_mul_f64 v[42:43], v[22:23], v[34:35]
	v_fma_f64 v[16:17], -v[16:17], v[40:41], v[18:19]
	v_div_scale_f64 v[30:31], s[6:7], s[8:9], v[12:13], s[8:9]
	v_fmac_f64_e32 v[38:39], v[38:39], v[46:47]
	v_mul_f64 v[44:45], v[26:27], v[36:37]
	v_fma_f64 v[18:19], -v[20:21], v[42:43], v[22:23]
	v_div_fmas_f64 v[16:17], v[16:17], v[32:33], v[40:41]
	s_mov_b64 vcc, s[0:1]
	v_mul_f64 v[46:47], v[30:31], v[38:39]
	v_fma_f64 v[20:21], -v[24:25], v[44:45], v[26:27]
	v_div_fixup_f64 v[6:7], v[16:17], v[6:7], s[8:9]
	v_div_fmas_f64 v[16:17], v[18:19], v[34:35], v[42:43]
	s_mov_b64 vcc, s[2:3]
	v_fma_f64 v[22:23], -v[28:29], v[46:47], v[30:31]
	v_div_fixup_f64 v[8:9], v[16:17], v[8:9], s[8:9]
	v_div_fmas_f64 v[16:17], v[20:21], v[36:37], v[44:45]
	s_mov_b64 vcc, s[6:7]
	v_div_fixup_f64 v[10:11], v[16:17], v[10:11], s[8:9]
	v_div_fmas_f64 v[16:17], v[22:23], v[38:39], v[46:47]
	v_div_fixup_f64 v[12:13], v[16:17], v[12:13], s[8:9]
	global_store_dwordx4 v[14:15], v[6:9], off
	global_store_dwordx4 v[14:15], v[10:13], off offset:16
	s_andn2_b64 exec, exec, s[20:21]
	s_cbranch_execnz .LBB274_3
.LBB274_4:
	s_or_b64 exec, exec, s[14:15]
	s_mov_b64 s[2:3], 0
.LBB274_5:
	s_andn2_b64 vcc, exec, s[2:3]
	s_cbranch_vccnz .LBB274_25
; %bb.6:
	v_cmp_lt_i64_e64 s[0:1], s[12:13], 1
	s_and_b64 vcc, exec, s[0:1]
	s_cbranch_vccnz .LBB274_25
; %bb.7:
	s_load_dword s0, s[4:5], 0xc64
	v_mov_b32_e32 v2, 0x10000
	v_mov_b32_e32 v3, 0
	v_cmp_lt_u64_e32 vcc, s[12:13], v[2:3]
	v_lshlrev_b32_e32 v10, 3, v0
	s_waitcnt lgkmcnt(0)
	s_and_b32 s2, s0, 0xffff
	s_and_b64 s[0:1], vcc, exec
	v_mov_b32_e32 v13, s19
	v_add_co_u32_e32 v2, vcc, s18, v10
	v_addc_co_u32_e32 v1, vcc, 0, v13, vcc
	v_mov_b32_e32 v11, 0
	v_mov_b32_e32 v15, s17
	v_add_co_u32_e32 v4, vcc, s16, v10
	v_addc_co_u32_e32 v3, vcc, 0, v15, vcc
	v_mad_u64_u32 v[8:9], s[0:1], s2, 24, v[10:11]
	v_add_co_u32_e32 v6, vcc, s18, v8
	v_addc_co_u32_e32 v5, vcc, v13, v9, vcc
	v_add_co_u32_e32 v8, vcc, s16, v8
	s_mul_i32 s4, s2, 3
	v_addc_co_u32_e32 v7, vcc, v15, v9, vcc
	v_add_co_u32_e32 v17, vcc, s4, v0
	v_addc_co_u32_e64 v26, s[0:1], 0, 0, vcc
	s_cselect_b32 s15, s13, 0
	s_cselect_b32 s14, s12, 0x10000
	s_lshl_b32 s0, s2, 4
	v_add_co_u32_e32 v11, vcc, s0, v10
	v_addc_co_u32_e64 v14, s[0:1], 0, 0, vcc
	v_add_co_u32_e32 v10, vcc, s18, v11
	v_addc_co_u32_e32 v9, vcc, v13, v14, vcc
	v_add_co_u32_e32 v12, vcc, s16, v11
	s_lshl_b32 s3, s2, 1
	v_addc_co_u32_e32 v11, vcc, v15, v14, vcc
	v_add_co_u32_e32 v27, vcc, s3, v0
	v_addc_co_u32_e64 v28, s[0:1], 0, 0, vcc
	v_add_co_u32_e32 v29, vcc, s2, v0
	v_lshlrev_b32_e32 v16, 3, v29
	v_addc_co_u32_e64 v30, s[0:1], 0, 0, vcc
	v_add_co_u32_e32 v14, vcc, s18, v16
	v_addc_co_u32_e32 v13, vcc, 0, v13, vcc
	v_add_co_u32_e32 v16, vcc, s16, v16
	s_mov_b32 s20, 0
	s_lshl_b32 s21, s2, 2
	s_lshl_b32 s22, s2, 5
	v_addc_co_u32_e32 v15, vcc, 0, v15, vcc
	s_mov_b64 s[16:17], 0
	s_branch .LBB274_9
.LBB274_8:                              ;   in Loop: Header=BB274_9 Depth=1
	s_or_b64 exec, exec, s[2:3]
	s_add_u32 s16, s16, s21
	s_addc_u32 s17, s17, 0
	s_waitcnt vmcnt(0)
	v_pk_mov_b32 v[18:19], s[12:13], s[12:13] op_sel:[0,1]
	v_cmp_ge_i64_e32 vcc, s[16:17], v[18:19]
	v_mov_b32_e32 v18, 0xffff
	v_mov_b32_e32 v19, 0
	v_cmp_gt_u64_e64 s[0:1], s[16:17], v[18:19]
	s_or_b64 s[0:1], vcc, s[0:1]
	v_mov_b32_e32 v18, s20
	v_add_co_u32_e32 v2, vcc, s22, v2
	v_addc_co_u32_e32 v1, vcc, v1, v18, vcc
	v_add_co_u32_e32 v4, vcc, s22, v4
	v_addc_co_u32_e32 v3, vcc, v3, v18, vcc
	;; [unrolled: 2-line block ×8, first 2 shown]
	s_and_b64 vcc, exec, s[0:1]
	s_cbranch_vccnz .LBB274_25
.LBB274_9:                              ; =>This Inner Loop Header: Depth=1
	v_mov_b32_e32 v19, s17
	v_add_co_u32_e32 v18, vcc, s16, v0
	v_addc_co_u32_e32 v19, vcc, 0, v19, vcc
	v_pk_mov_b32 v[20:21], 0, 0
	v_cmp_gt_u64_e32 vcc, s[14:15], v[18:19]
	v_pk_mov_b32 v[24:25], v[20:21], v[20:21] op_sel:[0,1]
	s_and_saveexec_b64 s[2:3], vcc
	s_cbranch_execz .LBB274_11
; %bb.10:                               ;   in Loop: Header=BB274_9 Depth=1
	v_mov_b32_e32 v19, s11
	v_add_co_u32_e64 v18, s[0:1], s10, v2
	v_addc_co_u32_e64 v19, s[0:1], v1, v19, s[0:1]
	global_load_dwordx2 v[24:25], v[18:19], off
.LBB274_11:                             ;   in Loop: Header=BB274_9 Depth=1
	s_or_b64 exec, exec, s[2:3]
	v_mov_b32_e32 v19, s17
	v_add_co_u32_e64 v18, s[0:1], s16, v29
	v_addc_co_u32_e64 v19, s[0:1], v30, v19, s[0:1]
	v_cmp_gt_u64_e64 s[4:5], s[14:15], v[18:19]
	s_and_saveexec_b64 s[2:3], s[4:5]
	s_cbranch_execz .LBB274_13
; %bb.12:                               ;   in Loop: Header=BB274_9 Depth=1
	v_mov_b32_e32 v19, s11
	v_add_co_u32_e64 v18, s[0:1], s10, v14
	v_addc_co_u32_e64 v19, s[0:1], v13, v19, s[0:1]
	global_load_dwordx2 v[20:21], v[18:19], off
.LBB274_13:                             ;   in Loop: Header=BB274_9 Depth=1
	s_or_b64 exec, exec, s[2:3]
	v_mov_b32_e32 v19, s17
	v_add_co_u32_e64 v18, s[0:1], s16, v27
	v_addc_co_u32_e64 v19, s[0:1], v28, v19, s[0:1]
	v_cmp_gt_u64_e64 s[2:3], s[14:15], v[18:19]
	v_pk_mov_b32 v[18:19], 0, 0
	v_pk_mov_b32 v[22:23], v[18:19], v[18:19] op_sel:[0,1]
	s_and_saveexec_b64 s[6:7], s[2:3]
	s_cbranch_execz .LBB274_15
; %bb.14:                               ;   in Loop: Header=BB274_9 Depth=1
	v_mov_b32_e32 v23, s11
	v_add_co_u32_e64 v22, s[0:1], s10, v10
	v_addc_co_u32_e64 v23, s[0:1], v9, v23, s[0:1]
	global_load_dwordx2 v[22:23], v[22:23], off
.LBB274_15:                             ;   in Loop: Header=BB274_9 Depth=1
	s_or_b64 exec, exec, s[6:7]
	v_mov_b32_e32 v31, s17
	v_add_co_u32_e64 v32, s[0:1], s16, v17
	v_addc_co_u32_e64 v33, s[0:1], v26, v31, s[0:1]
	v_cmp_gt_u64_e64 s[0:1], s[14:15], v[32:33]
	s_and_saveexec_b64 s[18:19], s[0:1]
	s_cbranch_execnz .LBB274_20
; %bb.16:                               ;   in Loop: Header=BB274_9 Depth=1
	s_or_b64 exec, exec, s[18:19]
	s_and_saveexec_b64 s[6:7], vcc
	s_cbranch_execnz .LBB274_21
.LBB274_17:                             ;   in Loop: Header=BB274_9 Depth=1
	s_or_b64 exec, exec, s[6:7]
	s_and_saveexec_b64 s[6:7], s[4:5]
	s_cbranch_execnz .LBB274_22
.LBB274_18:                             ;   in Loop: Header=BB274_9 Depth=1
	s_or_b64 exec, exec, s[6:7]
	s_and_saveexec_b64 s[4:5], s[2:3]
	s_cbranch_execnz .LBB274_23
.LBB274_19:                             ;   in Loop: Header=BB274_9 Depth=1
	s_or_b64 exec, exec, s[4:5]
	s_and_saveexec_b64 s[2:3], s[0:1]
	s_cbranch_execz .LBB274_8
	s_branch .LBB274_24
.LBB274_20:                             ;   in Loop: Header=BB274_9 Depth=1
	v_mov_b32_e32 v19, s11
	v_add_co_u32_e64 v18, s[6:7], s10, v6
	v_addc_co_u32_e64 v19, s[6:7], v5, v19, s[6:7]
	global_load_dwordx2 v[18:19], v[18:19], off
	s_or_b64 exec, exec, s[18:19]
	s_and_saveexec_b64 s[6:7], vcc
	s_cbranch_execz .LBB274_17
.LBB274_21:                             ;   in Loop: Header=BB274_9 Depth=1
	s_waitcnt vmcnt(0)
	v_div_scale_f64 v[32:33], s[18:19], v[24:25], v[24:25], s[8:9]
	v_rcp_f64_e32 v[34:35], v[32:33]
	v_div_scale_f64 v[36:37], vcc, s[8:9], v[24:25], s[8:9]
	v_mov_b32_e32 v31, s11
	v_fma_f64 v[38:39], -v[32:33], v[34:35], 1.0
	v_fmac_f64_e32 v[34:35], v[34:35], v[38:39]
	v_fma_f64 v[38:39], -v[32:33], v[34:35], 1.0
	v_fmac_f64_e32 v[34:35], v[34:35], v[38:39]
	v_mul_f64 v[38:39], v[36:37], v[34:35]
	v_fma_f64 v[32:33], -v[32:33], v[38:39], v[36:37]
	v_div_fmas_f64 v[32:33], v[32:33], v[34:35], v[38:39]
	v_div_fixup_f64 v[24:25], v[32:33], v[24:25], s[8:9]
	v_add_co_u32_e32 v32, vcc, s10, v4
	v_addc_co_u32_e32 v33, vcc, v3, v31, vcc
	global_store_dwordx2 v[32:33], v[24:25], off
	s_or_b64 exec, exec, s[6:7]
	s_and_saveexec_b64 s[6:7], s[4:5]
	s_cbranch_execz .LBB274_18
.LBB274_22:                             ;   in Loop: Header=BB274_9 Depth=1
	s_waitcnt vmcnt(0)
	v_div_scale_f64 v[24:25], s[4:5], v[20:21], v[20:21], s[8:9]
	v_rcp_f64_e32 v[32:33], v[24:25]
	v_div_scale_f64 v[34:35], vcc, s[8:9], v[20:21], s[8:9]
	v_fma_f64 v[36:37], -v[24:25], v[32:33], 1.0
	v_fmac_f64_e32 v[32:33], v[32:33], v[36:37]
	v_fma_f64 v[36:37], -v[24:25], v[32:33], 1.0
	v_fmac_f64_e32 v[32:33], v[32:33], v[36:37]
	v_mul_f64 v[36:37], v[34:35], v[32:33]
	v_fma_f64 v[24:25], -v[24:25], v[36:37], v[34:35]
	v_div_fmas_f64 v[24:25], v[24:25], v[32:33], v[36:37]
	v_div_fixup_f64 v[20:21], v[24:25], v[20:21], s[8:9]
	v_mov_b32_e32 v25, s11
	v_add_co_u32_e32 v24, vcc, s10, v16
	v_addc_co_u32_e32 v25, vcc, v15, v25, vcc
	global_store_dwordx2 v[24:25], v[20:21], off
	s_or_b64 exec, exec, s[6:7]
	s_and_saveexec_b64 s[4:5], s[2:3]
	s_cbranch_execz .LBB274_19
.LBB274_23:                             ;   in Loop: Header=BB274_9 Depth=1
	s_waitcnt vmcnt(0)
	v_div_scale_f64 v[20:21], s[2:3], v[22:23], v[22:23], s[8:9]
	v_rcp_f64_e32 v[24:25], v[20:21]
	v_div_scale_f64 v[32:33], vcc, s[8:9], v[22:23], s[8:9]
	v_fma_f64 v[34:35], -v[20:21], v[24:25], 1.0
	v_fmac_f64_e32 v[24:25], v[24:25], v[34:35]
	v_fma_f64 v[34:35], -v[20:21], v[24:25], 1.0
	v_fmac_f64_e32 v[24:25], v[24:25], v[34:35]
	v_mul_f64 v[34:35], v[32:33], v[24:25]
	v_fma_f64 v[20:21], -v[20:21], v[34:35], v[32:33]
	v_div_fmas_f64 v[20:21], v[20:21], v[24:25], v[34:35]
	v_div_fixup_f64 v[20:21], v[20:21], v[22:23], s[8:9]
	v_mov_b32_e32 v23, s11
	v_add_co_u32_e32 v22, vcc, s10, v12
	v_addc_co_u32_e32 v23, vcc, v11, v23, vcc
	global_store_dwordx2 v[22:23], v[20:21], off
	s_or_b64 exec, exec, s[4:5]
	s_and_saveexec_b64 s[2:3], s[0:1]
	s_cbranch_execz .LBB274_8
.LBB274_24:                             ;   in Loop: Header=BB274_9 Depth=1
	s_waitcnt vmcnt(0)
	v_div_scale_f64 v[20:21], s[0:1], v[18:19], v[18:19], s[8:9]
	v_rcp_f64_e32 v[22:23], v[20:21]
	v_div_scale_f64 v[24:25], vcc, s[8:9], v[18:19], s[8:9]
	v_fma_f64 v[32:33], -v[20:21], v[22:23], 1.0
	v_fmac_f64_e32 v[22:23], v[22:23], v[32:33]
	v_fma_f64 v[32:33], -v[20:21], v[22:23], 1.0
	v_fmac_f64_e32 v[22:23], v[22:23], v[32:33]
	v_mul_f64 v[32:33], v[24:25], v[22:23]
	v_fma_f64 v[20:21], -v[20:21], v[32:33], v[24:25]
	v_div_fmas_f64 v[20:21], v[20:21], v[22:23], v[32:33]
	v_div_fixup_f64 v[18:19], v[20:21], v[18:19], s[8:9]
	v_mov_b32_e32 v21, s11
	v_add_co_u32_e32 v20, vcc, s10, v8
	v_addc_co_u32_e32 v21, vcc, v7, v21, vcc
	global_store_dwordx2 v[20:21], v[18:19], off
	s_branch .LBB274_8
.LBB274_25:
	s_endpgm
	.section	.rodata,"a",@progbits
	.p2align	6, 0x0
	.amdhsa_kernel _ZN2at6native12_GLOBAL__N_125multi_tensor_apply_kernelINS1_18TensorListMetadataILi2EEENS1_14UnaryOpFunctorIdLi2ELi1ELi1EEEJNS0_10ReciprocalIdEEEEEvT_T0_DpT1_
		.amdhsa_group_segment_fixed_size 0
		.amdhsa_private_segment_fixed_size 0
		.amdhsa_kernarg_size 3416
		.amdhsa_user_sgpr_count 6
		.amdhsa_user_sgpr_private_segment_buffer 1
		.amdhsa_user_sgpr_dispatch_ptr 0
		.amdhsa_user_sgpr_queue_ptr 0
		.amdhsa_user_sgpr_kernarg_segment_ptr 1
		.amdhsa_user_sgpr_dispatch_id 0
		.amdhsa_user_sgpr_flat_scratch_init 0
		.amdhsa_user_sgpr_kernarg_preload_length 0
		.amdhsa_user_sgpr_kernarg_preload_offset 0
		.amdhsa_user_sgpr_private_segment_size 0
		.amdhsa_uses_dynamic_stack 0
		.amdhsa_system_sgpr_private_segment_wavefront_offset 0
		.amdhsa_system_sgpr_workgroup_id_x 1
		.amdhsa_system_sgpr_workgroup_id_y 0
		.amdhsa_system_sgpr_workgroup_id_z 0
		.amdhsa_system_sgpr_workgroup_info 0
		.amdhsa_system_vgpr_workitem_id 0
		.amdhsa_next_free_vgpr 48
		.amdhsa_next_free_sgpr 30
		.amdhsa_accum_offset 48
		.amdhsa_reserve_vcc 1
		.amdhsa_reserve_flat_scratch 0
		.amdhsa_float_round_mode_32 0
		.amdhsa_float_round_mode_16_64 0
		.amdhsa_float_denorm_mode_32 3
		.amdhsa_float_denorm_mode_16_64 3
		.amdhsa_dx10_clamp 1
		.amdhsa_ieee_mode 1
		.amdhsa_fp16_overflow 0
		.amdhsa_tg_split 0
		.amdhsa_exception_fp_ieee_invalid_op 0
		.amdhsa_exception_fp_denorm_src 0
		.amdhsa_exception_fp_ieee_div_zero 0
		.amdhsa_exception_fp_ieee_overflow 0
		.amdhsa_exception_fp_ieee_underflow 0
		.amdhsa_exception_fp_ieee_inexact 0
		.amdhsa_exception_int_div_zero 0
	.end_amdhsa_kernel
	.section	.text._ZN2at6native12_GLOBAL__N_125multi_tensor_apply_kernelINS1_18TensorListMetadataILi2EEENS1_14UnaryOpFunctorIdLi2ELi1ELi1EEEJNS0_10ReciprocalIdEEEEEvT_T0_DpT1_,"axG",@progbits,_ZN2at6native12_GLOBAL__N_125multi_tensor_apply_kernelINS1_18TensorListMetadataILi2EEENS1_14UnaryOpFunctorIdLi2ELi1ELi1EEEJNS0_10ReciprocalIdEEEEEvT_T0_DpT1_,comdat
.Lfunc_end274:
	.size	_ZN2at6native12_GLOBAL__N_125multi_tensor_apply_kernelINS1_18TensorListMetadataILi2EEENS1_14UnaryOpFunctorIdLi2ELi1ELi1EEEJNS0_10ReciprocalIdEEEEEvT_T0_DpT1_, .Lfunc_end274-_ZN2at6native12_GLOBAL__N_125multi_tensor_apply_kernelINS1_18TensorListMetadataILi2EEENS1_14UnaryOpFunctorIdLi2ELi1ELi1EEEJNS0_10ReciprocalIdEEEEEvT_T0_DpT1_
                                        ; -- End function
	.section	.AMDGPU.csdata,"",@progbits
; Kernel info:
; codeLenInByte = 1884
; NumSgprs: 34
; NumVgprs: 48
; NumAgprs: 0
; TotalNumVgprs: 48
; ScratchSize: 0
; MemoryBound: 0
; FloatMode: 240
; IeeeMode: 1
; LDSByteSize: 0 bytes/workgroup (compile time only)
; SGPRBlocks: 4
; VGPRBlocks: 5
; NumSGPRsForWavesPerEU: 34
; NumVGPRsForWavesPerEU: 48
; AccumOffset: 48
; Occupancy: 8
; WaveLimiterHint : 0
; COMPUTE_PGM_RSRC2:SCRATCH_EN: 0
; COMPUTE_PGM_RSRC2:USER_SGPR: 6
; COMPUTE_PGM_RSRC2:TRAP_HANDLER: 0
; COMPUTE_PGM_RSRC2:TGID_X_EN: 1
; COMPUTE_PGM_RSRC2:TGID_Y_EN: 0
; COMPUTE_PGM_RSRC2:TGID_Z_EN: 0
; COMPUTE_PGM_RSRC2:TIDIG_COMP_CNT: 0
; COMPUTE_PGM_RSRC3_GFX90A:ACCUM_OFFSET: 11
; COMPUTE_PGM_RSRC3_GFX90A:TG_SPLIT: 0
	.section	.text._ZN2at6native12_GLOBAL__N_125multi_tensor_apply_kernelINS1_18TensorListMetadataILi2EEENS1_14UnaryOpFunctorIfLi2ELi1ELi1EEEJNS0_10ReciprocalIfEEEEEvT_T0_DpT1_,"axG",@progbits,_ZN2at6native12_GLOBAL__N_125multi_tensor_apply_kernelINS1_18TensorListMetadataILi2EEENS1_14UnaryOpFunctorIfLi2ELi1ELi1EEEJNS0_10ReciprocalIfEEEEEvT_T0_DpT1_,comdat
	.globl	_ZN2at6native12_GLOBAL__N_125multi_tensor_apply_kernelINS1_18TensorListMetadataILi2EEENS1_14UnaryOpFunctorIfLi2ELi1ELi1EEEJNS0_10ReciprocalIfEEEEEvT_T0_DpT1_ ; -- Begin function _ZN2at6native12_GLOBAL__N_125multi_tensor_apply_kernelINS1_18TensorListMetadataILi2EEENS1_14UnaryOpFunctorIfLi2ELi1ELi1EEEJNS0_10ReciprocalIfEEEEEvT_T0_DpT1_
	.p2align	8
	.type	_ZN2at6native12_GLOBAL__N_125multi_tensor_apply_kernelINS1_18TensorListMetadataILi2EEENS1_14UnaryOpFunctorIfLi2ELi1ELi1EEEJNS0_10ReciprocalIfEEEEEvT_T0_DpT1_,@function
_ZN2at6native12_GLOBAL__N_125multi_tensor_apply_kernelINS1_18TensorListMetadataILi2EEENS1_14UnaryOpFunctorIfLi2ELi1ELi1EEEJNS0_10ReciprocalIfEEEEEvT_T0_DpT1_: ; @_ZN2at6native12_GLOBAL__N_125multi_tensor_apply_kernelINS1_18TensorListMetadataILi2EEENS1_14UnaryOpFunctorIfLi2ELi1ELi1EEEJNS0_10ReciprocalIfEEEEEvT_T0_DpT1_
; %bb.0:
	v_mov_b32_e32 v1, s6
	global_load_ubyte v1, v1, s[4:5] offset:1536
	s_add_u32 s0, s4, s6
	s_mul_hi_u32 s2, s6, 3
	s_mul_i32 s6, s6, 3
	s_addc_u32 s7, s5, 0
	s_add_u32 s6, s0, s6
	s_addc_u32 s7, s7, s2
	s_load_dword s6, s[6:7], 0x740
	s_mov_b32 s1, 0
	s_mov_b32 s13, s1
	;; [unrolled: 1-line block ×3, first 2 shown]
	s_waitcnt lgkmcnt(0)
	s_ashr_i32 s7, s6, 31
	s_lshl_b64 s[8:9], s[6:7], 18
	s_lshl_b64 s[6:7], s[6:7], 16
	s_waitcnt vmcnt(0)
	v_readfirstlane_b32 s0, v1
	s_lshl_b32 s0, s0, 3
	s_load_dwordx2 s[16:17], s[4:5], s0 offset:0x0
	s_load_dword s22, s[4:5], 0xc4c
	s_load_dwordx2 s[10:11], s[4:5], s0 offset:0x400
	s_load_dwordx2 s[14:15], s[4:5], s0 offset:0x200
	s_waitcnt lgkmcnt(0)
	s_and_b32 s0, s16, 15
	s_and_b32 s12, s10, 3
	s_and_b32 s2, s14, 15
	s_or_b64 s[12:13], s[0:1], s[12:13]
	s_or_b64 s[2:3], s[2:3], s[12:13]
	s_sub_u32 s10, s10, s6
	s_subb_u32 s11, s11, s7
	s_cmp_eq_u64 s[2:3], 0
	s_mov_b64 s[2:3], -1
	s_cbranch_scc0 .LBB275_5
; %bb.1:
	v_mov_b32_e32 v3, 0
	v_lshlrev_b32_e32 v2, 2, v0
	v_cmp_gt_i64_e32 vcc, s[10:11], v[2:3]
	s_and_saveexec_b64 s[12:13], vcc
	s_cbranch_execz .LBB275_4
; %bb.2:
	s_load_dword s0, s[4:5], 0xc5c
	v_lshlrev_b32_e32 v1, 4, v0
	v_mov_b32_e32 v4, s9
	v_add_co_u32_e32 v1, vcc, s8, v1
	v_addc_co_u32_e32 v5, vcc, 0, v4, vcc
	s_waitcnt lgkmcnt(0)
	s_and_b32 s0, s0, 0xffff
	v_add_co_u32_e32 v4, vcc, 8, v1
	s_mov_b32 s23, s22
	v_add_lshl_u32 v2, v0, s0, 2
	s_lshl_b32 s24, s0, 2
	v_addc_co_u32_e32 v1, vcc, 0, v5, vcc
	s_lshl_b32 s25, s0, 4
	s_mov_b64 s[18:19], 0
	v_mov_b32_e32 v5, s17
	v_mov_b32_e32 v6, s15
	s_mov_b64 s[20:21], 0xffff
	v_mov_b32_e32 v7, s1
	v_mov_b32_e32 v8, s1
.LBB275_3:                              ; =>This Inner Loop Header: Depth=1
	v_add_co_u32_e32 v10, vcc, s16, v4
	v_addc_co_u32_e32 v11, vcc, v5, v1, vcc
	global_load_dwordx4 v[10:13], v[10:11], off offset:-8
	v_add_co_u32_e32 v14, vcc, s14, v4
	v_addc_co_u32_e32 v15, vcc, v6, v1, vcc
	v_cmp_le_i64_e32 vcc, s[10:11], v[2:3]
	v_cmp_lt_u64_e64 s[0:1], s[20:21], v[2:3]
	s_or_b64 s[0:1], vcc, s[0:1]
	v_add_co_u32_e64 v2, s[2:3], s24, v2
	s_and_b64 s[0:1], exec, s[0:1]
	v_addc_co_u32_e64 v3, s[2:3], v3, v7, s[2:3]
	s_or_b64 s[18:19], s[0:1], s[18:19]
	v_add_co_u32_e64 v4, s[2:3], s25, v4
	v_addc_co_u32_e64 v1, s[2:3], v1, v8, s[2:3]
	s_waitcnt vmcnt(0)
	v_div_scale_f32 v9, s[0:1], v11, v11, s23
	v_div_scale_f32 v17, s[0:1], v10, v10, s22
	v_rcp_f32_e32 v23, v9
	v_div_scale_f32 v19, s[2:3], v13, v13, s23
	v_rcp_f32_e32 v24, v17
	;; [unrolled: 2-line block ×3, first 2 shown]
	v_rcp_f32_e32 v26, v21
	v_fma_f32 v27, -v9, v23, 1.0
	v_div_scale_f32 v16, vcc, s23, v11, s23
	v_fma_f32 v28, -v17, v24, 1.0
	v_fmac_f32_e32 v23, v27, v23
	v_div_scale_f32 v18, s[0:1], s22, v10, s22
	v_fma_f32 v29, -v19, v25, 1.0
	v_fmac_f32_e32 v24, v28, v24
	v_mul_f32_e32 v27, v16, v23
	v_div_scale_f32 v20, s[2:3], s23, v13, s23
	v_fma_f32 v30, -v21, v26, 1.0
	v_fmac_f32_e32 v25, v29, v25
	v_mul_f32_e32 v28, v18, v24
	v_fma_f32 v31, -v9, v27, v16
	v_div_scale_f32 v22, s[6:7], s22, v12, s22
	v_fmac_f32_e32 v26, v30, v26
	v_mul_f32_e32 v29, v20, v25
	v_fma_f32 v32, -v17, v28, v18
	v_fmac_f32_e32 v27, v31, v23
	v_mul_f32_e32 v30, v22, v26
	v_fma_f32 v33, -v19, v29, v20
	v_fmac_f32_e32 v28, v32, v24
	v_fma_f32 v9, -v9, v27, v16
	v_fma_f32 v34, -v21, v30, v22
	v_fmac_f32_e32 v29, v33, v25
	v_fma_f32 v16, -v17, v28, v18
	v_div_fmas_f32 v9, v9, v23, v27
	s_mov_b64 vcc, s[0:1]
	v_fmac_f32_e32 v30, v34, v26
	v_fma_f32 v17, -v19, v29, v20
	v_div_fixup_f32 v11, v9, v11, s23
	v_div_fmas_f32 v9, v16, v24, v28
	s_mov_b64 vcc, s[2:3]
	v_fma_f32 v18, -v21, v30, v22
	v_div_fixup_f32 v10, v9, v10, s22
	v_div_fmas_f32 v9, v17, v25, v29
	s_mov_b64 vcc, s[6:7]
	v_div_fixup_f32 v13, v9, v13, s23
	v_div_fmas_f32 v9, v18, v26, v30
	v_div_fixup_f32 v12, v9, v12, s22
	global_store_dwordx4 v[14:15], v[10:13], off offset:-8
	s_andn2_b64 exec, exec, s[18:19]
	s_cbranch_execnz .LBB275_3
.LBB275_4:
	s_or_b64 exec, exec, s[12:13]
	s_mov_b64 s[2:3], 0
.LBB275_5:
	s_andn2_b64 vcc, exec, s[2:3]
	s_cbranch_vccnz .LBB275_25
; %bb.6:
	v_cmp_lt_i64_e64 s[0:1], s[10:11], 1
	s_and_b64 vcc, exec, s[0:1]
	s_cbranch_vccnz .LBB275_25
; %bb.7:
	s_load_dword s0, s[4:5], 0xc5c
	v_mov_b32_e32 v2, 0x10000
	v_mov_b32_e32 v3, 0
	v_cmp_lt_u64_e32 vcc, s[10:11], v[2:3]
	v_lshlrev_b32_e32 v10, 2, v0
	s_waitcnt lgkmcnt(0)
	s_and_b32 s2, s0, 0xffff
	s_and_b64 s[0:1], vcc, exec
	v_mov_b32_e32 v13, s17
	v_add_co_u32_e32 v2, vcc, s16, v10
	v_addc_co_u32_e32 v1, vcc, 0, v13, vcc
	v_mov_b32_e32 v11, 0
	v_mov_b32_e32 v15, s15
	v_add_co_u32_e32 v4, vcc, s14, v10
	v_addc_co_u32_e32 v3, vcc, 0, v15, vcc
	v_mad_u64_u32 v[8:9], s[0:1], s2, 12, v[10:11]
	v_add_co_u32_e32 v6, vcc, s16, v8
	v_addc_co_u32_e32 v5, vcc, v13, v9, vcc
	v_add_co_u32_e32 v8, vcc, s14, v8
	s_mul_i32 s4, s2, 3
	v_addc_co_u32_e32 v7, vcc, v15, v9, vcc
	v_add_co_u32_e32 v17, vcc, s4, v0
	v_addc_co_u32_e64 v18, s[0:1], 0, 0, vcc
	s_cselect_b32 s13, s11, 0
	s_cselect_b32 s12, s10, 0x10000
	s_lshl_b32 s0, s2, 3
	v_add_co_u32_e32 v11, vcc, s0, v10
	v_addc_co_u32_e64 v14, s[0:1], 0, 0, vcc
	v_add_co_u32_e32 v10, vcc, s16, v11
	v_addc_co_u32_e32 v9, vcc, v13, v14, vcc
	v_add_co_u32_e32 v12, vcc, s14, v11
	s_lshl_b32 s3, s2, 1
	v_addc_co_u32_e32 v11, vcc, v15, v14, vcc
	v_add_co_u32_e32 v19, vcc, s3, v0
	v_addc_co_u32_e64 v20, s[0:1], 0, 0, vcc
	v_add_co_u32_e32 v21, vcc, s2, v0
	v_lshlrev_b32_e32 v16, 2, v21
	v_addc_co_u32_e64 v22, s[0:1], 0, 0, vcc
	v_add_co_u32_e32 v14, vcc, s16, v16
	v_addc_co_u32_e32 v13, vcc, 0, v13, vcc
	v_add_co_u32_e32 v16, vcc, s14, v16
	s_mov_b32 s18, 0
	s_lshl_b32 s19, s2, 2
	s_lshl_b32 s20, s2, 4
	v_addc_co_u32_e32 v15, vcc, 0, v15, vcc
	s_mov_b64 s[14:15], 0
	s_branch .LBB275_9
.LBB275_8:                              ;   in Loop: Header=BB275_9 Depth=1
	s_or_b64 exec, exec, s[2:3]
	s_add_u32 s14, s14, s19
	s_addc_u32 s15, s15, 0
	s_waitcnt vmcnt(0)
	v_pk_mov_b32 v[24:25], s[10:11], s[10:11] op_sel:[0,1]
	v_cmp_ge_i64_e32 vcc, s[14:15], v[24:25]
	v_mov_b32_e32 v24, 0xffff
	v_mov_b32_e32 v25, 0
	v_cmp_gt_u64_e64 s[0:1], s[14:15], v[24:25]
	s_or_b64 s[0:1], vcc, s[0:1]
	v_mov_b32_e32 v23, s18
	v_add_co_u32_e32 v2, vcc, s20, v2
	v_addc_co_u32_e32 v1, vcc, v1, v23, vcc
	v_add_co_u32_e32 v4, vcc, s20, v4
	v_addc_co_u32_e32 v3, vcc, v3, v23, vcc
	;; [unrolled: 2-line block ×8, first 2 shown]
	s_and_b64 vcc, exec, s[0:1]
	s_cbranch_vccnz .LBB275_25
.LBB275_9:                              ; =>This Inner Loop Header: Depth=1
	v_mov_b32_e32 v23, s15
	v_add_co_u32_e32 v24, vcc, s14, v0
	v_addc_co_u32_e32 v25, vcc, 0, v23, vcc
	v_cmp_gt_u64_e32 vcc, s[12:13], v[24:25]
	v_mov_b32_e32 v26, 0
	s_and_saveexec_b64 s[2:3], vcc
	s_cbranch_execz .LBB275_11
; %bb.10:                               ;   in Loop: Header=BB275_9 Depth=1
	v_mov_b32_e32 v23, s9
	v_add_co_u32_e64 v24, s[0:1], s8, v2
	v_addc_co_u32_e64 v25, s[0:1], v1, v23, s[0:1]
	global_load_dword v26, v[24:25], off
.LBB275_11:                             ;   in Loop: Header=BB275_9 Depth=1
	s_or_b64 exec, exec, s[2:3]
	v_mov_b32_e32 v23, s15
	v_add_co_u32_e64 v24, s[0:1], s14, v21
	v_addc_co_u32_e64 v25, s[0:1], v22, v23, s[0:1]
	v_cmp_gt_u64_e64 s[4:5], s[12:13], v[24:25]
	v_mov_b32_e32 v25, 0
	s_and_saveexec_b64 s[2:3], s[4:5]
	s_cbranch_execz .LBB275_13
; %bb.12:                               ;   in Loop: Header=BB275_9 Depth=1
	v_mov_b32_e32 v23, s9
	v_add_co_u32_e64 v24, s[0:1], s8, v14
	v_addc_co_u32_e64 v25, s[0:1], v13, v23, s[0:1]
	global_load_dword v25, v[24:25], off
.LBB275_13:                             ;   in Loop: Header=BB275_9 Depth=1
	s_or_b64 exec, exec, s[2:3]
	v_mov_b32_e32 v23, s15
	v_add_co_u32_e64 v28, s[0:1], s14, v19
	v_addc_co_u32_e64 v29, s[0:1], v20, v23, s[0:1]
	v_cmp_gt_u64_e64 s[2:3], s[12:13], v[28:29]
	v_mov_b32_e32 v23, 0
	v_mov_b32_e32 v24, 0
	s_and_saveexec_b64 s[6:7], s[2:3]
	s_cbranch_execz .LBB275_15
; %bb.14:                               ;   in Loop: Header=BB275_9 Depth=1
	v_mov_b32_e32 v24, s9
	v_add_co_u32_e64 v28, s[0:1], s8, v10
	v_addc_co_u32_e64 v29, s[0:1], v9, v24, s[0:1]
	global_load_dword v24, v[28:29], off
.LBB275_15:                             ;   in Loop: Header=BB275_9 Depth=1
	s_or_b64 exec, exec, s[6:7]
	v_mov_b32_e32 v27, s15
	v_add_co_u32_e64 v28, s[0:1], s14, v17
	v_addc_co_u32_e64 v29, s[0:1], v18, v27, s[0:1]
	v_cmp_gt_u64_e64 s[0:1], s[12:13], v[28:29]
	s_and_saveexec_b64 s[16:17], s[0:1]
	s_cbranch_execnz .LBB275_20
; %bb.16:                               ;   in Loop: Header=BB275_9 Depth=1
	s_or_b64 exec, exec, s[16:17]
	s_and_saveexec_b64 s[6:7], vcc
	s_cbranch_execnz .LBB275_21
.LBB275_17:                             ;   in Loop: Header=BB275_9 Depth=1
	s_or_b64 exec, exec, s[6:7]
	s_and_saveexec_b64 s[6:7], s[4:5]
	s_cbranch_execnz .LBB275_22
.LBB275_18:                             ;   in Loop: Header=BB275_9 Depth=1
	s_or_b64 exec, exec, s[6:7]
	s_and_saveexec_b64 s[4:5], s[2:3]
	s_cbranch_execnz .LBB275_23
.LBB275_19:                             ;   in Loop: Header=BB275_9 Depth=1
	s_or_b64 exec, exec, s[4:5]
	s_and_saveexec_b64 s[2:3], s[0:1]
	s_cbranch_execz .LBB275_8
	s_branch .LBB275_24
.LBB275_20:                             ;   in Loop: Header=BB275_9 Depth=1
	v_mov_b32_e32 v23, s9
	v_add_co_u32_e64 v28, s[6:7], s8, v6
	v_addc_co_u32_e64 v29, s[6:7], v5, v23, s[6:7]
	global_load_dword v23, v[28:29], off
	s_or_b64 exec, exec, s[16:17]
	s_and_saveexec_b64 s[6:7], vcc
	s_cbranch_execz .LBB275_17
.LBB275_21:                             ;   in Loop: Header=BB275_9 Depth=1
	s_waitcnt vmcnt(0)
	v_div_scale_f32 v27, s[16:17], v26, v26, s22
	v_rcp_f32_e32 v28, v27
	v_div_scale_f32 v29, vcc, s22, v26, s22
	v_fma_f32 v30, -v27, v28, 1.0
	v_fmac_f32_e32 v28, v30, v28
	v_mul_f32_e32 v30, v29, v28
	v_fma_f32 v31, -v27, v30, v29
	v_fmac_f32_e32 v30, v31, v28
	v_fma_f32 v27, -v27, v30, v29
	v_div_fmas_f32 v27, v27, v28, v30
	v_div_fixup_f32 v28, v27, v26, s22
	v_mov_b32_e32 v27, s9
	v_add_co_u32_e32 v26, vcc, s8, v4
	v_addc_co_u32_e32 v27, vcc, v3, v27, vcc
	global_store_dword v[26:27], v28, off
	s_or_b64 exec, exec, s[6:7]
	s_and_saveexec_b64 s[6:7], s[4:5]
	s_cbranch_execz .LBB275_18
.LBB275_22:                             ;   in Loop: Header=BB275_9 Depth=1
	s_waitcnt vmcnt(0)
	v_div_scale_f32 v26, s[4:5], v25, v25, s22
	v_rcp_f32_e32 v27, v26
	v_div_scale_f32 v28, vcc, s22, v25, s22
	v_fma_f32 v29, -v26, v27, 1.0
	v_fmac_f32_e32 v27, v29, v27
	v_mul_f32_e32 v29, v28, v27
	v_fma_f32 v30, -v26, v29, v28
	v_fmac_f32_e32 v29, v30, v27
	v_fma_f32 v26, -v26, v29, v28
	v_div_fmas_f32 v26, v26, v27, v29
	v_div_fixup_f32 v25, v26, v25, s22
	v_mov_b32_e32 v27, s9
	v_add_co_u32_e32 v26, vcc, s8, v16
	v_addc_co_u32_e32 v27, vcc, v15, v27, vcc
	global_store_dword v[26:27], v25, off
	s_or_b64 exec, exec, s[6:7]
	s_and_saveexec_b64 s[4:5], s[2:3]
	s_cbranch_execz .LBB275_19
.LBB275_23:                             ;   in Loop: Header=BB275_9 Depth=1
	s_waitcnt vmcnt(0)
	v_div_scale_f32 v25, s[2:3], v24, v24, s22
	v_rcp_f32_e32 v26, v25
	v_div_scale_f32 v27, vcc, s22, v24, s22
	v_fma_f32 v28, -v25, v26, 1.0
	v_fmac_f32_e32 v26, v28, v26
	v_mul_f32_e32 v28, v27, v26
	v_fma_f32 v29, -v25, v28, v27
	v_fmac_f32_e32 v28, v29, v26
	v_fma_f32 v25, -v25, v28, v27
	v_div_fmas_f32 v25, v25, v26, v28
	v_div_fixup_f32 v26, v25, v24, s22
	v_mov_b32_e32 v25, s9
	v_add_co_u32_e32 v24, vcc, s8, v12
	v_addc_co_u32_e32 v25, vcc, v11, v25, vcc
	global_store_dword v[24:25], v26, off
	s_or_b64 exec, exec, s[4:5]
	s_and_saveexec_b64 s[2:3], s[0:1]
	s_cbranch_execz .LBB275_8
.LBB275_24:                             ;   in Loop: Header=BB275_9 Depth=1
	s_waitcnt vmcnt(0)
	v_div_scale_f32 v24, s[0:1], v23, v23, s22
	v_rcp_f32_e32 v25, v24
	v_div_scale_f32 v26, vcc, s22, v23, s22
	v_fma_f32 v27, -v24, v25, 1.0
	v_fmac_f32_e32 v25, v27, v25
	v_mul_f32_e32 v27, v26, v25
	v_fma_f32 v28, -v24, v27, v26
	v_fmac_f32_e32 v27, v28, v25
	v_fma_f32 v24, -v24, v27, v26
	v_div_fmas_f32 v24, v24, v25, v27
	v_div_fixup_f32 v23, v24, v23, s22
	v_mov_b32_e32 v25, s9
	v_add_co_u32_e32 v24, vcc, s8, v8
	v_addc_co_u32_e32 v25, vcc, v7, v25, vcc
	global_store_dword v[24:25], v23, off
	s_branch .LBB275_8
.LBB275_25:
	s_endpgm
	.section	.rodata,"a",@progbits
	.p2align	6, 0x0
	.amdhsa_kernel _ZN2at6native12_GLOBAL__N_125multi_tensor_apply_kernelINS1_18TensorListMetadataILi2EEENS1_14UnaryOpFunctorIfLi2ELi1ELi1EEEJNS0_10ReciprocalIfEEEEEvT_T0_DpT1_
		.amdhsa_group_segment_fixed_size 0
		.amdhsa_private_segment_fixed_size 0
		.amdhsa_kernarg_size 3408
		.amdhsa_user_sgpr_count 6
		.amdhsa_user_sgpr_private_segment_buffer 1
		.amdhsa_user_sgpr_dispatch_ptr 0
		.amdhsa_user_sgpr_queue_ptr 0
		.amdhsa_user_sgpr_kernarg_segment_ptr 1
		.amdhsa_user_sgpr_dispatch_id 0
		.amdhsa_user_sgpr_flat_scratch_init 0
		.amdhsa_user_sgpr_kernarg_preload_length 0
		.amdhsa_user_sgpr_kernarg_preload_offset 0
		.amdhsa_user_sgpr_private_segment_size 0
		.amdhsa_uses_dynamic_stack 0
		.amdhsa_system_sgpr_private_segment_wavefront_offset 0
		.amdhsa_system_sgpr_workgroup_id_x 1
		.amdhsa_system_sgpr_workgroup_id_y 0
		.amdhsa_system_sgpr_workgroup_id_z 0
		.amdhsa_system_sgpr_workgroup_info 0
		.amdhsa_system_vgpr_workitem_id 0
		.amdhsa_next_free_vgpr 35
		.amdhsa_next_free_sgpr 26
		.amdhsa_accum_offset 36
		.amdhsa_reserve_vcc 1
		.amdhsa_reserve_flat_scratch 0
		.amdhsa_float_round_mode_32 0
		.amdhsa_float_round_mode_16_64 0
		.amdhsa_float_denorm_mode_32 3
		.amdhsa_float_denorm_mode_16_64 3
		.amdhsa_dx10_clamp 1
		.amdhsa_ieee_mode 1
		.amdhsa_fp16_overflow 0
		.amdhsa_tg_split 0
		.amdhsa_exception_fp_ieee_invalid_op 0
		.amdhsa_exception_fp_denorm_src 0
		.amdhsa_exception_fp_ieee_div_zero 0
		.amdhsa_exception_fp_ieee_overflow 0
		.amdhsa_exception_fp_ieee_underflow 0
		.amdhsa_exception_fp_ieee_inexact 0
		.amdhsa_exception_int_div_zero 0
	.end_amdhsa_kernel
	.section	.text._ZN2at6native12_GLOBAL__N_125multi_tensor_apply_kernelINS1_18TensorListMetadataILi2EEENS1_14UnaryOpFunctorIfLi2ELi1ELi1EEEJNS0_10ReciprocalIfEEEEEvT_T0_DpT1_,"axG",@progbits,_ZN2at6native12_GLOBAL__N_125multi_tensor_apply_kernelINS1_18TensorListMetadataILi2EEENS1_14UnaryOpFunctorIfLi2ELi1ELi1EEEJNS0_10ReciprocalIfEEEEEvT_T0_DpT1_,comdat
.Lfunc_end275:
	.size	_ZN2at6native12_GLOBAL__N_125multi_tensor_apply_kernelINS1_18TensorListMetadataILi2EEENS1_14UnaryOpFunctorIfLi2ELi1ELi1EEEJNS0_10ReciprocalIfEEEEEvT_T0_DpT1_, .Lfunc_end275-_ZN2at6native12_GLOBAL__N_125multi_tensor_apply_kernelINS1_18TensorListMetadataILi2EEENS1_14UnaryOpFunctorIfLi2ELi1ELi1EEEJNS0_10ReciprocalIfEEEEEvT_T0_DpT1_
                                        ; -- End function
	.section	.AMDGPU.csdata,"",@progbits
; Kernel info:
; codeLenInByte = 1820
; NumSgprs: 30
; NumVgprs: 35
; NumAgprs: 0
; TotalNumVgprs: 35
; ScratchSize: 0
; MemoryBound: 0
; FloatMode: 240
; IeeeMode: 1
; LDSByteSize: 0 bytes/workgroup (compile time only)
; SGPRBlocks: 3
; VGPRBlocks: 4
; NumSGPRsForWavesPerEU: 30
; NumVGPRsForWavesPerEU: 35
; AccumOffset: 36
; Occupancy: 8
; WaveLimiterHint : 0
; COMPUTE_PGM_RSRC2:SCRATCH_EN: 0
; COMPUTE_PGM_RSRC2:USER_SGPR: 6
; COMPUTE_PGM_RSRC2:TRAP_HANDLER: 0
; COMPUTE_PGM_RSRC2:TGID_X_EN: 1
; COMPUTE_PGM_RSRC2:TGID_Y_EN: 0
; COMPUTE_PGM_RSRC2:TGID_Z_EN: 0
; COMPUTE_PGM_RSRC2:TIDIG_COMP_CNT: 0
; COMPUTE_PGM_RSRC3_GFX90A:ACCUM_OFFSET: 8
; COMPUTE_PGM_RSRC3_GFX90A:TG_SPLIT: 0
	.section	.text._ZN2at6native12_GLOBAL__N_125multi_tensor_apply_kernelINS1_18TensorListMetadataILi2EEENS1_14UnaryOpFunctorIN3c107complexIdEELi2ELi1ELi1EEEJNS0_10ReciprocalIS8_EEEEEvT_T0_DpT1_,"axG",@progbits,_ZN2at6native12_GLOBAL__N_125multi_tensor_apply_kernelINS1_18TensorListMetadataILi2EEENS1_14UnaryOpFunctorIN3c107complexIdEELi2ELi1ELi1EEEJNS0_10ReciprocalIS8_EEEEEvT_T0_DpT1_,comdat
	.globl	_ZN2at6native12_GLOBAL__N_125multi_tensor_apply_kernelINS1_18TensorListMetadataILi2EEENS1_14UnaryOpFunctorIN3c107complexIdEELi2ELi1ELi1EEEJNS0_10ReciprocalIS8_EEEEEvT_T0_DpT1_ ; -- Begin function _ZN2at6native12_GLOBAL__N_125multi_tensor_apply_kernelINS1_18TensorListMetadataILi2EEENS1_14UnaryOpFunctorIN3c107complexIdEELi2ELi1ELi1EEEJNS0_10ReciprocalIS8_EEEEEvT_T0_DpT1_
	.p2align	8
	.type	_ZN2at6native12_GLOBAL__N_125multi_tensor_apply_kernelINS1_18TensorListMetadataILi2EEENS1_14UnaryOpFunctorIN3c107complexIdEELi2ELi1ELi1EEEJNS0_10ReciprocalIS8_EEEEEvT_T0_DpT1_,@function
_ZN2at6native12_GLOBAL__N_125multi_tensor_apply_kernelINS1_18TensorListMetadataILi2EEENS1_14UnaryOpFunctorIN3c107complexIdEELi2ELi1ELi1EEEJNS0_10ReciprocalIS8_EEEEEvT_T0_DpT1_: ; @_ZN2at6native12_GLOBAL__N_125multi_tensor_apply_kernelINS1_18TensorListMetadataILi2EEENS1_14UnaryOpFunctorIN3c107complexIdEELi2ELi1ELi1EEEJNS0_10ReciprocalIS8_EEEEEvT_T0_DpT1_
; %bb.0:
	v_mov_b32_e32 v1, s6
	global_load_ubyte v1, v1, s[4:5] offset:1536
	s_add_u32 s0, s4, s6
	s_mul_hi_u32 s3, s6, 3
	s_mul_i32 s6, s6, 3
	s_addc_u32 s7, s5, 0
	s_add_u32 s2, s0, s6
	s_addc_u32 s3, s7, s3
	s_load_dword s16, s[2:3], 0x740
	s_load_dwordx4 s[12:15], s[4:5], 0xc50
	s_mov_b32 s9, 0
	s_mov_b32 s1, s9
	;; [unrolled: 1-line block ×3, first 2 shown]
	s_waitcnt lgkmcnt(0)
	s_ashr_i32 s17, s16, 31
	s_lshl_b64 s[10:11], s[16:17], 20
	s_waitcnt vmcnt(0)
	v_readfirstlane_b32 s0, v1
	s_lshl_b32 s0, s0, 3
	s_load_dwordx2 s[6:7], s[4:5], s0 offset:0x0
	s_load_dwordx2 s[18:19], s[4:5], s0 offset:0x400
	;; [unrolled: 1-line block ×3, first 2 shown]
	s_waitcnt lgkmcnt(0)
	s_add_u32 s26, s6, s10
	s_addc_u32 s27, s7, s11
	s_add_u32 s28, s2, s10
	s_addc_u32 s29, s3, s11
	s_and_b32 s0, s26, 63
	s_and_b32 s20, s18, 3
	s_and_b32 s8, s28, 63
	s_or_b64 s[0:1], s[0:1], s[20:21]
	s_lshl_b64 s[16:17], s[16:17], 16
	s_or_b64 s[0:1], s[8:9], s[0:1]
	s_sub_u32 s16, s18, s16
	s_subb_u32 s17, s19, s17
	s_cmp_eq_u64 s[0:1], 0
	s_mov_b64 s[0:1], -1
	s_cbranch_scc0 .LBB276_37
; %bb.1:
	v_mov_b32_e32 v23, 0
	v_lshlrev_b32_e32 v22, 2, v0
	v_cmp_gt_i64_e32 vcc, s[16:17], v[22:23]
	s_and_saveexec_b64 s[18:19], vcc
	s_cbranch_execz .LBB276_36
; %bb.2:
	s_load_dword s0, s[4:5], 0xc6c
	v_lshlrev_b32_e32 v24, 6, v0
	s_mov_b64 s[20:21], 0
	s_mov_b64 s[22:23], 0xffff
	s_waitcnt lgkmcnt(0)
	s_and_b32 s0, s0, 0xffff
	v_add_lshl_u32 v22, v0, s0, 2
	s_lshl_b32 s8, s0, 2
	s_lshl_b32 s30, s0, 6
	s_branch .LBB276_4
.LBB276_3:                              ;   in Loop: Header=BB276_4 Depth=1
	s_or_b64 exec, exec, s[0:1]
	v_mov_b32_e32 v1, s29
	v_add_co_u32_e32 v2, vcc, s28, v24
	v_addc_co_u32_e32 v3, vcc, 0, v1, vcc
	v_cmp_le_i64_e32 vcc, s[16:17], v[22:23]
	v_cmp_lt_u64_e64 s[0:1], s[22:23], v[22:23]
	s_or_b64 s[0:1], vcc, s[0:1]
	s_add_u32 s26, s26, s30
	s_addc_u32 s27, s27, 0
	s_add_u32 s28, s28, s30
	s_addc_u32 s29, s29, 0
	v_mov_b32_e32 v1, s9
	s_and_b64 s[0:1], exec, s[0:1]
	v_add_co_u32_e32 v22, vcc, s8, v22
	s_or_b64 s[20:21], s[0:1], s[20:21]
	v_addc_co_u32_e32 v23, vcc, v23, v1, vcc
	global_store_dwordx4 v[2:3], v[6:9], off
	global_store_dwordx4 v[2:3], v[14:17], off offset:16
	global_store_dwordx4 v[2:3], v[18:21], off offset:32
	;; [unrolled: 1-line block ×3, first 2 shown]
	s_andn2_b64 exec, exec, s[20:21]
	s_cbranch_execz .LBB276_36
.LBB276_4:                              ; =>This Inner Loop Header: Depth=1
	v_mov_b32_e32 v1, s27
	v_add_co_u32_e32 v6, vcc, s26, v24
	v_addc_co_u32_e32 v7, vcc, 0, v1, vcc
	global_load_dwordx4 v[14:17], v[6:7], off
	global_load_dwordx4 v[18:21], v[6:7], off offset:16
	global_load_dwordx4 v[2:5], v[6:7], off offset:48
	;; [unrolled: 1-line block ×3, first 2 shown]
                                        ; implicit-def: $vgpr8_vgpr9
	s_waitcnt vmcnt(3)
	v_xor_b32_e32 v1, 0x80000000, v15
	v_cmp_gt_f64_e32 vcc, 0, v[14:15]
	v_xor_b32_e32 v6, 0x80000000, v17
	v_cndmask_b32_e32 v29, v15, v1, vcc
	v_cmp_gt_f64_e32 vcc, 0, v[16:17]
	v_mov_b32_e32 v28, v14
	v_cndmask_b32_e32 v27, v17, v6, vcc
	v_mov_b32_e32 v26, v16
	v_cmp_ge_f64_e32 vcc, v[28:29], v[26:27]
	s_and_saveexec_b64 s[0:1], vcc
	s_xor_b64 s[24:25], exec, s[0:1]
	s_cbranch_execz .LBB276_10
; %bb.5:                                ;   in Loop: Header=BB276_4 Depth=1
	v_cmp_neq_f64_e32 vcc, 0, v[14:15]
	v_cmp_neq_f64_e64 s[0:1], 0, v[16:17]
	s_or_b64 s[0:1], vcc, s[0:1]
                                        ; implicit-def: $vgpr8_vgpr9
	s_and_saveexec_b64 s[34:35], s[0:1]
	s_xor_b64 s[0:1], exec, s[34:35]
	s_cbranch_execz .LBB276_7
; %bb.6:                                ;   in Loop: Header=BB276_4 Depth=1
	v_div_scale_f64 v[6:7], s[34:35], v[14:15], v[14:15], v[16:17]
	v_rcp_f64_e32 v[8:9], v[6:7]
	v_div_scale_f64 v[26:27], vcc, v[16:17], v[14:15], v[16:17]
	v_fma_f64 v[28:29], -v[6:7], v[8:9], 1.0
	v_fmac_f64_e32 v[8:9], v[8:9], v[28:29]
	v_fma_f64 v[28:29], -v[6:7], v[8:9], 1.0
	v_fmac_f64_e32 v[8:9], v[8:9], v[28:29]
	v_mul_f64 v[28:29], v[26:27], v[8:9]
	v_fma_f64 v[6:7], -v[6:7], v[28:29], v[26:27]
	v_div_fmas_f64 v[6:7], v[6:7], v[8:9], v[28:29]
	v_div_fixup_f64 v[8:9], v[6:7], v[14:15], v[16:17]
	v_fmac_f64_e32 v[14:15], v[16:17], v[8:9]
	v_div_scale_f64 v[6:7], s[34:35], v[14:15], v[14:15], 1.0
	v_rcp_f64_e32 v[16:17], v[6:7]
	v_fma_f64 v[26:27], -v[6:7], v[16:17], 1.0
	v_fmac_f64_e32 v[16:17], v[16:17], v[26:27]
	v_fma_f64 v[26:27], -v[6:7], v[16:17], 1.0
	v_fmac_f64_e32 v[16:17], v[16:17], v[26:27]
	v_div_scale_f64 v[26:27], vcc, 1.0, v[14:15], 1.0
	v_mul_f64 v[28:29], v[26:27], v[16:17]
	v_fma_f64 v[6:7], -v[6:7], v[28:29], v[26:27]
                                        ; implicit-def: $vgpr26_vgpr27
	s_nop 1
	v_div_fmas_f64 v[6:7], v[6:7], v[16:17], v[28:29]
	v_div_fixup_f64 v[14:15], v[6:7], v[14:15], 1.0
	v_pk_mov_b32 v[6:7], s[12:13], s[12:13] op_sel:[0,1]
	v_pk_mov_b32 v[16:17], s[14:15], s[14:15] op_sel:[0,1]
	v_fma_f64 v[6:7], s[14:15], v[8:9], v[6:7]
	v_fma_f64 v[8:9], -s[12:13], v[8:9], v[16:17]
	v_mul_f64 v[6:7], v[6:7], v[14:15]
	v_mul_f64 v[8:9], v[8:9], v[14:15]
                                        ; implicit-def: $vgpr28_vgpr29
.LBB276_7:                              ;   in Loop: Header=BB276_4 Depth=1
	s_andn2_saveexec_b64 s[0:1], s[0:1]
	s_cbranch_execz .LBB276_9
; %bb.8:                                ;   in Loop: Header=BB276_4 Depth=1
	v_div_scale_f64 v[6:7], s[34:35], v[28:29], v[28:29], s[12:13]
	v_rcp_f64_e32 v[8:9], v[6:7]
	v_div_scale_f64 v[14:15], vcc, s[12:13], v[28:29], s[12:13]
	v_fma_f64 v[16:17], -v[6:7], v[8:9], 1.0
	v_fmac_f64_e32 v[8:9], v[8:9], v[16:17]
	v_fma_f64 v[16:17], -v[6:7], v[8:9], 1.0
	v_fmac_f64_e32 v[8:9], v[8:9], v[16:17]
	v_mul_f64 v[16:17], v[14:15], v[8:9]
	v_fma_f64 v[6:7], -v[6:7], v[16:17], v[14:15]
	v_div_scale_f64 v[14:15], s[34:35], v[26:27], v[26:27], s[14:15]
	v_rcp_f64_e32 v[30:31], v[14:15]
	v_div_fmas_f64 v[6:7], v[6:7], v[8:9], v[16:17]
	v_div_fixup_f64 v[6:7], v[6:7], v[28:29], s[12:13]
	v_fma_f64 v[8:9], -v[14:15], v[30:31], 1.0
	v_fmac_f64_e32 v[30:31], v[30:31], v[8:9]
	v_fma_f64 v[8:9], -v[14:15], v[30:31], 1.0
	v_fmac_f64_e32 v[30:31], v[30:31], v[8:9]
	v_div_scale_f64 v[8:9], vcc, s[14:15], v[26:27], s[14:15]
	v_mul_f64 v[16:17], v[8:9], v[30:31]
	v_fma_f64 v[8:9], -v[14:15], v[16:17], v[8:9]
	s_nop 1
	v_div_fmas_f64 v[8:9], v[8:9], v[30:31], v[16:17]
	v_div_fixup_f64 v[8:9], v[8:9], v[26:27], s[14:15]
.LBB276_9:                              ;   in Loop: Header=BB276_4 Depth=1
	s_or_b64 exec, exec, s[0:1]
                                        ; implicit-def: $vgpr16_vgpr17
.LBB276_10:                             ;   in Loop: Header=BB276_4 Depth=1
	s_andn2_saveexec_b64 s[0:1], s[24:25]
	s_cbranch_execz .LBB276_12
; %bb.11:                               ;   in Loop: Header=BB276_4 Depth=1
	v_div_scale_f64 v[6:7], s[24:25], v[16:17], v[16:17], v[14:15]
	v_rcp_f64_e32 v[8:9], v[6:7]
	v_div_scale_f64 v[26:27], vcc, v[14:15], v[16:17], v[14:15]
	v_fma_f64 v[28:29], -v[6:7], v[8:9], 1.0
	v_fmac_f64_e32 v[8:9], v[8:9], v[28:29]
	v_fma_f64 v[28:29], -v[6:7], v[8:9], 1.0
	v_fmac_f64_e32 v[8:9], v[8:9], v[28:29]
	v_mul_f64 v[28:29], v[26:27], v[8:9]
	v_fma_f64 v[6:7], -v[6:7], v[28:29], v[26:27]
	v_div_fmas_f64 v[6:7], v[6:7], v[8:9], v[28:29]
	v_div_fixup_f64 v[8:9], v[6:7], v[16:17], v[14:15]
	v_fmac_f64_e32 v[16:17], v[14:15], v[8:9]
	v_div_scale_f64 v[6:7], s[24:25], v[16:17], v[16:17], 1.0
	v_rcp_f64_e32 v[14:15], v[6:7]
	v_fma_f64 v[26:27], -v[6:7], v[14:15], 1.0
	v_fmac_f64_e32 v[14:15], v[14:15], v[26:27]
	v_fma_f64 v[26:27], -v[6:7], v[14:15], 1.0
	v_fmac_f64_e32 v[14:15], v[14:15], v[26:27]
	v_div_scale_f64 v[26:27], vcc, 1.0, v[16:17], 1.0
	v_mul_f64 v[28:29], v[26:27], v[14:15]
	v_fma_f64 v[6:7], -v[6:7], v[28:29], v[26:27]
	s_nop 1
	v_div_fmas_f64 v[6:7], v[6:7], v[14:15], v[28:29]
	v_div_fixup_f64 v[14:15], v[6:7], v[16:17], 1.0
	v_pk_mov_b32 v[6:7], s[14:15], s[14:15] op_sel:[0,1]
	v_pk_mov_b32 v[16:17], s[12:13], s[12:13] op_sel:[0,1]
	v_fma_f64 v[6:7], s[12:13], v[8:9], v[6:7]
	v_fma_f64 v[8:9], s[14:15], v[8:9], -v[16:17]
	v_mul_f64 v[6:7], v[6:7], v[14:15]
	v_mul_f64 v[8:9], v[8:9], v[14:15]
.LBB276_12:                             ;   in Loop: Header=BB276_4 Depth=1
	s_or_b64 exec, exec, s[0:1]
	s_waitcnt vmcnt(2)
	v_xor_b32_e32 v1, 0x80000000, v19
	v_cmp_gt_f64_e32 vcc, 0, v[18:19]
	v_cndmask_b32_e32 v29, v19, v1, vcc
	v_xor_b32_e32 v1, 0x80000000, v21
	v_cmp_gt_f64_e32 vcc, 0, v[20:21]
	v_mov_b32_e32 v28, v18
	v_cndmask_b32_e32 v27, v21, v1, vcc
	v_mov_b32_e32 v26, v20
	v_cmp_ge_f64_e32 vcc, v[28:29], v[26:27]
                                        ; implicit-def: $vgpr16_vgpr17
	s_and_saveexec_b64 s[0:1], vcc
	s_xor_b64 s[24:25], exec, s[0:1]
	s_cbranch_execz .LBB276_18
; %bb.13:                               ;   in Loop: Header=BB276_4 Depth=1
	v_cmp_neq_f64_e32 vcc, 0, v[18:19]
	v_cmp_neq_f64_e64 s[0:1], 0, v[20:21]
	s_or_b64 s[0:1], vcc, s[0:1]
                                        ; implicit-def: $vgpr16_vgpr17
	s_and_saveexec_b64 s[34:35], s[0:1]
	s_xor_b64 s[0:1], exec, s[34:35]
	s_cbranch_execz .LBB276_15
; %bb.14:                               ;   in Loop: Header=BB276_4 Depth=1
	v_div_scale_f64 v[14:15], s[34:35], v[18:19], v[18:19], v[20:21]
	v_rcp_f64_e32 v[16:17], v[14:15]
	v_div_scale_f64 v[26:27], vcc, v[20:21], v[18:19], v[20:21]
	v_fma_f64 v[28:29], -v[14:15], v[16:17], 1.0
	v_fmac_f64_e32 v[16:17], v[16:17], v[28:29]
	v_fma_f64 v[28:29], -v[14:15], v[16:17], 1.0
	v_fmac_f64_e32 v[16:17], v[16:17], v[28:29]
	v_mul_f64 v[28:29], v[26:27], v[16:17]
	v_fma_f64 v[14:15], -v[14:15], v[28:29], v[26:27]
	v_div_fmas_f64 v[14:15], v[14:15], v[16:17], v[28:29]
	v_div_fixup_f64 v[16:17], v[14:15], v[18:19], v[20:21]
	v_fmac_f64_e32 v[18:19], v[20:21], v[16:17]
	v_div_scale_f64 v[14:15], s[34:35], v[18:19], v[18:19], 1.0
	v_rcp_f64_e32 v[20:21], v[14:15]
	v_fma_f64 v[26:27], -v[14:15], v[20:21], 1.0
	v_fmac_f64_e32 v[20:21], v[20:21], v[26:27]
	v_fma_f64 v[26:27], -v[14:15], v[20:21], 1.0
	v_fmac_f64_e32 v[20:21], v[20:21], v[26:27]
	v_div_scale_f64 v[26:27], vcc, 1.0, v[18:19], 1.0
	v_mul_f64 v[28:29], v[26:27], v[20:21]
	v_fma_f64 v[14:15], -v[14:15], v[28:29], v[26:27]
                                        ; implicit-def: $vgpr26_vgpr27
	s_nop 1
	v_div_fmas_f64 v[14:15], v[14:15], v[20:21], v[28:29]
	v_div_fixup_f64 v[18:19], v[14:15], v[18:19], 1.0
	v_pk_mov_b32 v[14:15], s[12:13], s[12:13] op_sel:[0,1]
	v_pk_mov_b32 v[20:21], s[14:15], s[14:15] op_sel:[0,1]
	v_fma_f64 v[14:15], s[14:15], v[16:17], v[14:15]
	v_fma_f64 v[16:17], -s[12:13], v[16:17], v[20:21]
	v_mul_f64 v[14:15], v[14:15], v[18:19]
	v_mul_f64 v[16:17], v[16:17], v[18:19]
                                        ; implicit-def: $vgpr28_vgpr29
.LBB276_15:                             ;   in Loop: Header=BB276_4 Depth=1
	s_andn2_saveexec_b64 s[0:1], s[0:1]
	s_cbranch_execz .LBB276_17
; %bb.16:                               ;   in Loop: Header=BB276_4 Depth=1
	v_div_scale_f64 v[14:15], s[34:35], v[28:29], v[28:29], s[12:13]
	v_rcp_f64_e32 v[16:17], v[14:15]
	v_div_scale_f64 v[18:19], vcc, s[12:13], v[28:29], s[12:13]
	v_fma_f64 v[20:21], -v[14:15], v[16:17], 1.0
	v_fmac_f64_e32 v[16:17], v[16:17], v[20:21]
	v_fma_f64 v[20:21], -v[14:15], v[16:17], 1.0
	v_fmac_f64_e32 v[16:17], v[16:17], v[20:21]
	v_mul_f64 v[20:21], v[18:19], v[16:17]
	v_fma_f64 v[14:15], -v[14:15], v[20:21], v[18:19]
	v_div_scale_f64 v[18:19], s[34:35], v[26:27], v[26:27], s[14:15]
	v_rcp_f64_e32 v[30:31], v[18:19]
	v_div_fmas_f64 v[14:15], v[14:15], v[16:17], v[20:21]
	v_div_fixup_f64 v[14:15], v[14:15], v[28:29], s[12:13]
	v_fma_f64 v[16:17], -v[18:19], v[30:31], 1.0
	v_fmac_f64_e32 v[30:31], v[30:31], v[16:17]
	v_fma_f64 v[16:17], -v[18:19], v[30:31], 1.0
	v_fmac_f64_e32 v[30:31], v[30:31], v[16:17]
	v_div_scale_f64 v[16:17], vcc, s[14:15], v[26:27], s[14:15]
	v_mul_f64 v[20:21], v[16:17], v[30:31]
	v_fma_f64 v[16:17], -v[18:19], v[20:21], v[16:17]
	s_nop 1
	v_div_fmas_f64 v[16:17], v[16:17], v[30:31], v[20:21]
	v_div_fixup_f64 v[16:17], v[16:17], v[26:27], s[14:15]
.LBB276_17:                             ;   in Loop: Header=BB276_4 Depth=1
	s_or_b64 exec, exec, s[0:1]
                                        ; implicit-def: $vgpr20_vgpr21
.LBB276_18:                             ;   in Loop: Header=BB276_4 Depth=1
	s_andn2_saveexec_b64 s[0:1], s[24:25]
	s_cbranch_execz .LBB276_20
; %bb.19:                               ;   in Loop: Header=BB276_4 Depth=1
	v_div_scale_f64 v[14:15], s[24:25], v[20:21], v[20:21], v[18:19]
	v_rcp_f64_e32 v[16:17], v[14:15]
	v_div_scale_f64 v[26:27], vcc, v[18:19], v[20:21], v[18:19]
	v_fma_f64 v[28:29], -v[14:15], v[16:17], 1.0
	v_fmac_f64_e32 v[16:17], v[16:17], v[28:29]
	v_fma_f64 v[28:29], -v[14:15], v[16:17], 1.0
	v_fmac_f64_e32 v[16:17], v[16:17], v[28:29]
	v_mul_f64 v[28:29], v[26:27], v[16:17]
	v_fma_f64 v[14:15], -v[14:15], v[28:29], v[26:27]
	v_div_fmas_f64 v[14:15], v[14:15], v[16:17], v[28:29]
	v_div_fixup_f64 v[16:17], v[14:15], v[20:21], v[18:19]
	v_fmac_f64_e32 v[20:21], v[18:19], v[16:17]
	v_div_scale_f64 v[14:15], s[24:25], v[20:21], v[20:21], 1.0
	v_rcp_f64_e32 v[18:19], v[14:15]
	v_fma_f64 v[26:27], -v[14:15], v[18:19], 1.0
	v_fmac_f64_e32 v[18:19], v[18:19], v[26:27]
	v_fma_f64 v[26:27], -v[14:15], v[18:19], 1.0
	v_fmac_f64_e32 v[18:19], v[18:19], v[26:27]
	v_div_scale_f64 v[26:27], vcc, 1.0, v[20:21], 1.0
	v_mul_f64 v[28:29], v[26:27], v[18:19]
	v_fma_f64 v[14:15], -v[14:15], v[28:29], v[26:27]
	s_nop 1
	v_div_fmas_f64 v[14:15], v[14:15], v[18:19], v[28:29]
	v_div_fixup_f64 v[18:19], v[14:15], v[20:21], 1.0
	v_pk_mov_b32 v[14:15], s[14:15], s[14:15] op_sel:[0,1]
	v_pk_mov_b32 v[20:21], s[12:13], s[12:13] op_sel:[0,1]
	v_fma_f64 v[14:15], s[12:13], v[16:17], v[14:15]
	v_fma_f64 v[16:17], s[14:15], v[16:17], -v[20:21]
	v_mul_f64 v[14:15], v[14:15], v[18:19]
	v_mul_f64 v[16:17], v[16:17], v[18:19]
.LBB276_20:                             ;   in Loop: Header=BB276_4 Depth=1
	s_or_b64 exec, exec, s[0:1]
	s_waitcnt vmcnt(0)
	v_xor_b32_e32 v1, 0x80000000, v11
	v_cmp_gt_f64_e32 vcc, 0, v[10:11]
	v_cndmask_b32_e32 v29, v11, v1, vcc
	v_xor_b32_e32 v1, 0x80000000, v13
	v_cmp_gt_f64_e32 vcc, 0, v[12:13]
	v_mov_b32_e32 v28, v10
	v_cndmask_b32_e32 v27, v13, v1, vcc
	v_mov_b32_e32 v26, v12
	v_cmp_ge_f64_e32 vcc, v[28:29], v[26:27]
                                        ; implicit-def: $vgpr20_vgpr21
	s_and_saveexec_b64 s[0:1], vcc
	s_xor_b64 s[24:25], exec, s[0:1]
	s_cbranch_execz .LBB276_26
; %bb.21:                               ;   in Loop: Header=BB276_4 Depth=1
	v_cmp_neq_f64_e32 vcc, 0, v[10:11]
	v_cmp_neq_f64_e64 s[0:1], 0, v[12:13]
	s_or_b64 s[0:1], vcc, s[0:1]
                                        ; implicit-def: $vgpr20_vgpr21
	s_and_saveexec_b64 s[34:35], s[0:1]
	s_xor_b64 s[0:1], exec, s[34:35]
	s_cbranch_execz .LBB276_23
; %bb.22:                               ;   in Loop: Header=BB276_4 Depth=1
	v_div_scale_f64 v[18:19], s[34:35], v[10:11], v[10:11], v[12:13]
	v_rcp_f64_e32 v[20:21], v[18:19]
	v_div_scale_f64 v[26:27], vcc, v[12:13], v[10:11], v[12:13]
	v_fma_f64 v[28:29], -v[18:19], v[20:21], 1.0
	v_fmac_f64_e32 v[20:21], v[20:21], v[28:29]
	v_fma_f64 v[28:29], -v[18:19], v[20:21], 1.0
	v_fmac_f64_e32 v[20:21], v[20:21], v[28:29]
	v_mul_f64 v[28:29], v[26:27], v[20:21]
	v_fma_f64 v[18:19], -v[18:19], v[28:29], v[26:27]
	v_div_fmas_f64 v[18:19], v[18:19], v[20:21], v[28:29]
	v_div_fixup_f64 v[20:21], v[18:19], v[10:11], v[12:13]
	v_fmac_f64_e32 v[10:11], v[12:13], v[20:21]
	v_div_scale_f64 v[12:13], s[34:35], v[10:11], v[10:11], 1.0
	v_rcp_f64_e32 v[18:19], v[12:13]
	v_fma_f64 v[26:27], -v[12:13], v[18:19], 1.0
	v_fmac_f64_e32 v[18:19], v[18:19], v[26:27]
	v_fma_f64 v[26:27], -v[12:13], v[18:19], 1.0
	v_fmac_f64_e32 v[18:19], v[18:19], v[26:27]
	v_div_scale_f64 v[26:27], vcc, 1.0, v[10:11], 1.0
	v_mul_f64 v[28:29], v[26:27], v[18:19]
	v_fma_f64 v[12:13], -v[12:13], v[28:29], v[26:27]
                                        ; implicit-def: $vgpr26_vgpr27
	s_nop 1
	v_div_fmas_f64 v[12:13], v[12:13], v[18:19], v[28:29]
	v_div_fixup_f64 v[10:11], v[12:13], v[10:11], 1.0
	v_pk_mov_b32 v[12:13], s[12:13], s[12:13] op_sel:[0,1]
	v_fma_f64 v[12:13], s[14:15], v[20:21], v[12:13]
	v_mul_f64 v[18:19], v[12:13], v[10:11]
	v_pk_mov_b32 v[12:13], s[14:15], s[14:15] op_sel:[0,1]
	v_fma_f64 v[12:13], -s[12:13], v[20:21], v[12:13]
	v_mul_f64 v[20:21], v[12:13], v[10:11]
                                        ; implicit-def: $vgpr28_vgpr29
.LBB276_23:                             ;   in Loop: Header=BB276_4 Depth=1
	s_andn2_saveexec_b64 s[0:1], s[0:1]
	s_cbranch_execz .LBB276_25
; %bb.24:                               ;   in Loop: Header=BB276_4 Depth=1
	v_div_scale_f64 v[10:11], s[34:35], v[28:29], v[28:29], s[12:13]
	v_rcp_f64_e32 v[12:13], v[10:11]
	v_div_scale_f64 v[30:31], s[34:35], v[26:27], v[26:27], s[14:15]
	v_div_scale_f64 v[18:19], vcc, s[12:13], v[28:29], s[12:13]
	v_fma_f64 v[20:21], -v[10:11], v[12:13], 1.0
	v_fmac_f64_e32 v[12:13], v[12:13], v[20:21]
	v_fma_f64 v[20:21], -v[10:11], v[12:13], 1.0
	v_fmac_f64_e32 v[12:13], v[12:13], v[20:21]
	v_rcp_f64_e32 v[32:33], v[30:31]
	v_mul_f64 v[20:21], v[18:19], v[12:13]
	v_fma_f64 v[10:11], -v[10:11], v[20:21], v[18:19]
	v_div_fmas_f64 v[10:11], v[10:11], v[12:13], v[20:21]
	v_div_fixup_f64 v[18:19], v[10:11], v[28:29], s[12:13]
	v_fma_f64 v[10:11], -v[30:31], v[32:33], 1.0
	v_fmac_f64_e32 v[32:33], v[32:33], v[10:11]
	v_fma_f64 v[10:11], -v[30:31], v[32:33], 1.0
	v_fmac_f64_e32 v[32:33], v[32:33], v[10:11]
	v_div_scale_f64 v[10:11], vcc, s[14:15], v[26:27], s[14:15]
	v_mul_f64 v[12:13], v[10:11], v[32:33]
	v_fma_f64 v[10:11], -v[30:31], v[12:13], v[10:11]
	s_nop 1
	v_div_fmas_f64 v[10:11], v[10:11], v[32:33], v[12:13]
	v_div_fixup_f64 v[20:21], v[10:11], v[26:27], s[14:15]
.LBB276_25:                             ;   in Loop: Header=BB276_4 Depth=1
	s_or_b64 exec, exec, s[0:1]
                                        ; implicit-def: $vgpr12_vgpr13
.LBB276_26:                             ;   in Loop: Header=BB276_4 Depth=1
	s_andn2_saveexec_b64 s[0:1], s[24:25]
	s_cbranch_execz .LBB276_28
; %bb.27:                               ;   in Loop: Header=BB276_4 Depth=1
	v_div_scale_f64 v[18:19], s[24:25], v[12:13], v[12:13], v[10:11]
	v_rcp_f64_e32 v[20:21], v[18:19]
	v_div_scale_f64 v[26:27], vcc, v[10:11], v[12:13], v[10:11]
	v_fma_f64 v[28:29], -v[18:19], v[20:21], 1.0
	v_fmac_f64_e32 v[20:21], v[20:21], v[28:29]
	v_fma_f64 v[28:29], -v[18:19], v[20:21], 1.0
	v_fmac_f64_e32 v[20:21], v[20:21], v[28:29]
	v_mul_f64 v[28:29], v[26:27], v[20:21]
	v_fma_f64 v[18:19], -v[18:19], v[28:29], v[26:27]
	v_div_fmas_f64 v[18:19], v[18:19], v[20:21], v[28:29]
	v_div_fixup_f64 v[20:21], v[18:19], v[12:13], v[10:11]
	v_fmac_f64_e32 v[12:13], v[10:11], v[20:21]
	v_div_scale_f64 v[10:11], s[24:25], v[12:13], v[12:13], 1.0
	v_rcp_f64_e32 v[18:19], v[10:11]
	v_fma_f64 v[26:27], -v[10:11], v[18:19], 1.0
	v_fmac_f64_e32 v[18:19], v[18:19], v[26:27]
	v_fma_f64 v[26:27], -v[10:11], v[18:19], 1.0
	v_fmac_f64_e32 v[18:19], v[18:19], v[26:27]
	v_div_scale_f64 v[26:27], vcc, 1.0, v[12:13], 1.0
	v_mul_f64 v[28:29], v[26:27], v[18:19]
	v_fma_f64 v[10:11], -v[10:11], v[28:29], v[26:27]
	s_nop 1
	v_div_fmas_f64 v[10:11], v[10:11], v[18:19], v[28:29]
	v_div_fixup_f64 v[10:11], v[10:11], v[12:13], 1.0
	v_pk_mov_b32 v[12:13], s[14:15], s[14:15] op_sel:[0,1]
	v_fma_f64 v[12:13], s[12:13], v[20:21], v[12:13]
	v_mul_f64 v[18:19], v[12:13], v[10:11]
	v_pk_mov_b32 v[12:13], s[12:13], s[12:13] op_sel:[0,1]
	v_fma_f64 v[12:13], s[14:15], v[20:21], -v[12:13]
	v_mul_f64 v[20:21], v[12:13], v[10:11]
.LBB276_28:                             ;   in Loop: Header=BB276_4 Depth=1
	s_or_b64 exec, exec, s[0:1]
	v_xor_b32_e32 v1, 0x80000000, v3
	v_cmp_gt_f64_e32 vcc, 0, v[2:3]
	v_cndmask_b32_e32 v29, v3, v1, vcc
	v_xor_b32_e32 v1, 0x80000000, v5
	v_cmp_gt_f64_e32 vcc, 0, v[4:5]
	v_mov_b32_e32 v28, v2
	v_cndmask_b32_e32 v27, v5, v1, vcc
	v_mov_b32_e32 v26, v4
	v_cmp_ge_f64_e32 vcc, v[28:29], v[26:27]
                                        ; implicit-def: $vgpr12_vgpr13
	s_and_saveexec_b64 s[0:1], vcc
	s_xor_b64 s[24:25], exec, s[0:1]
	s_cbranch_execz .LBB276_34
; %bb.29:                               ;   in Loop: Header=BB276_4 Depth=1
	v_cmp_neq_f64_e32 vcc, 0, v[2:3]
	v_cmp_neq_f64_e64 s[0:1], 0, v[4:5]
	s_or_b64 s[0:1], vcc, s[0:1]
                                        ; implicit-def: $vgpr12_vgpr13
	s_and_saveexec_b64 s[34:35], s[0:1]
	s_xor_b64 s[0:1], exec, s[34:35]
	s_cbranch_execz .LBB276_31
; %bb.30:                               ;   in Loop: Header=BB276_4 Depth=1
	v_div_scale_f64 v[10:11], s[34:35], v[2:3], v[2:3], v[4:5]
	v_rcp_f64_e32 v[12:13], v[10:11]
	v_div_scale_f64 v[26:27], vcc, v[4:5], v[2:3], v[4:5]
	v_fma_f64 v[28:29], -v[10:11], v[12:13], 1.0
	v_fmac_f64_e32 v[12:13], v[12:13], v[28:29]
	v_fma_f64 v[28:29], -v[10:11], v[12:13], 1.0
	v_fmac_f64_e32 v[12:13], v[12:13], v[28:29]
	v_mul_f64 v[28:29], v[26:27], v[12:13]
	v_fma_f64 v[10:11], -v[10:11], v[28:29], v[26:27]
	v_div_fmas_f64 v[10:11], v[10:11], v[12:13], v[28:29]
	v_div_fixup_f64 v[12:13], v[10:11], v[2:3], v[4:5]
	v_fmac_f64_e32 v[2:3], v[4:5], v[12:13]
	v_div_scale_f64 v[4:5], s[34:35], v[2:3], v[2:3], 1.0
	v_rcp_f64_e32 v[10:11], v[4:5]
	v_fma_f64 v[26:27], -v[4:5], v[10:11], 1.0
	v_fmac_f64_e32 v[10:11], v[10:11], v[26:27]
	v_fma_f64 v[26:27], -v[4:5], v[10:11], 1.0
	v_fmac_f64_e32 v[10:11], v[10:11], v[26:27]
	v_div_scale_f64 v[26:27], vcc, 1.0, v[2:3], 1.0
	v_mul_f64 v[28:29], v[26:27], v[10:11]
	v_fma_f64 v[4:5], -v[4:5], v[28:29], v[26:27]
                                        ; implicit-def: $vgpr26_vgpr27
	s_nop 1
	v_div_fmas_f64 v[4:5], v[4:5], v[10:11], v[28:29]
	v_div_fixup_f64 v[2:3], v[4:5], v[2:3], 1.0
	v_pk_mov_b32 v[4:5], s[12:13], s[12:13] op_sel:[0,1]
	v_fma_f64 v[4:5], s[14:15], v[12:13], v[4:5]
	v_mul_f64 v[10:11], v[4:5], v[2:3]
	v_pk_mov_b32 v[4:5], s[14:15], s[14:15] op_sel:[0,1]
	v_fma_f64 v[4:5], -s[12:13], v[12:13], v[4:5]
	v_mul_f64 v[12:13], v[4:5], v[2:3]
                                        ; implicit-def: $vgpr28_vgpr29
.LBB276_31:                             ;   in Loop: Header=BB276_4 Depth=1
	s_andn2_saveexec_b64 s[0:1], s[0:1]
	s_cbranch_execz .LBB276_33
; %bb.32:                               ;   in Loop: Header=BB276_4 Depth=1
	v_div_scale_f64 v[2:3], s[34:35], v[28:29], v[28:29], s[12:13]
	v_rcp_f64_e32 v[4:5], v[2:3]
	v_div_scale_f64 v[30:31], s[34:35], v[26:27], v[26:27], s[14:15]
	v_div_scale_f64 v[10:11], vcc, s[12:13], v[28:29], s[12:13]
	v_fma_f64 v[12:13], -v[2:3], v[4:5], 1.0
	v_fmac_f64_e32 v[4:5], v[4:5], v[12:13]
	v_fma_f64 v[12:13], -v[2:3], v[4:5], 1.0
	v_fmac_f64_e32 v[4:5], v[4:5], v[12:13]
	v_rcp_f64_e32 v[32:33], v[30:31]
	v_mul_f64 v[12:13], v[10:11], v[4:5]
	v_fma_f64 v[2:3], -v[2:3], v[12:13], v[10:11]
	v_div_fmas_f64 v[2:3], v[2:3], v[4:5], v[12:13]
	v_div_fixup_f64 v[10:11], v[2:3], v[28:29], s[12:13]
	v_fma_f64 v[2:3], -v[30:31], v[32:33], 1.0
	v_fmac_f64_e32 v[32:33], v[32:33], v[2:3]
	v_fma_f64 v[2:3], -v[30:31], v[32:33], 1.0
	v_fmac_f64_e32 v[32:33], v[32:33], v[2:3]
	v_div_scale_f64 v[2:3], vcc, s[14:15], v[26:27], s[14:15]
	v_mul_f64 v[4:5], v[2:3], v[32:33]
	v_fma_f64 v[2:3], -v[30:31], v[4:5], v[2:3]
	s_nop 1
	v_div_fmas_f64 v[2:3], v[2:3], v[32:33], v[4:5]
	v_div_fixup_f64 v[12:13], v[2:3], v[26:27], s[14:15]
.LBB276_33:                             ;   in Loop: Header=BB276_4 Depth=1
	s_or_b64 exec, exec, s[0:1]
                                        ; implicit-def: $vgpr4_vgpr5
.LBB276_34:                             ;   in Loop: Header=BB276_4 Depth=1
	s_andn2_saveexec_b64 s[0:1], s[24:25]
	s_cbranch_execz .LBB276_3
; %bb.35:                               ;   in Loop: Header=BB276_4 Depth=1
	v_div_scale_f64 v[10:11], s[24:25], v[4:5], v[4:5], v[2:3]
	v_rcp_f64_e32 v[12:13], v[10:11]
	v_div_scale_f64 v[26:27], vcc, v[2:3], v[4:5], v[2:3]
	v_fma_f64 v[28:29], -v[10:11], v[12:13], 1.0
	v_fmac_f64_e32 v[12:13], v[12:13], v[28:29]
	v_fma_f64 v[28:29], -v[10:11], v[12:13], 1.0
	v_fmac_f64_e32 v[12:13], v[12:13], v[28:29]
	v_mul_f64 v[28:29], v[26:27], v[12:13]
	v_fma_f64 v[10:11], -v[10:11], v[28:29], v[26:27]
	v_div_fmas_f64 v[10:11], v[10:11], v[12:13], v[28:29]
	v_div_fixup_f64 v[12:13], v[10:11], v[4:5], v[2:3]
	v_fmac_f64_e32 v[4:5], v[2:3], v[12:13]
	v_div_scale_f64 v[2:3], s[24:25], v[4:5], v[4:5], 1.0
	v_rcp_f64_e32 v[10:11], v[2:3]
	v_fma_f64 v[26:27], -v[2:3], v[10:11], 1.0
	v_fmac_f64_e32 v[10:11], v[10:11], v[26:27]
	v_fma_f64 v[26:27], -v[2:3], v[10:11], 1.0
	v_fmac_f64_e32 v[10:11], v[10:11], v[26:27]
	v_div_scale_f64 v[26:27], vcc, 1.0, v[4:5], 1.0
	v_mul_f64 v[28:29], v[26:27], v[10:11]
	v_fma_f64 v[2:3], -v[2:3], v[28:29], v[26:27]
	s_nop 1
	v_div_fmas_f64 v[2:3], v[2:3], v[10:11], v[28:29]
	v_div_fixup_f64 v[2:3], v[2:3], v[4:5], 1.0
	v_pk_mov_b32 v[4:5], s[14:15], s[14:15] op_sel:[0,1]
	v_fma_f64 v[4:5], s[12:13], v[12:13], v[4:5]
	v_mul_f64 v[10:11], v[4:5], v[2:3]
	v_pk_mov_b32 v[4:5], s[12:13], s[12:13] op_sel:[0,1]
	v_fma_f64 v[4:5], s[14:15], v[12:13], -v[4:5]
	v_mul_f64 v[12:13], v[4:5], v[2:3]
	s_branch .LBB276_3
.LBB276_36:
	s_or_b64 exec, exec, s[18:19]
	s_mov_b64 s[0:1], 0
.LBB276_37:
	s_andn2_b64 vcc, exec, s[0:1]
	s_cbranch_vccnz .LBB276_89
; %bb.38:
	v_cmp_lt_i64_e64 s[0:1], s[16:17], 1
	s_and_b64 vcc, exec, s[0:1]
	s_cbranch_vccnz .LBB276_89
; %bb.39:
	s_load_dword s0, s[4:5], 0xc6c
	v_mov_b32_e32 v2, 0x10000
	v_mov_b32_e32 v3, 0
	v_cmp_lt_u64_e32 vcc, s[16:17], v[2:3]
	v_lshl_or_b32 v2, v0, 4, 8
	s_waitcnt lgkmcnt(0)
	s_and_b32 s27, s0, 0xffff
	s_and_b64 s[0:1], vcc, exec
	v_mov_b32_e32 v6, s7
	v_add_co_u32_e32 v22, vcc, s6, v2
	v_addc_co_u32_e32 v23, vcc, 0, v6, vcc
	v_mov_b32_e32 v7, s3
	v_add_co_u32_e32 v24, vcc, s2, v2
	v_mov_b32_e32 v1, 0
	v_addc_co_u32_e32 v25, vcc, 0, v7, vcc
	v_add_lshl_u32 v8, v0, s27, 4
	v_mov_b32_e32 v3, v1
	v_add_co_u32_e32 v26, vcc, s2, v8
	v_addc_co_u32_e32 v27, vcc, 0, v7, vcc
	v_mad_u64_u32 v[4:5], s[0:1], s27, 48, v[2:3]
	v_add_co_u32_e32 v28, vcc, s6, v4
	v_addc_co_u32_e32 v29, vcc, v6, v5, vcc
	v_add_co_u32_e32 v30, vcc, s6, v8
	v_addc_co_u32_e32 v31, vcc, 0, v6, vcc
	v_add_co_u32_e32 v32, vcc, s2, v4
	s_cselect_b32 s19, s17, 0
	s_cselect_b32 s18, s16, 0x10000
	v_addc_co_u32_e32 v33, vcc, v7, v5, vcc
	s_lshl_b32 s0, s27, 5
	v_add_co_u32_e32 v2, vcc, s0, v2
	v_addc_co_u32_e64 v3, s[0:1], 0, 0, vcc
	v_add_co_u32_e32 v34, vcc, s6, v2
	s_mov_b32 s26, 0
	v_addc_co_u32_e32 v35, vcc, v6, v3, vcc
	s_lshl_b32 s20, s27, 2
	s_mov_b32 s21, s26
	v_add_co_u32_e32 v36, vcc, s2, v2
	s_lshl_b32 s28, s27, 1
	s_mov_b32 s29, s26
	s_mul_i32 s30, s27, 3
	s_mov_b32 s31, s26
	s_lshl_b32 s33, s27, 6
	s_mov_b32 s34, s26
	v_addc_co_u32_e32 v37, vcc, v7, v3, vcc
	s_mov_b64 s[22:23], s[20:21]
	s_branch .LBB276_41
.LBB276_40:                             ;   in Loop: Header=BB276_41 Depth=1
	s_or_b64 exec, exec, s[0:1]
	v_pk_mov_b32 v[2:3], s[16:17], s[16:17] op_sel:[0,1]
	v_cmp_ge_i64_e32 vcc, s[22:23], v[2:3]
	v_mov_b32_e32 v2, 0xffff
	v_mov_b32_e32 v3, 0
	v_cmp_gt_u64_e64 s[0:1], s[22:23], v[2:3]
	s_or_b64 s[0:1], vcc, s[0:1]
	v_mov_b32_e32 v2, s21
	v_add_co_u32_e32 v0, vcc, s20, v0
	v_addc_co_u32_e32 v1, vcc, v1, v2, vcc
	v_mov_b32_e32 v2, s34
	v_add_co_u32_e32 v22, vcc, s33, v22
	v_addc_co_u32_e32 v23, vcc, v23, v2, vcc
	v_add_co_u32_e32 v24, vcc, s33, v24
	v_addc_co_u32_e32 v25, vcc, v25, v2, vcc
	;; [unrolled: 2-line block ×7, first 2 shown]
	v_add_co_u32_e32 v36, vcc, s33, v36
	s_add_u32 s22, s22, s20
	v_addc_co_u32_e32 v37, vcc, v37, v2, vcc
	s_addc_u32 s23, s23, 0
	s_and_b64 vcc, exec, s[0:1]
	s_cbranch_vccnz .LBB276_89
.LBB276_41:                             ; =>This Inner Loop Header: Depth=1
	v_pk_mov_b32 v[20:21], 0, 0
	v_cmp_gt_u64_e64 s[0:1], s[18:19], v[0:1]
	v_pk_mov_b32 v[16:17], v[20:21], v[20:21] op_sel:[0,1]
	v_pk_mov_b32 v[14:15], v[20:21], v[20:21] op_sel:[0,1]
	s_and_saveexec_b64 s[2:3], s[0:1]
	s_cbranch_execz .LBB276_43
; %bb.42:                               ;   in Loop: Header=BB276_41 Depth=1
	v_mov_b32_e32 v3, s11
	v_add_co_u32_e32 v2, vcc, s10, v22
	v_addc_co_u32_e32 v3, vcc, v23, v3, vcc
	global_load_dwordx4 v[14:17], v[2:3], off offset:-8
.LBB276_43:                             ;   in Loop: Header=BB276_41 Depth=1
	s_or_b64 exec, exec, s[2:3]
	v_mov_b32_e32 v3, s26
	v_add_co_u32_e32 v2, vcc, s27, v0
	v_addc_co_u32_e32 v3, vcc, v3, v1, vcc
	v_cmp_gt_u64_e64 s[2:3], s[18:19], v[2:3]
	v_pk_mov_b32 v[18:19], v[20:21], v[20:21] op_sel:[0,1]
	s_and_saveexec_b64 s[4:5], s[2:3]
	s_cbranch_execz .LBB276_45
; %bb.44:                               ;   in Loop: Header=BB276_41 Depth=1
	v_mov_b32_e32 v3, s11
	v_add_co_u32_e32 v2, vcc, s10, v30
	v_addc_co_u32_e32 v3, vcc, v31, v3, vcc
	global_load_dwordx4 v[18:21], v[2:3], off
.LBB276_45:                             ;   in Loop: Header=BB276_41 Depth=1
	s_or_b64 exec, exec, s[4:5]
	v_mov_b32_e32 v3, s29
	v_add_co_u32_e32 v2, vcc, s28, v0
	v_addc_co_u32_e32 v3, vcc, v3, v1, vcc
	v_pk_mov_b32 v[4:5], 0, 0
	v_cmp_gt_u64_e64 s[4:5], s[18:19], v[2:3]
	v_pk_mov_b32 v[12:13], v[4:5], v[4:5] op_sel:[0,1]
	v_pk_mov_b32 v[10:11], v[4:5], v[4:5] op_sel:[0,1]
	s_and_saveexec_b64 s[6:7], s[4:5]
	s_cbranch_execz .LBB276_47
; %bb.46:                               ;   in Loop: Header=BB276_41 Depth=1
	v_mov_b32_e32 v3, s11
	v_add_co_u32_e32 v2, vcc, s10, v34
	v_addc_co_u32_e32 v3, vcc, v35, v3, vcc
	global_load_dwordx4 v[10:13], v[2:3], off offset:-8
.LBB276_47:                             ;   in Loop: Header=BB276_41 Depth=1
	s_or_b64 exec, exec, s[6:7]
	v_mov_b32_e32 v3, s31
	v_add_co_u32_e32 v2, vcc, s30, v0
	v_addc_co_u32_e32 v3, vcc, v3, v1, vcc
	v_cmp_gt_u64_e64 s[6:7], s[18:19], v[2:3]
	v_pk_mov_b32 v[2:3], v[4:5], v[4:5] op_sel:[0,1]
	s_and_saveexec_b64 s[8:9], s[6:7]
	s_cbranch_execz .LBB276_49
; %bb.48:                               ;   in Loop: Header=BB276_41 Depth=1
	v_mov_b32_e32 v3, s11
	v_add_co_u32_e32 v2, vcc, s10, v28
	v_addc_co_u32_e32 v3, vcc, v29, v3, vcc
	global_load_dwordx4 v[2:5], v[2:3], off offset:-8
.LBB276_49:                             ;   in Loop: Header=BB276_41 Depth=1
	s_or_b64 exec, exec, s[8:9]
	s_waitcnt vmcnt(0)
	v_xor_b32_e32 v6, 0x80000000, v15
	v_cmp_gt_f64_e32 vcc, 0, v[14:15]
	v_cndmask_b32_e32 v41, v15, v6, vcc
	v_cndmask_b32_e32 v40, v14, v14, vcc
	v_xor_b32_e32 v6, 0x80000000, v17
	v_cmp_gt_f64_e32 vcc, 0, v[16:17]
	v_cndmask_b32_e32 v39, v17, v6, vcc
	v_cndmask_b32_e32 v38, v16, v16, vcc
	v_cmp_ge_f64_e32 vcc, v[40:41], v[38:39]
                                        ; implicit-def: $vgpr8_vgpr9
	s_and_saveexec_b64 s[8:9], vcc
	s_xor_b64 s[24:25], exec, s[8:9]
	s_cbranch_execz .LBB276_55
; %bb.50:                               ;   in Loop: Header=BB276_41 Depth=1
	v_cmp_neq_f64_e32 vcc, 0, v[14:15]
	v_cmp_neq_f64_e64 s[8:9], 0, v[16:17]
	s_or_b64 s[8:9], s[8:9], vcc
                                        ; implicit-def: $vgpr8_vgpr9
	s_and_saveexec_b64 s[36:37], s[8:9]
	s_xor_b64 s[8:9], exec, s[36:37]
	s_cbranch_execz .LBB276_52
; %bb.51:                               ;   in Loop: Header=BB276_41 Depth=1
	v_div_scale_f64 v[6:7], s[36:37], v[14:15], v[14:15], v[16:17]
	v_rcp_f64_e32 v[8:9], v[6:7]
	v_div_scale_f64 v[38:39], vcc, v[16:17], v[14:15], v[16:17]
	v_fma_f64 v[40:41], -v[6:7], v[8:9], 1.0
	v_fmac_f64_e32 v[8:9], v[8:9], v[40:41]
	v_fma_f64 v[40:41], -v[6:7], v[8:9], 1.0
	v_fmac_f64_e32 v[8:9], v[8:9], v[40:41]
	v_mul_f64 v[40:41], v[38:39], v[8:9]
	v_fma_f64 v[6:7], -v[6:7], v[40:41], v[38:39]
	v_div_fmas_f64 v[6:7], v[6:7], v[8:9], v[40:41]
	v_div_fixup_f64 v[8:9], v[6:7], v[14:15], v[16:17]
	v_fmac_f64_e32 v[14:15], v[16:17], v[8:9]
	v_div_scale_f64 v[6:7], s[36:37], v[14:15], v[14:15], 1.0
	v_rcp_f64_e32 v[16:17], v[6:7]
	v_fma_f64 v[38:39], -v[6:7], v[16:17], 1.0
	v_fmac_f64_e32 v[16:17], v[16:17], v[38:39]
	v_fma_f64 v[38:39], -v[6:7], v[16:17], 1.0
	v_fmac_f64_e32 v[16:17], v[16:17], v[38:39]
	v_div_scale_f64 v[38:39], vcc, 1.0, v[14:15], 1.0
	v_mul_f64 v[40:41], v[38:39], v[16:17]
	v_fma_f64 v[6:7], -v[6:7], v[40:41], v[38:39]
                                        ; implicit-def: $vgpr38_vgpr39
	s_nop 1
	v_div_fmas_f64 v[6:7], v[6:7], v[16:17], v[40:41]
	v_div_fixup_f64 v[14:15], v[6:7], v[14:15], 1.0
	v_pk_mov_b32 v[6:7], s[12:13], s[12:13] op_sel:[0,1]
	v_pk_mov_b32 v[16:17], s[14:15], s[14:15] op_sel:[0,1]
	v_fma_f64 v[6:7], s[14:15], v[8:9], v[6:7]
	v_fma_f64 v[8:9], -s[12:13], v[8:9], v[16:17]
	v_mul_f64 v[6:7], v[6:7], v[14:15]
	v_mul_f64 v[8:9], v[8:9], v[14:15]
                                        ; implicit-def: $vgpr40_vgpr41
.LBB276_52:                             ;   in Loop: Header=BB276_41 Depth=1
	s_andn2_saveexec_b64 s[8:9], s[8:9]
	s_cbranch_execz .LBB276_54
; %bb.53:                               ;   in Loop: Header=BB276_41 Depth=1
	v_div_scale_f64 v[6:7], s[36:37], v[40:41], v[40:41], s[12:13]
	v_rcp_f64_e32 v[8:9], v[6:7]
	v_div_scale_f64 v[14:15], vcc, s[12:13], v[40:41], s[12:13]
	v_fma_f64 v[16:17], -v[6:7], v[8:9], 1.0
	v_fmac_f64_e32 v[8:9], v[8:9], v[16:17]
	v_fma_f64 v[16:17], -v[6:7], v[8:9], 1.0
	v_fmac_f64_e32 v[8:9], v[8:9], v[16:17]
	v_mul_f64 v[16:17], v[14:15], v[8:9]
	v_fma_f64 v[6:7], -v[6:7], v[16:17], v[14:15]
	v_div_scale_f64 v[14:15], s[36:37], v[38:39], v[38:39], s[14:15]
	v_rcp_f64_e32 v[42:43], v[14:15]
	v_div_fmas_f64 v[6:7], v[6:7], v[8:9], v[16:17]
	v_div_fixup_f64 v[6:7], v[6:7], v[40:41], s[12:13]
	v_fma_f64 v[8:9], -v[14:15], v[42:43], 1.0
	v_fmac_f64_e32 v[42:43], v[42:43], v[8:9]
	v_fma_f64 v[8:9], -v[14:15], v[42:43], 1.0
	v_fmac_f64_e32 v[42:43], v[42:43], v[8:9]
	v_div_scale_f64 v[8:9], vcc, s[14:15], v[38:39], s[14:15]
	v_mul_f64 v[16:17], v[8:9], v[42:43]
	v_fma_f64 v[8:9], -v[14:15], v[16:17], v[8:9]
	s_nop 1
	v_div_fmas_f64 v[8:9], v[8:9], v[42:43], v[16:17]
	v_div_fixup_f64 v[8:9], v[8:9], v[38:39], s[14:15]
.LBB276_54:                             ;   in Loop: Header=BB276_41 Depth=1
	s_or_b64 exec, exec, s[8:9]
                                        ; implicit-def: $vgpr16_vgpr17
.LBB276_55:                             ;   in Loop: Header=BB276_41 Depth=1
	s_andn2_saveexec_b64 s[8:9], s[24:25]
	s_cbranch_execz .LBB276_57
; %bb.56:                               ;   in Loop: Header=BB276_41 Depth=1
	v_div_scale_f64 v[6:7], s[24:25], v[16:17], v[16:17], v[14:15]
	v_rcp_f64_e32 v[8:9], v[6:7]
	v_div_scale_f64 v[38:39], vcc, v[14:15], v[16:17], v[14:15]
	v_fma_f64 v[40:41], -v[6:7], v[8:9], 1.0
	v_fmac_f64_e32 v[8:9], v[8:9], v[40:41]
	v_fma_f64 v[40:41], -v[6:7], v[8:9], 1.0
	v_fmac_f64_e32 v[8:9], v[8:9], v[40:41]
	v_mul_f64 v[40:41], v[38:39], v[8:9]
	v_fma_f64 v[6:7], -v[6:7], v[40:41], v[38:39]
	v_div_fmas_f64 v[6:7], v[6:7], v[8:9], v[40:41]
	v_div_fixup_f64 v[8:9], v[6:7], v[16:17], v[14:15]
	v_fmac_f64_e32 v[16:17], v[14:15], v[8:9]
	v_div_scale_f64 v[6:7], s[24:25], v[16:17], v[16:17], 1.0
	v_rcp_f64_e32 v[14:15], v[6:7]
	v_fma_f64 v[38:39], -v[6:7], v[14:15], 1.0
	v_fmac_f64_e32 v[14:15], v[14:15], v[38:39]
	v_fma_f64 v[38:39], -v[6:7], v[14:15], 1.0
	v_fmac_f64_e32 v[14:15], v[14:15], v[38:39]
	v_div_scale_f64 v[38:39], vcc, 1.0, v[16:17], 1.0
	v_mul_f64 v[40:41], v[38:39], v[14:15]
	v_fma_f64 v[6:7], -v[6:7], v[40:41], v[38:39]
	s_nop 1
	v_div_fmas_f64 v[6:7], v[6:7], v[14:15], v[40:41]
	v_div_fixup_f64 v[14:15], v[6:7], v[16:17], 1.0
	v_pk_mov_b32 v[6:7], s[14:15], s[14:15] op_sel:[0,1]
	v_pk_mov_b32 v[16:17], s[12:13], s[12:13] op_sel:[0,1]
	v_fma_f64 v[6:7], s[12:13], v[8:9], v[6:7]
	v_fma_f64 v[8:9], s[14:15], v[8:9], -v[16:17]
	v_mul_f64 v[6:7], v[6:7], v[14:15]
	v_mul_f64 v[8:9], v[8:9], v[14:15]
.LBB276_57:                             ;   in Loop: Header=BB276_41 Depth=1
	s_or_b64 exec, exec, s[8:9]
	v_xor_b32_e32 v14, 0x80000000, v19
	v_cmp_gt_f64_e32 vcc, 0, v[18:19]
	v_cndmask_b32_e32 v41, v19, v14, vcc
	v_cndmask_b32_e32 v40, v18, v18, vcc
	v_xor_b32_e32 v14, 0x80000000, v21
	v_cmp_gt_f64_e32 vcc, 0, v[20:21]
	v_cndmask_b32_e32 v39, v21, v14, vcc
	v_cndmask_b32_e32 v38, v20, v20, vcc
	v_cmp_ge_f64_e32 vcc, v[40:41], v[38:39]
                                        ; implicit-def: $vgpr16_vgpr17
	s_and_saveexec_b64 s[8:9], vcc
	s_xor_b64 s[24:25], exec, s[8:9]
	s_cbranch_execz .LBB276_63
; %bb.58:                               ;   in Loop: Header=BB276_41 Depth=1
	v_cmp_neq_f64_e32 vcc, 0, v[18:19]
	v_cmp_neq_f64_e64 s[8:9], 0, v[20:21]
	s_or_b64 s[8:9], s[8:9], vcc
                                        ; implicit-def: $vgpr16_vgpr17
	s_and_saveexec_b64 s[36:37], s[8:9]
	s_xor_b64 s[8:9], exec, s[36:37]
	s_cbranch_execz .LBB276_60
; %bb.59:                               ;   in Loop: Header=BB276_41 Depth=1
	v_div_scale_f64 v[14:15], s[36:37], v[18:19], v[18:19], v[20:21]
	v_rcp_f64_e32 v[16:17], v[14:15]
	v_div_scale_f64 v[38:39], vcc, v[20:21], v[18:19], v[20:21]
	v_fma_f64 v[40:41], -v[14:15], v[16:17], 1.0
	v_fmac_f64_e32 v[16:17], v[16:17], v[40:41]
	v_fma_f64 v[40:41], -v[14:15], v[16:17], 1.0
	v_fmac_f64_e32 v[16:17], v[16:17], v[40:41]
	v_mul_f64 v[40:41], v[38:39], v[16:17]
	v_fma_f64 v[14:15], -v[14:15], v[40:41], v[38:39]
	v_div_fmas_f64 v[14:15], v[14:15], v[16:17], v[40:41]
	v_div_fixup_f64 v[16:17], v[14:15], v[18:19], v[20:21]
	v_fmac_f64_e32 v[18:19], v[20:21], v[16:17]
	v_div_scale_f64 v[14:15], s[36:37], v[18:19], v[18:19], 1.0
	v_rcp_f64_e32 v[20:21], v[14:15]
	v_fma_f64 v[38:39], -v[14:15], v[20:21], 1.0
	v_fmac_f64_e32 v[20:21], v[20:21], v[38:39]
	v_fma_f64 v[38:39], -v[14:15], v[20:21], 1.0
	v_fmac_f64_e32 v[20:21], v[20:21], v[38:39]
	v_div_scale_f64 v[38:39], vcc, 1.0, v[18:19], 1.0
	v_mul_f64 v[40:41], v[38:39], v[20:21]
	v_fma_f64 v[14:15], -v[14:15], v[40:41], v[38:39]
                                        ; implicit-def: $vgpr38_vgpr39
	s_nop 1
	v_div_fmas_f64 v[14:15], v[14:15], v[20:21], v[40:41]
	v_div_fixup_f64 v[18:19], v[14:15], v[18:19], 1.0
	v_pk_mov_b32 v[14:15], s[12:13], s[12:13] op_sel:[0,1]
	v_pk_mov_b32 v[20:21], s[14:15], s[14:15] op_sel:[0,1]
	v_fma_f64 v[14:15], s[14:15], v[16:17], v[14:15]
	v_fma_f64 v[16:17], -s[12:13], v[16:17], v[20:21]
	v_mul_f64 v[14:15], v[14:15], v[18:19]
	v_mul_f64 v[16:17], v[16:17], v[18:19]
                                        ; implicit-def: $vgpr40_vgpr41
.LBB276_60:                             ;   in Loop: Header=BB276_41 Depth=1
	s_andn2_saveexec_b64 s[8:9], s[8:9]
	s_cbranch_execz .LBB276_62
; %bb.61:                               ;   in Loop: Header=BB276_41 Depth=1
	v_div_scale_f64 v[14:15], s[36:37], v[40:41], v[40:41], s[12:13]
	v_rcp_f64_e32 v[16:17], v[14:15]
	v_div_scale_f64 v[18:19], vcc, s[12:13], v[40:41], s[12:13]
	v_fma_f64 v[20:21], -v[14:15], v[16:17], 1.0
	v_fmac_f64_e32 v[16:17], v[16:17], v[20:21]
	v_fma_f64 v[20:21], -v[14:15], v[16:17], 1.0
	v_fmac_f64_e32 v[16:17], v[16:17], v[20:21]
	v_mul_f64 v[20:21], v[18:19], v[16:17]
	v_fma_f64 v[14:15], -v[14:15], v[20:21], v[18:19]
	v_div_scale_f64 v[18:19], s[36:37], v[38:39], v[38:39], s[14:15]
	v_rcp_f64_e32 v[42:43], v[18:19]
	v_div_fmas_f64 v[14:15], v[14:15], v[16:17], v[20:21]
	v_div_fixup_f64 v[14:15], v[14:15], v[40:41], s[12:13]
	v_fma_f64 v[16:17], -v[18:19], v[42:43], 1.0
	v_fmac_f64_e32 v[42:43], v[42:43], v[16:17]
	v_fma_f64 v[16:17], -v[18:19], v[42:43], 1.0
	v_fmac_f64_e32 v[42:43], v[42:43], v[16:17]
	v_div_scale_f64 v[16:17], vcc, s[14:15], v[38:39], s[14:15]
	v_mul_f64 v[20:21], v[16:17], v[42:43]
	v_fma_f64 v[16:17], -v[18:19], v[20:21], v[16:17]
	s_nop 1
	v_div_fmas_f64 v[16:17], v[16:17], v[42:43], v[20:21]
	v_div_fixup_f64 v[16:17], v[16:17], v[38:39], s[14:15]
.LBB276_62:                             ;   in Loop: Header=BB276_41 Depth=1
	s_or_b64 exec, exec, s[8:9]
                                        ; implicit-def: $vgpr20_vgpr21
.LBB276_63:                             ;   in Loop: Header=BB276_41 Depth=1
	s_andn2_saveexec_b64 s[8:9], s[24:25]
	s_cbranch_execz .LBB276_65
; %bb.64:                               ;   in Loop: Header=BB276_41 Depth=1
	v_div_scale_f64 v[14:15], s[24:25], v[20:21], v[20:21], v[18:19]
	v_rcp_f64_e32 v[16:17], v[14:15]
	v_div_scale_f64 v[38:39], vcc, v[18:19], v[20:21], v[18:19]
	v_fma_f64 v[40:41], -v[14:15], v[16:17], 1.0
	v_fmac_f64_e32 v[16:17], v[16:17], v[40:41]
	v_fma_f64 v[40:41], -v[14:15], v[16:17], 1.0
	v_fmac_f64_e32 v[16:17], v[16:17], v[40:41]
	v_mul_f64 v[40:41], v[38:39], v[16:17]
	v_fma_f64 v[14:15], -v[14:15], v[40:41], v[38:39]
	v_div_fmas_f64 v[14:15], v[14:15], v[16:17], v[40:41]
	v_div_fixup_f64 v[16:17], v[14:15], v[20:21], v[18:19]
	v_fmac_f64_e32 v[20:21], v[18:19], v[16:17]
	v_div_scale_f64 v[14:15], s[24:25], v[20:21], v[20:21], 1.0
	v_rcp_f64_e32 v[18:19], v[14:15]
	v_fma_f64 v[38:39], -v[14:15], v[18:19], 1.0
	v_fmac_f64_e32 v[18:19], v[18:19], v[38:39]
	v_fma_f64 v[38:39], -v[14:15], v[18:19], 1.0
	v_fmac_f64_e32 v[18:19], v[18:19], v[38:39]
	v_div_scale_f64 v[38:39], vcc, 1.0, v[20:21], 1.0
	v_mul_f64 v[40:41], v[38:39], v[18:19]
	v_fma_f64 v[14:15], -v[14:15], v[40:41], v[38:39]
	s_nop 1
	v_div_fmas_f64 v[14:15], v[14:15], v[18:19], v[40:41]
	v_div_fixup_f64 v[18:19], v[14:15], v[20:21], 1.0
	v_pk_mov_b32 v[14:15], s[14:15], s[14:15] op_sel:[0,1]
	v_pk_mov_b32 v[20:21], s[12:13], s[12:13] op_sel:[0,1]
	v_fma_f64 v[14:15], s[12:13], v[16:17], v[14:15]
	v_fma_f64 v[16:17], s[14:15], v[16:17], -v[20:21]
	v_mul_f64 v[14:15], v[14:15], v[18:19]
	v_mul_f64 v[16:17], v[16:17], v[18:19]
.LBB276_65:                             ;   in Loop: Header=BB276_41 Depth=1
	s_or_b64 exec, exec, s[8:9]
	v_xor_b32_e32 v18, 0x80000000, v11
	v_cmp_gt_f64_e32 vcc, 0, v[10:11]
	v_cndmask_b32_e32 v41, v11, v18, vcc
	v_cndmask_b32_e32 v40, v10, v10, vcc
	v_xor_b32_e32 v18, 0x80000000, v13
	v_cmp_gt_f64_e32 vcc, 0, v[12:13]
	v_cndmask_b32_e32 v39, v13, v18, vcc
	v_cndmask_b32_e32 v38, v12, v12, vcc
	v_cmp_ge_f64_e32 vcc, v[40:41], v[38:39]
                                        ; implicit-def: $vgpr20_vgpr21
	s_and_saveexec_b64 s[8:9], vcc
	s_xor_b64 s[24:25], exec, s[8:9]
	s_cbranch_execz .LBB276_71
; %bb.66:                               ;   in Loop: Header=BB276_41 Depth=1
	v_cmp_neq_f64_e32 vcc, 0, v[10:11]
	v_cmp_neq_f64_e64 s[8:9], 0, v[12:13]
	s_or_b64 s[8:9], s[8:9], vcc
                                        ; implicit-def: $vgpr20_vgpr21
	s_and_saveexec_b64 s[36:37], s[8:9]
	s_xor_b64 s[8:9], exec, s[36:37]
	s_cbranch_execz .LBB276_68
; %bb.67:                               ;   in Loop: Header=BB276_41 Depth=1
	v_div_scale_f64 v[18:19], s[36:37], v[10:11], v[10:11], v[12:13]
	v_rcp_f64_e32 v[20:21], v[18:19]
	v_div_scale_f64 v[38:39], vcc, v[12:13], v[10:11], v[12:13]
	v_fma_f64 v[40:41], -v[18:19], v[20:21], 1.0
	v_fmac_f64_e32 v[20:21], v[20:21], v[40:41]
	v_fma_f64 v[40:41], -v[18:19], v[20:21], 1.0
	v_fmac_f64_e32 v[20:21], v[20:21], v[40:41]
	v_mul_f64 v[40:41], v[38:39], v[20:21]
	v_fma_f64 v[18:19], -v[18:19], v[40:41], v[38:39]
	v_div_fmas_f64 v[18:19], v[18:19], v[20:21], v[40:41]
	v_div_fixup_f64 v[20:21], v[18:19], v[10:11], v[12:13]
	v_fmac_f64_e32 v[10:11], v[12:13], v[20:21]
	v_div_scale_f64 v[12:13], s[36:37], v[10:11], v[10:11], 1.0
	v_rcp_f64_e32 v[18:19], v[12:13]
	v_fma_f64 v[38:39], -v[12:13], v[18:19], 1.0
	v_fmac_f64_e32 v[18:19], v[18:19], v[38:39]
	v_fma_f64 v[38:39], -v[12:13], v[18:19], 1.0
	v_fmac_f64_e32 v[18:19], v[18:19], v[38:39]
	v_div_scale_f64 v[38:39], vcc, 1.0, v[10:11], 1.0
	v_mul_f64 v[40:41], v[38:39], v[18:19]
	v_fma_f64 v[12:13], -v[12:13], v[40:41], v[38:39]
                                        ; implicit-def: $vgpr38_vgpr39
	s_nop 1
	v_div_fmas_f64 v[12:13], v[12:13], v[18:19], v[40:41]
	v_div_fixup_f64 v[10:11], v[12:13], v[10:11], 1.0
	v_pk_mov_b32 v[12:13], s[12:13], s[12:13] op_sel:[0,1]
	v_fma_f64 v[12:13], s[14:15], v[20:21], v[12:13]
	v_mul_f64 v[18:19], v[12:13], v[10:11]
	v_pk_mov_b32 v[12:13], s[14:15], s[14:15] op_sel:[0,1]
	v_fma_f64 v[12:13], -s[12:13], v[20:21], v[12:13]
	v_mul_f64 v[20:21], v[12:13], v[10:11]
                                        ; implicit-def: $vgpr40_vgpr41
.LBB276_68:                             ;   in Loop: Header=BB276_41 Depth=1
	s_andn2_saveexec_b64 s[8:9], s[8:9]
	s_cbranch_execz .LBB276_70
; %bb.69:                               ;   in Loop: Header=BB276_41 Depth=1
	v_div_scale_f64 v[10:11], s[36:37], v[40:41], v[40:41], s[12:13]
	v_rcp_f64_e32 v[12:13], v[10:11]
	v_div_scale_f64 v[42:43], s[36:37], v[38:39], v[38:39], s[14:15]
	v_div_scale_f64 v[18:19], vcc, s[12:13], v[40:41], s[12:13]
	v_fma_f64 v[20:21], -v[10:11], v[12:13], 1.0
	v_fmac_f64_e32 v[12:13], v[12:13], v[20:21]
	v_fma_f64 v[20:21], -v[10:11], v[12:13], 1.0
	v_fmac_f64_e32 v[12:13], v[12:13], v[20:21]
	v_rcp_f64_e32 v[44:45], v[42:43]
	v_mul_f64 v[20:21], v[18:19], v[12:13]
	v_fma_f64 v[10:11], -v[10:11], v[20:21], v[18:19]
	v_div_fmas_f64 v[10:11], v[10:11], v[12:13], v[20:21]
	v_div_fixup_f64 v[18:19], v[10:11], v[40:41], s[12:13]
	v_fma_f64 v[10:11], -v[42:43], v[44:45], 1.0
	v_fmac_f64_e32 v[44:45], v[44:45], v[10:11]
	v_fma_f64 v[10:11], -v[42:43], v[44:45], 1.0
	v_fmac_f64_e32 v[44:45], v[44:45], v[10:11]
	v_div_scale_f64 v[10:11], vcc, s[14:15], v[38:39], s[14:15]
	v_mul_f64 v[12:13], v[10:11], v[44:45]
	v_fma_f64 v[10:11], -v[42:43], v[12:13], v[10:11]
	s_nop 1
	v_div_fmas_f64 v[10:11], v[10:11], v[44:45], v[12:13]
	v_div_fixup_f64 v[20:21], v[10:11], v[38:39], s[14:15]
.LBB276_70:                             ;   in Loop: Header=BB276_41 Depth=1
	s_or_b64 exec, exec, s[8:9]
                                        ; implicit-def: $vgpr12_vgpr13
.LBB276_71:                             ;   in Loop: Header=BB276_41 Depth=1
	s_andn2_saveexec_b64 s[8:9], s[24:25]
	s_cbranch_execz .LBB276_73
; %bb.72:                               ;   in Loop: Header=BB276_41 Depth=1
	v_div_scale_f64 v[18:19], s[24:25], v[12:13], v[12:13], v[10:11]
	v_rcp_f64_e32 v[20:21], v[18:19]
	v_div_scale_f64 v[38:39], vcc, v[10:11], v[12:13], v[10:11]
	v_fma_f64 v[40:41], -v[18:19], v[20:21], 1.0
	v_fmac_f64_e32 v[20:21], v[20:21], v[40:41]
	v_fma_f64 v[40:41], -v[18:19], v[20:21], 1.0
	v_fmac_f64_e32 v[20:21], v[20:21], v[40:41]
	v_mul_f64 v[40:41], v[38:39], v[20:21]
	v_fma_f64 v[18:19], -v[18:19], v[40:41], v[38:39]
	v_div_fmas_f64 v[18:19], v[18:19], v[20:21], v[40:41]
	v_div_fixup_f64 v[20:21], v[18:19], v[12:13], v[10:11]
	v_fmac_f64_e32 v[12:13], v[10:11], v[20:21]
	v_div_scale_f64 v[10:11], s[24:25], v[12:13], v[12:13], 1.0
	v_rcp_f64_e32 v[18:19], v[10:11]
	v_fma_f64 v[38:39], -v[10:11], v[18:19], 1.0
	v_fmac_f64_e32 v[18:19], v[18:19], v[38:39]
	v_fma_f64 v[38:39], -v[10:11], v[18:19], 1.0
	v_fmac_f64_e32 v[18:19], v[18:19], v[38:39]
	v_div_scale_f64 v[38:39], vcc, 1.0, v[12:13], 1.0
	v_mul_f64 v[40:41], v[38:39], v[18:19]
	v_fma_f64 v[10:11], -v[10:11], v[40:41], v[38:39]
	s_nop 1
	v_div_fmas_f64 v[10:11], v[10:11], v[18:19], v[40:41]
	v_div_fixup_f64 v[10:11], v[10:11], v[12:13], 1.0
	v_pk_mov_b32 v[12:13], s[14:15], s[14:15] op_sel:[0,1]
	v_fma_f64 v[12:13], s[12:13], v[20:21], v[12:13]
	v_mul_f64 v[18:19], v[12:13], v[10:11]
	v_pk_mov_b32 v[12:13], s[12:13], s[12:13] op_sel:[0,1]
	v_fma_f64 v[12:13], s[14:15], v[20:21], -v[12:13]
	v_mul_f64 v[20:21], v[12:13], v[10:11]
.LBB276_73:                             ;   in Loop: Header=BB276_41 Depth=1
	s_or_b64 exec, exec, s[8:9]
	v_xor_b32_e32 v10, 0x80000000, v3
	v_cmp_gt_f64_e32 vcc, 0, v[2:3]
	v_cndmask_b32_e32 v41, v3, v10, vcc
	v_cndmask_b32_e32 v40, v2, v2, vcc
	v_xor_b32_e32 v10, 0x80000000, v5
	v_cmp_gt_f64_e32 vcc, 0, v[4:5]
	v_cndmask_b32_e32 v39, v5, v10, vcc
	v_cndmask_b32_e32 v38, v4, v4, vcc
	v_cmp_ge_f64_e32 vcc, v[40:41], v[38:39]
                                        ; implicit-def: $vgpr12_vgpr13
	s_and_saveexec_b64 s[8:9], vcc
	s_xor_b64 s[24:25], exec, s[8:9]
	s_cbranch_execnz .LBB276_79
; %bb.74:                               ;   in Loop: Header=BB276_41 Depth=1
	s_andn2_saveexec_b64 s[8:9], s[24:25]
	s_cbranch_execnz .LBB276_84
.LBB276_75:                             ;   in Loop: Header=BB276_41 Depth=1
	s_or_b64 exec, exec, s[8:9]
	s_and_saveexec_b64 s[8:9], s[0:1]
	s_xor_b64 s[0:1], exec, s[8:9]
	s_cbranch_execnz .LBB276_85
.LBB276_76:                             ;   in Loop: Header=BB276_41 Depth=1
	s_or_b64 exec, exec, s[0:1]
	s_and_saveexec_b64 s[0:1], s[2:3]
	s_cbranch_execnz .LBB276_86
.LBB276_77:                             ;   in Loop: Header=BB276_41 Depth=1
	s_or_b64 exec, exec, s[0:1]
	s_and_saveexec_b64 s[0:1], s[4:5]
	s_cbranch_execnz .LBB276_87
.LBB276_78:                             ;   in Loop: Header=BB276_41 Depth=1
	s_or_b64 exec, exec, s[0:1]
	s_and_saveexec_b64 s[0:1], s[6:7]
	s_cbranch_execz .LBB276_40
	s_branch .LBB276_88
.LBB276_79:                             ;   in Loop: Header=BB276_41 Depth=1
	v_cmp_neq_f64_e32 vcc, 0, v[2:3]
	v_cmp_neq_f64_e64 s[8:9], 0, v[4:5]
	s_or_b64 s[8:9], s[8:9], vcc
                                        ; implicit-def: $vgpr12_vgpr13
	s_and_saveexec_b64 s[36:37], s[8:9]
	s_xor_b64 s[8:9], exec, s[36:37]
	s_cbranch_execz .LBB276_81
; %bb.80:                               ;   in Loop: Header=BB276_41 Depth=1
	v_div_scale_f64 v[10:11], s[36:37], v[2:3], v[2:3], v[4:5]
	v_rcp_f64_e32 v[12:13], v[10:11]
	v_div_scale_f64 v[38:39], vcc, v[4:5], v[2:3], v[4:5]
	v_fma_f64 v[40:41], -v[10:11], v[12:13], 1.0
	v_fmac_f64_e32 v[12:13], v[12:13], v[40:41]
	v_fma_f64 v[40:41], -v[10:11], v[12:13], 1.0
	v_fmac_f64_e32 v[12:13], v[12:13], v[40:41]
	v_mul_f64 v[40:41], v[38:39], v[12:13]
	v_fma_f64 v[10:11], -v[10:11], v[40:41], v[38:39]
	v_div_fmas_f64 v[10:11], v[10:11], v[12:13], v[40:41]
	v_div_fixup_f64 v[12:13], v[10:11], v[2:3], v[4:5]
	v_fmac_f64_e32 v[2:3], v[4:5], v[12:13]
	v_div_scale_f64 v[4:5], s[36:37], v[2:3], v[2:3], 1.0
	v_rcp_f64_e32 v[10:11], v[4:5]
	v_fma_f64 v[38:39], -v[4:5], v[10:11], 1.0
	v_fmac_f64_e32 v[10:11], v[10:11], v[38:39]
	v_fma_f64 v[38:39], -v[4:5], v[10:11], 1.0
	v_fmac_f64_e32 v[10:11], v[10:11], v[38:39]
	v_div_scale_f64 v[38:39], vcc, 1.0, v[2:3], 1.0
	v_mul_f64 v[40:41], v[38:39], v[10:11]
	v_fma_f64 v[4:5], -v[4:5], v[40:41], v[38:39]
                                        ; implicit-def: $vgpr38_vgpr39
	s_nop 1
	v_div_fmas_f64 v[4:5], v[4:5], v[10:11], v[40:41]
	v_div_fixup_f64 v[2:3], v[4:5], v[2:3], 1.0
	v_pk_mov_b32 v[4:5], s[12:13], s[12:13] op_sel:[0,1]
	v_fma_f64 v[4:5], s[14:15], v[12:13], v[4:5]
	v_mul_f64 v[10:11], v[4:5], v[2:3]
	v_pk_mov_b32 v[4:5], s[14:15], s[14:15] op_sel:[0,1]
	v_fma_f64 v[4:5], -s[12:13], v[12:13], v[4:5]
	v_mul_f64 v[12:13], v[4:5], v[2:3]
                                        ; implicit-def: $vgpr40_vgpr41
.LBB276_81:                             ;   in Loop: Header=BB276_41 Depth=1
	s_andn2_saveexec_b64 s[8:9], s[8:9]
	s_cbranch_execz .LBB276_83
; %bb.82:                               ;   in Loop: Header=BB276_41 Depth=1
	v_div_scale_f64 v[2:3], s[36:37], v[40:41], v[40:41], s[12:13]
	v_rcp_f64_e32 v[4:5], v[2:3]
	v_div_scale_f64 v[42:43], s[36:37], v[38:39], v[38:39], s[14:15]
	v_div_scale_f64 v[10:11], vcc, s[12:13], v[40:41], s[12:13]
	v_fma_f64 v[12:13], -v[2:3], v[4:5], 1.0
	v_fmac_f64_e32 v[4:5], v[4:5], v[12:13]
	v_fma_f64 v[12:13], -v[2:3], v[4:5], 1.0
	v_fmac_f64_e32 v[4:5], v[4:5], v[12:13]
	v_rcp_f64_e32 v[44:45], v[42:43]
	v_mul_f64 v[12:13], v[10:11], v[4:5]
	v_fma_f64 v[2:3], -v[2:3], v[12:13], v[10:11]
	v_div_fmas_f64 v[2:3], v[2:3], v[4:5], v[12:13]
	v_div_fixup_f64 v[10:11], v[2:3], v[40:41], s[12:13]
	v_fma_f64 v[2:3], -v[42:43], v[44:45], 1.0
	v_fmac_f64_e32 v[44:45], v[44:45], v[2:3]
	v_fma_f64 v[2:3], -v[42:43], v[44:45], 1.0
	v_fmac_f64_e32 v[44:45], v[44:45], v[2:3]
	v_div_scale_f64 v[2:3], vcc, s[14:15], v[38:39], s[14:15]
	v_mul_f64 v[4:5], v[2:3], v[44:45]
	v_fma_f64 v[2:3], -v[42:43], v[4:5], v[2:3]
	s_nop 1
	v_div_fmas_f64 v[2:3], v[2:3], v[44:45], v[4:5]
	v_div_fixup_f64 v[12:13], v[2:3], v[38:39], s[14:15]
.LBB276_83:                             ;   in Loop: Header=BB276_41 Depth=1
	s_or_b64 exec, exec, s[8:9]
                                        ; implicit-def: $vgpr4_vgpr5
	s_andn2_saveexec_b64 s[8:9], s[24:25]
	s_cbranch_execz .LBB276_75
.LBB276_84:                             ;   in Loop: Header=BB276_41 Depth=1
	v_div_scale_f64 v[10:11], s[24:25], v[4:5], v[4:5], v[2:3]
	v_rcp_f64_e32 v[12:13], v[10:11]
	v_div_scale_f64 v[38:39], vcc, v[2:3], v[4:5], v[2:3]
	v_fma_f64 v[40:41], -v[10:11], v[12:13], 1.0
	v_fmac_f64_e32 v[12:13], v[12:13], v[40:41]
	v_fma_f64 v[40:41], -v[10:11], v[12:13], 1.0
	v_fmac_f64_e32 v[12:13], v[12:13], v[40:41]
	v_mul_f64 v[40:41], v[38:39], v[12:13]
	v_fma_f64 v[10:11], -v[10:11], v[40:41], v[38:39]
	v_div_fmas_f64 v[10:11], v[10:11], v[12:13], v[40:41]
	v_div_fixup_f64 v[12:13], v[10:11], v[4:5], v[2:3]
	v_fmac_f64_e32 v[4:5], v[2:3], v[12:13]
	v_div_scale_f64 v[2:3], s[24:25], v[4:5], v[4:5], 1.0
	v_rcp_f64_e32 v[10:11], v[2:3]
	v_fma_f64 v[38:39], -v[2:3], v[10:11], 1.0
	v_fmac_f64_e32 v[10:11], v[10:11], v[38:39]
	v_fma_f64 v[38:39], -v[2:3], v[10:11], 1.0
	v_fmac_f64_e32 v[10:11], v[10:11], v[38:39]
	v_div_scale_f64 v[38:39], vcc, 1.0, v[4:5], 1.0
	v_mul_f64 v[40:41], v[38:39], v[10:11]
	v_fma_f64 v[2:3], -v[2:3], v[40:41], v[38:39]
	s_nop 1
	v_div_fmas_f64 v[2:3], v[2:3], v[10:11], v[40:41]
	v_div_fixup_f64 v[2:3], v[2:3], v[4:5], 1.0
	v_pk_mov_b32 v[4:5], s[14:15], s[14:15] op_sel:[0,1]
	v_fma_f64 v[4:5], s[12:13], v[12:13], v[4:5]
	v_mul_f64 v[10:11], v[4:5], v[2:3]
	v_pk_mov_b32 v[4:5], s[12:13], s[12:13] op_sel:[0,1]
	v_fma_f64 v[4:5], s[14:15], v[12:13], -v[4:5]
	v_mul_f64 v[12:13], v[4:5], v[2:3]
	s_or_b64 exec, exec, s[8:9]
	s_and_saveexec_b64 s[8:9], s[0:1]
	s_xor_b64 s[0:1], exec, s[8:9]
	s_cbranch_execz .LBB276_76
.LBB276_85:                             ;   in Loop: Header=BB276_41 Depth=1
	v_mov_b32_e32 v3, s11
	v_add_co_u32_e32 v2, vcc, s10, v24
	v_addc_co_u32_e32 v3, vcc, v25, v3, vcc
	global_store_dwordx4 v[2:3], v[6:9], off offset:-8
	s_or_b64 exec, exec, s[0:1]
	s_and_saveexec_b64 s[0:1], s[2:3]
	s_cbranch_execz .LBB276_77
.LBB276_86:                             ;   in Loop: Header=BB276_41 Depth=1
	v_mov_b32_e32 v3, s11
	v_add_co_u32_e32 v2, vcc, s10, v26
	v_addc_co_u32_e32 v3, vcc, v27, v3, vcc
	global_store_dwordx4 v[2:3], v[14:17], off
	s_or_b64 exec, exec, s[0:1]
	s_and_saveexec_b64 s[0:1], s[4:5]
	s_cbranch_execz .LBB276_78
.LBB276_87:                             ;   in Loop: Header=BB276_41 Depth=1
	v_mov_b32_e32 v3, s11
	v_add_co_u32_e32 v2, vcc, s10, v36
	v_addc_co_u32_e32 v3, vcc, v37, v3, vcc
	global_store_dwordx4 v[2:3], v[18:21], off offset:-8
	s_or_b64 exec, exec, s[0:1]
	s_and_saveexec_b64 s[0:1], s[6:7]
	s_cbranch_execz .LBB276_40
.LBB276_88:                             ;   in Loop: Header=BB276_41 Depth=1
	v_mov_b32_e32 v3, s11
	v_add_co_u32_e32 v2, vcc, s10, v32
	v_addc_co_u32_e32 v3, vcc, v33, v3, vcc
	global_store_dwordx4 v[2:3], v[10:13], off offset:-8
	s_branch .LBB276_40
.LBB276_89:
	s_endpgm
	.section	.rodata,"a",@progbits
	.p2align	6, 0x0
	.amdhsa_kernel _ZN2at6native12_GLOBAL__N_125multi_tensor_apply_kernelINS1_18TensorListMetadataILi2EEENS1_14UnaryOpFunctorIN3c107complexIdEELi2ELi1ELi1EEEJNS0_10ReciprocalIS8_EEEEEvT_T0_DpT1_
		.amdhsa_group_segment_fixed_size 0
		.amdhsa_private_segment_fixed_size 0
		.amdhsa_kernarg_size 3424
		.amdhsa_user_sgpr_count 6
		.amdhsa_user_sgpr_private_segment_buffer 1
		.amdhsa_user_sgpr_dispatch_ptr 0
		.amdhsa_user_sgpr_queue_ptr 0
		.amdhsa_user_sgpr_kernarg_segment_ptr 1
		.amdhsa_user_sgpr_dispatch_id 0
		.amdhsa_user_sgpr_flat_scratch_init 0
		.amdhsa_user_sgpr_kernarg_preload_length 0
		.amdhsa_user_sgpr_kernarg_preload_offset 0
		.amdhsa_user_sgpr_private_segment_size 0
		.amdhsa_uses_dynamic_stack 0
		.amdhsa_system_sgpr_private_segment_wavefront_offset 0
		.amdhsa_system_sgpr_workgroup_id_x 1
		.amdhsa_system_sgpr_workgroup_id_y 0
		.amdhsa_system_sgpr_workgroup_id_z 0
		.amdhsa_system_sgpr_workgroup_info 0
		.amdhsa_system_vgpr_workitem_id 0
		.amdhsa_next_free_vgpr 46
		.amdhsa_next_free_sgpr 38
		.amdhsa_accum_offset 48
		.amdhsa_reserve_vcc 1
		.amdhsa_reserve_flat_scratch 0
		.amdhsa_float_round_mode_32 0
		.amdhsa_float_round_mode_16_64 0
		.amdhsa_float_denorm_mode_32 3
		.amdhsa_float_denorm_mode_16_64 3
		.amdhsa_dx10_clamp 1
		.amdhsa_ieee_mode 1
		.amdhsa_fp16_overflow 0
		.amdhsa_tg_split 0
		.amdhsa_exception_fp_ieee_invalid_op 0
		.amdhsa_exception_fp_denorm_src 0
		.amdhsa_exception_fp_ieee_div_zero 0
		.amdhsa_exception_fp_ieee_overflow 0
		.amdhsa_exception_fp_ieee_underflow 0
		.amdhsa_exception_fp_ieee_inexact 0
		.amdhsa_exception_int_div_zero 0
	.end_amdhsa_kernel
	.section	.text._ZN2at6native12_GLOBAL__N_125multi_tensor_apply_kernelINS1_18TensorListMetadataILi2EEENS1_14UnaryOpFunctorIN3c107complexIdEELi2ELi1ELi1EEEJNS0_10ReciprocalIS8_EEEEEvT_T0_DpT1_,"axG",@progbits,_ZN2at6native12_GLOBAL__N_125multi_tensor_apply_kernelINS1_18TensorListMetadataILi2EEENS1_14UnaryOpFunctorIN3c107complexIdEELi2ELi1ELi1EEEJNS0_10ReciprocalIS8_EEEEEvT_T0_DpT1_,comdat
.Lfunc_end276:
	.size	_ZN2at6native12_GLOBAL__N_125multi_tensor_apply_kernelINS1_18TensorListMetadataILi2EEENS1_14UnaryOpFunctorIN3c107complexIdEELi2ELi1ELi1EEEJNS0_10ReciprocalIS8_EEEEEvT_T0_DpT1_, .Lfunc_end276-_ZN2at6native12_GLOBAL__N_125multi_tensor_apply_kernelINS1_18TensorListMetadataILi2EEENS1_14UnaryOpFunctorIN3c107complexIdEELi2ELi1ELi1EEEJNS0_10ReciprocalIS8_EEEEEvT_T0_DpT1_
                                        ; -- End function
	.section	.AMDGPU.csdata,"",@progbits
; Kernel info:
; codeLenInByte = 6704
; NumSgprs: 42
; NumVgprs: 46
; NumAgprs: 0
; TotalNumVgprs: 46
; ScratchSize: 0
; MemoryBound: 1
; FloatMode: 240
; IeeeMode: 1
; LDSByteSize: 0 bytes/workgroup (compile time only)
; SGPRBlocks: 5
; VGPRBlocks: 5
; NumSGPRsForWavesPerEU: 42
; NumVGPRsForWavesPerEU: 46
; AccumOffset: 48
; Occupancy: 8
; WaveLimiterHint : 0
; COMPUTE_PGM_RSRC2:SCRATCH_EN: 0
; COMPUTE_PGM_RSRC2:USER_SGPR: 6
; COMPUTE_PGM_RSRC2:TRAP_HANDLER: 0
; COMPUTE_PGM_RSRC2:TGID_X_EN: 1
; COMPUTE_PGM_RSRC2:TGID_Y_EN: 0
; COMPUTE_PGM_RSRC2:TGID_Z_EN: 0
; COMPUTE_PGM_RSRC2:TIDIG_COMP_CNT: 0
; COMPUTE_PGM_RSRC3_GFX90A:ACCUM_OFFSET: 11
; COMPUTE_PGM_RSRC3_GFX90A:TG_SPLIT: 0
	.section	.text._ZN2at6native12_GLOBAL__N_125multi_tensor_apply_kernelINS1_18TensorListMetadataILi2EEENS1_14UnaryOpFunctorIN3c107complexIfEELi2ELi1ELi1EEEJNS0_10ReciprocalIS8_EEEEEvT_T0_DpT1_,"axG",@progbits,_ZN2at6native12_GLOBAL__N_125multi_tensor_apply_kernelINS1_18TensorListMetadataILi2EEENS1_14UnaryOpFunctorIN3c107complexIfEELi2ELi1ELi1EEEJNS0_10ReciprocalIS8_EEEEEvT_T0_DpT1_,comdat
	.globl	_ZN2at6native12_GLOBAL__N_125multi_tensor_apply_kernelINS1_18TensorListMetadataILi2EEENS1_14UnaryOpFunctorIN3c107complexIfEELi2ELi1ELi1EEEJNS0_10ReciprocalIS8_EEEEEvT_T0_DpT1_ ; -- Begin function _ZN2at6native12_GLOBAL__N_125multi_tensor_apply_kernelINS1_18TensorListMetadataILi2EEENS1_14UnaryOpFunctorIN3c107complexIfEELi2ELi1ELi1EEEJNS0_10ReciprocalIS8_EEEEEvT_T0_DpT1_
	.p2align	8
	.type	_ZN2at6native12_GLOBAL__N_125multi_tensor_apply_kernelINS1_18TensorListMetadataILi2EEENS1_14UnaryOpFunctorIN3c107complexIfEELi2ELi1ELi1EEEJNS0_10ReciprocalIS8_EEEEEvT_T0_DpT1_,@function
_ZN2at6native12_GLOBAL__N_125multi_tensor_apply_kernelINS1_18TensorListMetadataILi2EEENS1_14UnaryOpFunctorIN3c107complexIfEELi2ELi1ELi1EEEJNS0_10ReciprocalIS8_EEEEEvT_T0_DpT1_: ; @_ZN2at6native12_GLOBAL__N_125multi_tensor_apply_kernelINS1_18TensorListMetadataILi2EEENS1_14UnaryOpFunctorIN3c107complexIfEELi2ELi1ELi1EEEJNS0_10ReciprocalIS8_EEEEEvT_T0_DpT1_
; %bb.0:
	v_mov_b32_e32 v1, s6
	global_load_ubyte v1, v1, s[4:5] offset:1536
	s_add_u32 s0, s4, s6
	s_mul_hi_u32 s3, s6, 3
	s_mul_i32 s6, s6, 3
	s_addc_u32 s7, s5, 0
	s_add_u32 s2, s0, s6
	s_addc_u32 s3, s7, s3
	s_load_dword s14, s[2:3], 0x740
	s_mov_b32 s9, 0
	s_mov_b32 s1, s9
	;; [unrolled: 1-line block ×3, first 2 shown]
	s_waitcnt lgkmcnt(0)
	s_ashr_i32 s15, s14, 31
	s_lshl_b64 s[12:13], s[14:15], 19
	s_waitcnt vmcnt(0)
	v_readfirstlane_b32 s0, v1
	s_lshl_b32 s0, s0, 3
	s_load_dwordx2 s[6:7], s[4:5], s0 offset:0x0
	s_load_dwordx2 s[10:11], s[4:5], 0xc50
	s_load_dwordx2 s[16:17], s[4:5], s0 offset:0x400
	s_load_dwordx2 s[2:3], s[4:5], s0 offset:0x200
	s_waitcnt lgkmcnt(0)
	s_add_u32 s26, s6, s12
	s_addc_u32 s27, s7, s13
	s_add_u32 s28, s2, s12
	s_addc_u32 s29, s3, s13
	s_and_b32 s0, s26, 31
	s_and_b32 s18, s16, 3
	;; [unrolled: 1-line block ×3, first 2 shown]
	s_or_b64 s[0:1], s[0:1], s[18:19]
	s_lshl_b64 s[14:15], s[14:15], 16
	s_or_b64 s[0:1], s[8:9], s[0:1]
	s_sub_u32 s14, s16, s14
	s_subb_u32 s15, s17, s15
	s_cmp_eq_u64 s[0:1], 0
	s_mov_b64 s[0:1], -1
	s_cbranch_scc0 .LBB277_37
; %bb.1:
	v_mov_b32_e32 v15, 0
	v_lshlrev_b32_e32 v14, 2, v0
	v_cmp_gt_i64_e32 vcc, s[14:15], v[14:15]
	s_and_saveexec_b64 s[16:17], vcc
	s_cbranch_execz .LBB277_36
; %bb.2:
	s_load_dword s0, s[4:5], 0xc64
	s_mov_b32 s18, s11
	s_mov_b32 s19, s10
	v_lshlrev_b32_e32 v16, 5, v0
	s_mov_b64 s[20:21], 0
	s_waitcnt lgkmcnt(0)
	s_and_b32 s0, s0, 0xffff
	v_add_lshl_u32 v14, v0, s0, 2
	s_lshl_b32 s8, s0, 2
	s_lshl_b32 s30, s0, 5
	s_mov_b64 s[22:23], 0xffff
	s_branch .LBB277_4
.LBB277_3:                              ;   in Loop: Header=BB277_4 Depth=1
	s_or_b64 exec, exec, s[0:1]
	v_mov_b32_e32 v1, s29
	v_add_co_u32_e32 v2, vcc, s28, v16
	v_addc_co_u32_e32 v3, vcc, 0, v1, vcc
	v_cmp_le_i64_e32 vcc, s[14:15], v[14:15]
	v_cmp_lt_u64_e64 s[0:1], s[22:23], v[14:15]
	s_or_b64 s[0:1], vcc, s[0:1]
	s_add_u32 s26, s26, s30
	s_addc_u32 s27, s27, 0
	s_add_u32 s28, s28, s30
	s_addc_u32 s29, s29, 0
	v_mov_b32_e32 v1, s9
	s_and_b64 s[0:1], exec, s[0:1]
	v_add_co_u32_e32 v14, vcc, s8, v14
	s_or_b64 s[20:21], s[0:1], s[20:21]
	v_addc_co_u32_e32 v15, vcc, v15, v1, vcc
	global_store_dwordx4 v[2:3], v[6:9], off
	global_store_dwordx4 v[2:3], v[10:13], off offset:16
	s_andn2_b64 exec, exec, s[20:21]
	s_cbranch_execz .LBB277_36
.LBB277_4:                              ; =>This Inner Loop Header: Depth=1
	v_mov_b32_e32 v1, s27
	v_add_co_u32_e32 v6, vcc, s26, v16
	v_addc_co_u32_e32 v7, vcc, 0, v1, vcc
	global_load_dwordx4 v[10:13], v[6:7], off
	global_load_dwordx4 v[2:5], v[6:7], off offset:16
                                        ; implicit-def: $vgpr6_vgpr7
	s_waitcnt vmcnt(1)
	v_cmp_gt_f32_e32 vcc, 0, v11
	v_cndmask_b32_e64 v8, v11, -v11, vcc
	v_cmp_gt_f32_e32 vcc, 0, v10
	v_cndmask_b32_e64 v1, v10, -v10, vcc
	v_cmp_ge_f32_e32 vcc, v1, v8
	s_and_saveexec_b64 s[0:1], vcc
	s_xor_b64 s[24:25], exec, s[0:1]
	s_cbranch_execz .LBB277_10
; %bb.5:                                ;   in Loop: Header=BB277_4 Depth=1
	v_cmp_neq_f32_e32 vcc, 0, v10
	v_cmp_neq_f32_e64 s[0:1], 0, v11
	s_or_b64 s[0:1], vcc, s[0:1]
                                        ; implicit-def: $vgpr6_vgpr7
	s_and_saveexec_b64 s[34:35], s[0:1]
	s_xor_b64 s[0:1], exec, s[34:35]
	s_cbranch_execz .LBB277_7
; %bb.6:                                ;   in Loop: Header=BB277_4 Depth=1
	v_div_scale_f32 v1, s[34:35], v10, v10, v11
	v_rcp_f32_e32 v6, v1
	v_div_scale_f32 v7, vcc, v11, v10, v11
	v_fma_f32 v8, -v1, v6, 1.0
	v_fmac_f32_e32 v6, v8, v6
	v_mul_f32_e32 v8, v7, v6
	v_fma_f32 v9, -v1, v8, v7
	v_fmac_f32_e32 v8, v9, v6
	v_fma_f32 v1, -v1, v8, v7
	v_div_fmas_f32 v1, v1, v6, v8
	v_div_fixup_f32 v6, v1, v10, v11
	v_fma_f32 v1, v11, v6, v10
	v_div_scale_f32 v7, s[34:35], v1, v1, 1.0
	v_rcp_f32_e32 v8, v7
	v_fma_f32 v9, -v7, v8, 1.0
	v_fmac_f32_e32 v8, v9, v8
	v_div_scale_f32 v9, vcc, 1.0, v1, 1.0
	v_mul_f32_e32 v17, v9, v8
	v_fma_f32 v18, -v7, v17, v9
	v_fmac_f32_e32 v17, v18, v8
	v_fma_f32 v7, -v7, v17, v9
	v_div_fmas_f32 v7, v7, v8, v17
	v_div_fixup_f32 v8, v7, v1, 1.0
	v_pk_mul_f32 v[6:7], v[6:7], s[10:11] op_sel_hi:[0,1]
	v_pk_add_f32 v[18:19], v[6:7], s[10:11] op_sel:[1,0] op_sel_hi:[0,1]
	v_pk_add_f32 v[6:7], s[10:11], v[6:7] op_sel:[0,1] op_sel_hi:[1,0] neg_lo:[0,1] neg_hi:[0,1]
	v_mov_b32_e32 v19, v7
	v_pk_mul_f32 v[6:7], v[18:19], v[8:9] op_sel_hi:[1,0]
                                        ; implicit-def: $vgpr8
                                        ; implicit-def: $vgpr1
.LBB277_7:                              ;   in Loop: Header=BB277_4 Depth=1
	s_andn2_saveexec_b64 s[0:1], s[0:1]
	s_cbranch_execz .LBB277_9
; %bb.8:                                ;   in Loop: Header=BB277_4 Depth=1
	v_div_scale_f32 v6, s[34:35], v8, v8, s11
	v_rcp_f32_e32 v7, v6
	v_div_scale_f32 v9, vcc, s11, v8, s11
	v_fma_f32 v17, -v6, v7, 1.0
	v_fmac_f32_e32 v7, v17, v7
	v_mul_f32_e32 v17, v9, v7
	v_fma_f32 v18, -v6, v17, v9
	v_fmac_f32_e32 v17, v18, v7
	v_fma_f32 v6, -v6, v17, v9
	v_div_scale_f32 v9, s[34:35], v1, v1, s10
	v_rcp_f32_e32 v18, v9
	v_div_fmas_f32 v6, v6, v7, v17
	v_div_fixup_f32 v7, v6, v8, s11
	v_fma_f32 v6, -v9, v18, 1.0
	v_fmac_f32_e32 v18, v6, v18
	v_div_scale_f32 v6, vcc, s10, v1, s10
	v_mul_f32_e32 v8, v6, v18
	v_fma_f32 v17, -v9, v8, v6
	v_fmac_f32_e32 v8, v17, v18
	v_fma_f32 v6, -v9, v8, v6
	v_div_fmas_f32 v6, v6, v18, v8
	v_div_fixup_f32 v6, v6, v1, s10
.LBB277_9:                              ;   in Loop: Header=BB277_4 Depth=1
	s_or_b64 exec, exec, s[0:1]
.LBB277_10:                             ;   in Loop: Header=BB277_4 Depth=1
	s_andn2_saveexec_b64 s[0:1], s[24:25]
	s_cbranch_execz .LBB277_12
; %bb.11:                               ;   in Loop: Header=BB277_4 Depth=1
	v_div_scale_f32 v1, s[24:25], v11, v11, v10
	v_rcp_f32_e32 v6, v1
	v_div_scale_f32 v7, vcc, v10, v11, v10
	v_fma_f32 v8, -v1, v6, 1.0
	v_fmac_f32_e32 v6, v8, v6
	v_mul_f32_e32 v8, v7, v6
	v_fma_f32 v9, -v1, v8, v7
	v_fmac_f32_e32 v8, v9, v6
	v_fma_f32 v1, -v1, v8, v7
	v_div_fmas_f32 v1, v1, v6, v8
	v_div_fixup_f32 v6, v1, v11, v10
	v_fma_f32 v1, v10, v6, v11
	v_div_scale_f32 v7, s[24:25], v1, v1, 1.0
	v_rcp_f32_e32 v8, v7
	v_fma_f32 v9, -v7, v8, 1.0
	v_fmac_f32_e32 v8, v9, v8
	v_div_scale_f32 v9, vcc, 1.0, v1, 1.0
	v_mul_f32_e32 v10, v9, v8
	v_fma_f32 v11, -v7, v10, v9
	v_fmac_f32_e32 v10, v11, v8
	v_fma_f32 v7, -v7, v10, v9
	v_div_fmas_f32 v7, v7, v8, v10
	v_pk_mov_b32 v[10:11], s[18:19], s[18:19] op_sel:[0,1]
	v_div_fixup_f32 v8, v7, v1, 1.0
	v_pk_fma_f32 v[18:19], v[6:7], s[10:11], v[10:11]
	v_pk_fma_f32 v[6:7], v[6:7], s[10:11], v[10:11] op_sel_hi:[0,1,1] neg_lo:[0,0,1] neg_hi:[0,0,1]
	v_mov_b32_e32 v19, v7
	v_pk_mul_f32 v[6:7], v[18:19], v[8:9] op_sel_hi:[1,0]
.LBB277_12:                             ;   in Loop: Header=BB277_4 Depth=1
	s_or_b64 exec, exec, s[0:1]
	v_cmp_gt_f32_e32 vcc, 0, v13
	v_cndmask_b32_e64 v10, v13, -v13, vcc
	v_cmp_gt_f32_e32 vcc, 0, v12
	v_cndmask_b32_e64 v1, v12, -v12, vcc
	v_cmp_ge_f32_e32 vcc, v1, v10
	s_and_saveexec_b64 s[0:1], vcc
	s_xor_b64 s[24:25], exec, s[0:1]
	s_cbranch_execz .LBB277_18
; %bb.13:                               ;   in Loop: Header=BB277_4 Depth=1
	v_cmp_neq_f32_e32 vcc, 0, v12
	v_cmp_neq_f32_e64 s[0:1], 0, v13
	s_or_b64 s[0:1], vcc, s[0:1]
	s_and_saveexec_b64 s[34:35], s[0:1]
	s_xor_b64 s[0:1], exec, s[34:35]
	s_cbranch_execz .LBB277_15
; %bb.14:                               ;   in Loop: Header=BB277_4 Depth=1
	v_div_scale_f32 v1, s[34:35], v12, v12, v13
	v_rcp_f32_e32 v8, v1
	v_div_scale_f32 v9, vcc, v13, v12, v13
	v_fma_f32 v10, -v1, v8, 1.0
	v_fmac_f32_e32 v8, v10, v8
	v_mul_f32_e32 v10, v9, v8
	v_fma_f32 v11, -v1, v10, v9
	v_fmac_f32_e32 v10, v11, v8
	v_fma_f32 v1, -v1, v10, v9
	v_div_fmas_f32 v1, v1, v8, v10
	v_div_fixup_f32 v8, v1, v12, v13
	v_fmac_f32_e32 v12, v13, v8
	v_div_scale_f32 v1, s[34:35], v12, v12, 1.0
	v_rcp_f32_e32 v9, v1
	v_fma_f32 v10, -v1, v9, 1.0
	v_fmac_f32_e32 v9, v10, v9
	v_div_scale_f32 v10, vcc, 1.0, v12, 1.0
	v_mul_f32_e32 v11, v10, v9
	v_fma_f32 v13, -v1, v11, v10
	v_fmac_f32_e32 v11, v13, v9
	v_fma_f32 v1, -v1, v11, v10
	v_div_fmas_f32 v1, v1, v9, v11
	v_pk_mul_f32 v[8:9], v[8:9], s[10:11] op_sel_hi:[0,1]
	v_div_fixup_f32 v10, v1, v12, 1.0
	v_pk_add_f32 v[12:13], v[8:9], s[10:11] op_sel:[1,0] op_sel_hi:[0,1]
	v_pk_add_f32 v[8:9], s[10:11], v[8:9] op_sel:[0,1] op_sel_hi:[1,0] neg_lo:[0,1] neg_hi:[0,1]
	v_mov_b32_e32 v13, v9
	v_pk_mul_f32 v[8:9], v[12:13], v[10:11] op_sel_hi:[1,0]
                                        ; implicit-def: $vgpr10
                                        ; implicit-def: $vgpr1
.LBB277_15:                             ;   in Loop: Header=BB277_4 Depth=1
	s_andn2_saveexec_b64 s[0:1], s[0:1]
	s_cbranch_execz .LBB277_17
; %bb.16:                               ;   in Loop: Header=BB277_4 Depth=1
	v_div_scale_f32 v8, s[34:35], v10, v10, s11
	v_rcp_f32_e32 v9, v8
	v_div_scale_f32 v11, vcc, s11, v10, s11
	v_fma_f32 v12, -v8, v9, 1.0
	v_fmac_f32_e32 v9, v12, v9
	v_mul_f32_e32 v12, v11, v9
	v_fma_f32 v13, -v8, v12, v11
	v_fmac_f32_e32 v12, v13, v9
	v_fma_f32 v8, -v8, v12, v11
	v_div_scale_f32 v11, s[34:35], v1, v1, s10
	v_rcp_f32_e32 v13, v11
	v_div_fmas_f32 v8, v8, v9, v12
	v_div_fixup_f32 v9, v8, v10, s11
	v_fma_f32 v8, -v11, v13, 1.0
	v_fmac_f32_e32 v13, v8, v13
	v_div_scale_f32 v8, vcc, s10, v1, s10
	v_mul_f32_e32 v10, v8, v13
	v_fma_f32 v12, -v11, v10, v8
	v_fmac_f32_e32 v10, v12, v13
	v_fma_f32 v8, -v11, v10, v8
	v_div_fmas_f32 v8, v8, v13, v10
	v_div_fixup_f32 v8, v8, v1, s10
.LBB277_17:                             ;   in Loop: Header=BB277_4 Depth=1
	s_or_b64 exec, exec, s[0:1]
                                        ; implicit-def: $vgpr10_vgpr11_vgpr12_vgpr13
.LBB277_18:                             ;   in Loop: Header=BB277_4 Depth=1
	s_andn2_saveexec_b64 s[0:1], s[24:25]
	s_cbranch_execz .LBB277_20
; %bb.19:                               ;   in Loop: Header=BB277_4 Depth=1
	v_div_scale_f32 v1, s[24:25], v13, v13, v12
	v_rcp_f32_e32 v8, v1
	v_div_scale_f32 v9, vcc, v12, v13, v12
	v_fma_f32 v10, -v1, v8, 1.0
	v_fmac_f32_e32 v8, v10, v8
	v_mul_f32_e32 v10, v9, v8
	v_fma_f32 v11, -v1, v10, v9
	v_fmac_f32_e32 v10, v11, v8
	v_fma_f32 v1, -v1, v10, v9
	v_div_fmas_f32 v1, v1, v8, v10
	v_div_fixup_f32 v8, v1, v13, v12
	v_fmac_f32_e32 v13, v12, v8
	v_div_scale_f32 v1, s[24:25], v13, v13, 1.0
	v_rcp_f32_e32 v9, v1
	v_fma_f32 v10, -v1, v9, 1.0
	v_fmac_f32_e32 v9, v10, v9
	v_div_scale_f32 v10, vcc, 1.0, v13, 1.0
	v_mul_f32_e32 v11, v10, v9
	v_fma_f32 v12, -v1, v11, v10
	v_fmac_f32_e32 v11, v12, v9
	v_fma_f32 v1, -v1, v11, v10
	v_div_fmas_f32 v1, v1, v9, v11
	v_div_fixup_f32 v10, v1, v13, 1.0
	v_pk_mov_b32 v[12:13], s[18:19], s[18:19] op_sel:[0,1]
	v_pk_fma_f32 v[18:19], v[8:9], s[10:11], v[12:13]
	v_pk_fma_f32 v[8:9], v[8:9], s[10:11], v[12:13] op_sel_hi:[0,1,1] neg_lo:[0,0,1] neg_hi:[0,0,1]
	v_mov_b32_e32 v19, v9
	v_pk_mul_f32 v[8:9], v[18:19], v[10:11] op_sel_hi:[1,0]
.LBB277_20:                             ;   in Loop: Header=BB277_4 Depth=1
	s_or_b64 exec, exec, s[0:1]
	s_waitcnt vmcnt(0)
	v_cmp_gt_f32_e32 vcc, 0, v3
	v_cndmask_b32_e64 v12, v3, -v3, vcc
	v_cmp_gt_f32_e32 vcc, 0, v2
	v_cndmask_b32_e64 v1, v2, -v2, vcc
	v_cmp_ge_f32_e32 vcc, v1, v12
                                        ; implicit-def: $vgpr10_vgpr11
	s_and_saveexec_b64 s[0:1], vcc
	s_xor_b64 s[24:25], exec, s[0:1]
	s_cbranch_execz .LBB277_26
; %bb.21:                               ;   in Loop: Header=BB277_4 Depth=1
	v_cmp_neq_f32_e32 vcc, 0, v2
	v_cmp_neq_f32_e64 s[0:1], 0, v3
	s_or_b64 s[0:1], vcc, s[0:1]
                                        ; implicit-def: $vgpr10_vgpr11
	s_and_saveexec_b64 s[34:35], s[0:1]
	s_xor_b64 s[0:1], exec, s[34:35]
	s_cbranch_execz .LBB277_23
; %bb.22:                               ;   in Loop: Header=BB277_4 Depth=1
	v_div_scale_f32 v1, s[34:35], v2, v2, v3
	v_rcp_f32_e32 v10, v1
	v_div_scale_f32 v11, vcc, v3, v2, v3
	v_fma_f32 v12, -v1, v10, 1.0
	v_fmac_f32_e32 v10, v12, v10
	v_mul_f32_e32 v12, v11, v10
	v_fma_f32 v13, -v1, v12, v11
	v_fmac_f32_e32 v12, v13, v10
	v_fma_f32 v1, -v1, v12, v11
	v_div_fmas_f32 v1, v1, v10, v12
	v_div_fixup_f32 v10, v1, v2, v3
	v_fma_f32 v1, v3, v10, v2
	v_div_scale_f32 v11, s[34:35], v1, v1, 1.0
	v_rcp_f32_e32 v12, v11
	v_fma_f32 v13, -v11, v12, 1.0
	v_fmac_f32_e32 v12, v13, v12
	v_div_scale_f32 v13, vcc, 1.0, v1, 1.0
	v_mul_f32_e32 v17, v13, v12
	v_fma_f32 v18, -v11, v17, v13
	v_fmac_f32_e32 v17, v18, v12
	v_fma_f32 v11, -v11, v17, v13
	v_div_fmas_f32 v11, v11, v12, v17
	v_div_fixup_f32 v12, v11, v1, 1.0
	v_pk_mul_f32 v[10:11], v[10:11], s[10:11] op_sel_hi:[0,1]
	v_pk_add_f32 v[18:19], v[10:11], s[10:11] op_sel:[1,0] op_sel_hi:[0,1]
	v_pk_add_f32 v[10:11], s[10:11], v[10:11] op_sel:[0,1] op_sel_hi:[1,0] neg_lo:[0,1] neg_hi:[0,1]
	v_mov_b32_e32 v19, v11
	v_pk_mul_f32 v[10:11], v[18:19], v[12:13] op_sel_hi:[1,0]
                                        ; implicit-def: $vgpr12
                                        ; implicit-def: $vgpr1
.LBB277_23:                             ;   in Loop: Header=BB277_4 Depth=1
	s_andn2_saveexec_b64 s[0:1], s[0:1]
	s_cbranch_execz .LBB277_25
; %bb.24:                               ;   in Loop: Header=BB277_4 Depth=1
	v_div_scale_f32 v10, s[34:35], v12, v12, s11
	v_rcp_f32_e32 v11, v10
	v_div_scale_f32 v13, vcc, s11, v12, s11
	v_fma_f32 v17, -v10, v11, 1.0
	v_fmac_f32_e32 v11, v17, v11
	v_mul_f32_e32 v17, v13, v11
	v_fma_f32 v18, -v10, v17, v13
	v_fmac_f32_e32 v17, v18, v11
	v_fma_f32 v10, -v10, v17, v13
	v_div_scale_f32 v13, s[34:35], v1, v1, s10
	v_rcp_f32_e32 v18, v13
	v_div_fmas_f32 v10, v10, v11, v17
	v_div_fixup_f32 v11, v10, v12, s11
	v_fma_f32 v10, -v13, v18, 1.0
	v_fmac_f32_e32 v18, v10, v18
	v_div_scale_f32 v10, vcc, s10, v1, s10
	v_mul_f32_e32 v12, v10, v18
	v_fma_f32 v17, -v13, v12, v10
	v_fmac_f32_e32 v12, v17, v18
	v_fma_f32 v10, -v13, v12, v10
	v_div_fmas_f32 v10, v10, v18, v12
	v_div_fixup_f32 v10, v10, v1, s10
.LBB277_25:                             ;   in Loop: Header=BB277_4 Depth=1
	s_or_b64 exec, exec, s[0:1]
.LBB277_26:                             ;   in Loop: Header=BB277_4 Depth=1
	s_andn2_saveexec_b64 s[0:1], s[24:25]
	s_cbranch_execz .LBB277_28
; %bb.27:                               ;   in Loop: Header=BB277_4 Depth=1
	v_div_scale_f32 v1, s[24:25], v3, v3, v2
	v_rcp_f32_e32 v10, v1
	v_div_scale_f32 v11, vcc, v2, v3, v2
	v_fma_f32 v12, -v1, v10, 1.0
	v_fmac_f32_e32 v10, v12, v10
	v_mul_f32_e32 v12, v11, v10
	v_fma_f32 v13, -v1, v12, v11
	v_fmac_f32_e32 v12, v13, v10
	v_fma_f32 v1, -v1, v12, v11
	v_div_fmas_f32 v1, v1, v10, v12
	v_div_fixup_f32 v10, v1, v3, v2
	v_fma_f32 v1, v2, v10, v3
	v_div_scale_f32 v2, s[24:25], v1, v1, 1.0
	v_rcp_f32_e32 v3, v2
	v_fma_f32 v11, -v2, v3, 1.0
	v_fmac_f32_e32 v3, v11, v3
	v_div_scale_f32 v11, vcc, 1.0, v1, 1.0
	v_mul_f32_e32 v12, v11, v3
	v_fma_f32 v13, -v2, v12, v11
	v_fmac_f32_e32 v12, v13, v3
	v_fma_f32 v2, -v2, v12, v11
	v_div_fmas_f32 v2, v2, v3, v12
	v_pk_mov_b32 v[12:13], s[18:19], s[18:19] op_sel:[0,1]
	v_pk_fma_f32 v[18:19], v[10:11], s[10:11], v[12:13]
	v_pk_fma_f32 v[10:11], v[10:11], s[10:11], v[12:13] op_sel_hi:[0,1,1] neg_lo:[0,0,1] neg_hi:[0,0,1]
	v_div_fixup_f32 v2, v2, v1, 1.0
	v_mov_b32_e32 v19, v11
	v_pk_mul_f32 v[10:11], v[18:19], v[2:3] op_sel_hi:[1,0]
.LBB277_28:                             ;   in Loop: Header=BB277_4 Depth=1
	s_or_b64 exec, exec, s[0:1]
	v_cmp_gt_f32_e32 vcc, 0, v5
	v_cndmask_b32_e64 v2, v5, -v5, vcc
	v_cmp_gt_f32_e32 vcc, 0, v4
	v_cndmask_b32_e64 v1, v4, -v4, vcc
	v_cmp_ge_f32_e32 vcc, v1, v2
	s_and_saveexec_b64 s[0:1], vcc
	s_xor_b64 s[24:25], exec, s[0:1]
	s_cbranch_execz .LBB277_34
; %bb.29:                               ;   in Loop: Header=BB277_4 Depth=1
	v_cmp_neq_f32_e32 vcc, 0, v4
	v_cmp_neq_f32_e64 s[0:1], 0, v5
	s_or_b64 s[0:1], vcc, s[0:1]
	s_and_saveexec_b64 s[34:35], s[0:1]
	s_xor_b64 s[0:1], exec, s[34:35]
	s_cbranch_execz .LBB277_31
; %bb.30:                               ;   in Loop: Header=BB277_4 Depth=1
	v_div_scale_f32 v1, s[34:35], v4, v4, v5
	v_rcp_f32_e32 v2, v1
	v_div_scale_f32 v3, vcc, v5, v4, v5
	v_fma_f32 v12, -v1, v2, 1.0
	v_fmac_f32_e32 v2, v12, v2
	v_mul_f32_e32 v12, v3, v2
	v_fma_f32 v13, -v1, v12, v3
	v_fmac_f32_e32 v12, v13, v2
	v_fma_f32 v1, -v1, v12, v3
	v_div_fmas_f32 v1, v1, v2, v12
	v_div_fixup_f32 v2, v1, v4, v5
	v_fmac_f32_e32 v4, v5, v2
	v_div_scale_f32 v1, s[34:35], v4, v4, 1.0
	v_rcp_f32_e32 v3, v1
	v_fma_f32 v5, -v1, v3, 1.0
	v_fmac_f32_e32 v3, v5, v3
	v_div_scale_f32 v5, vcc, 1.0, v4, 1.0
	v_mul_f32_e32 v12, v5, v3
	v_fma_f32 v13, -v1, v12, v5
	v_fmac_f32_e32 v12, v13, v3
	v_fma_f32 v1, -v1, v12, v5
	v_div_fmas_f32 v1, v1, v3, v12
	v_pk_mul_f32 v[2:3], v[2:3], s[10:11] op_sel_hi:[0,1]
	v_pk_add_f32 v[12:13], v[2:3], s[10:11] op_sel:[1,0] op_sel_hi:[0,1]
	v_pk_add_f32 v[2:3], s[10:11], v[2:3] op_sel:[0,1] op_sel_hi:[1,0] neg_lo:[0,1] neg_hi:[0,1]
	v_div_fixup_f32 v4, v1, v4, 1.0
	v_mov_b32_e32 v13, v3
	v_pk_mul_f32 v[12:13], v[12:13], v[4:5] op_sel_hi:[1,0]
                                        ; implicit-def: $vgpr2
                                        ; implicit-def: $vgpr1
.LBB277_31:                             ;   in Loop: Header=BB277_4 Depth=1
	s_andn2_saveexec_b64 s[0:1], s[0:1]
	s_cbranch_execz .LBB277_33
; %bb.32:                               ;   in Loop: Header=BB277_4 Depth=1
	v_div_scale_f32 v3, s[34:35], v2, v2, s11
	v_rcp_f32_e32 v4, v3
	v_div_scale_f32 v5, vcc, s11, v2, s11
	v_fma_f32 v12, -v3, v4, 1.0
	v_fmac_f32_e32 v4, v12, v4
	v_mul_f32_e32 v12, v5, v4
	v_fma_f32 v13, -v3, v12, v5
	v_fmac_f32_e32 v12, v13, v4
	v_fma_f32 v3, -v3, v12, v5
	v_div_scale_f32 v5, s[34:35], v1, v1, s10
	v_rcp_f32_e32 v17, v5
	v_div_fmas_f32 v3, v3, v4, v12
	v_div_fixup_f32 v13, v3, v2, s11
	v_fma_f32 v2, -v5, v17, 1.0
	v_fmac_f32_e32 v17, v2, v17
	v_div_scale_f32 v2, vcc, s10, v1, s10
	v_mul_f32_e32 v3, v2, v17
	v_fma_f32 v4, -v5, v3, v2
	v_fmac_f32_e32 v3, v4, v17
	v_fma_f32 v2, -v5, v3, v2
	v_div_fmas_f32 v2, v2, v17, v3
	v_div_fixup_f32 v12, v2, v1, s10
.LBB277_33:                             ;   in Loop: Header=BB277_4 Depth=1
	s_or_b64 exec, exec, s[0:1]
                                        ; implicit-def: $vgpr2_vgpr3_vgpr4_vgpr5
.LBB277_34:                             ;   in Loop: Header=BB277_4 Depth=1
	s_andn2_saveexec_b64 s[0:1], s[24:25]
	s_cbranch_execz .LBB277_3
; %bb.35:                               ;   in Loop: Header=BB277_4 Depth=1
	v_div_scale_f32 v1, s[24:25], v5, v5, v4
	v_rcp_f32_e32 v2, v1
	v_div_scale_f32 v3, vcc, v4, v5, v4
	v_fma_f32 v12, -v1, v2, 1.0
	v_fmac_f32_e32 v2, v12, v2
	v_mul_f32_e32 v12, v3, v2
	v_fma_f32 v13, -v1, v12, v3
	v_fmac_f32_e32 v12, v13, v2
	v_fma_f32 v1, -v1, v12, v3
	v_div_fmas_f32 v1, v1, v2, v12
	v_div_fixup_f32 v2, v1, v5, v4
	v_fmac_f32_e32 v5, v4, v2
	v_div_scale_f32 v1, s[24:25], v5, v5, 1.0
	v_rcp_f32_e32 v3, v1
	v_fma_f32 v4, -v1, v3, 1.0
	v_fmac_f32_e32 v3, v4, v3
	v_div_scale_f32 v4, vcc, 1.0, v5, 1.0
	v_mul_f32_e32 v12, v4, v3
	v_fma_f32 v13, -v1, v12, v4
	v_fmac_f32_e32 v12, v13, v3
	v_fma_f32 v1, -v1, v12, v4
	v_div_fmas_f32 v1, v1, v3, v12
	v_pk_mov_b32 v[12:13], s[18:19], s[18:19] op_sel:[0,1]
	v_pk_fma_f32 v[18:19], v[2:3], s[10:11], v[12:13]
	v_pk_fma_f32 v[2:3], v[2:3], s[10:11], v[12:13] op_sel_hi:[0,1,1] neg_lo:[0,0,1] neg_hi:[0,0,1]
	v_div_fixup_f32 v4, v1, v5, 1.0
	v_mov_b32_e32 v19, v3
	v_pk_mul_f32 v[12:13], v[18:19], v[4:5] op_sel_hi:[1,0]
	s_branch .LBB277_3
.LBB277_36:
	s_or_b64 exec, exec, s[16:17]
	s_mov_b64 s[0:1], 0
.LBB277_37:
	s_andn2_b64 vcc, exec, s[0:1]
	s_cbranch_vccnz .LBB277_89
; %bb.38:
	v_cmp_lt_i64_e64 s[0:1], s[14:15], 1
	s_and_b64 vcc, exec, s[0:1]
	s_cbranch_vccnz .LBB277_89
; %bb.39:
	s_load_dword s0, s[4:5], 0xc64
	v_mov_b32_e32 v2, 0x10000
	v_mov_b32_e32 v3, 0
	v_cmp_lt_u64_e32 vcc, s[14:15], v[2:3]
	v_lshlrev_b32_e32 v10, 3, v0
	s_waitcnt lgkmcnt(0)
	s_and_b32 s4, s0, 0xffff
	s_and_b64 s[0:1], vcc, exec
	v_mov_b32_e32 v13, s7
	v_add_co_u32_e32 v2, vcc, s6, v10
	v_addc_co_u32_e32 v1, vcc, 0, v13, vcc
	v_mov_b32_e32 v11, 0
	v_mov_b32_e32 v15, s3
	v_add_co_u32_e32 v4, vcc, s2, v10
	v_addc_co_u32_e32 v3, vcc, 0, v15, vcc
	v_mad_u64_u32 v[8:9], s[0:1], s4, 24, v[10:11]
	v_add_co_u32_e32 v6, vcc, s6, v8
	v_addc_co_u32_e32 v5, vcc, v13, v9, vcc
	v_add_co_u32_e32 v8, vcc, s2, v8
	s_mul_i32 s8, s4, 3
	v_addc_co_u32_e32 v7, vcc, v15, v9, vcc
	v_add_co_u32_e32 v17, vcc, s8, v0
	v_addc_co_u32_e64 v28, s[0:1], 0, 0, vcc
	s_cselect_b32 s17, s15, 0
	s_cselect_b32 s16, s14, 0x10000
	s_lshl_b32 s0, s4, 4
	v_add_co_u32_e32 v11, vcc, s0, v10
	v_addc_co_u32_e64 v14, s[0:1], 0, 0, vcc
	v_add_co_u32_e32 v10, vcc, s6, v11
	v_addc_co_u32_e32 v9, vcc, v13, v14, vcc
	v_add_co_u32_e32 v12, vcc, s2, v11
	s_lshl_b32 s5, s4, 1
	v_addc_co_u32_e32 v11, vcc, v15, v14, vcc
	v_add_co_u32_e32 v29, vcc, s5, v0
	v_addc_co_u32_e64 v30, s[0:1], 0, 0, vcc
	v_add_co_u32_e32 v31, vcc, s4, v0
	v_lshlrev_b32_e32 v16, 3, v31
	v_addc_co_u32_e64 v32, s[0:1], 0, 0, vcc
	v_add_co_u32_e32 v14, vcc, s6, v16
	v_addc_co_u32_e32 v13, vcc, 0, v13, vcc
	v_add_co_u32_e32 v16, vcc, s2, v16
	s_mov_b32 s24, 0
	s_mov_b32 s18, s11
	;; [unrolled: 1-line block ×3, first 2 shown]
	s_lshl_b32 s25, s4, 2
	s_lshl_b32 s26, s4, 5
	v_addc_co_u32_e32 v15, vcc, 0, v15, vcc
	s_mov_b64 s[20:21], 0
	s_branch .LBB277_41
.LBB277_40:                             ;   in Loop: Header=BB277_41 Depth=1
	s_or_b64 exec, exec, s[0:1]
	s_add_u32 s20, s20, s25
	s_addc_u32 s21, s21, 0
	v_pk_mov_b32 v[18:19], s[14:15], s[14:15] op_sel:[0,1]
	v_cmp_ge_i64_e32 vcc, s[20:21], v[18:19]
	v_mov_b32_e32 v18, 0xffff
	v_mov_b32_e32 v19, 0
	v_cmp_gt_u64_e64 s[0:1], s[20:21], v[18:19]
	s_or_b64 s[0:1], vcc, s[0:1]
	v_mov_b32_e32 v18, s24
	v_add_co_u32_e32 v2, vcc, s26, v2
	v_addc_co_u32_e32 v1, vcc, v1, v18, vcc
	v_add_co_u32_e32 v4, vcc, s26, v4
	v_addc_co_u32_e32 v3, vcc, v3, v18, vcc
	;; [unrolled: 2-line block ×8, first 2 shown]
	s_and_b64 vcc, exec, s[0:1]
	s_cbranch_vccnz .LBB277_89
.LBB277_41:                             ; =>This Inner Loop Header: Depth=1
	v_mov_b32_e32 v19, s21
	v_add_co_u32_e32 v18, vcc, s20, v0
	v_addc_co_u32_e32 v19, vcc, 0, v19, vcc
	v_cmp_gt_u64_e64 s[0:1], s[16:17], v[18:19]
	v_mov_b32_e32 v24, 0
	v_mov_b32_e32 v25, 0
	s_and_saveexec_b64 s[2:3], s[0:1]
	s_cbranch_execz .LBB277_43
; %bb.42:                               ;   in Loop: Header=BB277_41 Depth=1
	v_mov_b32_e32 v19, s13
	v_add_co_u32_e32 v18, vcc, s12, v2
	v_addc_co_u32_e32 v19, vcc, v1, v19, vcc
	global_load_dwordx2 v[24:25], v[18:19], off
.LBB277_43:                             ;   in Loop: Header=BB277_41 Depth=1
	s_or_b64 exec, exec, s[2:3]
	v_mov_b32_e32 v19, s21
	v_add_co_u32_e32 v18, vcc, s20, v31
	v_addc_co_u32_e32 v19, vcc, v32, v19, vcc
	v_cmp_gt_u64_e64 s[2:3], s[16:17], v[18:19]
	v_mov_b32_e32 v22, 0
	v_mov_b32_e32 v26, 0
	;; [unrolled: 1-line block ×3, first 2 shown]
	s_and_saveexec_b64 s[4:5], s[2:3]
	s_cbranch_execz .LBB277_45
; %bb.44:                               ;   in Loop: Header=BB277_41 Depth=1
	v_mov_b32_e32 v19, s13
	v_add_co_u32_e32 v18, vcc, s12, v14
	v_addc_co_u32_e32 v19, vcc, v13, v19, vcc
	global_load_dwordx2 v[26:27], v[18:19], off
.LBB277_45:                             ;   in Loop: Header=BB277_41 Depth=1
	s_or_b64 exec, exec, s[4:5]
	v_mov_b32_e32 v19, s21
	v_add_co_u32_e32 v18, vcc, s20, v29
	v_addc_co_u32_e32 v19, vcc, v30, v19, vcc
	v_cmp_gt_u64_e64 s[4:5], s[16:17], v[18:19]
	v_mov_b32_e32 v23, 0
	s_and_saveexec_b64 s[6:7], s[4:5]
	s_cbranch_execz .LBB277_47
; %bb.46:                               ;   in Loop: Header=BB277_41 Depth=1
	v_mov_b32_e32 v19, s13
	v_add_co_u32_e32 v18, vcc, s12, v10
	v_addc_co_u32_e32 v19, vcc, v9, v19, vcc
	global_load_dwordx2 v[22:23], v[18:19], off
.LBB277_47:                             ;   in Loop: Header=BB277_41 Depth=1
	s_or_b64 exec, exec, s[6:7]
	v_mov_b32_e32 v19, s21
	v_add_co_u32_e32 v18, vcc, s20, v17
	v_addc_co_u32_e32 v19, vcc, v28, v19, vcc
	v_cmp_gt_u64_e64 s[6:7], s[16:17], v[18:19]
	v_mov_b32_e32 v18, 0
	v_mov_b32_e32 v19, 0
	s_and_saveexec_b64 s[8:9], s[6:7]
	s_cbranch_execz .LBB277_49
; %bb.48:                               ;   in Loop: Header=BB277_41 Depth=1
	v_mov_b32_e32 v19, s13
	v_add_co_u32_e32 v18, vcc, s12, v6
	v_addc_co_u32_e32 v19, vcc, v5, v19, vcc
	global_load_dwordx2 v[18:19], v[18:19], off
.LBB277_49:                             ;   in Loop: Header=BB277_41 Depth=1
	s_or_b64 exec, exec, s[8:9]
	s_waitcnt vmcnt(0)
	v_cmp_gt_f32_e32 vcc, 0, v25
	v_cndmask_b32_e64 v34, v25, -v25, vcc
	v_cmp_gt_f32_e32 vcc, 0, v24
	v_cndmask_b32_e64 v33, v24, -v24, vcc
	v_cmp_ge_f32_e32 vcc, v33, v34
                                        ; implicit-def: $vgpr20_vgpr21
	s_and_saveexec_b64 s[8:9], vcc
	s_xor_b64 s[22:23], exec, s[8:9]
	s_cbranch_execz .LBB277_55
; %bb.50:                               ;   in Loop: Header=BB277_41 Depth=1
	v_cmp_neq_f32_e32 vcc, 0, v24
	v_cmp_neq_f32_e64 s[8:9], 0, v25
	s_or_b64 s[8:9], s[8:9], vcc
                                        ; implicit-def: $vgpr20_vgpr21
	s_and_saveexec_b64 s[28:29], s[8:9]
	s_xor_b64 s[8:9], exec, s[28:29]
	s_cbranch_execz .LBB277_52
; %bb.51:                               ;   in Loop: Header=BB277_41 Depth=1
	v_div_scale_f32 v20, s[28:29], v24, v24, v25
	v_rcp_f32_e32 v21, v20
	v_div_scale_f32 v33, vcc, v25, v24, v25
	v_fma_f32 v34, -v20, v21, 1.0
	v_fmac_f32_e32 v21, v34, v21
	v_mul_f32_e32 v34, v33, v21
	v_fma_f32 v35, -v20, v34, v33
	v_fmac_f32_e32 v34, v35, v21
	v_fma_f32 v20, -v20, v34, v33
	v_div_fmas_f32 v20, v20, v21, v34
	v_div_fixup_f32 v20, v20, v24, v25
	v_fmac_f32_e32 v24, v25, v20
	v_div_scale_f32 v21, s[28:29], v24, v24, 1.0
	v_rcp_f32_e32 v25, v21
	v_fma_f32 v33, -v21, v25, 1.0
	v_fmac_f32_e32 v25, v33, v25
	v_div_scale_f32 v33, vcc, 1.0, v24, 1.0
	v_mul_f32_e32 v34, v33, v25
	v_fma_f32 v35, -v21, v34, v33
	v_fmac_f32_e32 v34, v35, v25
	v_fma_f32 v21, -v21, v34, v33
	v_div_fmas_f32 v21, v21, v25, v34
	v_div_fixup_f32 v24, v21, v24, 1.0
	v_pk_mul_f32 v[20:21], v[20:21], s[10:11] op_sel_hi:[0,1]
	v_pk_add_f32 v[34:35], v[20:21], s[10:11] op_sel:[1,0] op_sel_hi:[0,1]
	v_pk_add_f32 v[20:21], s[10:11], v[20:21] op_sel:[0,1] op_sel_hi:[1,0] neg_lo:[0,1] neg_hi:[0,1]
	v_mov_b32_e32 v35, v21
	v_pk_mul_f32 v[20:21], v[34:35], v[24:25] op_sel_hi:[1,0]
                                        ; implicit-def: $vgpr34
                                        ; implicit-def: $vgpr33
.LBB277_52:                             ;   in Loop: Header=BB277_41 Depth=1
	s_andn2_saveexec_b64 s[8:9], s[8:9]
	s_cbranch_execz .LBB277_54
; %bb.53:                               ;   in Loop: Header=BB277_41 Depth=1
	v_div_scale_f32 v20, s[28:29], v34, v34, s11
	v_rcp_f32_e32 v21, v20
	v_div_scale_f32 v24, vcc, s11, v34, s11
	v_fma_f32 v25, -v20, v21, 1.0
	v_fmac_f32_e32 v21, v25, v21
	v_mul_f32_e32 v25, v24, v21
	v_fma_f32 v35, -v20, v25, v24
	v_fmac_f32_e32 v25, v35, v21
	v_fma_f32 v20, -v20, v25, v24
	v_div_scale_f32 v24, s[28:29], v33, v33, s10
	v_rcp_f32_e32 v35, v24
	v_div_fmas_f32 v20, v20, v21, v25
	v_div_fixup_f32 v21, v20, v34, s11
	v_fma_f32 v20, -v24, v35, 1.0
	v_fmac_f32_e32 v35, v20, v35
	v_div_scale_f32 v20, vcc, s10, v33, s10
	v_mul_f32_e32 v25, v20, v35
	v_fma_f32 v34, -v24, v25, v20
	v_fmac_f32_e32 v25, v34, v35
	v_fma_f32 v20, -v24, v25, v20
	v_div_fmas_f32 v20, v20, v35, v25
	v_div_fixup_f32 v20, v20, v33, s10
.LBB277_54:                             ;   in Loop: Header=BB277_41 Depth=1
	s_or_b64 exec, exec, s[8:9]
                                        ; implicit-def: $vgpr25
.LBB277_55:                             ;   in Loop: Header=BB277_41 Depth=1
	s_andn2_saveexec_b64 s[8:9], s[22:23]
	s_cbranch_execz .LBB277_57
; %bb.56:                               ;   in Loop: Header=BB277_41 Depth=1
	v_div_scale_f32 v20, s[22:23], v25, v25, v24
	v_rcp_f32_e32 v21, v20
	v_div_scale_f32 v33, vcc, v24, v25, v24
	v_fma_f32 v34, -v20, v21, 1.0
	v_fmac_f32_e32 v21, v34, v21
	v_mul_f32_e32 v34, v33, v21
	v_fma_f32 v35, -v20, v34, v33
	v_fmac_f32_e32 v34, v35, v21
	v_fma_f32 v20, -v20, v34, v33
	v_div_fmas_f32 v20, v20, v21, v34
	v_div_fixup_f32 v20, v20, v25, v24
	v_fmac_f32_e32 v25, v24, v20
	v_div_scale_f32 v21, s[22:23], v25, v25, 1.0
	v_rcp_f32_e32 v24, v21
	v_fma_f32 v33, -v21, v24, 1.0
	v_fmac_f32_e32 v24, v33, v24
	v_div_scale_f32 v33, vcc, 1.0, v25, 1.0
	v_mul_f32_e32 v34, v33, v24
	v_fma_f32 v35, -v21, v34, v33
	v_fmac_f32_e32 v34, v35, v24
	v_fma_f32 v21, -v21, v34, v33
	v_div_fmas_f32 v21, v21, v24, v34
	v_pk_mov_b32 v[34:35], s[18:19], s[18:19] op_sel:[0,1]
	v_div_fixup_f32 v24, v21, v25, 1.0
	v_pk_fma_f32 v[36:37], v[20:21], s[10:11], v[34:35]
	v_pk_fma_f32 v[20:21], v[20:21], s[10:11], v[34:35] op_sel_hi:[0,1,1] neg_lo:[0,0,1] neg_hi:[0,0,1]
	v_mov_b32_e32 v37, v21
	v_pk_mul_f32 v[20:21], v[36:37], v[24:25] op_sel_hi:[1,0]
.LBB277_57:                             ;   in Loop: Header=BB277_41 Depth=1
	s_or_b64 exec, exec, s[8:9]
	v_cmp_gt_f32_e32 vcc, 0, v27
	v_cndmask_b32_e64 v34, v27, -v27, vcc
	v_cmp_gt_f32_e32 vcc, 0, v26
	v_cndmask_b32_e64 v33, v26, -v26, vcc
	v_cmp_ge_f32_e32 vcc, v33, v34
                                        ; implicit-def: $vgpr24_vgpr25
	s_and_saveexec_b64 s[8:9], vcc
	s_xor_b64 s[22:23], exec, s[8:9]
	s_cbranch_execz .LBB277_63
; %bb.58:                               ;   in Loop: Header=BB277_41 Depth=1
	v_cmp_neq_f32_e32 vcc, 0, v26
	v_cmp_neq_f32_e64 s[8:9], 0, v27
	s_or_b64 s[8:9], s[8:9], vcc
                                        ; implicit-def: $vgpr24_vgpr25
	s_and_saveexec_b64 s[28:29], s[8:9]
	s_xor_b64 s[8:9], exec, s[28:29]
	s_cbranch_execz .LBB277_60
; %bb.59:                               ;   in Loop: Header=BB277_41 Depth=1
	v_div_scale_f32 v24, s[28:29], v26, v26, v27
	v_rcp_f32_e32 v25, v24
	v_div_scale_f32 v33, vcc, v27, v26, v27
	v_fma_f32 v34, -v24, v25, 1.0
	v_fmac_f32_e32 v25, v34, v25
	v_mul_f32_e32 v34, v33, v25
	v_fma_f32 v35, -v24, v34, v33
	v_fmac_f32_e32 v34, v35, v25
	v_fma_f32 v24, -v24, v34, v33
	v_div_fmas_f32 v24, v24, v25, v34
	v_div_fixup_f32 v24, v24, v26, v27
	v_fmac_f32_e32 v26, v27, v24
	v_div_scale_f32 v25, s[28:29], v26, v26, 1.0
	v_rcp_f32_e32 v27, v25
	v_fma_f32 v33, -v25, v27, 1.0
	v_fmac_f32_e32 v27, v33, v27
	v_div_scale_f32 v33, vcc, 1.0, v26, 1.0
	v_mul_f32_e32 v34, v33, v27
	v_fma_f32 v35, -v25, v34, v33
	v_fmac_f32_e32 v34, v35, v27
	v_fma_f32 v25, -v25, v34, v33
	v_div_fmas_f32 v25, v25, v27, v34
	v_div_fixup_f32 v26, v25, v26, 1.0
	v_pk_mul_f32 v[24:25], v[24:25], s[10:11] op_sel_hi:[0,1]
	v_pk_add_f32 v[34:35], v[24:25], s[10:11] op_sel:[1,0] op_sel_hi:[0,1]
	v_pk_add_f32 v[24:25], s[10:11], v[24:25] op_sel:[0,1] op_sel_hi:[1,0] neg_lo:[0,1] neg_hi:[0,1]
	v_mov_b32_e32 v35, v25
	v_pk_mul_f32 v[24:25], v[34:35], v[26:27] op_sel_hi:[1,0]
                                        ; implicit-def: $vgpr34
                                        ; implicit-def: $vgpr33
.LBB277_60:                             ;   in Loop: Header=BB277_41 Depth=1
	s_andn2_saveexec_b64 s[8:9], s[8:9]
	s_cbranch_execz .LBB277_62
; %bb.61:                               ;   in Loop: Header=BB277_41 Depth=1
	v_div_scale_f32 v24, s[28:29], v34, v34, s11
	v_rcp_f32_e32 v25, v24
	v_div_scale_f32 v26, vcc, s11, v34, s11
	v_fma_f32 v27, -v24, v25, 1.0
	v_fmac_f32_e32 v25, v27, v25
	v_mul_f32_e32 v27, v26, v25
	v_fma_f32 v35, -v24, v27, v26
	v_fmac_f32_e32 v27, v35, v25
	v_fma_f32 v24, -v24, v27, v26
	v_div_scale_f32 v26, s[28:29], v33, v33, s10
	v_rcp_f32_e32 v35, v26
	v_div_fmas_f32 v24, v24, v25, v27
	v_div_fixup_f32 v25, v24, v34, s11
	v_fma_f32 v24, -v26, v35, 1.0
	v_fmac_f32_e32 v35, v24, v35
	v_div_scale_f32 v24, vcc, s10, v33, s10
	v_mul_f32_e32 v27, v24, v35
	v_fma_f32 v34, -v26, v27, v24
	v_fmac_f32_e32 v27, v34, v35
	v_fma_f32 v24, -v26, v27, v24
	v_div_fmas_f32 v24, v24, v35, v27
	v_div_fixup_f32 v24, v24, v33, s10
.LBB277_62:                             ;   in Loop: Header=BB277_41 Depth=1
	s_or_b64 exec, exec, s[8:9]
                                        ; implicit-def: $vgpr27
.LBB277_63:                             ;   in Loop: Header=BB277_41 Depth=1
	s_andn2_saveexec_b64 s[8:9], s[22:23]
	s_cbranch_execz .LBB277_65
; %bb.64:                               ;   in Loop: Header=BB277_41 Depth=1
	v_div_scale_f32 v24, s[22:23], v27, v27, v26
	v_rcp_f32_e32 v25, v24
	v_div_scale_f32 v33, vcc, v26, v27, v26
	v_fma_f32 v34, -v24, v25, 1.0
	v_fmac_f32_e32 v25, v34, v25
	v_mul_f32_e32 v34, v33, v25
	v_fma_f32 v35, -v24, v34, v33
	v_fmac_f32_e32 v34, v35, v25
	v_fma_f32 v24, -v24, v34, v33
	v_div_fmas_f32 v24, v24, v25, v34
	v_div_fixup_f32 v24, v24, v27, v26
	v_fmac_f32_e32 v27, v26, v24
	v_div_scale_f32 v25, s[22:23], v27, v27, 1.0
	v_rcp_f32_e32 v26, v25
	v_fma_f32 v33, -v25, v26, 1.0
	v_fmac_f32_e32 v26, v33, v26
	v_div_scale_f32 v33, vcc, 1.0, v27, 1.0
	v_mul_f32_e32 v34, v33, v26
	v_fma_f32 v35, -v25, v34, v33
	v_fmac_f32_e32 v34, v35, v26
	v_fma_f32 v25, -v25, v34, v33
	v_div_fmas_f32 v25, v25, v26, v34
	v_pk_mov_b32 v[34:35], s[18:19], s[18:19] op_sel:[0,1]
	v_div_fixup_f32 v26, v25, v27, 1.0
	v_pk_fma_f32 v[36:37], v[24:25], s[10:11], v[34:35]
	v_pk_fma_f32 v[24:25], v[24:25], s[10:11], v[34:35] op_sel_hi:[0,1,1] neg_lo:[0,0,1] neg_hi:[0,0,1]
	v_mov_b32_e32 v37, v25
	v_pk_mul_f32 v[24:25], v[36:37], v[26:27] op_sel_hi:[1,0]
.LBB277_65:                             ;   in Loop: Header=BB277_41 Depth=1
	s_or_b64 exec, exec, s[8:9]
	v_cmp_gt_f32_e32 vcc, 0, v23
	v_cndmask_b32_e64 v34, v23, -v23, vcc
	v_cmp_gt_f32_e32 vcc, 0, v22
	v_cndmask_b32_e64 v33, v22, -v22, vcc
	v_cmp_ge_f32_e32 vcc, v33, v34
                                        ; implicit-def: $vgpr26_vgpr27
	s_and_saveexec_b64 s[8:9], vcc
	s_xor_b64 s[22:23], exec, s[8:9]
	s_cbranch_execz .LBB277_71
; %bb.66:                               ;   in Loop: Header=BB277_41 Depth=1
	v_cmp_neq_f32_e32 vcc, 0, v22
	v_cmp_neq_f32_e64 s[8:9], 0, v23
	s_or_b64 s[8:9], s[8:9], vcc
                                        ; implicit-def: $vgpr26_vgpr27
	s_and_saveexec_b64 s[28:29], s[8:9]
	s_xor_b64 s[8:9], exec, s[28:29]
	s_cbranch_execz .LBB277_68
; %bb.67:                               ;   in Loop: Header=BB277_41 Depth=1
	v_div_scale_f32 v26, s[28:29], v22, v22, v23
	v_rcp_f32_e32 v27, v26
	v_div_scale_f32 v33, vcc, v23, v22, v23
	v_fma_f32 v34, -v26, v27, 1.0
	v_fmac_f32_e32 v27, v34, v27
	v_mul_f32_e32 v34, v33, v27
	v_fma_f32 v35, -v26, v34, v33
	v_fmac_f32_e32 v34, v35, v27
	v_fma_f32 v26, -v26, v34, v33
	v_div_fmas_f32 v26, v26, v27, v34
	v_div_fixup_f32 v26, v26, v22, v23
	v_fmac_f32_e32 v22, v23, v26
	v_div_scale_f32 v23, s[28:29], v22, v22, 1.0
	v_rcp_f32_e32 v27, v23
	v_fma_f32 v33, -v23, v27, 1.0
	v_fmac_f32_e32 v27, v33, v27
	v_div_scale_f32 v33, vcc, 1.0, v22, 1.0
	v_mul_f32_e32 v34, v33, v27
	v_fma_f32 v35, -v23, v34, v33
	v_fmac_f32_e32 v34, v35, v27
	v_fma_f32 v23, -v23, v34, v33
	v_div_fmas_f32 v23, v23, v27, v34
	v_pk_mul_f32 v[26:27], v[26:27], s[10:11] op_sel_hi:[0,1]
	v_pk_add_f32 v[34:35], v[26:27], s[10:11] op_sel:[1,0] op_sel_hi:[0,1]
	v_pk_add_f32 v[26:27], s[10:11], v[26:27] op_sel:[0,1] op_sel_hi:[1,0] neg_lo:[0,1] neg_hi:[0,1]
	v_div_fixup_f32 v22, v23, v22, 1.0
	v_mov_b32_e32 v35, v27
	v_pk_mul_f32 v[26:27], v[34:35], v[22:23] op_sel_hi:[1,0]
                                        ; implicit-def: $vgpr34
                                        ; implicit-def: $vgpr33
.LBB277_68:                             ;   in Loop: Header=BB277_41 Depth=1
	s_andn2_saveexec_b64 s[8:9], s[8:9]
	s_cbranch_execz .LBB277_70
; %bb.69:                               ;   in Loop: Header=BB277_41 Depth=1
	v_div_scale_f32 v22, s[28:29], v34, v34, s11
	v_rcp_f32_e32 v23, v22
	v_div_scale_f32 v26, vcc, s11, v34, s11
	v_fma_f32 v27, -v22, v23, 1.0
	v_fmac_f32_e32 v23, v27, v23
	v_mul_f32_e32 v27, v26, v23
	v_fma_f32 v35, -v22, v27, v26
	v_fmac_f32_e32 v27, v35, v23
	v_fma_f32 v22, -v22, v27, v26
	v_div_scale_f32 v26, s[28:29], v33, v33, s10
	v_rcp_f32_e32 v35, v26
	v_div_fmas_f32 v22, v22, v23, v27
	v_div_fixup_f32 v27, v22, v34, s11
	v_fma_f32 v22, -v26, v35, 1.0
	v_fmac_f32_e32 v35, v22, v35
	v_div_scale_f32 v22, vcc, s10, v33, s10
	v_mul_f32_e32 v23, v22, v35
	v_fma_f32 v34, -v26, v23, v22
	v_fmac_f32_e32 v23, v34, v35
	v_fma_f32 v22, -v26, v23, v22
	v_div_fmas_f32 v22, v22, v35, v23
	v_div_fixup_f32 v26, v22, v33, s10
.LBB277_70:                             ;   in Loop: Header=BB277_41 Depth=1
	s_or_b64 exec, exec, s[8:9]
                                        ; implicit-def: $vgpr23
.LBB277_71:                             ;   in Loop: Header=BB277_41 Depth=1
	s_andn2_saveexec_b64 s[8:9], s[22:23]
	s_cbranch_execz .LBB277_73
; %bb.72:                               ;   in Loop: Header=BB277_41 Depth=1
	v_div_scale_f32 v26, s[22:23], v23, v23, v22
	v_rcp_f32_e32 v27, v26
	v_div_scale_f32 v33, vcc, v22, v23, v22
	v_fma_f32 v34, -v26, v27, 1.0
	v_fmac_f32_e32 v27, v34, v27
	v_mul_f32_e32 v34, v33, v27
	v_fma_f32 v35, -v26, v34, v33
	v_fmac_f32_e32 v34, v35, v27
	v_fma_f32 v26, -v26, v34, v33
	v_div_fmas_f32 v26, v26, v27, v34
	v_div_fixup_f32 v26, v26, v23, v22
	v_fmac_f32_e32 v23, v22, v26
	v_div_scale_f32 v22, s[22:23], v23, v23, 1.0
	v_rcp_f32_e32 v27, v22
	v_fma_f32 v33, -v22, v27, 1.0
	v_fmac_f32_e32 v27, v33, v27
	v_div_scale_f32 v33, vcc, 1.0, v23, 1.0
	v_mul_f32_e32 v34, v33, v27
	v_fma_f32 v35, -v22, v34, v33
	v_fmac_f32_e32 v34, v35, v27
	v_fma_f32 v22, -v22, v34, v33
	v_div_fmas_f32 v22, v22, v27, v34
	v_pk_mov_b32 v[34:35], s[18:19], s[18:19] op_sel:[0,1]
	v_pk_fma_f32 v[36:37], v[26:27], s[10:11], v[34:35]
	v_pk_fma_f32 v[26:27], v[26:27], s[10:11], v[34:35] op_sel_hi:[0,1,1] neg_lo:[0,0,1] neg_hi:[0,0,1]
	v_div_fixup_f32 v22, v22, v23, 1.0
	v_mov_b32_e32 v37, v27
	v_pk_mul_f32 v[26:27], v[36:37], v[22:23] op_sel_hi:[1,0]
.LBB277_73:                             ;   in Loop: Header=BB277_41 Depth=1
	s_or_b64 exec, exec, s[8:9]
	v_cmp_gt_f32_e32 vcc, 0, v19
	v_cndmask_b32_e64 v34, v19, -v19, vcc
	v_cmp_gt_f32_e32 vcc, 0, v18
	v_cndmask_b32_e64 v33, v18, -v18, vcc
	v_cmp_ge_f32_e32 vcc, v33, v34
                                        ; implicit-def: $vgpr22_vgpr23
	s_and_saveexec_b64 s[8:9], vcc
	s_xor_b64 s[22:23], exec, s[8:9]
	s_cbranch_execnz .LBB277_79
; %bb.74:                               ;   in Loop: Header=BB277_41 Depth=1
	s_andn2_saveexec_b64 s[8:9], s[22:23]
	s_cbranch_execnz .LBB277_84
.LBB277_75:                             ;   in Loop: Header=BB277_41 Depth=1
	s_or_b64 exec, exec, s[8:9]
	s_and_saveexec_b64 s[8:9], s[0:1]
	s_xor_b64 s[0:1], exec, s[8:9]
	s_cbranch_execnz .LBB277_85
.LBB277_76:                             ;   in Loop: Header=BB277_41 Depth=1
	s_or_b64 exec, exec, s[0:1]
	s_and_saveexec_b64 s[0:1], s[2:3]
	s_cbranch_execnz .LBB277_86
.LBB277_77:                             ;   in Loop: Header=BB277_41 Depth=1
	s_or_b64 exec, exec, s[0:1]
	s_and_saveexec_b64 s[0:1], s[4:5]
	s_cbranch_execnz .LBB277_87
.LBB277_78:                             ;   in Loop: Header=BB277_41 Depth=1
	s_or_b64 exec, exec, s[0:1]
	s_and_saveexec_b64 s[0:1], s[6:7]
	s_cbranch_execz .LBB277_40
	s_branch .LBB277_88
.LBB277_79:                             ;   in Loop: Header=BB277_41 Depth=1
	v_cmp_neq_f32_e32 vcc, 0, v18
	v_cmp_neq_f32_e64 s[8:9], 0, v19
	s_or_b64 s[8:9], s[8:9], vcc
                                        ; implicit-def: $vgpr22_vgpr23
	s_and_saveexec_b64 s[28:29], s[8:9]
	s_xor_b64 s[8:9], exec, s[28:29]
	s_cbranch_execz .LBB277_81
; %bb.80:                               ;   in Loop: Header=BB277_41 Depth=1
	v_div_scale_f32 v22, s[28:29], v18, v18, v19
	v_rcp_f32_e32 v23, v22
	v_div_scale_f32 v33, vcc, v19, v18, v19
	v_fma_f32 v34, -v22, v23, 1.0
	v_fmac_f32_e32 v23, v34, v23
	v_mul_f32_e32 v34, v33, v23
	v_fma_f32 v35, -v22, v34, v33
	v_fmac_f32_e32 v34, v35, v23
	v_fma_f32 v22, -v22, v34, v33
	v_div_fmas_f32 v22, v22, v23, v34
	v_div_fixup_f32 v22, v22, v18, v19
	v_fmac_f32_e32 v18, v19, v22
	v_div_scale_f32 v19, s[28:29], v18, v18, 1.0
	v_rcp_f32_e32 v23, v19
	v_fma_f32 v33, -v19, v23, 1.0
	v_fmac_f32_e32 v23, v33, v23
	v_div_scale_f32 v33, vcc, 1.0, v18, 1.0
	v_mul_f32_e32 v34, v33, v23
	v_fma_f32 v35, -v19, v34, v33
	v_fmac_f32_e32 v34, v35, v23
	v_fma_f32 v19, -v19, v34, v33
	v_div_fmas_f32 v19, v19, v23, v34
	v_pk_mov_b32 v[34:35], s[10:11], s[10:11] op_sel:[0,1]
	v_pk_fma_f32 v[36:37], v[22:23], s[18:19], v[34:35]
	v_pk_fma_f32 v[22:23], v[22:23], s[18:19], v[34:35] op_sel_hi:[0,1,1] neg_lo:[1,0,0] neg_hi:[1,0,0]
	v_div_fixup_f32 v18, v19, v18, 1.0
	v_mov_b32_e32 v37, v23
	v_pk_mul_f32 v[22:23], v[36:37], v[18:19] op_sel_hi:[1,0]
                                        ; implicit-def: $vgpr34
                                        ; implicit-def: $vgpr33
.LBB277_81:                             ;   in Loop: Header=BB277_41 Depth=1
	s_andn2_saveexec_b64 s[8:9], s[8:9]
	s_cbranch_execz .LBB277_83
; %bb.82:                               ;   in Loop: Header=BB277_41 Depth=1
	v_div_scale_f32 v18, s[28:29], v34, v34, s11
	v_rcp_f32_e32 v19, v18
	v_div_scale_f32 v22, vcc, s11, v34, s11
	v_fma_f32 v23, -v18, v19, 1.0
	v_fmac_f32_e32 v19, v23, v19
	v_mul_f32_e32 v23, v22, v19
	v_fma_f32 v35, -v18, v23, v22
	v_fmac_f32_e32 v23, v35, v19
	v_fma_f32 v18, -v18, v23, v22
	v_div_scale_f32 v22, s[28:29], v33, v33, s10
	v_rcp_f32_e32 v35, v22
	v_div_fmas_f32 v18, v18, v19, v23
	v_div_fixup_f32 v23, v18, v34, s11
	v_fma_f32 v18, -v22, v35, 1.0
	v_fmac_f32_e32 v35, v18, v35
	v_div_scale_f32 v18, vcc, s10, v33, s10
	v_mul_f32_e32 v19, v18, v35
	v_fma_f32 v34, -v22, v19, v18
	v_fmac_f32_e32 v19, v34, v35
	v_fma_f32 v18, -v22, v19, v18
	v_div_fmas_f32 v18, v18, v35, v19
	v_div_fixup_f32 v22, v18, v33, s10
.LBB277_83:                             ;   in Loop: Header=BB277_41 Depth=1
	s_or_b64 exec, exec, s[8:9]
                                        ; implicit-def: $vgpr19
	s_andn2_saveexec_b64 s[8:9], s[22:23]
	s_cbranch_execz .LBB277_75
.LBB277_84:                             ;   in Loop: Header=BB277_41 Depth=1
	v_div_scale_f32 v22, s[22:23], v19, v19, v18
	v_rcp_f32_e32 v23, v22
	v_div_scale_f32 v33, vcc, v18, v19, v18
	v_fma_f32 v34, -v22, v23, 1.0
	v_fmac_f32_e32 v23, v34, v23
	v_mul_f32_e32 v34, v33, v23
	v_fma_f32 v35, -v22, v34, v33
	v_fmac_f32_e32 v34, v35, v23
	v_fma_f32 v22, -v22, v34, v33
	v_div_fmas_f32 v22, v22, v23, v34
	v_div_fixup_f32 v22, v22, v19, v18
	v_fmac_f32_e32 v19, v18, v22
	v_div_scale_f32 v18, s[22:23], v19, v19, 1.0
	v_rcp_f32_e32 v23, v18
	v_fma_f32 v33, -v18, v23, 1.0
	v_fmac_f32_e32 v23, v33, v23
	v_div_scale_f32 v33, vcc, 1.0, v19, 1.0
	v_mul_f32_e32 v34, v33, v23
	v_fma_f32 v35, -v18, v34, v33
	v_fmac_f32_e32 v34, v35, v23
	v_fma_f32 v18, -v18, v34, v33
	v_div_fmas_f32 v18, v18, v23, v34
	v_pk_mov_b32 v[34:35], s[18:19], s[18:19] op_sel:[0,1]
	v_pk_fma_f32 v[36:37], v[22:23], s[10:11], v[34:35]
	v_pk_fma_f32 v[22:23], v[22:23], s[10:11], v[34:35] op_sel_hi:[0,1,1] neg_lo:[0,0,1] neg_hi:[0,0,1]
	v_div_fixup_f32 v18, v18, v19, 1.0
	v_mov_b32_e32 v37, v23
	v_pk_mul_f32 v[22:23], v[36:37], v[18:19] op_sel_hi:[1,0]
	s_or_b64 exec, exec, s[8:9]
	s_and_saveexec_b64 s[8:9], s[0:1]
	s_xor_b64 s[0:1], exec, s[8:9]
	s_cbranch_execz .LBB277_76
.LBB277_85:                             ;   in Loop: Header=BB277_41 Depth=1
	v_mov_b32_e32 v19, s13
	v_add_co_u32_e32 v18, vcc, s12, v4
	v_addc_co_u32_e32 v19, vcc, v3, v19, vcc
	global_store_dwordx2 v[18:19], v[20:21], off
	s_or_b64 exec, exec, s[0:1]
	s_and_saveexec_b64 s[0:1], s[2:3]
	s_cbranch_execz .LBB277_77
.LBB277_86:                             ;   in Loop: Header=BB277_41 Depth=1
	v_mov_b32_e32 v19, s13
	v_add_co_u32_e32 v18, vcc, s12, v16
	v_addc_co_u32_e32 v19, vcc, v15, v19, vcc
	global_store_dwordx2 v[18:19], v[24:25], off
	s_or_b64 exec, exec, s[0:1]
	s_and_saveexec_b64 s[0:1], s[4:5]
	s_cbranch_execz .LBB277_78
.LBB277_87:                             ;   in Loop: Header=BB277_41 Depth=1
	v_mov_b32_e32 v19, s13
	v_add_co_u32_e32 v18, vcc, s12, v12
	v_addc_co_u32_e32 v19, vcc, v11, v19, vcc
	global_store_dwordx2 v[18:19], v[26:27], off
	s_or_b64 exec, exec, s[0:1]
	s_and_saveexec_b64 s[0:1], s[6:7]
	s_cbranch_execz .LBB277_40
.LBB277_88:                             ;   in Loop: Header=BB277_41 Depth=1
	v_mov_b32_e32 v19, s13
	v_add_co_u32_e32 v18, vcc, s12, v8
	v_addc_co_u32_e32 v19, vcc, v7, v19, vcc
	global_store_dwordx2 v[18:19], v[22:23], off
	s_branch .LBB277_40
.LBB277_89:
	s_endpgm
	.section	.rodata,"a",@progbits
	.p2align	6, 0x0
	.amdhsa_kernel _ZN2at6native12_GLOBAL__N_125multi_tensor_apply_kernelINS1_18TensorListMetadataILi2EEENS1_14UnaryOpFunctorIN3c107complexIfEELi2ELi1ELi1EEEJNS0_10ReciprocalIS8_EEEEEvT_T0_DpT1_
		.amdhsa_group_segment_fixed_size 0
		.amdhsa_private_segment_fixed_size 0
		.amdhsa_kernarg_size 3416
		.amdhsa_user_sgpr_count 6
		.amdhsa_user_sgpr_private_segment_buffer 1
		.amdhsa_user_sgpr_dispatch_ptr 0
		.amdhsa_user_sgpr_queue_ptr 0
		.amdhsa_user_sgpr_kernarg_segment_ptr 1
		.amdhsa_user_sgpr_dispatch_id 0
		.amdhsa_user_sgpr_flat_scratch_init 0
		.amdhsa_user_sgpr_kernarg_preload_length 0
		.amdhsa_user_sgpr_kernarg_preload_offset 0
		.amdhsa_user_sgpr_private_segment_size 0
		.amdhsa_uses_dynamic_stack 0
		.amdhsa_system_sgpr_private_segment_wavefront_offset 0
		.amdhsa_system_sgpr_workgroup_id_x 1
		.amdhsa_system_sgpr_workgroup_id_y 0
		.amdhsa_system_sgpr_workgroup_id_z 0
		.amdhsa_system_sgpr_workgroup_info 0
		.amdhsa_system_vgpr_workitem_id 0
		.amdhsa_next_free_vgpr 38
		.amdhsa_next_free_sgpr 36
		.amdhsa_accum_offset 40
		.amdhsa_reserve_vcc 1
		.amdhsa_reserve_flat_scratch 0
		.amdhsa_float_round_mode_32 0
		.amdhsa_float_round_mode_16_64 0
		.amdhsa_float_denorm_mode_32 3
		.amdhsa_float_denorm_mode_16_64 3
		.amdhsa_dx10_clamp 1
		.amdhsa_ieee_mode 1
		.amdhsa_fp16_overflow 0
		.amdhsa_tg_split 0
		.amdhsa_exception_fp_ieee_invalid_op 0
		.amdhsa_exception_fp_denorm_src 0
		.amdhsa_exception_fp_ieee_div_zero 0
		.amdhsa_exception_fp_ieee_overflow 0
		.amdhsa_exception_fp_ieee_underflow 0
		.amdhsa_exception_fp_ieee_inexact 0
		.amdhsa_exception_int_div_zero 0
	.end_amdhsa_kernel
	.section	.text._ZN2at6native12_GLOBAL__N_125multi_tensor_apply_kernelINS1_18TensorListMetadataILi2EEENS1_14UnaryOpFunctorIN3c107complexIfEELi2ELi1ELi1EEEJNS0_10ReciprocalIS8_EEEEEvT_T0_DpT1_,"axG",@progbits,_ZN2at6native12_GLOBAL__N_125multi_tensor_apply_kernelINS1_18TensorListMetadataILi2EEENS1_14UnaryOpFunctorIN3c107complexIfEELi2ELi1ELi1EEEJNS0_10ReciprocalIS8_EEEEEvT_T0_DpT1_,comdat
.Lfunc_end277:
	.size	_ZN2at6native12_GLOBAL__N_125multi_tensor_apply_kernelINS1_18TensorListMetadataILi2EEENS1_14UnaryOpFunctorIN3c107complexIfEELi2ELi1ELi1EEEJNS0_10ReciprocalIS8_EEEEEvT_T0_DpT1_, .Lfunc_end277-_ZN2at6native12_GLOBAL__N_125multi_tensor_apply_kernelINS1_18TensorListMetadataILi2EEENS1_14UnaryOpFunctorIN3c107complexIfEELi2ELi1ELi1EEEJNS0_10ReciprocalIS8_EEEEEvT_T0_DpT1_
                                        ; -- End function
	.section	.AMDGPU.csdata,"",@progbits
; Kernel info:
; codeLenInByte = 6068
; NumSgprs: 40
; NumVgprs: 38
; NumAgprs: 0
; TotalNumVgprs: 38
; ScratchSize: 0
; MemoryBound: 0
; FloatMode: 240
; IeeeMode: 1
; LDSByteSize: 0 bytes/workgroup (compile time only)
; SGPRBlocks: 4
; VGPRBlocks: 4
; NumSGPRsForWavesPerEU: 40
; NumVGPRsForWavesPerEU: 38
; AccumOffset: 40
; Occupancy: 8
; WaveLimiterHint : 0
; COMPUTE_PGM_RSRC2:SCRATCH_EN: 0
; COMPUTE_PGM_RSRC2:USER_SGPR: 6
; COMPUTE_PGM_RSRC2:TRAP_HANDLER: 0
; COMPUTE_PGM_RSRC2:TGID_X_EN: 1
; COMPUTE_PGM_RSRC2:TGID_Y_EN: 0
; COMPUTE_PGM_RSRC2:TGID_Z_EN: 0
; COMPUTE_PGM_RSRC2:TIDIG_COMP_CNT: 0
; COMPUTE_PGM_RSRC3_GFX90A:ACCUM_OFFSET: 9
; COMPUTE_PGM_RSRC3_GFX90A:TG_SPLIT: 0
	.section	.text._ZN2at6native12_GLOBAL__N_125multi_tensor_apply_kernelINS1_18TensorListMetadataILi2EEENS1_14UnaryOpFunctorIN3c104HalfELi2ELi1ELi1EEEJNS0_10ReciprocalIfEEEEEvT_T0_DpT1_,"axG",@progbits,_ZN2at6native12_GLOBAL__N_125multi_tensor_apply_kernelINS1_18TensorListMetadataILi2EEENS1_14UnaryOpFunctorIN3c104HalfELi2ELi1ELi1EEEJNS0_10ReciprocalIfEEEEEvT_T0_DpT1_,comdat
	.globl	_ZN2at6native12_GLOBAL__N_125multi_tensor_apply_kernelINS1_18TensorListMetadataILi2EEENS1_14UnaryOpFunctorIN3c104HalfELi2ELi1ELi1EEEJNS0_10ReciprocalIfEEEEEvT_T0_DpT1_ ; -- Begin function _ZN2at6native12_GLOBAL__N_125multi_tensor_apply_kernelINS1_18TensorListMetadataILi2EEENS1_14UnaryOpFunctorIN3c104HalfELi2ELi1ELi1EEEJNS0_10ReciprocalIfEEEEEvT_T0_DpT1_
	.p2align	8
	.type	_ZN2at6native12_GLOBAL__N_125multi_tensor_apply_kernelINS1_18TensorListMetadataILi2EEENS1_14UnaryOpFunctorIN3c104HalfELi2ELi1ELi1EEEJNS0_10ReciprocalIfEEEEEvT_T0_DpT1_,@function
_ZN2at6native12_GLOBAL__N_125multi_tensor_apply_kernelINS1_18TensorListMetadataILi2EEENS1_14UnaryOpFunctorIN3c104HalfELi2ELi1ELi1EEEJNS0_10ReciprocalIfEEEEEvT_T0_DpT1_: ; @_ZN2at6native12_GLOBAL__N_125multi_tensor_apply_kernelINS1_18TensorListMetadataILi2EEENS1_14UnaryOpFunctorIN3c104HalfELi2ELi1ELi1EEEJNS0_10ReciprocalIfEEEEEvT_T0_DpT1_
; %bb.0:
	v_mov_b32_e32 v1, s6
	global_load_ubyte v1, v1, s[4:5] offset:1536
	s_add_u32 s0, s4, s6
	s_mul_hi_u32 s1, s6, 3
	s_mul_i32 s6, s6, 3
	s_addc_u32 s2, s5, 0
	s_add_u32 s0, s0, s6
	s_addc_u32 s1, s2, s1
	s_load_dword s2, s[0:1], 0x740
	s_mov_b32 s1, 0
	s_mov_b32 s11, s1
	;; [unrolled: 1-line block ×3, first 2 shown]
	s_waitcnt lgkmcnt(0)
	s_ashr_i32 s3, s2, 31
	s_lshl_b64 s[8:9], s[2:3], 17
	s_waitcnt vmcnt(0)
	v_readfirstlane_b32 s0, v1
	s_lshl_b32 s0, s0, 3
	s_load_dwordx2 s[16:17], s[4:5], s0 offset:0x0
	s_load_dword s22, s[4:5], 0xc4c
	s_load_dwordx2 s[12:13], s[4:5], s0 offset:0x400
	s_load_dwordx2 s[14:15], s[4:5], s0 offset:0x200
	s_waitcnt lgkmcnt(0)
	s_add_u32 s23, s16, s8
	s_addc_u32 s24, s17, s9
	s_and_b32 s0, s23, 7
	s_add_u32 s25, s14, s8
	s_addc_u32 s26, s15, s9
	s_and_b32 s10, s12, 3
	s_and_b32 s6, s25, 7
	s_or_b64 s[10:11], s[0:1], s[10:11]
	s_or_b64 s[6:7], s[6:7], s[10:11]
	s_lshl_b64 s[2:3], s[2:3], 16
	s_sub_u32 s10, s12, s2
	s_subb_u32 s11, s13, s3
	s_cmp_eq_u64 s[6:7], 0
	s_mov_b64 s[2:3], -1
	s_cbranch_scc0 .LBB278_5
; %bb.1:
	v_mov_b32_e32 v3, 0
	v_lshlrev_b32_e32 v2, 2, v0
	v_cmp_gt_i64_e32 vcc, s[10:11], v[2:3]
	s_and_saveexec_b64 s[12:13], vcc
	s_cbranch_execz .LBB278_4
; %bb.2:
	s_load_dword s0, s[4:5], 0xc5c
	v_lshlrev_b32_e32 v4, 3, v0
	s_mov_b64 s[18:19], 0
	s_mov_b64 s[20:21], 0xffff
	v_mov_b32_e32 v1, s1
	s_waitcnt lgkmcnt(0)
	s_and_b32 s0, s0, 0xffff
	v_add_lshl_u32 v2, v0, s0, 2
	s_lshl_b32 s27, s0, 2
	s_lshl_b32 s28, s0, 3
.LBB278_3:                              ; =>This Inner Loop Header: Depth=1
	v_mov_b32_e32 v5, s24
	v_add_co_u32_e32 v6, vcc, s23, v4
	v_addc_co_u32_e32 v7, vcc, 0, v5, vcc
	global_load_dwordx2 v[6:7], v[6:7], off
	v_cmp_le_i64_e32 vcc, s[10:11], v[2:3]
	v_cmp_lt_u64_e64 s[0:1], s[20:21], v[2:3]
	v_add_co_u32_e64 v2, s[2:3], s27, v2
	v_addc_co_u32_e64 v3, s[2:3], v3, v1, s[2:3]
	v_mov_b32_e32 v5, s26
	v_add_co_u32_e64 v8, s[2:3], s25, v4
	v_addc_co_u32_e64 v9, s[2:3], 0, v5, s[2:3]
	s_or_b64 s[30:31], vcc, s[0:1]
	s_add_u32 s23, s23, s28
	s_addc_u32 s24, s24, 0
	s_add_u32 s25, s25, s28
	s_addc_u32 s26, s26, 0
	s_waitcnt vmcnt(0)
	v_cvt_f32_f16_e32 v5, v6
	v_cvt_f32_f16_sdwa v6, v6 dst_sel:DWORD dst_unused:UNUSED_PAD src0_sel:WORD_1
	v_cvt_f32_f16_e32 v10, v7
	v_cvt_f32_f16_sdwa v7, v7 dst_sel:DWORD dst_unused:UNUSED_PAD src0_sel:WORD_1
	v_div_scale_f32 v11, s[0:1], v5, v5, s22
	v_div_scale_f32 v13, s[0:1], v6, v6, s22
	v_rcp_f32_e32 v19, v11
	v_div_scale_f32 v15, s[2:3], v10, v10, s22
	v_rcp_f32_e32 v20, v13
	v_div_scale_f32 v17, s[6:7], v7, v7, s22
	v_rcp_f32_e32 v21, v15
	v_rcp_f32_e32 v22, v17
	v_fma_f32 v23, -v11, v19, 1.0
	v_div_scale_f32 v12, vcc, s22, v5, s22
	v_fma_f32 v24, -v13, v20, 1.0
	v_fmac_f32_e32 v19, v23, v19
	v_div_scale_f32 v14, s[0:1], s22, v6, s22
	v_fma_f32 v25, -v15, v21, 1.0
	v_fmac_f32_e32 v20, v24, v20
	v_mul_f32_e32 v23, v12, v19
	v_div_scale_f32 v16, s[2:3], s22, v10, s22
	v_fma_f32 v26, -v17, v22, 1.0
	v_fmac_f32_e32 v21, v25, v21
	v_mul_f32_e32 v24, v14, v20
	v_fma_f32 v27, -v11, v23, v12
	v_div_scale_f32 v18, s[6:7], s22, v7, s22
	v_fmac_f32_e32 v22, v26, v22
	v_mul_f32_e32 v25, v16, v21
	v_fma_f32 v28, -v13, v24, v14
	v_fmac_f32_e32 v23, v27, v19
	v_mul_f32_e32 v26, v18, v22
	v_fma_f32 v29, -v15, v25, v16
	v_fmac_f32_e32 v24, v28, v20
	v_fma_f32 v11, -v11, v23, v12
	v_fma_f32 v30, -v17, v26, v18
	v_fmac_f32_e32 v25, v29, v21
	v_fma_f32 v12, -v13, v24, v14
	v_div_fmas_f32 v11, v11, v19, v23
	s_mov_b64 vcc, s[0:1]
	v_fmac_f32_e32 v26, v30, v22
	v_fma_f32 v13, -v15, v25, v16
	v_div_fixup_f32 v5, v11, v5, s22
	v_div_fmas_f32 v11, v12, v20, v24
	s_mov_b64 vcc, s[2:3]
	v_fma_f32 v14, -v17, v26, v18
	v_div_fixup_f32 v6, v11, v6, s22
	v_div_fmas_f32 v11, v13, v21, v25
	s_mov_b64 vcc, s[6:7]
	v_div_fixup_f32 v10, v11, v10, s22
	v_div_fmas_f32 v11, v14, v22, v26
	v_div_fixup_f32 v7, v11, v7, s22
	v_cvt_f16_f32_e32 v5, v5
	v_cvt_f16_f32_e32 v6, v6
	;; [unrolled: 1-line block ×4, first 2 shown]
	s_and_b64 s[0:1], exec, s[30:31]
	s_or_b64 s[18:19], s[0:1], s[18:19]
	v_pack_b32_f16 v6, v5, v6
	v_pack_b32_f16 v7, v10, v7
	global_store_dwordx2 v[8:9], v[6:7], off
	s_andn2_b64 exec, exec, s[18:19]
	s_cbranch_execnz .LBB278_3
.LBB278_4:
	s_or_b64 exec, exec, s[12:13]
	s_mov_b64 s[2:3], 0
.LBB278_5:
	s_andn2_b64 vcc, exec, s[2:3]
	s_cbranch_vccnz .LBB278_25
; %bb.6:
	v_cmp_lt_i64_e64 s[0:1], s[10:11], 1
	s_and_b64 vcc, exec, s[0:1]
	s_cbranch_vccnz .LBB278_25
; %bb.7:
	s_load_dword s0, s[4:5], 0xc5c
	v_mov_b32_e32 v2, 0x10000
	v_mov_b32_e32 v3, 0
	v_cmp_lt_u64_e32 vcc, s[10:11], v[2:3]
	v_lshlrev_b32_e32 v10, 1, v0
	s_waitcnt lgkmcnt(0)
	s_and_b32 s2, s0, 0xffff
	s_and_b64 s[0:1], vcc, exec
	v_mov_b32_e32 v13, s17
	v_add_co_u32_e32 v2, vcc, s16, v10
	v_addc_co_u32_e32 v1, vcc, 0, v13, vcc
	v_mov_b32_e32 v11, 0
	v_mov_b32_e32 v15, s15
	v_add_co_u32_e32 v4, vcc, s14, v10
	v_addc_co_u32_e32 v3, vcc, 0, v15, vcc
	v_mad_u64_u32 v[8:9], s[0:1], s2, 6, v[10:11]
	v_add_co_u32_e32 v6, vcc, s16, v8
	v_addc_co_u32_e32 v5, vcc, v13, v9, vcc
	v_add_co_u32_e32 v8, vcc, s14, v8
	s_mul_i32 s4, s2, 3
	v_addc_co_u32_e32 v7, vcc, v15, v9, vcc
	s_cselect_b32 s13, s11, 0
	s_cselect_b32 s12, s10, 0x10000
	s_lshl_b32 s19, s2, 2
	v_add_co_u32_e32 v17, vcc, s4, v0
	v_addc_co_u32_e64 v18, s[0:1], 0, 0, vcc
	v_add_co_u32_e32 v11, vcc, s19, v10
	v_addc_co_u32_e64 v14, s[0:1], 0, 0, vcc
	v_add_co_u32_e32 v10, vcc, s16, v11
	v_addc_co_u32_e32 v9, vcc, v13, v14, vcc
	v_add_co_u32_e32 v12, vcc, s14, v11
	s_lshl_b32 s3, s2, 1
	v_addc_co_u32_e32 v11, vcc, v15, v14, vcc
	v_add_co_u32_e32 v19, vcc, s3, v0
	v_addc_co_u32_e64 v20, s[0:1], 0, 0, vcc
	v_add_co_u32_e32 v21, vcc, s2, v0
	v_lshlrev_b32_e32 v16, 1, v21
	v_addc_co_u32_e64 v22, s[0:1], 0, 0, vcc
	v_add_co_u32_e32 v14, vcc, s16, v16
	v_addc_co_u32_e32 v13, vcc, 0, v13, vcc
	v_add_co_u32_e32 v16, vcc, s14, v16
	s_mov_b32 s18, 0
	s_lshl_b32 s20, s2, 3
	v_addc_co_u32_e32 v15, vcc, 0, v15, vcc
	s_mov_b64 s[14:15], 0
	s_branch .LBB278_9
.LBB278_8:                              ;   in Loop: Header=BB278_9 Depth=1
	s_or_b64 exec, exec, s[2:3]
	s_add_u32 s14, s14, s19
	s_addc_u32 s15, s15, 0
	s_waitcnt vmcnt(0)
	v_pk_mov_b32 v[24:25], s[10:11], s[10:11] op_sel:[0,1]
	v_cmp_ge_i64_e32 vcc, s[14:15], v[24:25]
	v_mov_b32_e32 v24, 0xffff
	v_mov_b32_e32 v25, 0
	v_cmp_gt_u64_e64 s[0:1], s[14:15], v[24:25]
	s_or_b64 s[0:1], vcc, s[0:1]
	v_mov_b32_e32 v23, s18
	v_add_co_u32_e32 v2, vcc, s20, v2
	v_addc_co_u32_e32 v1, vcc, v1, v23, vcc
	v_add_co_u32_e32 v4, vcc, s20, v4
	v_addc_co_u32_e32 v3, vcc, v3, v23, vcc
	;; [unrolled: 2-line block ×8, first 2 shown]
	s_and_b64 vcc, exec, s[0:1]
	s_cbranch_vccnz .LBB278_25
.LBB278_9:                              ; =>This Inner Loop Header: Depth=1
	v_mov_b32_e32 v23, s15
	v_add_co_u32_e32 v24, vcc, s14, v0
	v_addc_co_u32_e32 v25, vcc, 0, v23, vcc
	v_cmp_gt_u64_e32 vcc, s[12:13], v[24:25]
	v_mov_b32_e32 v26, 0
	s_and_saveexec_b64 s[2:3], vcc
	s_cbranch_execz .LBB278_11
; %bb.10:                               ;   in Loop: Header=BB278_9 Depth=1
	v_mov_b32_e32 v23, s9
	v_add_co_u32_e64 v24, s[0:1], s8, v2
	v_addc_co_u32_e64 v25, s[0:1], v1, v23, s[0:1]
	global_load_ushort v26, v[24:25], off
.LBB278_11:                             ;   in Loop: Header=BB278_9 Depth=1
	s_or_b64 exec, exec, s[2:3]
	v_mov_b32_e32 v23, s15
	v_add_co_u32_e64 v24, s[0:1], s14, v21
	v_addc_co_u32_e64 v25, s[0:1], v22, v23, s[0:1]
	v_cmp_gt_u64_e64 s[4:5], s[12:13], v[24:25]
	v_mov_b32_e32 v25, 0
	s_and_saveexec_b64 s[2:3], s[4:5]
	s_cbranch_execz .LBB278_13
; %bb.12:                               ;   in Loop: Header=BB278_9 Depth=1
	v_mov_b32_e32 v23, s9
	v_add_co_u32_e64 v24, s[0:1], s8, v14
	v_addc_co_u32_e64 v25, s[0:1], v13, v23, s[0:1]
	global_load_ushort v25, v[24:25], off
.LBB278_13:                             ;   in Loop: Header=BB278_9 Depth=1
	s_or_b64 exec, exec, s[2:3]
	v_mov_b32_e32 v23, s15
	v_add_co_u32_e64 v28, s[0:1], s14, v19
	v_addc_co_u32_e64 v29, s[0:1], v20, v23, s[0:1]
	v_cmp_gt_u64_e64 s[2:3], s[12:13], v[28:29]
	v_mov_b32_e32 v23, 0
	v_mov_b32_e32 v24, 0
	s_and_saveexec_b64 s[6:7], s[2:3]
	s_cbranch_execz .LBB278_15
; %bb.14:                               ;   in Loop: Header=BB278_9 Depth=1
	v_mov_b32_e32 v24, s9
	v_add_co_u32_e64 v28, s[0:1], s8, v10
	v_addc_co_u32_e64 v29, s[0:1], v9, v24, s[0:1]
	global_load_ushort v24, v[28:29], off
.LBB278_15:                             ;   in Loop: Header=BB278_9 Depth=1
	s_or_b64 exec, exec, s[6:7]
	v_mov_b32_e32 v27, s15
	v_add_co_u32_e64 v28, s[0:1], s14, v17
	v_addc_co_u32_e64 v29, s[0:1], v18, v27, s[0:1]
	v_cmp_gt_u64_e64 s[0:1], s[12:13], v[28:29]
	s_and_saveexec_b64 s[16:17], s[0:1]
	s_cbranch_execnz .LBB278_20
; %bb.16:                               ;   in Loop: Header=BB278_9 Depth=1
	s_or_b64 exec, exec, s[16:17]
	s_and_saveexec_b64 s[6:7], vcc
	s_cbranch_execnz .LBB278_21
.LBB278_17:                             ;   in Loop: Header=BB278_9 Depth=1
	s_or_b64 exec, exec, s[6:7]
	s_and_saveexec_b64 s[6:7], s[4:5]
	s_cbranch_execnz .LBB278_22
.LBB278_18:                             ;   in Loop: Header=BB278_9 Depth=1
	s_or_b64 exec, exec, s[6:7]
	s_and_saveexec_b64 s[4:5], s[2:3]
	s_cbranch_execnz .LBB278_23
.LBB278_19:                             ;   in Loop: Header=BB278_9 Depth=1
	s_or_b64 exec, exec, s[4:5]
	s_and_saveexec_b64 s[2:3], s[0:1]
	s_cbranch_execz .LBB278_8
	s_branch .LBB278_24
.LBB278_20:                             ;   in Loop: Header=BB278_9 Depth=1
	v_mov_b32_e32 v23, s9
	v_add_co_u32_e64 v28, s[6:7], s8, v6
	v_addc_co_u32_e64 v29, s[6:7], v5, v23, s[6:7]
	global_load_ushort v23, v[28:29], off
	s_or_b64 exec, exec, s[16:17]
	s_and_saveexec_b64 s[6:7], vcc
	s_cbranch_execz .LBB278_17
.LBB278_21:                             ;   in Loop: Header=BB278_9 Depth=1
	s_waitcnt vmcnt(0)
	v_cvt_f32_f16_e32 v26, v26
	v_mov_b32_e32 v29, s9
	v_div_scale_f32 v27, s[16:17], v26, v26, s22
	v_rcp_f32_e32 v28, v27
	v_div_scale_f32 v30, vcc, s22, v26, s22
	v_fma_f32 v31, -v27, v28, 1.0
	v_fmac_f32_e32 v28, v31, v28
	v_mul_f32_e32 v31, v30, v28
	v_fma_f32 v32, -v27, v31, v30
	v_fmac_f32_e32 v31, v32, v28
	v_fma_f32 v27, -v27, v31, v30
	v_div_fmas_f32 v27, v27, v28, v31
	v_div_fixup_f32 v26, v27, v26, s22
	v_cvt_f16_f32_e32 v28, v26
	v_add_co_u32_e32 v26, vcc, s8, v4
	v_addc_co_u32_e32 v27, vcc, v3, v29, vcc
	global_store_short v[26:27], v28, off
	s_or_b64 exec, exec, s[6:7]
	s_and_saveexec_b64 s[6:7], s[4:5]
	s_cbranch_execz .LBB278_18
.LBB278_22:                             ;   in Loop: Header=BB278_9 Depth=1
	s_waitcnt vmcnt(0)
	v_cvt_f32_f16_e32 v25, v25
	v_mov_b32_e32 v28, s9
	v_div_scale_f32 v26, s[4:5], v25, v25, s22
	v_rcp_f32_e32 v27, v26
	v_div_scale_f32 v29, vcc, s22, v25, s22
	v_fma_f32 v30, -v26, v27, 1.0
	v_fmac_f32_e32 v27, v30, v27
	v_mul_f32_e32 v30, v29, v27
	v_fma_f32 v31, -v26, v30, v29
	v_fmac_f32_e32 v30, v31, v27
	v_fma_f32 v26, -v26, v30, v29
	v_div_fmas_f32 v26, v26, v27, v30
	v_div_fixup_f32 v25, v26, v25, s22
	v_cvt_f16_f32_e32 v25, v25
	v_add_co_u32_e32 v26, vcc, s8, v16
	v_addc_co_u32_e32 v27, vcc, v15, v28, vcc
	global_store_short v[26:27], v25, off
	s_or_b64 exec, exec, s[6:7]
	s_and_saveexec_b64 s[4:5], s[2:3]
	s_cbranch_execz .LBB278_19
.LBB278_23:                             ;   in Loop: Header=BB278_9 Depth=1
	s_waitcnt vmcnt(0)
	v_cvt_f32_f16_e32 v24, v24
	v_mov_b32_e32 v27, s9
	v_div_scale_f32 v25, s[2:3], v24, v24, s22
	v_rcp_f32_e32 v26, v25
	v_div_scale_f32 v28, vcc, s22, v24, s22
	v_fma_f32 v29, -v25, v26, 1.0
	v_fmac_f32_e32 v26, v29, v26
	v_mul_f32_e32 v29, v28, v26
	v_fma_f32 v30, -v25, v29, v28
	v_fmac_f32_e32 v29, v30, v26
	v_fma_f32 v25, -v25, v29, v28
	v_div_fmas_f32 v25, v25, v26, v29
	v_div_fixup_f32 v24, v25, v24, s22
	v_cvt_f16_f32_e32 v26, v24
	v_add_co_u32_e32 v24, vcc, s8, v12
	v_addc_co_u32_e32 v25, vcc, v11, v27, vcc
	global_store_short v[24:25], v26, off
	s_or_b64 exec, exec, s[4:5]
	s_and_saveexec_b64 s[2:3], s[0:1]
	s_cbranch_execz .LBB278_8
.LBB278_24:                             ;   in Loop: Header=BB278_9 Depth=1
	s_waitcnt vmcnt(0)
	v_cvt_f32_f16_e32 v23, v23
	v_mov_b32_e32 v26, s9
	v_div_scale_f32 v24, s[0:1], v23, v23, s22
	v_rcp_f32_e32 v25, v24
	v_div_scale_f32 v27, vcc, s22, v23, s22
	v_fma_f32 v28, -v24, v25, 1.0
	v_fmac_f32_e32 v25, v28, v25
	v_mul_f32_e32 v28, v27, v25
	v_fma_f32 v29, -v24, v28, v27
	v_fmac_f32_e32 v28, v29, v25
	v_fma_f32 v24, -v24, v28, v27
	v_div_fmas_f32 v24, v24, v25, v28
	v_div_fixup_f32 v23, v24, v23, s22
	v_cvt_f16_f32_e32 v23, v23
	v_add_co_u32_e32 v24, vcc, s8, v8
	v_addc_co_u32_e32 v25, vcc, v7, v26, vcc
	global_store_short v[24:25], v23, off
	s_branch .LBB278_8
.LBB278_25:
	s_endpgm
	.section	.rodata,"a",@progbits
	.p2align	6, 0x0
	.amdhsa_kernel _ZN2at6native12_GLOBAL__N_125multi_tensor_apply_kernelINS1_18TensorListMetadataILi2EEENS1_14UnaryOpFunctorIN3c104HalfELi2ELi1ELi1EEEJNS0_10ReciprocalIfEEEEEvT_T0_DpT1_
		.amdhsa_group_segment_fixed_size 0
		.amdhsa_private_segment_fixed_size 0
		.amdhsa_kernarg_size 3408
		.amdhsa_user_sgpr_count 6
		.amdhsa_user_sgpr_private_segment_buffer 1
		.amdhsa_user_sgpr_dispatch_ptr 0
		.amdhsa_user_sgpr_queue_ptr 0
		.amdhsa_user_sgpr_kernarg_segment_ptr 1
		.amdhsa_user_sgpr_dispatch_id 0
		.amdhsa_user_sgpr_flat_scratch_init 0
		.amdhsa_user_sgpr_kernarg_preload_length 0
		.amdhsa_user_sgpr_kernarg_preload_offset 0
		.amdhsa_user_sgpr_private_segment_size 0
		.amdhsa_uses_dynamic_stack 0
		.amdhsa_system_sgpr_private_segment_wavefront_offset 0
		.amdhsa_system_sgpr_workgroup_id_x 1
		.amdhsa_system_sgpr_workgroup_id_y 0
		.amdhsa_system_sgpr_workgroup_id_z 0
		.amdhsa_system_sgpr_workgroup_info 0
		.amdhsa_system_vgpr_workitem_id 0
		.amdhsa_next_free_vgpr 33
		.amdhsa_next_free_sgpr 32
		.amdhsa_accum_offset 36
		.amdhsa_reserve_vcc 1
		.amdhsa_reserve_flat_scratch 0
		.amdhsa_float_round_mode_32 0
		.amdhsa_float_round_mode_16_64 0
		.amdhsa_float_denorm_mode_32 3
		.amdhsa_float_denorm_mode_16_64 3
		.amdhsa_dx10_clamp 1
		.amdhsa_ieee_mode 1
		.amdhsa_fp16_overflow 0
		.amdhsa_tg_split 0
		.amdhsa_exception_fp_ieee_invalid_op 0
		.amdhsa_exception_fp_denorm_src 0
		.amdhsa_exception_fp_ieee_div_zero 0
		.amdhsa_exception_fp_ieee_overflow 0
		.amdhsa_exception_fp_ieee_underflow 0
		.amdhsa_exception_fp_ieee_inexact 0
		.amdhsa_exception_int_div_zero 0
	.end_amdhsa_kernel
	.section	.text._ZN2at6native12_GLOBAL__N_125multi_tensor_apply_kernelINS1_18TensorListMetadataILi2EEENS1_14UnaryOpFunctorIN3c104HalfELi2ELi1ELi1EEEJNS0_10ReciprocalIfEEEEEvT_T0_DpT1_,"axG",@progbits,_ZN2at6native12_GLOBAL__N_125multi_tensor_apply_kernelINS1_18TensorListMetadataILi2EEENS1_14UnaryOpFunctorIN3c104HalfELi2ELi1ELi1EEEJNS0_10ReciprocalIfEEEEEvT_T0_DpT1_,comdat
.Lfunc_end278:
	.size	_ZN2at6native12_GLOBAL__N_125multi_tensor_apply_kernelINS1_18TensorListMetadataILi2EEENS1_14UnaryOpFunctorIN3c104HalfELi2ELi1ELi1EEEJNS0_10ReciprocalIfEEEEEvT_T0_DpT1_, .Lfunc_end278-_ZN2at6native12_GLOBAL__N_125multi_tensor_apply_kernelINS1_18TensorListMetadataILi2EEENS1_14UnaryOpFunctorIN3c104HalfELi2ELi1ELi1EEEJNS0_10ReciprocalIfEEEEEvT_T0_DpT1_
                                        ; -- End function
	.section	.AMDGPU.csdata,"",@progbits
; Kernel info:
; codeLenInByte = 1900
; NumSgprs: 36
; NumVgprs: 33
; NumAgprs: 0
; TotalNumVgprs: 33
; ScratchSize: 0
; MemoryBound: 0
; FloatMode: 240
; IeeeMode: 1
; LDSByteSize: 0 bytes/workgroup (compile time only)
; SGPRBlocks: 4
; VGPRBlocks: 4
; NumSGPRsForWavesPerEU: 36
; NumVGPRsForWavesPerEU: 33
; AccumOffset: 36
; Occupancy: 8
; WaveLimiterHint : 0
; COMPUTE_PGM_RSRC2:SCRATCH_EN: 0
; COMPUTE_PGM_RSRC2:USER_SGPR: 6
; COMPUTE_PGM_RSRC2:TRAP_HANDLER: 0
; COMPUTE_PGM_RSRC2:TGID_X_EN: 1
; COMPUTE_PGM_RSRC2:TGID_Y_EN: 0
; COMPUTE_PGM_RSRC2:TGID_Z_EN: 0
; COMPUTE_PGM_RSRC2:TIDIG_COMP_CNT: 0
; COMPUTE_PGM_RSRC3_GFX90A:ACCUM_OFFSET: 8
; COMPUTE_PGM_RSRC3_GFX90A:TG_SPLIT: 0
	.section	.text._ZN2at6native12_GLOBAL__N_125multi_tensor_apply_kernelINS1_18TensorListMetadataILi2EEENS1_14UnaryOpFunctorIN3c108BFloat16ELi2ELi1ELi1EEEJNS0_10ReciprocalIfEEEEEvT_T0_DpT1_,"axG",@progbits,_ZN2at6native12_GLOBAL__N_125multi_tensor_apply_kernelINS1_18TensorListMetadataILi2EEENS1_14UnaryOpFunctorIN3c108BFloat16ELi2ELi1ELi1EEEJNS0_10ReciprocalIfEEEEEvT_T0_DpT1_,comdat
	.globl	_ZN2at6native12_GLOBAL__N_125multi_tensor_apply_kernelINS1_18TensorListMetadataILi2EEENS1_14UnaryOpFunctorIN3c108BFloat16ELi2ELi1ELi1EEEJNS0_10ReciprocalIfEEEEEvT_T0_DpT1_ ; -- Begin function _ZN2at6native12_GLOBAL__N_125multi_tensor_apply_kernelINS1_18TensorListMetadataILi2EEENS1_14UnaryOpFunctorIN3c108BFloat16ELi2ELi1ELi1EEEJNS0_10ReciprocalIfEEEEEvT_T0_DpT1_
	.p2align	8
	.type	_ZN2at6native12_GLOBAL__N_125multi_tensor_apply_kernelINS1_18TensorListMetadataILi2EEENS1_14UnaryOpFunctorIN3c108BFloat16ELi2ELi1ELi1EEEJNS0_10ReciprocalIfEEEEEvT_T0_DpT1_,@function
_ZN2at6native12_GLOBAL__N_125multi_tensor_apply_kernelINS1_18TensorListMetadataILi2EEENS1_14UnaryOpFunctorIN3c108BFloat16ELi2ELi1ELi1EEEJNS0_10ReciprocalIfEEEEEvT_T0_DpT1_: ; @_ZN2at6native12_GLOBAL__N_125multi_tensor_apply_kernelINS1_18TensorListMetadataILi2EEENS1_14UnaryOpFunctorIN3c108BFloat16ELi2ELi1ELi1EEEJNS0_10ReciprocalIfEEEEEvT_T0_DpT1_
; %bb.0:
	v_mov_b32_e32 v1, s6
	global_load_ubyte v1, v1, s[4:5] offset:1536
	s_add_u32 s0, s4, s6
	s_mul_hi_u32 s2, s6, 3
	s_mul_i32 s6, s6, 3
	s_addc_u32 s7, s5, 0
	s_add_u32 s6, s0, s6
	s_addc_u32 s7, s7, s2
	s_load_dword s6, s[6:7], 0x740
	s_mov_b32 s1, 0
	s_mov_b32 s13, s1
	;; [unrolled: 1-line block ×3, first 2 shown]
	s_waitcnt lgkmcnt(0)
	s_ashr_i32 s7, s6, 31
	s_lshl_b64 s[8:9], s[6:7], 17
	s_lshl_b64 s[6:7], s[6:7], 16
	s_waitcnt vmcnt(0)
	v_readfirstlane_b32 s0, v1
	s_lshl_b32 s0, s0, 3
	s_load_dwordx2 s[16:17], s[4:5], s0 offset:0x0
	s_load_dword s22, s[4:5], 0xc4c
	s_load_dwordx2 s[10:11], s[4:5], s0 offset:0x400
	s_load_dwordx2 s[14:15], s[4:5], s0 offset:0x200
	s_waitcnt lgkmcnt(0)
	s_and_b32 s0, s16, 7
	s_and_b32 s12, s10, 3
	;; [unrolled: 1-line block ×3, first 2 shown]
	s_or_b64 s[12:13], s[0:1], s[12:13]
	s_or_b64 s[2:3], s[2:3], s[12:13]
	s_sub_u32 s10, s10, s6
	s_subb_u32 s11, s11, s7
	s_cmp_eq_u64 s[2:3], 0
	s_mov_b64 s[2:3], -1
	s_cbranch_scc0 .LBB279_5
; %bb.1:
	v_mov_b32_e32 v3, 0
	v_lshlrev_b32_e32 v2, 2, v0
	v_cmp_gt_i64_e32 vcc, s[10:11], v[2:3]
	s_and_saveexec_b64 s[12:13], vcc
	s_cbranch_execz .LBB279_4
; %bb.2:
	s_load_dword s0, s[4:5], 0xc5c
	v_lshlrev_b32_e32 v1, 3, v0
	v_mov_b32_e32 v2, s9
	v_add_co_u32_e32 v4, vcc, s8, v1
	s_waitcnt lgkmcnt(0)
	s_and_b32 s0, s0, 0xffff
	v_addc_co_u32_e32 v1, vcc, 0, v2, vcc
	s_lshl_b32 s23, s0, 3
	v_add_lshl_u32 v2, v0, s0, 2
	s_lshl_b32 s24, s0, 2
	s_mov_b64 s[18:19], 0
	v_mov_b32_e32 v5, s17
	s_movk_i32 s25, 0x7fff
	v_mov_b32_e32 v6, s15
	v_mov_b32_e32 v7, 0x7fc00000
	;; [unrolled: 1-line block ×3, first 2 shown]
	s_mov_b64 s[20:21], 0xffff
	v_mov_b32_e32 v9, s1
	v_mov_b32_e32 v10, s1
.LBB279_3:                              ; =>This Inner Loop Header: Depth=1
	v_add_co_u32_e32 v12, vcc, s16, v4
	v_addc_co_u32_e32 v13, vcc, v5, v1, vcc
	global_load_dwordx2 v[12:13], v[12:13], off
	v_add_co_u32_e32 v14, vcc, s14, v4
	v_addc_co_u32_e32 v15, vcc, v6, v1, vcc
	v_cmp_le_i64_e32 vcc, s[10:11], v[2:3]
	v_cmp_lt_u64_e64 s[0:1], s[20:21], v[2:3]
	s_or_b64 s[0:1], vcc, s[0:1]
	v_add_co_u32_e64 v4, s[2:3], s23, v4
	s_and_b64 s[0:1], exec, s[0:1]
	v_addc_co_u32_e64 v1, s[2:3], v1, v9, s[2:3]
	s_or_b64 s[18:19], s[0:1], s[18:19]
	v_add_co_u32_e64 v2, s[2:3], s24, v2
	v_addc_co_u32_e64 v3, s[2:3], v3, v10, s[2:3]
	s_waitcnt vmcnt(0)
	v_lshlrev_b32_e32 v16, 16, v12
	v_and_b32_e32 v11, 0xffff0000, v12
	v_alignbit_b32 v12, v13, v12, 16
	v_div_scale_f32 v17, s[0:1], v16, v16, s22
	v_and_b32_e32 v13, 0xffff0000, v13
	v_div_scale_f32 v19, s[0:1], v11, v11, s22
	v_and_b32_e32 v12, 0xffff0000, v12
	v_rcp_f32_e32 v23, v17
	v_div_scale_f32 v21, s[2:3], v13, v13, s22
	v_rcp_f32_e32 v24, v19
	v_div_scale_f32 v25, s[6:7], v12, v12, s22
	v_rcp_f32_e32 v27, v21
	v_rcp_f32_e32 v28, v25
	v_fma_f32 v29, -v17, v23, 1.0
	v_div_scale_f32 v18, vcc, s22, v16, s22
	v_fma_f32 v30, -v19, v24, 1.0
	v_fmac_f32_e32 v23, v29, v23
	v_div_scale_f32 v20, s[0:1], s22, v11, s22
	v_fma_f32 v31, -v21, v27, 1.0
	v_fmac_f32_e32 v24, v30, v24
	v_fma_f32 v29, -v25, v28, 1.0
	v_mul_f32_e32 v30, v18, v23
	v_div_scale_f32 v26, s[6:7], s22, v12, s22
	v_fmac_f32_e32 v27, v31, v27
	v_mul_f32_e32 v31, v20, v24
	v_fmac_f32_e32 v28, v29, v28
	v_fma_f32 v32, -v17, v30, v18
	v_div_scale_f32 v22, s[2:3], s22, v13, s22
	v_fma_f32 v33, -v19, v31, v20
	v_mul_f32_e32 v34, v26, v28
	v_fmac_f32_e32 v30, v32, v23
	v_mul_f32_e32 v29, v22, v27
	v_fmac_f32_e32 v31, v33, v24
	v_fma_f32 v32, -v25, v34, v26
	v_fma_f32 v17, -v17, v30, v18
	;; [unrolled: 1-line block ×4, first 2 shown]
	v_fmac_f32_e32 v34, v32, v28
	v_div_fmas_f32 v17, v17, v23, v30
	s_mov_b64 vcc, s[0:1]
	v_fmac_f32_e32 v29, v35, v27
	v_fma_f32 v20, -v25, v34, v26
	v_div_fixup_f32 v16, v17, v16, s22
	v_div_fmas_f32 v17, v18, v24, v31
	s_mov_b64 vcc, s[6:7]
	v_fma_f32 v19, -v21, v29, v22
	v_bfe_u32 v18, v16, 16, 1
	v_div_fixup_f32 v11, v17, v11, s22
	v_div_fmas_f32 v17, v20, v28, v34
	s_mov_b64 vcc, s[2:3]
	v_add3_u32 v18, v16, v18, s25
	v_bfe_u32 v20, v11, 16, 1
	v_div_fixup_f32 v12, v17, v12, s22
	v_div_fmas_f32 v17, v19, v27, v29
	v_lshrrev_b32_e32 v18, 16, v18
	v_add3_u32 v19, v11, v20, s25
	v_bfe_u32 v20, v12, 16, 1
	v_div_fixup_f32 v13, v17, v13, s22
	v_cmp_o_f32_e32 vcc, v16, v16
	v_and_b32_e32 v16, 0xffff0000, v19
	v_add3_u32 v17, v12, v20, s25
	v_bfe_u32 v19, v13, 16, 1
	v_cndmask_b32_e32 v18, v8, v18, vcc
	v_cmp_o_f32_e32 vcc, v11, v11
	v_lshrrev_b32_e32 v11, 16, v17
	v_add3_u32 v17, v13, v19, s25
	v_cndmask_b32_e32 v16, v7, v16, vcc
	v_cmp_o_f32_e32 vcc, v12, v12
	v_and_b32_e32 v12, 0xffff0000, v17
	v_cndmask_b32_e32 v11, v8, v11, vcc
	v_cmp_o_f32_e32 vcc, v13, v13
	v_or_b32_e32 v16, v18, v16
	v_cndmask_b32_e32 v13, v7, v12, vcc
	v_or3_b32 v12, v16, 0, 0
	v_or3_b32 v13, 0, v11, v13
	global_store_dwordx2 v[14:15], v[12:13], off
	s_andn2_b64 exec, exec, s[18:19]
	s_cbranch_execnz .LBB279_3
.LBB279_4:
	s_or_b64 exec, exec, s[12:13]
	s_mov_b64 s[2:3], 0
.LBB279_5:
	s_andn2_b64 vcc, exec, s[2:3]
	s_cbranch_vccnz .LBB279_25
; %bb.6:
	v_cmp_lt_i64_e64 s[0:1], s[10:11], 1
	s_and_b64 vcc, exec, s[0:1]
	s_cbranch_vccnz .LBB279_25
; %bb.7:
	s_load_dword s0, s[4:5], 0xc5c
	v_mov_b32_e32 v2, 0x10000
	v_mov_b32_e32 v3, 0
	v_cmp_lt_u64_e32 vcc, s[10:11], v[2:3]
	v_lshlrev_b32_e32 v10, 1, v0
	s_waitcnt lgkmcnt(0)
	s_and_b32 s2, s0, 0xffff
	s_and_b64 s[0:1], vcc, exec
	v_mov_b32_e32 v13, s17
	v_add_co_u32_e32 v2, vcc, s16, v10
	v_addc_co_u32_e32 v1, vcc, 0, v13, vcc
	v_mov_b32_e32 v11, 0
	v_mov_b32_e32 v15, s15
	v_add_co_u32_e32 v4, vcc, s14, v10
	v_addc_co_u32_e32 v3, vcc, 0, v15, vcc
	v_mad_u64_u32 v[8:9], s[0:1], s2, 6, v[10:11]
	v_add_co_u32_e32 v6, vcc, s16, v8
	v_addc_co_u32_e32 v5, vcc, v13, v9, vcc
	v_add_co_u32_e32 v8, vcc, s14, v8
	s_mul_i32 s4, s2, 3
	v_addc_co_u32_e32 v7, vcc, v15, v9, vcc
	s_cselect_b32 s13, s11, 0
	s_cselect_b32 s12, s10, 0x10000
	s_lshl_b32 s19, s2, 2
	v_add_co_u32_e32 v17, vcc, s4, v0
	v_addc_co_u32_e64 v18, s[0:1], 0, 0, vcc
	v_add_co_u32_e32 v11, vcc, s19, v10
	v_addc_co_u32_e64 v14, s[0:1], 0, 0, vcc
	v_add_co_u32_e32 v10, vcc, s16, v11
	v_addc_co_u32_e32 v9, vcc, v13, v14, vcc
	v_add_co_u32_e32 v12, vcc, s14, v11
	s_lshl_b32 s3, s2, 1
	v_addc_co_u32_e32 v11, vcc, v15, v14, vcc
	v_add_co_u32_e32 v19, vcc, s3, v0
	v_addc_co_u32_e64 v20, s[0:1], 0, 0, vcc
	v_add_co_u32_e32 v21, vcc, s2, v0
	v_lshlrev_b32_e32 v16, 1, v21
	v_addc_co_u32_e64 v22, s[0:1], 0, 0, vcc
	v_add_co_u32_e32 v14, vcc, s16, v16
	v_addc_co_u32_e32 v13, vcc, 0, v13, vcc
	v_add_co_u32_e32 v16, vcc, s14, v16
	s_mov_b32 s18, 0
	s_lshl_b32 s20, s2, 3
	v_addc_co_u32_e32 v15, vcc, 0, v15, vcc
	s_mov_b64 s[14:15], 0
	s_movk_i32 s21, 0x7fff
	v_mov_b32_e32 v23, 0x7fc0
	s_branch .LBB279_9
.LBB279_8:                              ;   in Loop: Header=BB279_9 Depth=1
	s_or_b64 exec, exec, s[2:3]
	s_add_u32 s14, s14, s19
	s_addc_u32 s15, s15, 0
	s_waitcnt vmcnt(0)
	v_pk_mov_b32 v[24:25], s[10:11], s[10:11] op_sel:[0,1]
	v_cmp_ge_i64_e32 vcc, s[14:15], v[24:25]
	v_mov_b32_e32 v24, 0xffff
	v_mov_b32_e32 v25, 0
	v_cmp_gt_u64_e64 s[0:1], s[14:15], v[24:25]
	s_or_b64 s[0:1], vcc, s[0:1]
	v_mov_b32_e32 v24, s18
	v_add_co_u32_e32 v2, vcc, s20, v2
	v_addc_co_u32_e32 v1, vcc, v1, v24, vcc
	v_add_co_u32_e32 v4, vcc, s20, v4
	v_addc_co_u32_e32 v3, vcc, v3, v24, vcc
	;; [unrolled: 2-line block ×8, first 2 shown]
	s_and_b64 vcc, exec, s[0:1]
	s_cbranch_vccnz .LBB279_25
.LBB279_9:                              ; =>This Inner Loop Header: Depth=1
	v_mov_b32_e32 v25, s15
	v_add_co_u32_e32 v24, vcc, s14, v0
	v_addc_co_u32_e32 v25, vcc, 0, v25, vcc
	v_cmp_gt_u64_e32 vcc, s[12:13], v[24:25]
	v_mov_b32_e32 v27, 0
	s_and_saveexec_b64 s[2:3], vcc
	s_cbranch_execz .LBB279_11
; %bb.10:                               ;   in Loop: Header=BB279_9 Depth=1
	v_mov_b32_e32 v25, s9
	v_add_co_u32_e64 v24, s[0:1], s8, v2
	v_addc_co_u32_e64 v25, s[0:1], v1, v25, s[0:1]
	global_load_ushort v27, v[24:25], off
.LBB279_11:                             ;   in Loop: Header=BB279_9 Depth=1
	s_or_b64 exec, exec, s[2:3]
	v_mov_b32_e32 v25, s15
	v_add_co_u32_e64 v24, s[0:1], s14, v21
	v_addc_co_u32_e64 v25, s[0:1], v22, v25, s[0:1]
	v_cmp_gt_u64_e64 s[4:5], s[12:13], v[24:25]
	v_mov_b32_e32 v26, 0
	s_and_saveexec_b64 s[2:3], s[4:5]
	s_cbranch_execz .LBB279_13
; %bb.12:                               ;   in Loop: Header=BB279_9 Depth=1
	v_mov_b32_e32 v25, s9
	v_add_co_u32_e64 v24, s[0:1], s8, v14
	v_addc_co_u32_e64 v25, s[0:1], v13, v25, s[0:1]
	global_load_ushort v26, v[24:25], off
.LBB279_13:                             ;   in Loop: Header=BB279_9 Depth=1
	s_or_b64 exec, exec, s[2:3]
	v_mov_b32_e32 v25, s15
	v_add_co_u32_e64 v24, s[0:1], s14, v19
	v_addc_co_u32_e64 v25, s[0:1], v20, v25, s[0:1]
	v_cmp_gt_u64_e64 s[2:3], s[12:13], v[24:25]
	v_mov_b32_e32 v24, 0
	v_mov_b32_e32 v25, 0
	s_and_saveexec_b64 s[6:7], s[2:3]
	s_cbranch_execz .LBB279_15
; %bb.14:                               ;   in Loop: Header=BB279_9 Depth=1
	v_mov_b32_e32 v25, s9
	v_add_co_u32_e64 v28, s[0:1], s8, v10
	v_addc_co_u32_e64 v29, s[0:1], v9, v25, s[0:1]
	global_load_ushort v25, v[28:29], off
.LBB279_15:                             ;   in Loop: Header=BB279_9 Depth=1
	s_or_b64 exec, exec, s[6:7]
	v_mov_b32_e32 v29, s15
	v_add_co_u32_e64 v28, s[0:1], s14, v17
	v_addc_co_u32_e64 v29, s[0:1], v18, v29, s[0:1]
	v_cmp_gt_u64_e64 s[0:1], s[12:13], v[28:29]
	s_and_saveexec_b64 s[16:17], s[0:1]
	s_cbranch_execnz .LBB279_20
; %bb.16:                               ;   in Loop: Header=BB279_9 Depth=1
	s_or_b64 exec, exec, s[16:17]
	s_and_saveexec_b64 s[6:7], vcc
	s_cbranch_execnz .LBB279_21
.LBB279_17:                             ;   in Loop: Header=BB279_9 Depth=1
	s_or_b64 exec, exec, s[6:7]
	s_and_saveexec_b64 s[6:7], s[4:5]
	s_cbranch_execnz .LBB279_22
.LBB279_18:                             ;   in Loop: Header=BB279_9 Depth=1
	s_or_b64 exec, exec, s[6:7]
	s_and_saveexec_b64 s[4:5], s[2:3]
	s_cbranch_execnz .LBB279_23
.LBB279_19:                             ;   in Loop: Header=BB279_9 Depth=1
	s_or_b64 exec, exec, s[4:5]
	s_and_saveexec_b64 s[2:3], s[0:1]
	s_cbranch_execz .LBB279_8
	s_branch .LBB279_24
.LBB279_20:                             ;   in Loop: Header=BB279_9 Depth=1
	v_mov_b32_e32 v24, s9
	v_add_co_u32_e64 v28, s[6:7], s8, v6
	v_addc_co_u32_e64 v29, s[6:7], v5, v24, s[6:7]
	global_load_ushort v24, v[28:29], off
	s_or_b64 exec, exec, s[16:17]
	s_and_saveexec_b64 s[6:7], vcc
	s_cbranch_execz .LBB279_17
.LBB279_21:                             ;   in Loop: Header=BB279_9 Depth=1
	s_waitcnt vmcnt(0)
	v_lshlrev_b32_e32 v27, 16, v27
	v_div_scale_f32 v28, s[16:17], v27, v27, s22
	v_rcp_f32_e32 v29, v28
	v_div_scale_f32 v30, vcc, s22, v27, s22
	v_fma_f32 v31, -v28, v29, 1.0
	v_fmac_f32_e32 v29, v31, v29
	v_mul_f32_e32 v31, v30, v29
	v_fma_f32 v32, -v28, v31, v30
	v_fmac_f32_e32 v31, v32, v29
	v_fma_f32 v28, -v28, v31, v30
	v_div_fmas_f32 v28, v28, v29, v31
	v_div_fixup_f32 v27, v28, v27, s22
	v_bfe_u32 v28, v27, 16, 1
	v_add3_u32 v28, v27, v28, s21
	v_lshrrev_b32_e32 v28, 16, v28
	v_cmp_o_f32_e32 vcc, v27, v27
	v_cndmask_b32_e32 v27, v23, v28, vcc
	v_mov_b32_e32 v29, s9
	v_add_co_u32_e32 v28, vcc, s8, v4
	v_addc_co_u32_e32 v29, vcc, v3, v29, vcc
	global_store_short v[28:29], v27, off
	s_or_b64 exec, exec, s[6:7]
	s_and_saveexec_b64 s[6:7], s[4:5]
	s_cbranch_execz .LBB279_18
.LBB279_22:                             ;   in Loop: Header=BB279_9 Depth=1
	s_waitcnt vmcnt(0)
	v_lshlrev_b32_e32 v26, 16, v26
	v_div_scale_f32 v27, s[4:5], v26, v26, s22
	v_rcp_f32_e32 v28, v27
	v_div_scale_f32 v29, vcc, s22, v26, s22
	v_fma_f32 v30, -v27, v28, 1.0
	v_fmac_f32_e32 v28, v30, v28
	v_mul_f32_e32 v30, v29, v28
	v_fma_f32 v31, -v27, v30, v29
	v_fmac_f32_e32 v30, v31, v28
	v_fma_f32 v27, -v27, v30, v29
	v_div_fmas_f32 v27, v27, v28, v30
	v_div_fixup_f32 v26, v27, v26, s22
	v_bfe_u32 v27, v26, 16, 1
	v_add3_u32 v27, v26, v27, s21
	v_lshrrev_b32_e32 v27, 16, v27
	v_cmp_o_f32_e32 vcc, v26, v26
	v_cndmask_b32_e32 v28, v23, v27, vcc
	v_mov_b32_e32 v27, s9
	v_add_co_u32_e32 v26, vcc, s8, v16
	v_addc_co_u32_e32 v27, vcc, v15, v27, vcc
	global_store_short v[26:27], v28, off
	s_or_b64 exec, exec, s[6:7]
	s_and_saveexec_b64 s[4:5], s[2:3]
	s_cbranch_execz .LBB279_19
.LBB279_23:                             ;   in Loop: Header=BB279_9 Depth=1
	s_waitcnt vmcnt(0)
	v_lshlrev_b32_e32 v25, 16, v25
	v_div_scale_f32 v26, s[2:3], v25, v25, s22
	v_rcp_f32_e32 v27, v26
	v_div_scale_f32 v28, vcc, s22, v25, s22
	v_fma_f32 v29, -v26, v27, 1.0
	v_fmac_f32_e32 v27, v29, v27
	v_mul_f32_e32 v29, v28, v27
	v_fma_f32 v30, -v26, v29, v28
	v_fmac_f32_e32 v29, v30, v27
	v_fma_f32 v26, -v26, v29, v28
	v_div_fmas_f32 v26, v26, v27, v29
	v_div_fixup_f32 v25, v26, v25, s22
	v_bfe_u32 v26, v25, 16, 1
	v_add3_u32 v26, v25, v26, s21
	v_lshrrev_b32_e32 v26, 16, v26
	v_cmp_o_f32_e32 vcc, v25, v25
	v_cndmask_b32_e32 v25, v23, v26, vcc
	v_mov_b32_e32 v27, s9
	v_add_co_u32_e32 v26, vcc, s8, v12
	v_addc_co_u32_e32 v27, vcc, v11, v27, vcc
	global_store_short v[26:27], v25, off
	s_or_b64 exec, exec, s[4:5]
	s_and_saveexec_b64 s[2:3], s[0:1]
	s_cbranch_execz .LBB279_8
.LBB279_24:                             ;   in Loop: Header=BB279_9 Depth=1
	s_waitcnt vmcnt(0)
	v_lshlrev_b32_e32 v24, 16, v24
	v_div_scale_f32 v25, s[0:1], v24, v24, s22
	v_rcp_f32_e32 v26, v25
	v_div_scale_f32 v27, vcc, s22, v24, s22
	v_fma_f32 v28, -v25, v26, 1.0
	v_fmac_f32_e32 v26, v28, v26
	v_mul_f32_e32 v28, v27, v26
	v_fma_f32 v29, -v25, v28, v27
	v_fmac_f32_e32 v28, v29, v26
	v_fma_f32 v25, -v25, v28, v27
	v_div_fmas_f32 v25, v25, v26, v28
	v_div_fixup_f32 v24, v25, v24, s22
	v_bfe_u32 v25, v24, 16, 1
	v_add3_u32 v25, v24, v25, s21
	v_lshrrev_b32_e32 v25, 16, v25
	v_cmp_o_f32_e32 vcc, v24, v24
	v_cndmask_b32_e32 v26, v23, v25, vcc
	v_mov_b32_e32 v25, s9
	v_add_co_u32_e32 v24, vcc, s8, v8
	v_addc_co_u32_e32 v25, vcc, v7, v25, vcc
	global_store_short v[24:25], v26, off
	s_branch .LBB279_8
.LBB279_25:
	s_endpgm
	.section	.rodata,"a",@progbits
	.p2align	6, 0x0
	.amdhsa_kernel _ZN2at6native12_GLOBAL__N_125multi_tensor_apply_kernelINS1_18TensorListMetadataILi2EEENS1_14UnaryOpFunctorIN3c108BFloat16ELi2ELi1ELi1EEEJNS0_10ReciprocalIfEEEEEvT_T0_DpT1_
		.amdhsa_group_segment_fixed_size 0
		.amdhsa_private_segment_fixed_size 0
		.amdhsa_kernarg_size 3408
		.amdhsa_user_sgpr_count 6
		.amdhsa_user_sgpr_private_segment_buffer 1
		.amdhsa_user_sgpr_dispatch_ptr 0
		.amdhsa_user_sgpr_queue_ptr 0
		.amdhsa_user_sgpr_kernarg_segment_ptr 1
		.amdhsa_user_sgpr_dispatch_id 0
		.amdhsa_user_sgpr_flat_scratch_init 0
		.amdhsa_user_sgpr_kernarg_preload_length 0
		.amdhsa_user_sgpr_kernarg_preload_offset 0
		.amdhsa_user_sgpr_private_segment_size 0
		.amdhsa_uses_dynamic_stack 0
		.amdhsa_system_sgpr_private_segment_wavefront_offset 0
		.amdhsa_system_sgpr_workgroup_id_x 1
		.amdhsa_system_sgpr_workgroup_id_y 0
		.amdhsa_system_sgpr_workgroup_id_z 0
		.amdhsa_system_sgpr_workgroup_info 0
		.amdhsa_system_vgpr_workitem_id 0
		.amdhsa_next_free_vgpr 36
		.amdhsa_next_free_sgpr 26
		.amdhsa_accum_offset 36
		.amdhsa_reserve_vcc 1
		.amdhsa_reserve_flat_scratch 0
		.amdhsa_float_round_mode_32 0
		.amdhsa_float_round_mode_16_64 0
		.amdhsa_float_denorm_mode_32 3
		.amdhsa_float_denorm_mode_16_64 3
		.amdhsa_dx10_clamp 1
		.amdhsa_ieee_mode 1
		.amdhsa_fp16_overflow 0
		.amdhsa_tg_split 0
		.amdhsa_exception_fp_ieee_invalid_op 0
		.amdhsa_exception_fp_denorm_src 0
		.amdhsa_exception_fp_ieee_div_zero 0
		.amdhsa_exception_fp_ieee_overflow 0
		.amdhsa_exception_fp_ieee_underflow 0
		.amdhsa_exception_fp_ieee_inexact 0
		.amdhsa_exception_int_div_zero 0
	.end_amdhsa_kernel
	.section	.text._ZN2at6native12_GLOBAL__N_125multi_tensor_apply_kernelINS1_18TensorListMetadataILi2EEENS1_14UnaryOpFunctorIN3c108BFloat16ELi2ELi1ELi1EEEJNS0_10ReciprocalIfEEEEEvT_T0_DpT1_,"axG",@progbits,_ZN2at6native12_GLOBAL__N_125multi_tensor_apply_kernelINS1_18TensorListMetadataILi2EEENS1_14UnaryOpFunctorIN3c108BFloat16ELi2ELi1ELi1EEEJNS0_10ReciprocalIfEEEEEvT_T0_DpT1_,comdat
.Lfunc_end279:
	.size	_ZN2at6native12_GLOBAL__N_125multi_tensor_apply_kernelINS1_18TensorListMetadataILi2EEENS1_14UnaryOpFunctorIN3c108BFloat16ELi2ELi1ELi1EEEJNS0_10ReciprocalIfEEEEEvT_T0_DpT1_, .Lfunc_end279-_ZN2at6native12_GLOBAL__N_125multi_tensor_apply_kernelINS1_18TensorListMetadataILi2EEENS1_14UnaryOpFunctorIN3c108BFloat16ELi2ELi1ELi1EEEJNS0_10ReciprocalIfEEEEEvT_T0_DpT1_
                                        ; -- End function
	.section	.AMDGPU.csdata,"",@progbits
; Kernel info:
; codeLenInByte = 2140
; NumSgprs: 30
; NumVgprs: 36
; NumAgprs: 0
; TotalNumVgprs: 36
; ScratchSize: 0
; MemoryBound: 0
; FloatMode: 240
; IeeeMode: 1
; LDSByteSize: 0 bytes/workgroup (compile time only)
; SGPRBlocks: 3
; VGPRBlocks: 4
; NumSGPRsForWavesPerEU: 30
; NumVGPRsForWavesPerEU: 36
; AccumOffset: 36
; Occupancy: 8
; WaveLimiterHint : 0
; COMPUTE_PGM_RSRC2:SCRATCH_EN: 0
; COMPUTE_PGM_RSRC2:USER_SGPR: 6
; COMPUTE_PGM_RSRC2:TRAP_HANDLER: 0
; COMPUTE_PGM_RSRC2:TGID_X_EN: 1
; COMPUTE_PGM_RSRC2:TGID_Y_EN: 0
; COMPUTE_PGM_RSRC2:TGID_Z_EN: 0
; COMPUTE_PGM_RSRC2:TIDIG_COMP_CNT: 0
; COMPUTE_PGM_RSRC3_GFX90A:ACCUM_OFFSET: 8
; COMPUTE_PGM_RSRC3_GFX90A:TG_SPLIT: 0
	.section	.text._ZN2at6native12_GLOBAL__N_125multi_tensor_apply_kernelINS1_18TensorListMetadataILi1EEENS1_14UnaryOpFunctorIdLi1ELi1ELi0EEEJNS0_10ReciprocalIdEEEEEvT_T0_DpT1_,"axG",@progbits,_ZN2at6native12_GLOBAL__N_125multi_tensor_apply_kernelINS1_18TensorListMetadataILi1EEENS1_14UnaryOpFunctorIdLi1ELi1ELi0EEEJNS0_10ReciprocalIdEEEEEvT_T0_DpT1_,comdat
	.globl	_ZN2at6native12_GLOBAL__N_125multi_tensor_apply_kernelINS1_18TensorListMetadataILi1EEENS1_14UnaryOpFunctorIdLi1ELi1ELi0EEEJNS0_10ReciprocalIdEEEEEvT_T0_DpT1_ ; -- Begin function _ZN2at6native12_GLOBAL__N_125multi_tensor_apply_kernelINS1_18TensorListMetadataILi1EEENS1_14UnaryOpFunctorIdLi1ELi1ELi0EEEJNS0_10ReciprocalIdEEEEEvT_T0_DpT1_
	.p2align	8
	.type	_ZN2at6native12_GLOBAL__N_125multi_tensor_apply_kernelINS1_18TensorListMetadataILi1EEENS1_14UnaryOpFunctorIdLi1ELi1ELi0EEEJNS0_10ReciprocalIdEEEEEvT_T0_DpT1_,@function
_ZN2at6native12_GLOBAL__N_125multi_tensor_apply_kernelINS1_18TensorListMetadataILi1EEENS1_14UnaryOpFunctorIdLi1ELi1ELi0EEEJNS0_10ReciprocalIdEEEEEvT_T0_DpT1_: ; @_ZN2at6native12_GLOBAL__N_125multi_tensor_apply_kernelINS1_18TensorListMetadataILi1EEENS1_14UnaryOpFunctorIdLi1ELi1ELi0EEEJNS0_10ReciprocalIdEEEEEvT_T0_DpT1_
; %bb.0:
	v_mov_b32_e32 v1, s6
	global_load_ubyte v1, v1, s[4:5] offset:1760
	s_add_u32 s0, s4, s6
	s_mul_hi_u32 s1, s6, 3
	s_mul_i32 s6, s6, 3
	s_addc_u32 s2, s5, 0
	s_add_u32 s0, s0, s6
	s_addc_u32 s1, s2, s1
	s_load_dword s0, s[0:1], 0x820
	s_mov_b32 s7, 0
	s_waitcnt vmcnt(0)
	v_readfirstlane_b32 s1, v1
	s_lshl_b32 s1, s1, 3
	s_load_dwordx2 s[10:11], s[4:5], 0xd30
	s_load_dwordx2 s[2:3], s[4:5], s1 offset:0x370
	s_load_dwordx2 s[14:15], s[4:5], s1 offset:0x0
	s_waitcnt lgkmcnt(0)
	s_ashr_i32 s1, s0, 31
	s_lshl_b64 s[16:17], s[0:1], 19
	s_lshl_b64 s[0:1], s[0:1], 16
	s_and_b32 s6, s14, 31
	s_sub_u32 s12, s2, s0
	s_subb_u32 s13, s3, s1
	s_and_b32 s0, s2, 3
	s_mov_b32 s1, s7
	s_or_b64 s[0:1], s[6:7], s[0:1]
	s_cmp_eq_u64 s[0:1], 0
	s_cbranch_scc1 .LBB280_21
; %bb.1:
	v_cmp_lt_i64_e64 s[0:1], s[12:13], 1
	s_and_b64 vcc, exec, s[0:1]
	s_cbranch_vccnz .LBB280_20
; %bb.2:
	s_load_dword s0, s[4:5], 0xd44
	v_mov_b32_e32 v2, 0x10000
	v_mov_b32_e32 v3, 0
	v_cmp_lt_u64_e32 vcc, s[12:13], v[2:3]
	v_lshlrev_b32_e32 v1, 3, v0
	s_waitcnt lgkmcnt(0)
	s_and_b32 s2, s0, 0xffff
	s_and_b64 s[0:1], vcc, exec
	s_cselect_b32 s19, s13, 0
	s_cselect_b32 s18, s12, 0x10000
	s_lshl_b32 s3, s2, 1
	s_lshl_b32 s25, s2, 2
	s_add_u32 s6, s14, s16
	s_addc_u32 s7, s15, s17
	v_mov_b32_e32 v3, s7
	v_add_co_u32_e32 v2, vcc, s6, v1
	s_mul_i32 s0, s2, 3
	v_addc_co_u32_e32 v3, vcc, 0, v3, vcc
	v_add_co_u32_e32 v1, vcc, s0, v0
	v_addc_co_u32_e64 v14, s[0:1], 0, 0, vcc
	v_add_co_u32_e32 v15, vcc, s3, v0
	v_addc_co_u32_e64 v16, s[0:1], 0, 0, vcc
	v_add_co_u32_e32 v17, vcc, s2, v0
	v_lshlrev_b32_e32 v4, 3, v17
	s_mov_b32 s24, 0
	v_addc_co_u32_e64 v18, s[0:1], 0, 0, vcc
	v_mov_b32_e32 v5, s7
	v_add_co_u32_e32 v4, vcc, s6, v4
	s_lshl_b32 s26, s2, 5
	s_mul_i32 s27, s2, 24
	s_mov_b32 s28, s24
	s_lshl_b32 s29, s2, 4
	s_mov_b32 s30, s24
	v_addc_co_u32_e32 v5, vcc, 0, v5, vcc
	s_mov_b64 s[20:21], 0
	s_branch .LBB280_4
.LBB280_3:                              ;   in Loop: Header=BB280_4 Depth=1
	s_or_b64 exec, exec, s[2:3]
	s_add_u32 s20, s20, s25
	s_addc_u32 s21, s21, 0
	s_waitcnt vmcnt(0)
	v_pk_mov_b32 v[6:7], s[12:13], s[12:13] op_sel:[0,1]
	v_cmp_lt_i64_e32 vcc, s[20:21], v[6:7]
	v_mov_b32_e32 v6, 0x10000
	v_mov_b32_e32 v7, 0
	v_cmp_lt_u64_e64 s[0:1], s[20:21], v[6:7]
	s_and_b64 s[0:1], vcc, s[0:1]
	v_mov_b32_e32 v6, s24
	v_add_co_u32_e32 v2, vcc, s26, v2
	v_addc_co_u32_e32 v3, vcc, v3, v6, vcc
	v_add_co_u32_e32 v4, vcc, s26, v4
	v_addc_co_u32_e32 v5, vcc, v5, v6, vcc
	s_and_b64 vcc, exec, s[0:1]
	s_cbranch_vccz .LBB280_20
.LBB280_4:                              ; =>This Inner Loop Header: Depth=1
	v_mov_b32_e32 v7, s21
	v_add_co_u32_e32 v6, vcc, s20, v0
	v_addc_co_u32_e32 v7, vcc, 0, v7, vcc
	v_pk_mov_b32 v[8:9], 0, 0
	v_cmp_gt_u64_e32 vcc, s[18:19], v[6:7]
	v_pk_mov_b32 v[12:13], v[8:9], v[8:9] op_sel:[0,1]
	s_and_saveexec_b64 s[0:1], vcc
	s_cbranch_execz .LBB280_6
; %bb.5:                                ;   in Loop: Header=BB280_4 Depth=1
	global_load_dwordx2 v[12:13], v[2:3], off
.LBB280_6:                              ;   in Loop: Header=BB280_4 Depth=1
	s_or_b64 exec, exec, s[0:1]
	v_mov_b32_e32 v7, s21
	v_add_co_u32_e64 v6, s[0:1], s20, v17
	v_addc_co_u32_e64 v7, s[0:1], v18, v7, s[0:1]
	v_cmp_gt_u64_e64 s[6:7], s[18:19], v[6:7]
	s_and_saveexec_b64 s[0:1], s[6:7]
	s_cbranch_execz .LBB280_8
; %bb.7:                                ;   in Loop: Header=BB280_4 Depth=1
	global_load_dwordx2 v[8:9], v[4:5], off
.LBB280_8:                              ;   in Loop: Header=BB280_4 Depth=1
	s_or_b64 exec, exec, s[0:1]
	v_mov_b32_e32 v7, s21
	v_add_co_u32_e64 v6, s[0:1], s20, v15
	v_addc_co_u32_e64 v7, s[0:1], v16, v7, s[0:1]
	v_cmp_gt_u64_e64 s[2:3], s[18:19], v[6:7]
	v_pk_mov_b32 v[6:7], 0, 0
	v_pk_mov_b32 v[10:11], v[6:7], v[6:7] op_sel:[0,1]
	s_and_saveexec_b64 s[8:9], s[2:3]
	s_cbranch_execz .LBB280_10
; %bb.9:                                ;   in Loop: Header=BB280_4 Depth=1
	v_mov_b32_e32 v11, s30
	v_add_co_u32_e64 v10, s[0:1], s29, v2
	v_addc_co_u32_e64 v11, s[0:1], v3, v11, s[0:1]
	global_load_dwordx2 v[10:11], v[10:11], off
.LBB280_10:                             ;   in Loop: Header=BB280_4 Depth=1
	s_or_b64 exec, exec, s[8:9]
	v_mov_b32_e32 v19, s21
	v_add_co_u32_e64 v20, s[0:1], s20, v1
	v_addc_co_u32_e64 v21, s[0:1], v14, v19, s[0:1]
	v_cmp_gt_u64_e64 s[0:1], s[18:19], v[20:21]
	s_and_saveexec_b64 s[22:23], s[0:1]
	s_cbranch_execnz .LBB280_15
; %bb.11:                               ;   in Loop: Header=BB280_4 Depth=1
	s_or_b64 exec, exec, s[22:23]
	s_and_saveexec_b64 s[8:9], vcc
	s_cbranch_execnz .LBB280_16
.LBB280_12:                             ;   in Loop: Header=BB280_4 Depth=1
	s_or_b64 exec, exec, s[8:9]
	s_and_saveexec_b64 s[8:9], s[6:7]
	s_cbranch_execnz .LBB280_17
.LBB280_13:                             ;   in Loop: Header=BB280_4 Depth=1
	s_or_b64 exec, exec, s[8:9]
	s_and_saveexec_b64 s[6:7], s[2:3]
	s_cbranch_execnz .LBB280_18
.LBB280_14:                             ;   in Loop: Header=BB280_4 Depth=1
	s_or_b64 exec, exec, s[6:7]
	s_and_saveexec_b64 s[2:3], s[0:1]
	s_cbranch_execz .LBB280_3
	s_branch .LBB280_19
.LBB280_15:                             ;   in Loop: Header=BB280_4 Depth=1
	v_mov_b32_e32 v7, s28
	v_add_co_u32_e64 v6, s[8:9], s27, v2
	v_addc_co_u32_e64 v7, s[8:9], v3, v7, s[8:9]
	global_load_dwordx2 v[6:7], v[6:7], off
	s_or_b64 exec, exec, s[22:23]
	s_and_saveexec_b64 s[8:9], vcc
	s_cbranch_execz .LBB280_12
.LBB280_16:                             ;   in Loop: Header=BB280_4 Depth=1
	s_waitcnt vmcnt(0)
	v_div_scale_f64 v[20:21], s[22:23], v[12:13], v[12:13], s[10:11]
	v_rcp_f64_e32 v[22:23], v[20:21]
	v_div_scale_f64 v[24:25], vcc, s[10:11], v[12:13], s[10:11]
	v_fma_f64 v[26:27], -v[20:21], v[22:23], 1.0
	v_fmac_f64_e32 v[22:23], v[22:23], v[26:27]
	v_fma_f64 v[26:27], -v[20:21], v[22:23], 1.0
	v_fmac_f64_e32 v[22:23], v[22:23], v[26:27]
	v_mul_f64 v[26:27], v[24:25], v[22:23]
	v_fma_f64 v[20:21], -v[20:21], v[26:27], v[24:25]
	v_div_fmas_f64 v[20:21], v[20:21], v[22:23], v[26:27]
	v_div_fixup_f64 v[12:13], v[20:21], v[12:13], s[10:11]
	global_store_dwordx2 v[2:3], v[12:13], off
	s_or_b64 exec, exec, s[8:9]
	s_and_saveexec_b64 s[8:9], s[6:7]
	s_cbranch_execz .LBB280_13
.LBB280_17:                             ;   in Loop: Header=BB280_4 Depth=1
	s_waitcnt vmcnt(0)
	v_div_scale_f64 v[12:13], s[6:7], v[8:9], v[8:9], s[10:11]
	v_rcp_f64_e32 v[20:21], v[12:13]
	v_div_scale_f64 v[22:23], vcc, s[10:11], v[8:9], s[10:11]
	v_fma_f64 v[24:25], -v[12:13], v[20:21], 1.0
	v_fmac_f64_e32 v[20:21], v[20:21], v[24:25]
	v_fma_f64 v[24:25], -v[12:13], v[20:21], 1.0
	v_fmac_f64_e32 v[20:21], v[20:21], v[24:25]
	v_mul_f64 v[24:25], v[22:23], v[20:21]
	v_fma_f64 v[12:13], -v[12:13], v[24:25], v[22:23]
	v_div_fmas_f64 v[12:13], v[12:13], v[20:21], v[24:25]
	v_div_fixup_f64 v[8:9], v[12:13], v[8:9], s[10:11]
	global_store_dwordx2 v[4:5], v[8:9], off
	s_or_b64 exec, exec, s[8:9]
	s_and_saveexec_b64 s[6:7], s[2:3]
	s_cbranch_execz .LBB280_14
.LBB280_18:                             ;   in Loop: Header=BB280_4 Depth=1
	s_waitcnt vmcnt(0)
	v_div_scale_f64 v[8:9], s[2:3], v[10:11], v[10:11], s[10:11]
	v_rcp_f64_e32 v[12:13], v[8:9]
	v_div_scale_f64 v[20:21], vcc, s[10:11], v[10:11], s[10:11]
	v_fma_f64 v[22:23], -v[8:9], v[12:13], 1.0
	v_fmac_f64_e32 v[12:13], v[12:13], v[22:23]
	v_fma_f64 v[22:23], -v[8:9], v[12:13], 1.0
	v_fmac_f64_e32 v[12:13], v[12:13], v[22:23]
	v_mul_f64 v[22:23], v[20:21], v[12:13]
	v_fma_f64 v[8:9], -v[8:9], v[22:23], v[20:21]
	v_div_fmas_f64 v[8:9], v[8:9], v[12:13], v[22:23]
	v_div_fixup_f64 v[8:9], v[8:9], v[10:11], s[10:11]
	v_mov_b32_e32 v11, s30
	v_add_co_u32_e32 v10, vcc, s29, v2
	v_addc_co_u32_e32 v11, vcc, v3, v11, vcc
	global_store_dwordx2 v[10:11], v[8:9], off
	s_or_b64 exec, exec, s[6:7]
	s_and_saveexec_b64 s[2:3], s[0:1]
	s_cbranch_execz .LBB280_3
.LBB280_19:                             ;   in Loop: Header=BB280_4 Depth=1
	s_waitcnt vmcnt(0)
	v_div_scale_f64 v[8:9], s[0:1], v[6:7], v[6:7], s[10:11]
	v_rcp_f64_e32 v[10:11], v[8:9]
	v_div_scale_f64 v[12:13], vcc, s[10:11], v[6:7], s[10:11]
	v_fma_f64 v[20:21], -v[8:9], v[10:11], 1.0
	v_fmac_f64_e32 v[10:11], v[10:11], v[20:21]
	v_fma_f64 v[20:21], -v[8:9], v[10:11], 1.0
	v_fmac_f64_e32 v[10:11], v[10:11], v[20:21]
	v_mul_f64 v[20:21], v[12:13], v[10:11]
	v_fma_f64 v[8:9], -v[8:9], v[20:21], v[12:13]
	v_div_fmas_f64 v[8:9], v[8:9], v[10:11], v[20:21]
	v_div_fixup_f64 v[6:7], v[8:9], v[6:7], s[10:11]
	v_mov_b32_e32 v9, s28
	v_add_co_u32_e32 v8, vcc, s27, v2
	v_addc_co_u32_e32 v9, vcc, v3, v9, vcc
	global_store_dwordx2 v[8:9], v[6:7], off
	s_branch .LBB280_3
.LBB280_20:
	s_cbranch_execz .LBB280_22
	s_branch .LBB280_25
.LBB280_21:
.LBB280_22:
	v_mov_b32_e32 v3, 0
	v_lshlrev_b32_e32 v2, 2, v0
	s_mov_b32 s0, 0
	v_cmp_gt_i64_e32 vcc, s[12:13], v[2:3]
	s_and_saveexec_b64 s[2:3], vcc
	s_cbranch_execz .LBB280_25
; %bb.23:
	s_load_dword s1, s[4:5], 0xd44
	v_lshlrev_b32_e32 v1, 5, v0
	s_mov_b64 s[6:7], 0
	s_mov_b64 s[8:9], 0xffff
	v_mov_b32_e32 v5, s0
	s_waitcnt lgkmcnt(0)
	s_and_b32 s1, s1, 0xffff
	s_lshl_b32 s18, s1, 2
	s_add_u32 s2, s14, s16
	s_addc_u32 s3, s15, s17
	v_add_lshl_u32 v2, v0, s1, 2
	v_mov_b32_e32 v0, s3
	v_add_co_u32_e32 v1, vcc, s2, v1
	v_addc_co_u32_e32 v4, vcc, 0, v0, vcc
	v_add_co_u32_e32 v0, vcc, 16, v1
	v_addc_co_u32_e32 v1, vcc, 0, v4, vcc
	s_lshl_b32 s14, s1, 5
	v_mov_b32_e32 v4, s0
.LBB280_24:                             ; =>This Inner Loop Header: Depth=1
	global_load_dwordx4 v[6:9], v[0:1], off offset:-16
	global_load_dwordx4 v[10:13], v[0:1], off
	v_cmp_le_i64_e32 vcc, s[12:13], v[2:3]
	v_cmp_lt_u64_e64 s[0:1], s[8:9], v[2:3]
	s_or_b64 s[0:1], vcc, s[0:1]
	s_and_b64 s[0:1], exec, s[0:1]
	s_or_b64 s[6:7], s[0:1], s[6:7]
	v_add_co_u32_e64 v2, s[2:3], s18, v2
	v_addc_co_u32_e64 v3, s[2:3], v3, v4, s[2:3]
	s_waitcnt vmcnt(1)
	v_div_scale_f64 v[14:15], s[0:1], v[6:7], v[6:7], s[10:11]
	v_div_scale_f64 v[18:19], s[0:1], v[8:9], v[8:9], s[10:11]
	v_rcp_f64_e32 v[30:31], v[14:15]
	s_waitcnt vmcnt(0)
	v_div_scale_f64 v[22:23], s[2:3], v[10:11], v[10:11], s[10:11]
	v_rcp_f64_e32 v[32:33], v[18:19]
	v_div_scale_f64 v[26:27], s[4:5], v[12:13], v[12:13], s[10:11]
	v_rcp_f64_e32 v[34:35], v[22:23]
	v_rcp_f64_e32 v[36:37], v[26:27]
	v_fma_f64 v[38:39], -v[14:15], v[30:31], 1.0
	v_fma_f64 v[40:41], -v[18:19], v[32:33], 1.0
	v_fmac_f64_e32 v[30:31], v[30:31], v[38:39]
	v_fma_f64 v[42:43], -v[22:23], v[34:35], 1.0
	v_fmac_f64_e32 v[32:33], v[32:33], v[40:41]
	v_fma_f64 v[38:39], -v[14:15], v[30:31], 1.0
	v_div_scale_f64 v[16:17], vcc, s[10:11], v[6:7], s[10:11]
	v_fma_f64 v[44:45], -v[26:27], v[36:37], 1.0
	v_fmac_f64_e32 v[34:35], v[34:35], v[42:43]
	v_fma_f64 v[40:41], -v[18:19], v[32:33], 1.0
	v_fmac_f64_e32 v[30:31], v[30:31], v[38:39]
	v_div_scale_f64 v[20:21], s[0:1], s[10:11], v[8:9], s[10:11]
	v_fmac_f64_e32 v[36:37], v[36:37], v[44:45]
	v_fma_f64 v[42:43], -v[22:23], v[34:35], 1.0
	v_fmac_f64_e32 v[32:33], v[32:33], v[40:41]
	v_mul_f64 v[38:39], v[16:17], v[30:31]
	v_div_scale_f64 v[24:25], s[2:3], s[10:11], v[10:11], s[10:11]
	v_fma_f64 v[44:45], -v[26:27], v[36:37], 1.0
	v_fmac_f64_e32 v[34:35], v[34:35], v[42:43]
	v_mul_f64 v[40:41], v[20:21], v[32:33]
	v_fma_f64 v[14:15], -v[14:15], v[38:39], v[16:17]
	v_div_scale_f64 v[28:29], s[4:5], s[10:11], v[12:13], s[10:11]
	v_fmac_f64_e32 v[36:37], v[36:37], v[44:45]
	v_mul_f64 v[42:43], v[24:25], v[34:35]
	v_fma_f64 v[16:17], -v[18:19], v[40:41], v[20:21]
	v_div_fmas_f64 v[14:15], v[14:15], v[30:31], v[38:39]
	s_mov_b64 vcc, s[0:1]
	v_mul_f64 v[44:45], v[28:29], v[36:37]
	v_fma_f64 v[18:19], -v[22:23], v[42:43], v[24:25]
	v_div_fixup_f64 v[6:7], v[14:15], v[6:7], s[10:11]
	v_div_fmas_f64 v[14:15], v[16:17], v[32:33], v[40:41]
	s_mov_b64 vcc, s[2:3]
	v_fma_f64 v[20:21], -v[26:27], v[44:45], v[28:29]
	v_div_fixup_f64 v[8:9], v[14:15], v[8:9], s[10:11]
	v_div_fmas_f64 v[14:15], v[18:19], v[34:35], v[42:43]
	s_mov_b64 vcc, s[4:5]
	v_div_fixup_f64 v[10:11], v[14:15], v[10:11], s[10:11]
	v_div_fmas_f64 v[14:15], v[20:21], v[36:37], v[44:45]
	v_div_fixup_f64 v[12:13], v[14:15], v[12:13], s[10:11]
	global_store_dwordx4 v[0:1], v[6:9], off offset:-16
	global_store_dwordx4 v[0:1], v[10:13], off
	v_add_co_u32_e32 v0, vcc, s14, v0
	v_addc_co_u32_e32 v1, vcc, v1, v5, vcc
	s_andn2_b64 exec, exec, s[6:7]
	s_cbranch_execnz .LBB280_24
.LBB280_25:
	s_endpgm
	.section	.rodata,"a",@progbits
	.p2align	6, 0x0
	.amdhsa_kernel _ZN2at6native12_GLOBAL__N_125multi_tensor_apply_kernelINS1_18TensorListMetadataILi1EEENS1_14UnaryOpFunctorIdLi1ELi1ELi0EEEJNS0_10ReciprocalIdEEEEEvT_T0_DpT1_
		.amdhsa_group_segment_fixed_size 0
		.amdhsa_private_segment_fixed_size 0
		.amdhsa_kernarg_size 3640
		.amdhsa_user_sgpr_count 6
		.amdhsa_user_sgpr_private_segment_buffer 1
		.amdhsa_user_sgpr_dispatch_ptr 0
		.amdhsa_user_sgpr_queue_ptr 0
		.amdhsa_user_sgpr_kernarg_segment_ptr 1
		.amdhsa_user_sgpr_dispatch_id 0
		.amdhsa_user_sgpr_flat_scratch_init 0
		.amdhsa_user_sgpr_kernarg_preload_length 0
		.amdhsa_user_sgpr_kernarg_preload_offset 0
		.amdhsa_user_sgpr_private_segment_size 0
		.amdhsa_uses_dynamic_stack 0
		.amdhsa_system_sgpr_private_segment_wavefront_offset 0
		.amdhsa_system_sgpr_workgroup_id_x 1
		.amdhsa_system_sgpr_workgroup_id_y 0
		.amdhsa_system_sgpr_workgroup_id_z 0
		.amdhsa_system_sgpr_workgroup_info 0
		.amdhsa_system_vgpr_workitem_id 0
		.amdhsa_next_free_vgpr 46
		.amdhsa_next_free_sgpr 31
		.amdhsa_accum_offset 48
		.amdhsa_reserve_vcc 1
		.amdhsa_reserve_flat_scratch 0
		.amdhsa_float_round_mode_32 0
		.amdhsa_float_round_mode_16_64 0
		.amdhsa_float_denorm_mode_32 3
		.amdhsa_float_denorm_mode_16_64 3
		.amdhsa_dx10_clamp 1
		.amdhsa_ieee_mode 1
		.amdhsa_fp16_overflow 0
		.amdhsa_tg_split 0
		.amdhsa_exception_fp_ieee_invalid_op 0
		.amdhsa_exception_fp_denorm_src 0
		.amdhsa_exception_fp_ieee_div_zero 0
		.amdhsa_exception_fp_ieee_overflow 0
		.amdhsa_exception_fp_ieee_underflow 0
		.amdhsa_exception_fp_ieee_inexact 0
		.amdhsa_exception_int_div_zero 0
	.end_amdhsa_kernel
	.section	.text._ZN2at6native12_GLOBAL__N_125multi_tensor_apply_kernelINS1_18TensorListMetadataILi1EEENS1_14UnaryOpFunctorIdLi1ELi1ELi0EEEJNS0_10ReciprocalIdEEEEEvT_T0_DpT1_,"axG",@progbits,_ZN2at6native12_GLOBAL__N_125multi_tensor_apply_kernelINS1_18TensorListMetadataILi1EEENS1_14UnaryOpFunctorIdLi1ELi1ELi0EEEJNS0_10ReciprocalIdEEEEEvT_T0_DpT1_,comdat
.Lfunc_end280:
	.size	_ZN2at6native12_GLOBAL__N_125multi_tensor_apply_kernelINS1_18TensorListMetadataILi1EEENS1_14UnaryOpFunctorIdLi1ELi1ELi0EEEJNS0_10ReciprocalIdEEEEEvT_T0_DpT1_, .Lfunc_end280-_ZN2at6native12_GLOBAL__N_125multi_tensor_apply_kernelINS1_18TensorListMetadataILi1EEENS1_14UnaryOpFunctorIdLi1ELi1ELi0EEEJNS0_10ReciprocalIdEEEEEvT_T0_DpT1_
                                        ; -- End function
	.section	.AMDGPU.csdata,"",@progbits
; Kernel info:
; codeLenInByte = 1664
; NumSgprs: 35
; NumVgprs: 46
; NumAgprs: 0
; TotalNumVgprs: 46
; ScratchSize: 0
; MemoryBound: 0
; FloatMode: 240
; IeeeMode: 1
; LDSByteSize: 0 bytes/workgroup (compile time only)
; SGPRBlocks: 4
; VGPRBlocks: 5
; NumSGPRsForWavesPerEU: 35
; NumVGPRsForWavesPerEU: 46
; AccumOffset: 48
; Occupancy: 8
; WaveLimiterHint : 0
; COMPUTE_PGM_RSRC2:SCRATCH_EN: 0
; COMPUTE_PGM_RSRC2:USER_SGPR: 6
; COMPUTE_PGM_RSRC2:TRAP_HANDLER: 0
; COMPUTE_PGM_RSRC2:TGID_X_EN: 1
; COMPUTE_PGM_RSRC2:TGID_Y_EN: 0
; COMPUTE_PGM_RSRC2:TGID_Z_EN: 0
; COMPUTE_PGM_RSRC2:TIDIG_COMP_CNT: 0
; COMPUTE_PGM_RSRC3_GFX90A:ACCUM_OFFSET: 11
; COMPUTE_PGM_RSRC3_GFX90A:TG_SPLIT: 0
	.section	.text._ZN2at6native12_GLOBAL__N_125multi_tensor_apply_kernelINS1_18TensorListMetadataILi1EEENS1_14UnaryOpFunctorIfLi1ELi1ELi0EEEJNS0_10ReciprocalIfEEEEEvT_T0_DpT1_,"axG",@progbits,_ZN2at6native12_GLOBAL__N_125multi_tensor_apply_kernelINS1_18TensorListMetadataILi1EEENS1_14UnaryOpFunctorIfLi1ELi1ELi0EEEJNS0_10ReciprocalIfEEEEEvT_T0_DpT1_,comdat
	.globl	_ZN2at6native12_GLOBAL__N_125multi_tensor_apply_kernelINS1_18TensorListMetadataILi1EEENS1_14UnaryOpFunctorIfLi1ELi1ELi0EEEJNS0_10ReciprocalIfEEEEEvT_T0_DpT1_ ; -- Begin function _ZN2at6native12_GLOBAL__N_125multi_tensor_apply_kernelINS1_18TensorListMetadataILi1EEENS1_14UnaryOpFunctorIfLi1ELi1ELi0EEEJNS0_10ReciprocalIfEEEEEvT_T0_DpT1_
	.p2align	8
	.type	_ZN2at6native12_GLOBAL__N_125multi_tensor_apply_kernelINS1_18TensorListMetadataILi1EEENS1_14UnaryOpFunctorIfLi1ELi1ELi0EEEJNS0_10ReciprocalIfEEEEEvT_T0_DpT1_,@function
_ZN2at6native12_GLOBAL__N_125multi_tensor_apply_kernelINS1_18TensorListMetadataILi1EEENS1_14UnaryOpFunctorIfLi1ELi1ELi0EEEJNS0_10ReciprocalIfEEEEEvT_T0_DpT1_: ; @_ZN2at6native12_GLOBAL__N_125multi_tensor_apply_kernelINS1_18TensorListMetadataILi1EEENS1_14UnaryOpFunctorIfLi1ELi1ELi0EEEJNS0_10ReciprocalIfEEEEEvT_T0_DpT1_
; %bb.0:
	v_mov_b32_e32 v1, s6
	global_load_ubyte v1, v1, s[4:5] offset:1760
	s_add_u32 s0, s4, s6
	s_mul_hi_u32 s1, s6, 3
	s_mul_i32 s6, s6, 3
	s_addc_u32 s2, s5, 0
	s_add_u32 s0, s0, s6
	s_addc_u32 s1, s2, s1
	s_load_dword s0, s[0:1], 0x820
	s_mov_b32 s7, 0
	s_waitcnt vmcnt(0)
	v_readfirstlane_b32 s1, v1
	s_lshl_b32 s1, s1, 3
	s_load_dword s22, s[4:5], 0xd2c
	s_load_dwordx2 s[2:3], s[4:5], s1 offset:0x370
	s_load_dwordx2 s[12:13], s[4:5], s1 offset:0x0
	s_waitcnt lgkmcnt(0)
	s_ashr_i32 s1, s0, 31
	s_lshl_b64 s[14:15], s[0:1], 18
	s_lshl_b64 s[0:1], s[0:1], 16
	s_and_b32 s6, s12, 15
	s_sub_u32 s10, s2, s0
	s_subb_u32 s11, s3, s1
	s_and_b32 s0, s2, 3
	s_mov_b32 s1, s7
	s_or_b64 s[0:1], s[6:7], s[0:1]
	s_cmp_eq_u64 s[0:1], 0
	s_cbranch_scc1 .LBB281_21
; %bb.1:
	v_cmp_lt_i64_e64 s[0:1], s[10:11], 1
	s_and_b64 vcc, exec, s[0:1]
	s_cbranch_vccnz .LBB281_20
; %bb.2:
	s_load_dword s0, s[4:5], 0xd3c
	v_mov_b32_e32 v2, 0x10000
	v_mov_b32_e32 v3, 0
	v_cmp_lt_u64_e32 vcc, s[10:11], v[2:3]
	v_lshlrev_b32_e32 v1, 2, v0
	s_waitcnt lgkmcnt(0)
	s_and_b32 s3, s0, 0xffff
	s_and_b64 s[0:1], vcc, exec
	s_cselect_b32 s17, s11, 0
	s_cselect_b32 s16, s10, 0x10000
	s_lshl_b32 s6, s3, 1
	s_lshl_b32 s23, s3, 2
	s_add_u32 s7, s12, s14
	s_addc_u32 s8, s13, s15
	v_mov_b32_e32 v3, s8
	v_add_co_u32_e32 v2, vcc, s7, v1
	s_mul_i32 s0, s3, 3
	v_addc_co_u32_e32 v3, vcc, 0, v3, vcc
	v_add_co_u32_e32 v1, vcc, s0, v0
	v_addc_co_u32_e64 v8, s[0:1], 0, 0, vcc
	v_add_co_u32_e32 v9, vcc, s6, v0
	v_addc_co_u32_e64 v10, s[0:1], 0, 0, vcc
	v_add_co_u32_e32 v11, vcc, s3, v0
	v_lshlrev_b32_e32 v4, 2, v11
	s_mov_b32 s2, 0
	v_addc_co_u32_e64 v12, s[0:1], 0, 0, vcc
	v_mov_b32_e32 v5, s8
	v_add_co_u32_e32 v4, vcc, s7, v4
	s_lshl_b32 s24, s3, 4
	s_mul_i32 s25, s3, 12
	s_mov_b32 s26, s2
	s_lshl_b32 s27, s3, 3
	s_mov_b32 s28, s2
	v_addc_co_u32_e32 v5, vcc, 0, v5, vcc
	s_mov_b64 s[18:19], 0
	v_pk_mov_b32 v[6:7], s[10:11], s[10:11] op_sel:[0,1]
	v_mov_b32_e32 v13, s2
	s_branch .LBB281_4
.LBB281_3:                              ;   in Loop: Header=BB281_4 Depth=1
	s_or_b64 exec, exec, s[2:3]
	s_add_u32 s18, s18, s23
	s_waitcnt vmcnt(0)
	v_mov_b32_e32 v14, 0x10000
	s_addc_u32 s19, s19, 0
	v_mov_b32_e32 v15, 0
	v_cmp_lt_i64_e32 vcc, s[18:19], v[6:7]
	v_cmp_lt_u64_e64 s[0:1], s[18:19], v[14:15]
	s_and_b64 s[0:1], vcc, s[0:1]
	v_add_co_u32_e32 v2, vcc, s24, v2
	v_addc_co_u32_e32 v3, vcc, v3, v13, vcc
	v_add_co_u32_e32 v4, vcc, s24, v4
	v_addc_co_u32_e32 v5, vcc, v5, v13, vcc
	s_and_b64 vcc, exec, s[0:1]
	s_cbranch_vccz .LBB281_20
.LBB281_4:                              ; =>This Inner Loop Header: Depth=1
	v_mov_b32_e32 v15, s19
	v_add_co_u32_e32 v14, vcc, s18, v0
	v_addc_co_u32_e32 v15, vcc, 0, v15, vcc
	v_cmp_gt_u64_e32 vcc, s[16:17], v[14:15]
	v_mov_b32_e32 v17, 0
	s_and_saveexec_b64 s[0:1], vcc
	s_cbranch_execz .LBB281_6
; %bb.5:                                ;   in Loop: Header=BB281_4 Depth=1
	global_load_dword v17, v[2:3], off
.LBB281_6:                              ;   in Loop: Header=BB281_4 Depth=1
	s_or_b64 exec, exec, s[0:1]
	v_mov_b32_e32 v15, s19
	v_add_co_u32_e64 v14, s[0:1], s18, v11
	v_addc_co_u32_e64 v15, s[0:1], v12, v15, s[0:1]
	v_cmp_gt_u64_e64 s[6:7], s[16:17], v[14:15]
	v_mov_b32_e32 v15, 0
	s_and_saveexec_b64 s[0:1], s[6:7]
	s_cbranch_execz .LBB281_8
; %bb.7:                                ;   in Loop: Header=BB281_4 Depth=1
	global_load_dword v15, v[4:5], off
.LBB281_8:                              ;   in Loop: Header=BB281_4 Depth=1
	s_or_b64 exec, exec, s[0:1]
	v_mov_b32_e32 v14, s19
	v_add_co_u32_e64 v18, s[0:1], s18, v9
	v_addc_co_u32_e64 v19, s[0:1], v10, v14, s[0:1]
	v_cmp_gt_u64_e64 s[2:3], s[16:17], v[18:19]
	v_mov_b32_e32 v14, 0
	v_mov_b32_e32 v16, 0
	s_and_saveexec_b64 s[8:9], s[2:3]
	s_cbranch_execz .LBB281_10
; %bb.9:                                ;   in Loop: Header=BB281_4 Depth=1
	v_mov_b32_e32 v16, s28
	v_add_co_u32_e64 v18, s[0:1], s27, v2
	v_addc_co_u32_e64 v19, s[0:1], v3, v16, s[0:1]
	global_load_dword v16, v[18:19], off
.LBB281_10:                             ;   in Loop: Header=BB281_4 Depth=1
	s_or_b64 exec, exec, s[8:9]
	v_mov_b32_e32 v19, s19
	v_add_co_u32_e64 v18, s[0:1], s18, v1
	v_addc_co_u32_e64 v19, s[0:1], v8, v19, s[0:1]
	v_cmp_gt_u64_e64 s[0:1], s[16:17], v[18:19]
	s_and_saveexec_b64 s[20:21], s[0:1]
	s_cbranch_execnz .LBB281_15
; %bb.11:                               ;   in Loop: Header=BB281_4 Depth=1
	s_or_b64 exec, exec, s[20:21]
	s_and_saveexec_b64 s[8:9], vcc
	s_cbranch_execnz .LBB281_16
.LBB281_12:                             ;   in Loop: Header=BB281_4 Depth=1
	s_or_b64 exec, exec, s[8:9]
	s_and_saveexec_b64 s[8:9], s[6:7]
	s_cbranch_execnz .LBB281_17
.LBB281_13:                             ;   in Loop: Header=BB281_4 Depth=1
	s_or_b64 exec, exec, s[8:9]
	s_and_saveexec_b64 s[6:7], s[2:3]
	s_cbranch_execnz .LBB281_18
.LBB281_14:                             ;   in Loop: Header=BB281_4 Depth=1
	s_or_b64 exec, exec, s[6:7]
	s_and_saveexec_b64 s[2:3], s[0:1]
	s_cbranch_execz .LBB281_3
	s_branch .LBB281_19
.LBB281_15:                             ;   in Loop: Header=BB281_4 Depth=1
	v_mov_b32_e32 v14, s26
	v_add_co_u32_e64 v18, s[8:9], s25, v2
	v_addc_co_u32_e64 v19, s[8:9], v3, v14, s[8:9]
	global_load_dword v14, v[18:19], off
	s_or_b64 exec, exec, s[20:21]
	s_and_saveexec_b64 s[8:9], vcc
	s_cbranch_execz .LBB281_12
.LBB281_16:                             ;   in Loop: Header=BB281_4 Depth=1
	s_waitcnt vmcnt(0)
	v_div_scale_f32 v18, s[20:21], v17, v17, s22
	v_rcp_f32_e32 v19, v18
	v_div_scale_f32 v20, vcc, s22, v17, s22
	v_fma_f32 v21, -v18, v19, 1.0
	v_fmac_f32_e32 v19, v21, v19
	v_mul_f32_e32 v21, v20, v19
	v_fma_f32 v22, -v18, v21, v20
	v_fmac_f32_e32 v21, v22, v19
	v_fma_f32 v18, -v18, v21, v20
	v_div_fmas_f32 v18, v18, v19, v21
	v_div_fixup_f32 v17, v18, v17, s22
	global_store_dword v[2:3], v17, off
	s_or_b64 exec, exec, s[8:9]
	s_and_saveexec_b64 s[8:9], s[6:7]
	s_cbranch_execz .LBB281_13
.LBB281_17:                             ;   in Loop: Header=BB281_4 Depth=1
	s_waitcnt vmcnt(0)
	v_div_scale_f32 v17, s[6:7], v15, v15, s22
	v_rcp_f32_e32 v18, v17
	v_div_scale_f32 v19, vcc, s22, v15, s22
	v_fma_f32 v20, -v17, v18, 1.0
	v_fmac_f32_e32 v18, v20, v18
	v_mul_f32_e32 v20, v19, v18
	v_fma_f32 v21, -v17, v20, v19
	v_fmac_f32_e32 v20, v21, v18
	v_fma_f32 v17, -v17, v20, v19
	v_div_fmas_f32 v17, v17, v18, v20
	v_div_fixup_f32 v15, v17, v15, s22
	global_store_dword v[4:5], v15, off
	s_or_b64 exec, exec, s[8:9]
	s_and_saveexec_b64 s[6:7], s[2:3]
	s_cbranch_execz .LBB281_14
.LBB281_18:                             ;   in Loop: Header=BB281_4 Depth=1
	s_waitcnt vmcnt(0)
	v_div_scale_f32 v15, s[2:3], v16, v16, s22
	v_rcp_f32_e32 v17, v15
	v_div_scale_f32 v18, vcc, s22, v16, s22
	v_fma_f32 v19, -v15, v17, 1.0
	v_fmac_f32_e32 v17, v19, v17
	v_mul_f32_e32 v19, v18, v17
	v_fma_f32 v20, -v15, v19, v18
	v_fmac_f32_e32 v19, v20, v17
	v_fma_f32 v15, -v15, v19, v18
	v_div_fmas_f32 v15, v15, v17, v19
	v_div_fixup_f32 v15, v15, v16, s22
	v_mov_b32_e32 v17, s28
	v_add_co_u32_e32 v16, vcc, s27, v2
	v_addc_co_u32_e32 v17, vcc, v3, v17, vcc
	global_store_dword v[16:17], v15, off
	s_or_b64 exec, exec, s[6:7]
	s_and_saveexec_b64 s[2:3], s[0:1]
	s_cbranch_execz .LBB281_3
.LBB281_19:                             ;   in Loop: Header=BB281_4 Depth=1
	s_waitcnt vmcnt(0)
	v_div_scale_f32 v15, s[0:1], v14, v14, s22
	v_rcp_f32_e32 v16, v15
	v_div_scale_f32 v17, vcc, s22, v14, s22
	v_fma_f32 v18, -v15, v16, 1.0
	v_fmac_f32_e32 v16, v18, v16
	v_mul_f32_e32 v18, v17, v16
	v_fma_f32 v19, -v15, v18, v17
	v_fmac_f32_e32 v18, v19, v16
	v_fma_f32 v15, -v15, v18, v17
	v_div_fmas_f32 v15, v15, v16, v18
	v_div_fixup_f32 v16, v15, v14, s22
	v_mov_b32_e32 v15, s26
	v_add_co_u32_e32 v14, vcc, s25, v2
	v_addc_co_u32_e32 v15, vcc, v3, v15, vcc
	global_store_dword v[14:15], v16, off
	s_branch .LBB281_3
.LBB281_20:
	s_cbranch_execz .LBB281_22
	s_branch .LBB281_25
.LBB281_21:
.LBB281_22:
	v_mov_b32_e32 v3, 0
	v_lshlrev_b32_e32 v2, 2, v0
	s_mov_b32 s0, 0
	v_cmp_gt_i64_e32 vcc, s[10:11], v[2:3]
	s_and_saveexec_b64 s[2:3], vcc
	s_cbranch_execz .LBB281_25
; %bb.23:
	s_load_dword s1, s[4:5], 0xd3c
	v_lshlrev_b32_e32 v1, 4, v0
	s_mov_b32 s16, s22
	s_mov_b64 s[6:7], 0
	s_mov_b64 s[8:9], 0xffff
	s_waitcnt lgkmcnt(0)
	s_and_b32 s1, s1, 0xffff
	s_add_u32 s2, s12, s14
	s_addc_u32 s3, s13, s15
	v_mov_b32_e32 v2, s3
	v_add_co_u32_e32 v1, vcc, s2, v1
	v_addc_co_u32_e32 v2, vcc, 0, v2, vcc
	v_add_co_u32_e32 v4, vcc, 8, v1
	v_addc_co_u32_e32 v5, vcc, 0, v2, vcc
	s_lshl_b32 s12, s1, 4
	v_add_lshl_u32 v2, v0, s1, 2
	s_lshl_b32 s13, s1, 2
	v_mov_b32_e32 v0, s0
	v_mov_b32_e32 v1, s0
.LBB281_24:                             ; =>This Inner Loop Header: Depth=1
	global_load_dwordx4 v[6:9], v[4:5], off offset:-8
	v_cmp_le_i64_e32 vcc, s[10:11], v[2:3]
	v_cmp_lt_u64_e64 s[0:1], s[8:9], v[2:3]
	s_or_b64 s[0:1], vcc, s[0:1]
	s_and_b64 s[0:1], exec, s[0:1]
	s_or_b64 s[6:7], s[0:1], s[6:7]
	s_waitcnt vmcnt(0)
	v_div_scale_f32 v10, s[0:1], v7, v7, s16
	v_div_scale_f32 v12, s[0:1], v6, v6, s22
	v_rcp_f32_e32 v18, v10
	v_div_scale_f32 v14, s[2:3], v9, v9, s16
	v_rcp_f32_e32 v19, v12
	;; [unrolled: 2-line block ×3, first 2 shown]
	v_rcp_f32_e32 v21, v16
	v_fma_f32 v22, -v10, v18, 1.0
	v_div_scale_f32 v11, vcc, s16, v7, s16
	v_fma_f32 v23, -v12, v19, 1.0
	v_fmac_f32_e32 v18, v22, v18
	v_div_scale_f32 v13, s[0:1], s22, v6, s22
	v_fma_f32 v24, -v14, v20, 1.0
	v_fmac_f32_e32 v19, v23, v19
	v_mul_f32_e32 v22, v11, v18
	v_div_scale_f32 v15, s[2:3], s16, v9, s16
	v_fma_f32 v25, -v16, v21, 1.0
	v_fmac_f32_e32 v20, v24, v20
	v_mul_f32_e32 v23, v13, v19
	v_fma_f32 v26, -v10, v22, v11
	v_div_scale_f32 v17, s[4:5], s22, v8, s22
	v_fmac_f32_e32 v21, v25, v21
	v_mul_f32_e32 v24, v15, v20
	v_fma_f32 v27, -v12, v23, v13
	v_fmac_f32_e32 v22, v26, v18
	v_mul_f32_e32 v25, v17, v21
	v_fma_f32 v28, -v14, v24, v15
	v_fmac_f32_e32 v23, v27, v19
	v_fma_f32 v10, -v10, v22, v11
	v_fma_f32 v29, -v16, v25, v17
	v_fmac_f32_e32 v24, v28, v20
	v_fma_f32 v11, -v12, v23, v13
	v_div_fmas_f32 v10, v10, v18, v22
	s_mov_b64 vcc, s[0:1]
	v_fmac_f32_e32 v25, v29, v21
	v_fma_f32 v12, -v14, v24, v15
	v_div_fixup_f32 v7, v10, v7, s16
	v_div_fmas_f32 v10, v11, v19, v23
	s_mov_b64 vcc, s[2:3]
	v_fma_f32 v13, -v16, v25, v17
	v_div_fixup_f32 v6, v10, v6, s22
	v_div_fmas_f32 v10, v12, v20, v24
	s_mov_b64 vcc, s[4:5]
	v_div_fixup_f32 v9, v10, v9, s16
	v_div_fmas_f32 v10, v13, v21, v25
	v_div_fixup_f32 v8, v10, v8, s22
	global_store_dwordx4 v[4:5], v[6:9], off offset:-8
	v_add_co_u32_e32 v4, vcc, s12, v4
	v_addc_co_u32_e32 v5, vcc, v5, v0, vcc
	v_add_co_u32_e32 v2, vcc, s13, v2
	v_addc_co_u32_e32 v3, vcc, v3, v1, vcc
	s_andn2_b64 exec, exec, s[6:7]
	s_cbranch_execnz .LBB281_24
.LBB281_25:
	s_endpgm
	.section	.rodata,"a",@progbits
	.p2align	6, 0x0
	.amdhsa_kernel _ZN2at6native12_GLOBAL__N_125multi_tensor_apply_kernelINS1_18TensorListMetadataILi1EEENS1_14UnaryOpFunctorIfLi1ELi1ELi0EEEJNS0_10ReciprocalIfEEEEEvT_T0_DpT1_
		.amdhsa_group_segment_fixed_size 0
		.amdhsa_private_segment_fixed_size 0
		.amdhsa_kernarg_size 3632
		.amdhsa_user_sgpr_count 6
		.amdhsa_user_sgpr_private_segment_buffer 1
		.amdhsa_user_sgpr_dispatch_ptr 0
		.amdhsa_user_sgpr_queue_ptr 0
		.amdhsa_user_sgpr_kernarg_segment_ptr 1
		.amdhsa_user_sgpr_dispatch_id 0
		.amdhsa_user_sgpr_flat_scratch_init 0
		.amdhsa_user_sgpr_kernarg_preload_length 0
		.amdhsa_user_sgpr_kernarg_preload_offset 0
		.amdhsa_user_sgpr_private_segment_size 0
		.amdhsa_uses_dynamic_stack 0
		.amdhsa_system_sgpr_private_segment_wavefront_offset 0
		.amdhsa_system_sgpr_workgroup_id_x 1
		.amdhsa_system_sgpr_workgroup_id_y 0
		.amdhsa_system_sgpr_workgroup_id_z 0
		.amdhsa_system_sgpr_workgroup_info 0
		.amdhsa_system_vgpr_workitem_id 0
		.amdhsa_next_free_vgpr 30
		.amdhsa_next_free_sgpr 29
		.amdhsa_accum_offset 32
		.amdhsa_reserve_vcc 1
		.amdhsa_reserve_flat_scratch 0
		.amdhsa_float_round_mode_32 0
		.amdhsa_float_round_mode_16_64 0
		.amdhsa_float_denorm_mode_32 3
		.amdhsa_float_denorm_mode_16_64 3
		.amdhsa_dx10_clamp 1
		.amdhsa_ieee_mode 1
		.amdhsa_fp16_overflow 0
		.amdhsa_tg_split 0
		.amdhsa_exception_fp_ieee_invalid_op 0
		.amdhsa_exception_fp_denorm_src 0
		.amdhsa_exception_fp_ieee_div_zero 0
		.amdhsa_exception_fp_ieee_overflow 0
		.amdhsa_exception_fp_ieee_underflow 0
		.amdhsa_exception_fp_ieee_inexact 0
		.amdhsa_exception_int_div_zero 0
	.end_amdhsa_kernel
	.section	.text._ZN2at6native12_GLOBAL__N_125multi_tensor_apply_kernelINS1_18TensorListMetadataILi1EEENS1_14UnaryOpFunctorIfLi1ELi1ELi0EEEJNS0_10ReciprocalIfEEEEEvT_T0_DpT1_,"axG",@progbits,_ZN2at6native12_GLOBAL__N_125multi_tensor_apply_kernelINS1_18TensorListMetadataILi1EEENS1_14UnaryOpFunctorIfLi1ELi1ELi0EEEJNS0_10ReciprocalIfEEEEEvT_T0_DpT1_,comdat
.Lfunc_end281:
	.size	_ZN2at6native12_GLOBAL__N_125multi_tensor_apply_kernelINS1_18TensorListMetadataILi1EEENS1_14UnaryOpFunctorIfLi1ELi1ELi0EEEJNS0_10ReciprocalIfEEEEEvT_T0_DpT1_, .Lfunc_end281-_ZN2at6native12_GLOBAL__N_125multi_tensor_apply_kernelINS1_18TensorListMetadataILi1EEENS1_14UnaryOpFunctorIfLi1ELi1ELi0EEEJNS0_10ReciprocalIfEEEEEvT_T0_DpT1_
                                        ; -- End function
	.section	.AMDGPU.csdata,"",@progbits
; Kernel info:
; codeLenInByte = 1592
; NumSgprs: 33
; NumVgprs: 30
; NumAgprs: 0
; TotalNumVgprs: 30
; ScratchSize: 0
; MemoryBound: 0
; FloatMode: 240
; IeeeMode: 1
; LDSByteSize: 0 bytes/workgroup (compile time only)
; SGPRBlocks: 4
; VGPRBlocks: 3
; NumSGPRsForWavesPerEU: 33
; NumVGPRsForWavesPerEU: 30
; AccumOffset: 32
; Occupancy: 8
; WaveLimiterHint : 0
; COMPUTE_PGM_RSRC2:SCRATCH_EN: 0
; COMPUTE_PGM_RSRC2:USER_SGPR: 6
; COMPUTE_PGM_RSRC2:TRAP_HANDLER: 0
; COMPUTE_PGM_RSRC2:TGID_X_EN: 1
; COMPUTE_PGM_RSRC2:TGID_Y_EN: 0
; COMPUTE_PGM_RSRC2:TGID_Z_EN: 0
; COMPUTE_PGM_RSRC2:TIDIG_COMP_CNT: 0
; COMPUTE_PGM_RSRC3_GFX90A:ACCUM_OFFSET: 7
; COMPUTE_PGM_RSRC3_GFX90A:TG_SPLIT: 0
	.section	.text._ZN2at6native12_GLOBAL__N_125multi_tensor_apply_kernelINS1_18TensorListMetadataILi1EEENS1_14UnaryOpFunctorIN3c107complexIdEELi1ELi1ELi0EEEJNS0_10ReciprocalIS8_EEEEEvT_T0_DpT1_,"axG",@progbits,_ZN2at6native12_GLOBAL__N_125multi_tensor_apply_kernelINS1_18TensorListMetadataILi1EEENS1_14UnaryOpFunctorIN3c107complexIdEELi1ELi1ELi0EEEJNS0_10ReciprocalIS8_EEEEEvT_T0_DpT1_,comdat
	.globl	_ZN2at6native12_GLOBAL__N_125multi_tensor_apply_kernelINS1_18TensorListMetadataILi1EEENS1_14UnaryOpFunctorIN3c107complexIdEELi1ELi1ELi0EEEJNS0_10ReciprocalIS8_EEEEEvT_T0_DpT1_ ; -- Begin function _ZN2at6native12_GLOBAL__N_125multi_tensor_apply_kernelINS1_18TensorListMetadataILi1EEENS1_14UnaryOpFunctorIN3c107complexIdEELi1ELi1ELi0EEEJNS0_10ReciprocalIS8_EEEEEvT_T0_DpT1_
	.p2align	8
	.type	_ZN2at6native12_GLOBAL__N_125multi_tensor_apply_kernelINS1_18TensorListMetadataILi1EEENS1_14UnaryOpFunctorIN3c107complexIdEELi1ELi1ELi0EEEJNS0_10ReciprocalIS8_EEEEEvT_T0_DpT1_,@function
_ZN2at6native12_GLOBAL__N_125multi_tensor_apply_kernelINS1_18TensorListMetadataILi1EEENS1_14UnaryOpFunctorIN3c107complexIdEELi1ELi1ELi0EEEJNS0_10ReciprocalIS8_EEEEEvT_T0_DpT1_: ; @_ZN2at6native12_GLOBAL__N_125multi_tensor_apply_kernelINS1_18TensorListMetadataILi1EEENS1_14UnaryOpFunctorIN3c107complexIdEELi1ELi1ELi0EEEJNS0_10ReciprocalIS8_EEEEEvT_T0_DpT1_
; %bb.0:
	v_mov_b32_e32 v1, s6
	global_load_ubyte v1, v1, s[4:5] offset:1760
	s_add_u32 s0, s4, s6
	s_mul_hi_u32 s1, s6, 3
	s_mul_i32 s6, s6, 3
	s_addc_u32 s2, s5, 0
	s_add_u32 s0, s0, s6
	s_addc_u32 s1, s2, s1
	s_load_dword s0, s[0:1], 0x820
	s_mov_b32 s7, 0
	s_load_dwordx4 s[12:15], s[4:5], 0xd30
	s_waitcnt vmcnt(0)
	v_readfirstlane_b32 s1, v1
	s_lshl_b32 s1, s1, 3
	s_load_dwordx2 s[18:19], s[4:5], s1 offset:0x0
	s_load_dwordx2 s[2:3], s[4:5], s1 offset:0x370
	s_waitcnt lgkmcnt(0)
	s_ashr_i32 s1, s0, 31
	s_lshl_b64 s[20:21], s[0:1], 20
	s_add_u32 s28, s18, s20
	s_addc_u32 s29, s19, s21
	s_lshl_b64 s[0:1], s[0:1], 16
	s_and_b32 s6, s28, 63
	s_sub_u32 s16, s2, s0
	s_subb_u32 s17, s3, s1
	s_and_b32 s0, s2, 3
	s_mov_b32 s1, s7
	s_or_b64 s[0:1], s[6:7], s[0:1]
	s_cmp_eq_u64 s[0:1], 0
	s_cbranch_scc1 .LBB282_53
; %bb.1:
	v_cmp_lt_i64_e64 s[0:1], s[16:17], 1
	s_and_b64 vcc, exec, s[0:1]
	s_cbranch_vccnz .LBB282_52
; %bb.2:
	s_load_dword s0, s[4:5], 0xd4c
	v_mov_b32_e32 v2, 0x10000
	v_mov_b32_e32 v3, 0
	v_cmp_lt_u64_e32 vcc, s[16:17], v[2:3]
	v_mov_b32_e32 v23, 0
	s_waitcnt lgkmcnt(0)
	s_and_b32 s2, s0, 0xffff
	s_and_b64 s[0:1], vcc, exec
	s_mul_i32 s6, s2, 3
	v_lshlrev_b32_e32 v22, 4, v0
	v_add_co_u32_e32 v27, vcc, s2, v0
	v_addc_co_u32_e64 v29, s[0:1], 0, 0, vcc
	v_mad_u64_u32 v[24:25], s[0:1], s2, 48, v[22:23]
	v_add_co_u32_e32 v23, vcc, s6, v0
	v_addc_co_u32_e64 v34, s[0:1], 0, 0, vcc
	s_cselect_b32 s23, s17, 0
	s_cselect_b32 s22, s16, 0x10000
	s_lshl_b32 s0, s2, 5
	s_lshl_b32 s3, s2, 1
	v_add_co_u32_e32 v2, vcc, s0, v22
	v_addc_co_u32_e64 v1, s[0:1], 0, 0, vcc
	v_add_co_u32_e32 v35, vcc, s3, v0
	s_lshl_b32 s30, s2, 2
	s_lshl_b32 s31, s2, 6
	v_or_b32_e32 v24, 8, v24
	v_lshlrev_b32_e32 v26, 4, v27
	v_or_b32_e32 v28, 8, v2
	v_addc_co_u32_e64 v36, s[0:1], 0, 0, vcc
	s_mov_b64 s[24:25], 0
	s_branch .LBB282_4
.LBB282_3:                              ;   in Loop: Header=BB282_4 Depth=1
	s_or_b64 exec, exec, s[0:1]
	s_add_u32 s24, s24, s30
	s_addc_u32 s25, s25, 0
	v_pk_mov_b32 v[2:3], s[16:17], s[16:17] op_sel:[0,1]
	v_cmp_ge_i64_e32 vcc, s[24:25], v[2:3]
	v_mov_b32_e32 v2, 0xffff
	v_mov_b32_e32 v3, 0
	v_cmp_gt_u64_e64 s[0:1], s[24:25], v[2:3]
	s_or_b64 s[0:1], vcc, s[0:1]
	s_add_u32 s28, s28, s31
	s_addc_u32 s29, s29, 0
	s_and_b64 vcc, exec, s[0:1]
	s_cbranch_vccnz .LBB282_52
.LBB282_4:                              ; =>This Inner Loop Header: Depth=1
	v_mov_b32_e32 v3, s25
	v_add_co_u32_e32 v2, vcc, s24, v0
	v_addc_co_u32_e32 v3, vcc, 0, v3, vcc
	v_pk_mov_b32 v[20:21], 0, 0
	v_cmp_gt_u64_e64 s[0:1], s[22:23], v[2:3]
	v_pk_mov_b32 v[16:17], v[20:21], v[20:21] op_sel:[0,1]
	v_pk_mov_b32 v[14:15], v[20:21], v[20:21] op_sel:[0,1]
	s_and_saveexec_b64 s[2:3], s[0:1]
	s_cbranch_execz .LBB282_6
; %bb.5:                                ;   in Loop: Header=BB282_4 Depth=1
	v_mov_b32_e32 v3, s29
	v_add_co_u32_e32 v2, vcc, s28, v22
	v_addc_co_u32_e32 v3, vcc, 0, v3, vcc
	global_load_dwordx4 v[14:17], v[2:3], off
.LBB282_6:                              ;   in Loop: Header=BB282_4 Depth=1
	s_or_b64 exec, exec, s[2:3]
	v_mov_b32_e32 v3, s25
	v_add_co_u32_e32 v2, vcc, s24, v27
	v_addc_co_u32_e32 v3, vcc, v29, v3, vcc
	v_cmp_gt_u64_e64 s[2:3], s[22:23], v[2:3]
	v_pk_mov_b32 v[18:19], v[20:21], v[20:21] op_sel:[0,1]
	s_and_saveexec_b64 s[6:7], s[2:3]
	s_cbranch_execz .LBB282_8
; %bb.7:                                ;   in Loop: Header=BB282_4 Depth=1
	v_mov_b32_e32 v3, s29
	v_add_co_u32_e32 v2, vcc, s28, v26
	v_addc_co_u32_e32 v3, vcc, 0, v3, vcc
	global_load_dwordx4 v[18:21], v[2:3], off
.LBB282_8:                              ;   in Loop: Header=BB282_4 Depth=1
	s_or_b64 exec, exec, s[6:7]
	v_mov_b32_e32 v3, s25
	v_add_co_u32_e32 v2, vcc, s24, v35
	v_addc_co_u32_e32 v3, vcc, v36, v3, vcc
	v_pk_mov_b32 v[4:5], 0, 0
	v_cmp_gt_u64_e64 s[6:7], s[22:23], v[2:3]
	v_pk_mov_b32 v[12:13], v[4:5], v[4:5] op_sel:[0,1]
	v_pk_mov_b32 v[10:11], v[4:5], v[4:5] op_sel:[0,1]
	s_and_saveexec_b64 s[8:9], s[6:7]
	s_cbranch_execz .LBB282_10
; %bb.9:                                ;   in Loop: Header=BB282_4 Depth=1
	v_mov_b32_e32 v3, s29
	v_add_co_u32_e32 v2, vcc, s28, v28
	v_addc_co_u32_e32 v3, vcc, v3, v1, vcc
	global_load_dwordx4 v[10:13], v[2:3], off offset:-8
.LBB282_10:                             ;   in Loop: Header=BB282_4 Depth=1
	s_or_b64 exec, exec, s[8:9]
	v_mov_b32_e32 v3, s25
	v_add_co_u32_e32 v2, vcc, s24, v23
	v_addc_co_u32_e32 v3, vcc, v34, v3, vcc
	v_cmp_gt_u64_e64 s[8:9], s[22:23], v[2:3]
	v_pk_mov_b32 v[2:3], v[4:5], v[4:5] op_sel:[0,1]
	s_and_saveexec_b64 s[10:11], s[8:9]
	s_cbranch_execz .LBB282_12
; %bb.11:                               ;   in Loop: Header=BB282_4 Depth=1
	v_mov_b32_e32 v3, s29
	v_add_co_u32_e32 v2, vcc, s28, v24
	v_addc_co_u32_e32 v3, vcc, v3, v25, vcc
	global_load_dwordx4 v[2:5], v[2:3], off offset:-8
.LBB282_12:                             ;   in Loop: Header=BB282_4 Depth=1
	s_or_b64 exec, exec, s[10:11]
	s_waitcnt vmcnt(0)
	v_xor_b32_e32 v6, 0x80000000, v15
	v_cmp_gt_f64_e32 vcc, 0, v[14:15]
	v_cndmask_b32_e32 v33, v15, v6, vcc
	v_cndmask_b32_e32 v32, v14, v14, vcc
	v_xor_b32_e32 v6, 0x80000000, v17
	v_cmp_gt_f64_e32 vcc, 0, v[16:17]
	v_cndmask_b32_e32 v31, v17, v6, vcc
	v_cndmask_b32_e32 v30, v16, v16, vcc
	v_cmp_ge_f64_e32 vcc, v[32:33], v[30:31]
                                        ; implicit-def: $vgpr8_vgpr9
	s_and_saveexec_b64 s[10:11], vcc
	s_xor_b64 s[26:27], exec, s[10:11]
	s_cbranch_execz .LBB282_18
; %bb.13:                               ;   in Loop: Header=BB282_4 Depth=1
	v_cmp_neq_f64_e32 vcc, 0, v[14:15]
	v_cmp_neq_f64_e64 s[10:11], 0, v[16:17]
	s_or_b64 s[10:11], s[10:11], vcc
                                        ; implicit-def: $vgpr8_vgpr9
	s_and_saveexec_b64 s[34:35], s[10:11]
	s_xor_b64 s[10:11], exec, s[34:35]
	s_cbranch_execz .LBB282_15
; %bb.14:                               ;   in Loop: Header=BB282_4 Depth=1
	v_div_scale_f64 v[6:7], s[34:35], v[14:15], v[14:15], v[16:17]
	v_rcp_f64_e32 v[8:9], v[6:7]
	v_div_scale_f64 v[30:31], vcc, v[16:17], v[14:15], v[16:17]
	v_fma_f64 v[32:33], -v[6:7], v[8:9], 1.0
	v_fmac_f64_e32 v[8:9], v[8:9], v[32:33]
	v_fma_f64 v[32:33], -v[6:7], v[8:9], 1.0
	v_fmac_f64_e32 v[8:9], v[8:9], v[32:33]
	v_mul_f64 v[32:33], v[30:31], v[8:9]
	v_fma_f64 v[6:7], -v[6:7], v[32:33], v[30:31]
	v_div_fmas_f64 v[6:7], v[6:7], v[8:9], v[32:33]
	v_div_fixup_f64 v[8:9], v[6:7], v[14:15], v[16:17]
	v_fmac_f64_e32 v[14:15], v[16:17], v[8:9]
	v_div_scale_f64 v[6:7], s[34:35], v[14:15], v[14:15], 1.0
	v_rcp_f64_e32 v[16:17], v[6:7]
	v_fma_f64 v[30:31], -v[6:7], v[16:17], 1.0
	v_fmac_f64_e32 v[16:17], v[16:17], v[30:31]
	v_fma_f64 v[30:31], -v[6:7], v[16:17], 1.0
	v_fmac_f64_e32 v[16:17], v[16:17], v[30:31]
	v_div_scale_f64 v[30:31], vcc, 1.0, v[14:15], 1.0
	v_mul_f64 v[32:33], v[30:31], v[16:17]
	v_fma_f64 v[6:7], -v[6:7], v[32:33], v[30:31]
                                        ; implicit-def: $vgpr30_vgpr31
	s_nop 1
	v_div_fmas_f64 v[6:7], v[6:7], v[16:17], v[32:33]
	v_div_fixup_f64 v[14:15], v[6:7], v[14:15], 1.0
	v_pk_mov_b32 v[6:7], s[12:13], s[12:13] op_sel:[0,1]
	v_pk_mov_b32 v[16:17], s[14:15], s[14:15] op_sel:[0,1]
	v_fma_f64 v[6:7], s[14:15], v[8:9], v[6:7]
	v_fma_f64 v[8:9], -s[12:13], v[8:9], v[16:17]
	v_mul_f64 v[6:7], v[6:7], v[14:15]
	v_mul_f64 v[8:9], v[8:9], v[14:15]
                                        ; implicit-def: $vgpr32_vgpr33
.LBB282_15:                             ;   in Loop: Header=BB282_4 Depth=1
	s_andn2_saveexec_b64 s[10:11], s[10:11]
	s_cbranch_execz .LBB282_17
; %bb.16:                               ;   in Loop: Header=BB282_4 Depth=1
	v_div_scale_f64 v[6:7], s[34:35], v[32:33], v[32:33], s[12:13]
	v_rcp_f64_e32 v[8:9], v[6:7]
	v_div_scale_f64 v[14:15], vcc, s[12:13], v[32:33], s[12:13]
	v_fma_f64 v[16:17], -v[6:7], v[8:9], 1.0
	v_fmac_f64_e32 v[8:9], v[8:9], v[16:17]
	v_fma_f64 v[16:17], -v[6:7], v[8:9], 1.0
	v_fmac_f64_e32 v[8:9], v[8:9], v[16:17]
	v_mul_f64 v[16:17], v[14:15], v[8:9]
	v_fma_f64 v[6:7], -v[6:7], v[16:17], v[14:15]
	v_div_scale_f64 v[14:15], s[34:35], v[30:31], v[30:31], s[14:15]
	v_rcp_f64_e32 v[38:39], v[14:15]
	v_div_fmas_f64 v[6:7], v[6:7], v[8:9], v[16:17]
	v_div_fixup_f64 v[6:7], v[6:7], v[32:33], s[12:13]
	v_fma_f64 v[8:9], -v[14:15], v[38:39], 1.0
	v_fmac_f64_e32 v[38:39], v[38:39], v[8:9]
	v_fma_f64 v[8:9], -v[14:15], v[38:39], 1.0
	v_fmac_f64_e32 v[38:39], v[38:39], v[8:9]
	v_div_scale_f64 v[8:9], vcc, s[14:15], v[30:31], s[14:15]
	v_mul_f64 v[16:17], v[8:9], v[38:39]
	v_fma_f64 v[8:9], -v[14:15], v[16:17], v[8:9]
	s_nop 1
	v_div_fmas_f64 v[8:9], v[8:9], v[38:39], v[16:17]
	v_div_fixup_f64 v[8:9], v[8:9], v[30:31], s[14:15]
.LBB282_17:                             ;   in Loop: Header=BB282_4 Depth=1
	s_or_b64 exec, exec, s[10:11]
                                        ; implicit-def: $vgpr16_vgpr17
.LBB282_18:                             ;   in Loop: Header=BB282_4 Depth=1
	s_andn2_saveexec_b64 s[10:11], s[26:27]
	s_cbranch_execz .LBB282_20
; %bb.19:                               ;   in Loop: Header=BB282_4 Depth=1
	v_div_scale_f64 v[6:7], s[26:27], v[16:17], v[16:17], v[14:15]
	v_rcp_f64_e32 v[8:9], v[6:7]
	v_div_scale_f64 v[30:31], vcc, v[14:15], v[16:17], v[14:15]
	v_fma_f64 v[32:33], -v[6:7], v[8:9], 1.0
	v_fmac_f64_e32 v[8:9], v[8:9], v[32:33]
	v_fma_f64 v[32:33], -v[6:7], v[8:9], 1.0
	v_fmac_f64_e32 v[8:9], v[8:9], v[32:33]
	v_mul_f64 v[32:33], v[30:31], v[8:9]
	v_fma_f64 v[6:7], -v[6:7], v[32:33], v[30:31]
	v_div_fmas_f64 v[6:7], v[6:7], v[8:9], v[32:33]
	v_div_fixup_f64 v[8:9], v[6:7], v[16:17], v[14:15]
	v_fmac_f64_e32 v[16:17], v[14:15], v[8:9]
	v_div_scale_f64 v[6:7], s[26:27], v[16:17], v[16:17], 1.0
	v_rcp_f64_e32 v[14:15], v[6:7]
	v_fma_f64 v[30:31], -v[6:7], v[14:15], 1.0
	v_fmac_f64_e32 v[14:15], v[14:15], v[30:31]
	v_fma_f64 v[30:31], -v[6:7], v[14:15], 1.0
	v_fmac_f64_e32 v[14:15], v[14:15], v[30:31]
	v_div_scale_f64 v[30:31], vcc, 1.0, v[16:17], 1.0
	v_mul_f64 v[32:33], v[30:31], v[14:15]
	v_fma_f64 v[6:7], -v[6:7], v[32:33], v[30:31]
	s_nop 1
	v_div_fmas_f64 v[6:7], v[6:7], v[14:15], v[32:33]
	v_div_fixup_f64 v[14:15], v[6:7], v[16:17], 1.0
	v_pk_mov_b32 v[6:7], s[14:15], s[14:15] op_sel:[0,1]
	v_pk_mov_b32 v[16:17], s[12:13], s[12:13] op_sel:[0,1]
	v_fma_f64 v[6:7], s[12:13], v[8:9], v[6:7]
	v_fma_f64 v[8:9], s[14:15], v[8:9], -v[16:17]
	v_mul_f64 v[6:7], v[6:7], v[14:15]
	v_mul_f64 v[8:9], v[8:9], v[14:15]
.LBB282_20:                             ;   in Loop: Header=BB282_4 Depth=1
	s_or_b64 exec, exec, s[10:11]
	v_xor_b32_e32 v14, 0x80000000, v19
	v_cmp_gt_f64_e32 vcc, 0, v[18:19]
	v_cndmask_b32_e32 v33, v19, v14, vcc
	v_cndmask_b32_e32 v32, v18, v18, vcc
	v_xor_b32_e32 v14, 0x80000000, v21
	v_cmp_gt_f64_e32 vcc, 0, v[20:21]
	v_cndmask_b32_e32 v31, v21, v14, vcc
	v_cndmask_b32_e32 v30, v20, v20, vcc
	v_cmp_ge_f64_e32 vcc, v[32:33], v[30:31]
                                        ; implicit-def: $vgpr16_vgpr17
	s_and_saveexec_b64 s[10:11], vcc
	s_xor_b64 s[26:27], exec, s[10:11]
	s_cbranch_execz .LBB282_26
; %bb.21:                               ;   in Loop: Header=BB282_4 Depth=1
	v_cmp_neq_f64_e32 vcc, 0, v[18:19]
	v_cmp_neq_f64_e64 s[10:11], 0, v[20:21]
	s_or_b64 s[10:11], s[10:11], vcc
                                        ; implicit-def: $vgpr16_vgpr17
	s_and_saveexec_b64 s[34:35], s[10:11]
	s_xor_b64 s[10:11], exec, s[34:35]
	s_cbranch_execz .LBB282_23
; %bb.22:                               ;   in Loop: Header=BB282_4 Depth=1
	v_div_scale_f64 v[14:15], s[34:35], v[18:19], v[18:19], v[20:21]
	v_rcp_f64_e32 v[16:17], v[14:15]
	v_div_scale_f64 v[30:31], vcc, v[20:21], v[18:19], v[20:21]
	v_fma_f64 v[32:33], -v[14:15], v[16:17], 1.0
	v_fmac_f64_e32 v[16:17], v[16:17], v[32:33]
	v_fma_f64 v[32:33], -v[14:15], v[16:17], 1.0
	v_fmac_f64_e32 v[16:17], v[16:17], v[32:33]
	v_mul_f64 v[32:33], v[30:31], v[16:17]
	v_fma_f64 v[14:15], -v[14:15], v[32:33], v[30:31]
	v_div_fmas_f64 v[14:15], v[14:15], v[16:17], v[32:33]
	v_div_fixup_f64 v[16:17], v[14:15], v[18:19], v[20:21]
	v_fmac_f64_e32 v[18:19], v[20:21], v[16:17]
	v_div_scale_f64 v[14:15], s[34:35], v[18:19], v[18:19], 1.0
	v_rcp_f64_e32 v[20:21], v[14:15]
	v_fma_f64 v[30:31], -v[14:15], v[20:21], 1.0
	v_fmac_f64_e32 v[20:21], v[20:21], v[30:31]
	v_fma_f64 v[30:31], -v[14:15], v[20:21], 1.0
	v_fmac_f64_e32 v[20:21], v[20:21], v[30:31]
	v_div_scale_f64 v[30:31], vcc, 1.0, v[18:19], 1.0
	v_mul_f64 v[32:33], v[30:31], v[20:21]
	v_fma_f64 v[14:15], -v[14:15], v[32:33], v[30:31]
                                        ; implicit-def: $vgpr30_vgpr31
	s_nop 1
	v_div_fmas_f64 v[14:15], v[14:15], v[20:21], v[32:33]
	v_div_fixup_f64 v[18:19], v[14:15], v[18:19], 1.0
	v_pk_mov_b32 v[14:15], s[12:13], s[12:13] op_sel:[0,1]
	v_pk_mov_b32 v[20:21], s[14:15], s[14:15] op_sel:[0,1]
	v_fma_f64 v[14:15], s[14:15], v[16:17], v[14:15]
	v_fma_f64 v[16:17], -s[12:13], v[16:17], v[20:21]
	v_mul_f64 v[14:15], v[14:15], v[18:19]
	v_mul_f64 v[16:17], v[16:17], v[18:19]
                                        ; implicit-def: $vgpr32_vgpr33
.LBB282_23:                             ;   in Loop: Header=BB282_4 Depth=1
	s_andn2_saveexec_b64 s[10:11], s[10:11]
	s_cbranch_execz .LBB282_25
; %bb.24:                               ;   in Loop: Header=BB282_4 Depth=1
	v_div_scale_f64 v[14:15], s[34:35], v[32:33], v[32:33], s[12:13]
	v_rcp_f64_e32 v[16:17], v[14:15]
	v_div_scale_f64 v[18:19], vcc, s[12:13], v[32:33], s[12:13]
	v_fma_f64 v[20:21], -v[14:15], v[16:17], 1.0
	v_fmac_f64_e32 v[16:17], v[16:17], v[20:21]
	v_fma_f64 v[20:21], -v[14:15], v[16:17], 1.0
	v_fmac_f64_e32 v[16:17], v[16:17], v[20:21]
	v_mul_f64 v[20:21], v[18:19], v[16:17]
	v_fma_f64 v[14:15], -v[14:15], v[20:21], v[18:19]
	v_div_scale_f64 v[18:19], s[34:35], v[30:31], v[30:31], s[14:15]
	v_rcp_f64_e32 v[38:39], v[18:19]
	v_div_fmas_f64 v[14:15], v[14:15], v[16:17], v[20:21]
	v_div_fixup_f64 v[14:15], v[14:15], v[32:33], s[12:13]
	v_fma_f64 v[16:17], -v[18:19], v[38:39], 1.0
	v_fmac_f64_e32 v[38:39], v[38:39], v[16:17]
	v_fma_f64 v[16:17], -v[18:19], v[38:39], 1.0
	v_fmac_f64_e32 v[38:39], v[38:39], v[16:17]
	v_div_scale_f64 v[16:17], vcc, s[14:15], v[30:31], s[14:15]
	v_mul_f64 v[20:21], v[16:17], v[38:39]
	v_fma_f64 v[16:17], -v[18:19], v[20:21], v[16:17]
	s_nop 1
	v_div_fmas_f64 v[16:17], v[16:17], v[38:39], v[20:21]
	v_div_fixup_f64 v[16:17], v[16:17], v[30:31], s[14:15]
.LBB282_25:                             ;   in Loop: Header=BB282_4 Depth=1
	s_or_b64 exec, exec, s[10:11]
                                        ; implicit-def: $vgpr20_vgpr21
.LBB282_26:                             ;   in Loop: Header=BB282_4 Depth=1
	s_andn2_saveexec_b64 s[10:11], s[26:27]
	s_cbranch_execz .LBB282_28
; %bb.27:                               ;   in Loop: Header=BB282_4 Depth=1
	v_div_scale_f64 v[14:15], s[26:27], v[20:21], v[20:21], v[18:19]
	v_rcp_f64_e32 v[16:17], v[14:15]
	v_div_scale_f64 v[30:31], vcc, v[18:19], v[20:21], v[18:19]
	v_fma_f64 v[32:33], -v[14:15], v[16:17], 1.0
	v_fmac_f64_e32 v[16:17], v[16:17], v[32:33]
	v_fma_f64 v[32:33], -v[14:15], v[16:17], 1.0
	v_fmac_f64_e32 v[16:17], v[16:17], v[32:33]
	v_mul_f64 v[32:33], v[30:31], v[16:17]
	v_fma_f64 v[14:15], -v[14:15], v[32:33], v[30:31]
	v_div_fmas_f64 v[14:15], v[14:15], v[16:17], v[32:33]
	v_div_fixup_f64 v[16:17], v[14:15], v[20:21], v[18:19]
	v_fmac_f64_e32 v[20:21], v[18:19], v[16:17]
	v_div_scale_f64 v[14:15], s[26:27], v[20:21], v[20:21], 1.0
	v_rcp_f64_e32 v[18:19], v[14:15]
	v_fma_f64 v[30:31], -v[14:15], v[18:19], 1.0
	v_fmac_f64_e32 v[18:19], v[18:19], v[30:31]
	v_fma_f64 v[30:31], -v[14:15], v[18:19], 1.0
	v_fmac_f64_e32 v[18:19], v[18:19], v[30:31]
	v_div_scale_f64 v[30:31], vcc, 1.0, v[20:21], 1.0
	v_mul_f64 v[32:33], v[30:31], v[18:19]
	v_fma_f64 v[14:15], -v[14:15], v[32:33], v[30:31]
	s_nop 1
	v_div_fmas_f64 v[14:15], v[14:15], v[18:19], v[32:33]
	v_div_fixup_f64 v[18:19], v[14:15], v[20:21], 1.0
	v_pk_mov_b32 v[14:15], s[14:15], s[14:15] op_sel:[0,1]
	v_pk_mov_b32 v[20:21], s[12:13], s[12:13] op_sel:[0,1]
	v_fma_f64 v[14:15], s[12:13], v[16:17], v[14:15]
	v_fma_f64 v[16:17], s[14:15], v[16:17], -v[20:21]
	v_mul_f64 v[14:15], v[14:15], v[18:19]
	v_mul_f64 v[16:17], v[16:17], v[18:19]
.LBB282_28:                             ;   in Loop: Header=BB282_4 Depth=1
	s_or_b64 exec, exec, s[10:11]
	v_xor_b32_e32 v18, 0x80000000, v11
	v_cmp_gt_f64_e32 vcc, 0, v[10:11]
	v_cndmask_b32_e32 v33, v11, v18, vcc
	v_cndmask_b32_e32 v32, v10, v10, vcc
	v_xor_b32_e32 v18, 0x80000000, v13
	v_cmp_gt_f64_e32 vcc, 0, v[12:13]
	v_cndmask_b32_e32 v31, v13, v18, vcc
	v_cndmask_b32_e32 v30, v12, v12, vcc
	v_cmp_ge_f64_e32 vcc, v[32:33], v[30:31]
                                        ; implicit-def: $vgpr20_vgpr21
	s_and_saveexec_b64 s[10:11], vcc
	s_xor_b64 s[26:27], exec, s[10:11]
	s_cbranch_execz .LBB282_34
; %bb.29:                               ;   in Loop: Header=BB282_4 Depth=1
	v_cmp_neq_f64_e32 vcc, 0, v[10:11]
	v_cmp_neq_f64_e64 s[10:11], 0, v[12:13]
	s_or_b64 s[10:11], s[10:11], vcc
                                        ; implicit-def: $vgpr20_vgpr21
	s_and_saveexec_b64 s[34:35], s[10:11]
	s_xor_b64 s[10:11], exec, s[34:35]
	s_cbranch_execz .LBB282_31
; %bb.30:                               ;   in Loop: Header=BB282_4 Depth=1
	v_div_scale_f64 v[18:19], s[34:35], v[10:11], v[10:11], v[12:13]
	v_rcp_f64_e32 v[20:21], v[18:19]
	v_div_scale_f64 v[30:31], vcc, v[12:13], v[10:11], v[12:13]
	v_fma_f64 v[32:33], -v[18:19], v[20:21], 1.0
	v_fmac_f64_e32 v[20:21], v[20:21], v[32:33]
	v_fma_f64 v[32:33], -v[18:19], v[20:21], 1.0
	v_fmac_f64_e32 v[20:21], v[20:21], v[32:33]
	v_mul_f64 v[32:33], v[30:31], v[20:21]
	v_fma_f64 v[18:19], -v[18:19], v[32:33], v[30:31]
	v_div_fmas_f64 v[18:19], v[18:19], v[20:21], v[32:33]
	v_div_fixup_f64 v[20:21], v[18:19], v[10:11], v[12:13]
	v_fmac_f64_e32 v[10:11], v[12:13], v[20:21]
	v_div_scale_f64 v[12:13], s[34:35], v[10:11], v[10:11], 1.0
	v_rcp_f64_e32 v[18:19], v[12:13]
	v_fma_f64 v[30:31], -v[12:13], v[18:19], 1.0
	v_fmac_f64_e32 v[18:19], v[18:19], v[30:31]
	v_fma_f64 v[30:31], -v[12:13], v[18:19], 1.0
	v_fmac_f64_e32 v[18:19], v[18:19], v[30:31]
	v_div_scale_f64 v[30:31], vcc, 1.0, v[10:11], 1.0
	v_mul_f64 v[32:33], v[30:31], v[18:19]
	v_fma_f64 v[12:13], -v[12:13], v[32:33], v[30:31]
                                        ; implicit-def: $vgpr30_vgpr31
	s_nop 1
	v_div_fmas_f64 v[12:13], v[12:13], v[18:19], v[32:33]
	v_div_fixup_f64 v[10:11], v[12:13], v[10:11], 1.0
	v_pk_mov_b32 v[12:13], s[12:13], s[12:13] op_sel:[0,1]
	v_fma_f64 v[12:13], s[14:15], v[20:21], v[12:13]
	v_mul_f64 v[18:19], v[12:13], v[10:11]
	v_pk_mov_b32 v[12:13], s[14:15], s[14:15] op_sel:[0,1]
	v_fma_f64 v[12:13], -s[12:13], v[20:21], v[12:13]
	v_mul_f64 v[20:21], v[12:13], v[10:11]
                                        ; implicit-def: $vgpr32_vgpr33
.LBB282_31:                             ;   in Loop: Header=BB282_4 Depth=1
	s_andn2_saveexec_b64 s[10:11], s[10:11]
	s_cbranch_execz .LBB282_33
; %bb.32:                               ;   in Loop: Header=BB282_4 Depth=1
	v_div_scale_f64 v[10:11], s[34:35], v[32:33], v[32:33], s[12:13]
	v_rcp_f64_e32 v[12:13], v[10:11]
	v_div_scale_f64 v[38:39], s[34:35], v[30:31], v[30:31], s[14:15]
	v_div_scale_f64 v[18:19], vcc, s[12:13], v[32:33], s[12:13]
	v_fma_f64 v[20:21], -v[10:11], v[12:13], 1.0
	v_fmac_f64_e32 v[12:13], v[12:13], v[20:21]
	v_fma_f64 v[20:21], -v[10:11], v[12:13], 1.0
	v_fmac_f64_e32 v[12:13], v[12:13], v[20:21]
	v_rcp_f64_e32 v[40:41], v[38:39]
	v_mul_f64 v[20:21], v[18:19], v[12:13]
	v_fma_f64 v[10:11], -v[10:11], v[20:21], v[18:19]
	v_div_fmas_f64 v[10:11], v[10:11], v[12:13], v[20:21]
	v_div_fixup_f64 v[18:19], v[10:11], v[32:33], s[12:13]
	v_fma_f64 v[10:11], -v[38:39], v[40:41], 1.0
	v_fmac_f64_e32 v[40:41], v[40:41], v[10:11]
	v_fma_f64 v[10:11], -v[38:39], v[40:41], 1.0
	v_fmac_f64_e32 v[40:41], v[40:41], v[10:11]
	v_div_scale_f64 v[10:11], vcc, s[14:15], v[30:31], s[14:15]
	v_mul_f64 v[12:13], v[10:11], v[40:41]
	v_fma_f64 v[10:11], -v[38:39], v[12:13], v[10:11]
	s_nop 1
	v_div_fmas_f64 v[10:11], v[10:11], v[40:41], v[12:13]
	v_div_fixup_f64 v[20:21], v[10:11], v[30:31], s[14:15]
.LBB282_33:                             ;   in Loop: Header=BB282_4 Depth=1
	s_or_b64 exec, exec, s[10:11]
                                        ; implicit-def: $vgpr12_vgpr13
.LBB282_34:                             ;   in Loop: Header=BB282_4 Depth=1
	s_andn2_saveexec_b64 s[10:11], s[26:27]
	s_cbranch_execz .LBB282_36
; %bb.35:                               ;   in Loop: Header=BB282_4 Depth=1
	v_div_scale_f64 v[18:19], s[26:27], v[12:13], v[12:13], v[10:11]
	v_rcp_f64_e32 v[20:21], v[18:19]
	v_div_scale_f64 v[30:31], vcc, v[10:11], v[12:13], v[10:11]
	v_fma_f64 v[32:33], -v[18:19], v[20:21], 1.0
	v_fmac_f64_e32 v[20:21], v[20:21], v[32:33]
	v_fma_f64 v[32:33], -v[18:19], v[20:21], 1.0
	v_fmac_f64_e32 v[20:21], v[20:21], v[32:33]
	v_mul_f64 v[32:33], v[30:31], v[20:21]
	v_fma_f64 v[18:19], -v[18:19], v[32:33], v[30:31]
	v_div_fmas_f64 v[18:19], v[18:19], v[20:21], v[32:33]
	v_div_fixup_f64 v[20:21], v[18:19], v[12:13], v[10:11]
	v_fmac_f64_e32 v[12:13], v[10:11], v[20:21]
	v_div_scale_f64 v[10:11], s[26:27], v[12:13], v[12:13], 1.0
	v_rcp_f64_e32 v[18:19], v[10:11]
	v_fma_f64 v[30:31], -v[10:11], v[18:19], 1.0
	v_fmac_f64_e32 v[18:19], v[18:19], v[30:31]
	v_fma_f64 v[30:31], -v[10:11], v[18:19], 1.0
	v_fmac_f64_e32 v[18:19], v[18:19], v[30:31]
	v_div_scale_f64 v[30:31], vcc, 1.0, v[12:13], 1.0
	v_mul_f64 v[32:33], v[30:31], v[18:19]
	v_fma_f64 v[10:11], -v[10:11], v[32:33], v[30:31]
	s_nop 1
	v_div_fmas_f64 v[10:11], v[10:11], v[18:19], v[32:33]
	v_div_fixup_f64 v[10:11], v[10:11], v[12:13], 1.0
	v_pk_mov_b32 v[12:13], s[14:15], s[14:15] op_sel:[0,1]
	v_fma_f64 v[12:13], s[12:13], v[20:21], v[12:13]
	v_mul_f64 v[18:19], v[12:13], v[10:11]
	v_pk_mov_b32 v[12:13], s[12:13], s[12:13] op_sel:[0,1]
	v_fma_f64 v[12:13], s[14:15], v[20:21], -v[12:13]
	v_mul_f64 v[20:21], v[12:13], v[10:11]
.LBB282_36:                             ;   in Loop: Header=BB282_4 Depth=1
	s_or_b64 exec, exec, s[10:11]
	v_xor_b32_e32 v10, 0x80000000, v3
	v_cmp_gt_f64_e32 vcc, 0, v[2:3]
	v_cndmask_b32_e32 v33, v3, v10, vcc
	v_cndmask_b32_e32 v32, v2, v2, vcc
	v_xor_b32_e32 v10, 0x80000000, v5
	v_cmp_gt_f64_e32 vcc, 0, v[4:5]
	v_cndmask_b32_e32 v31, v5, v10, vcc
	v_cndmask_b32_e32 v30, v4, v4, vcc
	v_cmp_ge_f64_e32 vcc, v[32:33], v[30:31]
                                        ; implicit-def: $vgpr12_vgpr13
	s_and_saveexec_b64 s[10:11], vcc
	s_xor_b64 s[26:27], exec, s[10:11]
	s_cbranch_execnz .LBB282_42
; %bb.37:                               ;   in Loop: Header=BB282_4 Depth=1
	s_andn2_saveexec_b64 s[10:11], s[26:27]
	s_cbranch_execnz .LBB282_47
.LBB282_38:                             ;   in Loop: Header=BB282_4 Depth=1
	s_or_b64 exec, exec, s[10:11]
	s_and_saveexec_b64 s[10:11], s[0:1]
	s_xor_b64 s[0:1], exec, s[10:11]
	s_cbranch_execnz .LBB282_48
.LBB282_39:                             ;   in Loop: Header=BB282_4 Depth=1
	s_or_b64 exec, exec, s[0:1]
	s_and_saveexec_b64 s[0:1], s[2:3]
	s_cbranch_execnz .LBB282_49
.LBB282_40:                             ;   in Loop: Header=BB282_4 Depth=1
	s_or_b64 exec, exec, s[0:1]
	s_and_saveexec_b64 s[0:1], s[6:7]
	s_cbranch_execnz .LBB282_50
.LBB282_41:                             ;   in Loop: Header=BB282_4 Depth=1
	s_or_b64 exec, exec, s[0:1]
	s_and_saveexec_b64 s[0:1], s[8:9]
	s_cbranch_execz .LBB282_3
	s_branch .LBB282_51
.LBB282_42:                             ;   in Loop: Header=BB282_4 Depth=1
	v_cmp_neq_f64_e32 vcc, 0, v[2:3]
	v_cmp_neq_f64_e64 s[10:11], 0, v[4:5]
	s_or_b64 s[10:11], s[10:11], vcc
                                        ; implicit-def: $vgpr12_vgpr13
	s_and_saveexec_b64 s[34:35], s[10:11]
	s_xor_b64 s[10:11], exec, s[34:35]
	s_cbranch_execz .LBB282_44
; %bb.43:                               ;   in Loop: Header=BB282_4 Depth=1
	v_div_scale_f64 v[10:11], s[34:35], v[2:3], v[2:3], v[4:5]
	v_rcp_f64_e32 v[12:13], v[10:11]
	v_div_scale_f64 v[30:31], vcc, v[4:5], v[2:3], v[4:5]
	v_fma_f64 v[32:33], -v[10:11], v[12:13], 1.0
	v_fmac_f64_e32 v[12:13], v[12:13], v[32:33]
	v_fma_f64 v[32:33], -v[10:11], v[12:13], 1.0
	v_fmac_f64_e32 v[12:13], v[12:13], v[32:33]
	v_mul_f64 v[32:33], v[30:31], v[12:13]
	v_fma_f64 v[10:11], -v[10:11], v[32:33], v[30:31]
	v_div_fmas_f64 v[10:11], v[10:11], v[12:13], v[32:33]
	v_div_fixup_f64 v[12:13], v[10:11], v[2:3], v[4:5]
	v_fmac_f64_e32 v[2:3], v[4:5], v[12:13]
	v_div_scale_f64 v[4:5], s[34:35], v[2:3], v[2:3], 1.0
	v_rcp_f64_e32 v[10:11], v[4:5]
	v_fma_f64 v[30:31], -v[4:5], v[10:11], 1.0
	v_fmac_f64_e32 v[10:11], v[10:11], v[30:31]
	v_fma_f64 v[30:31], -v[4:5], v[10:11], 1.0
	v_fmac_f64_e32 v[10:11], v[10:11], v[30:31]
	v_div_scale_f64 v[30:31], vcc, 1.0, v[2:3], 1.0
	v_mul_f64 v[32:33], v[30:31], v[10:11]
	v_fma_f64 v[4:5], -v[4:5], v[32:33], v[30:31]
                                        ; implicit-def: $vgpr30_vgpr31
	s_nop 1
	v_div_fmas_f64 v[4:5], v[4:5], v[10:11], v[32:33]
	v_div_fixup_f64 v[2:3], v[4:5], v[2:3], 1.0
	v_pk_mov_b32 v[4:5], s[12:13], s[12:13] op_sel:[0,1]
	v_fma_f64 v[4:5], s[14:15], v[12:13], v[4:5]
	v_mul_f64 v[10:11], v[4:5], v[2:3]
	v_pk_mov_b32 v[4:5], s[14:15], s[14:15] op_sel:[0,1]
	v_fma_f64 v[4:5], -s[12:13], v[12:13], v[4:5]
	v_mul_f64 v[12:13], v[4:5], v[2:3]
                                        ; implicit-def: $vgpr32_vgpr33
.LBB282_44:                             ;   in Loop: Header=BB282_4 Depth=1
	s_andn2_saveexec_b64 s[10:11], s[10:11]
	s_cbranch_execz .LBB282_46
; %bb.45:                               ;   in Loop: Header=BB282_4 Depth=1
	v_div_scale_f64 v[2:3], s[34:35], v[32:33], v[32:33], s[12:13]
	v_rcp_f64_e32 v[4:5], v[2:3]
	v_div_scale_f64 v[38:39], s[34:35], v[30:31], v[30:31], s[14:15]
	v_div_scale_f64 v[10:11], vcc, s[12:13], v[32:33], s[12:13]
	v_fma_f64 v[12:13], -v[2:3], v[4:5], 1.0
	v_fmac_f64_e32 v[4:5], v[4:5], v[12:13]
	v_fma_f64 v[12:13], -v[2:3], v[4:5], 1.0
	v_fmac_f64_e32 v[4:5], v[4:5], v[12:13]
	v_rcp_f64_e32 v[40:41], v[38:39]
	v_mul_f64 v[12:13], v[10:11], v[4:5]
	v_fma_f64 v[2:3], -v[2:3], v[12:13], v[10:11]
	v_div_fmas_f64 v[2:3], v[2:3], v[4:5], v[12:13]
	v_div_fixup_f64 v[10:11], v[2:3], v[32:33], s[12:13]
	v_fma_f64 v[2:3], -v[38:39], v[40:41], 1.0
	v_fmac_f64_e32 v[40:41], v[40:41], v[2:3]
	v_fma_f64 v[2:3], -v[38:39], v[40:41], 1.0
	v_fmac_f64_e32 v[40:41], v[40:41], v[2:3]
	v_div_scale_f64 v[2:3], vcc, s[14:15], v[30:31], s[14:15]
	v_mul_f64 v[4:5], v[2:3], v[40:41]
	v_fma_f64 v[2:3], -v[38:39], v[4:5], v[2:3]
	s_nop 1
	v_div_fmas_f64 v[2:3], v[2:3], v[40:41], v[4:5]
	v_div_fixup_f64 v[12:13], v[2:3], v[30:31], s[14:15]
.LBB282_46:                             ;   in Loop: Header=BB282_4 Depth=1
	s_or_b64 exec, exec, s[10:11]
                                        ; implicit-def: $vgpr4_vgpr5
	s_andn2_saveexec_b64 s[10:11], s[26:27]
	s_cbranch_execz .LBB282_38
.LBB282_47:                             ;   in Loop: Header=BB282_4 Depth=1
	v_div_scale_f64 v[10:11], s[26:27], v[4:5], v[4:5], v[2:3]
	v_rcp_f64_e32 v[12:13], v[10:11]
	v_div_scale_f64 v[30:31], vcc, v[2:3], v[4:5], v[2:3]
	v_fma_f64 v[32:33], -v[10:11], v[12:13], 1.0
	v_fmac_f64_e32 v[12:13], v[12:13], v[32:33]
	v_fma_f64 v[32:33], -v[10:11], v[12:13], 1.0
	v_fmac_f64_e32 v[12:13], v[12:13], v[32:33]
	v_mul_f64 v[32:33], v[30:31], v[12:13]
	v_fma_f64 v[10:11], -v[10:11], v[32:33], v[30:31]
	v_div_fmas_f64 v[10:11], v[10:11], v[12:13], v[32:33]
	v_div_fixup_f64 v[12:13], v[10:11], v[4:5], v[2:3]
	v_fmac_f64_e32 v[4:5], v[2:3], v[12:13]
	v_div_scale_f64 v[2:3], s[26:27], v[4:5], v[4:5], 1.0
	v_rcp_f64_e32 v[10:11], v[2:3]
	v_fma_f64 v[30:31], -v[2:3], v[10:11], 1.0
	v_fmac_f64_e32 v[10:11], v[10:11], v[30:31]
	v_fma_f64 v[30:31], -v[2:3], v[10:11], 1.0
	v_fmac_f64_e32 v[10:11], v[10:11], v[30:31]
	v_div_scale_f64 v[30:31], vcc, 1.0, v[4:5], 1.0
	v_mul_f64 v[32:33], v[30:31], v[10:11]
	v_fma_f64 v[2:3], -v[2:3], v[32:33], v[30:31]
	s_nop 1
	v_div_fmas_f64 v[2:3], v[2:3], v[10:11], v[32:33]
	v_div_fixup_f64 v[2:3], v[2:3], v[4:5], 1.0
	v_pk_mov_b32 v[4:5], s[14:15], s[14:15] op_sel:[0,1]
	v_fma_f64 v[4:5], s[12:13], v[12:13], v[4:5]
	v_mul_f64 v[10:11], v[4:5], v[2:3]
	v_pk_mov_b32 v[4:5], s[12:13], s[12:13] op_sel:[0,1]
	v_fma_f64 v[4:5], s[14:15], v[12:13], -v[4:5]
	v_mul_f64 v[12:13], v[4:5], v[2:3]
	s_or_b64 exec, exec, s[10:11]
	s_and_saveexec_b64 s[10:11], s[0:1]
	s_xor_b64 s[0:1], exec, s[10:11]
	s_cbranch_execz .LBB282_39
.LBB282_48:                             ;   in Loop: Header=BB282_4 Depth=1
	v_mov_b32_e32 v3, s29
	v_add_co_u32_e32 v2, vcc, s28, v22
	v_addc_co_u32_e32 v3, vcc, 0, v3, vcc
	global_store_dwordx4 v[2:3], v[6:9], off
	s_or_b64 exec, exec, s[0:1]
	s_and_saveexec_b64 s[0:1], s[2:3]
	s_cbranch_execz .LBB282_40
.LBB282_49:                             ;   in Loop: Header=BB282_4 Depth=1
	v_mov_b32_e32 v3, s29
	v_add_co_u32_e32 v2, vcc, s28, v26
	v_addc_co_u32_e32 v3, vcc, 0, v3, vcc
	global_store_dwordx4 v[2:3], v[14:17], off
	s_or_b64 exec, exec, s[0:1]
	s_and_saveexec_b64 s[0:1], s[6:7]
	s_cbranch_execz .LBB282_41
.LBB282_50:                             ;   in Loop: Header=BB282_4 Depth=1
	v_mov_b32_e32 v3, s29
	v_add_co_u32_e32 v2, vcc, s28, v28
	v_addc_co_u32_e32 v3, vcc, v3, v1, vcc
	global_store_dwordx4 v[2:3], v[18:21], off offset:-8
	s_or_b64 exec, exec, s[0:1]
	s_and_saveexec_b64 s[0:1], s[8:9]
	s_cbranch_execz .LBB282_3
.LBB282_51:                             ;   in Loop: Header=BB282_4 Depth=1
	v_mov_b32_e32 v3, s29
	v_add_co_u32_e32 v2, vcc, s28, v24
	v_addc_co_u32_e32 v3, vcc, v3, v25, vcc
	global_store_dwordx4 v[2:3], v[10:13], off offset:-8
	s_branch .LBB282_3
.LBB282_52:
	s_cbranch_execz .LBB282_54
	s_branch .LBB282_89
.LBB282_53:
.LBB282_54:
	v_mov_b32_e32 v21, 0
	v_lshlrev_b32_e32 v20, 2, v0
	s_mov_b32 s8, 0
	v_cmp_gt_i64_e32 vcc, s[16:17], v[20:21]
	s_and_saveexec_b64 s[0:1], vcc
	s_cbranch_execz .LBB282_89
; %bb.55:
	s_load_dword s0, s[4:5], 0xd4c
	v_lshlrev_b32_e32 v1, 6, v0
	s_mov_b32 s11, s8
	s_mov_b64 s[4:5], 0xffff
	s_waitcnt lgkmcnt(0)
	s_and_b32 s0, s0, 0xffff
	s_lshl_b32 s9, s0, 2
	s_add_u32 s1, s18, s20
	s_addc_u32 s2, s19, s21
	v_add_lshl_u32 v20, v0, s0, 2
	v_mov_b32_e32 v0, s2
	v_add_co_u32_e32 v22, vcc, s1, v1
	v_addc_co_u32_e32 v23, vcc, 0, v0, vcc
	s_lshl_b32 s10, s0, 6
	s_mov_b64 s[2:3], 0
	s_branch .LBB282_57
.LBB282_56:                             ;   in Loop: Header=BB282_57 Depth=1
	s_or_b64 exec, exec, s[0:1]
	v_cmp_le_i64_e32 vcc, s[16:17], v[20:21]
	v_cmp_lt_u64_e64 s[0:1], s[4:5], v[20:21]
	s_or_b64 s[0:1], vcc, s[0:1]
	v_mov_b32_e32 v0, s8
	v_add_co_u32_e32 v20, vcc, s9, v20
	v_addc_co_u32_e32 v21, vcc, v21, v0, vcc
	global_store_dwordx4 v[22:23], v[4:7], off
	global_store_dwordx4 v[22:23], v[12:15], off offset:16
	global_store_dwordx4 v[22:23], v[16:19], off offset:32
	global_store_dwordx4 v[22:23], v[8:11], off offset:48
	v_mov_b32_e32 v0, s11
	s_and_b64 s[0:1], exec, s[0:1]
	v_add_co_u32_e32 v22, vcc, s10, v22
	s_or_b64 s[2:3], s[0:1], s[2:3]
	v_addc_co_u32_e32 v23, vcc, v23, v0, vcc
	s_andn2_b64 exec, exec, s[2:3]
	s_cbranch_execz .LBB282_89
.LBB282_57:                             ; =>This Inner Loop Header: Depth=1
	global_load_dwordx4 v[12:15], v[22:23], off
	global_load_dwordx4 v[16:19], v[22:23], off offset:16
	global_load_dwordx4 v[0:3], v[22:23], off offset:48
	;; [unrolled: 1-line block ×3, first 2 shown]
                                        ; implicit-def: $vgpr6_vgpr7
	s_waitcnt vmcnt(3)
	v_xor_b32_e32 v4, 0x80000000, v13
	v_cmp_gt_f64_e32 vcc, 0, v[12:13]
	v_xor_b32_e32 v5, 0x80000000, v15
	v_cndmask_b32_e32 v27, v13, v4, vcc
	v_cmp_gt_f64_e32 vcc, 0, v[14:15]
	v_mov_b32_e32 v26, v12
	v_cndmask_b32_e32 v25, v15, v5, vcc
	v_mov_b32_e32 v24, v14
	v_cmp_ge_f64_e32 vcc, v[26:27], v[24:25]
	s_and_saveexec_b64 s[0:1], vcc
	s_xor_b64 s[6:7], exec, s[0:1]
	s_cbranch_execz .LBB282_63
; %bb.58:                               ;   in Loop: Header=BB282_57 Depth=1
	v_cmp_neq_f64_e32 vcc, 0, v[12:13]
	v_cmp_neq_f64_e64 s[0:1], 0, v[14:15]
	s_or_b64 s[0:1], vcc, s[0:1]
                                        ; implicit-def: $vgpr6_vgpr7
	s_and_saveexec_b64 s[18:19], s[0:1]
	s_xor_b64 s[0:1], exec, s[18:19]
	s_cbranch_execz .LBB282_60
; %bb.59:                               ;   in Loop: Header=BB282_57 Depth=1
	v_div_scale_f64 v[4:5], s[18:19], v[12:13], v[12:13], v[14:15]
	v_rcp_f64_e32 v[6:7], v[4:5]
	v_div_scale_f64 v[24:25], vcc, v[14:15], v[12:13], v[14:15]
	v_fma_f64 v[26:27], -v[4:5], v[6:7], 1.0
	v_fmac_f64_e32 v[6:7], v[6:7], v[26:27]
	v_fma_f64 v[26:27], -v[4:5], v[6:7], 1.0
	v_fmac_f64_e32 v[6:7], v[6:7], v[26:27]
	v_mul_f64 v[26:27], v[24:25], v[6:7]
	v_fma_f64 v[4:5], -v[4:5], v[26:27], v[24:25]
	v_div_fmas_f64 v[4:5], v[4:5], v[6:7], v[26:27]
	v_div_fixup_f64 v[6:7], v[4:5], v[12:13], v[14:15]
	v_fmac_f64_e32 v[12:13], v[14:15], v[6:7]
	v_div_scale_f64 v[4:5], s[18:19], v[12:13], v[12:13], 1.0
	v_rcp_f64_e32 v[14:15], v[4:5]
	v_fma_f64 v[24:25], -v[4:5], v[14:15], 1.0
	v_fmac_f64_e32 v[14:15], v[14:15], v[24:25]
	v_fma_f64 v[24:25], -v[4:5], v[14:15], 1.0
	v_fmac_f64_e32 v[14:15], v[14:15], v[24:25]
	v_div_scale_f64 v[24:25], vcc, 1.0, v[12:13], 1.0
	v_mul_f64 v[26:27], v[24:25], v[14:15]
	v_fma_f64 v[4:5], -v[4:5], v[26:27], v[24:25]
                                        ; implicit-def: $vgpr24_vgpr25
	s_nop 1
	v_div_fmas_f64 v[4:5], v[4:5], v[14:15], v[26:27]
	v_div_fixup_f64 v[12:13], v[4:5], v[12:13], 1.0
	v_pk_mov_b32 v[4:5], s[12:13], s[12:13] op_sel:[0,1]
	v_pk_mov_b32 v[14:15], s[14:15], s[14:15] op_sel:[0,1]
	v_fma_f64 v[4:5], s[14:15], v[6:7], v[4:5]
	v_fma_f64 v[6:7], -s[12:13], v[6:7], v[14:15]
	v_mul_f64 v[4:5], v[4:5], v[12:13]
	v_mul_f64 v[6:7], v[6:7], v[12:13]
                                        ; implicit-def: $vgpr26_vgpr27
.LBB282_60:                             ;   in Loop: Header=BB282_57 Depth=1
	s_andn2_saveexec_b64 s[0:1], s[0:1]
	s_cbranch_execz .LBB282_62
; %bb.61:                               ;   in Loop: Header=BB282_57 Depth=1
	v_div_scale_f64 v[4:5], s[18:19], v[26:27], v[26:27], s[12:13]
	v_rcp_f64_e32 v[6:7], v[4:5]
	v_div_scale_f64 v[12:13], vcc, s[12:13], v[26:27], s[12:13]
	v_fma_f64 v[14:15], -v[4:5], v[6:7], 1.0
	v_fmac_f64_e32 v[6:7], v[6:7], v[14:15]
	v_fma_f64 v[14:15], -v[4:5], v[6:7], 1.0
	v_fmac_f64_e32 v[6:7], v[6:7], v[14:15]
	v_mul_f64 v[14:15], v[12:13], v[6:7]
	v_fma_f64 v[4:5], -v[4:5], v[14:15], v[12:13]
	v_div_scale_f64 v[12:13], s[18:19], v[24:25], v[24:25], s[14:15]
	v_rcp_f64_e32 v[28:29], v[12:13]
	v_div_fmas_f64 v[4:5], v[4:5], v[6:7], v[14:15]
	v_div_fixup_f64 v[4:5], v[4:5], v[26:27], s[12:13]
	v_fma_f64 v[6:7], -v[12:13], v[28:29], 1.0
	v_fmac_f64_e32 v[28:29], v[28:29], v[6:7]
	v_fma_f64 v[6:7], -v[12:13], v[28:29], 1.0
	v_fmac_f64_e32 v[28:29], v[28:29], v[6:7]
	v_div_scale_f64 v[6:7], vcc, s[14:15], v[24:25], s[14:15]
	v_mul_f64 v[14:15], v[6:7], v[28:29]
	v_fma_f64 v[6:7], -v[12:13], v[14:15], v[6:7]
	s_nop 1
	v_div_fmas_f64 v[6:7], v[6:7], v[28:29], v[14:15]
	v_div_fixup_f64 v[6:7], v[6:7], v[24:25], s[14:15]
.LBB282_62:                             ;   in Loop: Header=BB282_57 Depth=1
	s_or_b64 exec, exec, s[0:1]
                                        ; implicit-def: $vgpr14_vgpr15
.LBB282_63:                             ;   in Loop: Header=BB282_57 Depth=1
	s_andn2_saveexec_b64 s[0:1], s[6:7]
	s_cbranch_execz .LBB282_65
; %bb.64:                               ;   in Loop: Header=BB282_57 Depth=1
	v_div_scale_f64 v[4:5], s[6:7], v[14:15], v[14:15], v[12:13]
	v_rcp_f64_e32 v[6:7], v[4:5]
	v_div_scale_f64 v[24:25], vcc, v[12:13], v[14:15], v[12:13]
	v_fma_f64 v[26:27], -v[4:5], v[6:7], 1.0
	v_fmac_f64_e32 v[6:7], v[6:7], v[26:27]
	v_fma_f64 v[26:27], -v[4:5], v[6:7], 1.0
	v_fmac_f64_e32 v[6:7], v[6:7], v[26:27]
	v_mul_f64 v[26:27], v[24:25], v[6:7]
	v_fma_f64 v[4:5], -v[4:5], v[26:27], v[24:25]
	v_div_fmas_f64 v[4:5], v[4:5], v[6:7], v[26:27]
	v_div_fixup_f64 v[6:7], v[4:5], v[14:15], v[12:13]
	v_fmac_f64_e32 v[14:15], v[12:13], v[6:7]
	v_div_scale_f64 v[4:5], s[6:7], v[14:15], v[14:15], 1.0
	v_rcp_f64_e32 v[12:13], v[4:5]
	v_fma_f64 v[24:25], -v[4:5], v[12:13], 1.0
	v_fmac_f64_e32 v[12:13], v[12:13], v[24:25]
	v_fma_f64 v[24:25], -v[4:5], v[12:13], 1.0
	v_fmac_f64_e32 v[12:13], v[12:13], v[24:25]
	v_div_scale_f64 v[24:25], vcc, 1.0, v[14:15], 1.0
	v_mul_f64 v[26:27], v[24:25], v[12:13]
	v_fma_f64 v[4:5], -v[4:5], v[26:27], v[24:25]
	s_nop 1
	v_div_fmas_f64 v[4:5], v[4:5], v[12:13], v[26:27]
	v_div_fixup_f64 v[12:13], v[4:5], v[14:15], 1.0
	v_pk_mov_b32 v[4:5], s[14:15], s[14:15] op_sel:[0,1]
	v_pk_mov_b32 v[14:15], s[12:13], s[12:13] op_sel:[0,1]
	v_fma_f64 v[4:5], s[12:13], v[6:7], v[4:5]
	v_fma_f64 v[6:7], s[14:15], v[6:7], -v[14:15]
	v_mul_f64 v[4:5], v[4:5], v[12:13]
	v_mul_f64 v[6:7], v[6:7], v[12:13]
.LBB282_65:                             ;   in Loop: Header=BB282_57 Depth=1
	s_or_b64 exec, exec, s[0:1]
	s_waitcnt vmcnt(2)
	v_xor_b32_e32 v12, 0x80000000, v17
	v_cmp_gt_f64_e32 vcc, 0, v[16:17]
	v_cndmask_b32_e32 v27, v17, v12, vcc
	v_xor_b32_e32 v12, 0x80000000, v19
	v_cmp_gt_f64_e32 vcc, 0, v[18:19]
	v_mov_b32_e32 v26, v16
	v_cndmask_b32_e32 v25, v19, v12, vcc
	v_mov_b32_e32 v24, v18
	v_cmp_ge_f64_e32 vcc, v[26:27], v[24:25]
                                        ; implicit-def: $vgpr14_vgpr15
	s_and_saveexec_b64 s[0:1], vcc
	s_xor_b64 s[6:7], exec, s[0:1]
	s_cbranch_execz .LBB282_71
; %bb.66:                               ;   in Loop: Header=BB282_57 Depth=1
	v_cmp_neq_f64_e32 vcc, 0, v[16:17]
	v_cmp_neq_f64_e64 s[0:1], 0, v[18:19]
	s_or_b64 s[0:1], vcc, s[0:1]
                                        ; implicit-def: $vgpr14_vgpr15
	s_and_saveexec_b64 s[18:19], s[0:1]
	s_xor_b64 s[0:1], exec, s[18:19]
	s_cbranch_execz .LBB282_68
; %bb.67:                               ;   in Loop: Header=BB282_57 Depth=1
	v_div_scale_f64 v[12:13], s[18:19], v[16:17], v[16:17], v[18:19]
	v_rcp_f64_e32 v[14:15], v[12:13]
	v_div_scale_f64 v[24:25], vcc, v[18:19], v[16:17], v[18:19]
	v_fma_f64 v[26:27], -v[12:13], v[14:15], 1.0
	v_fmac_f64_e32 v[14:15], v[14:15], v[26:27]
	v_fma_f64 v[26:27], -v[12:13], v[14:15], 1.0
	v_fmac_f64_e32 v[14:15], v[14:15], v[26:27]
	v_mul_f64 v[26:27], v[24:25], v[14:15]
	v_fma_f64 v[12:13], -v[12:13], v[26:27], v[24:25]
	v_div_fmas_f64 v[12:13], v[12:13], v[14:15], v[26:27]
	v_div_fixup_f64 v[14:15], v[12:13], v[16:17], v[18:19]
	v_fmac_f64_e32 v[16:17], v[18:19], v[14:15]
	v_div_scale_f64 v[12:13], s[18:19], v[16:17], v[16:17], 1.0
	v_rcp_f64_e32 v[18:19], v[12:13]
	v_fma_f64 v[24:25], -v[12:13], v[18:19], 1.0
	v_fmac_f64_e32 v[18:19], v[18:19], v[24:25]
	v_fma_f64 v[24:25], -v[12:13], v[18:19], 1.0
	v_fmac_f64_e32 v[18:19], v[18:19], v[24:25]
	v_div_scale_f64 v[24:25], vcc, 1.0, v[16:17], 1.0
	v_mul_f64 v[26:27], v[24:25], v[18:19]
	v_fma_f64 v[12:13], -v[12:13], v[26:27], v[24:25]
                                        ; implicit-def: $vgpr24_vgpr25
	s_nop 1
	v_div_fmas_f64 v[12:13], v[12:13], v[18:19], v[26:27]
	v_div_fixup_f64 v[16:17], v[12:13], v[16:17], 1.0
	v_pk_mov_b32 v[12:13], s[12:13], s[12:13] op_sel:[0,1]
	v_pk_mov_b32 v[18:19], s[14:15], s[14:15] op_sel:[0,1]
	v_fma_f64 v[12:13], s[14:15], v[14:15], v[12:13]
	v_fma_f64 v[14:15], -s[12:13], v[14:15], v[18:19]
	v_mul_f64 v[12:13], v[12:13], v[16:17]
	v_mul_f64 v[14:15], v[14:15], v[16:17]
                                        ; implicit-def: $vgpr26_vgpr27
.LBB282_68:                             ;   in Loop: Header=BB282_57 Depth=1
	s_andn2_saveexec_b64 s[0:1], s[0:1]
	s_cbranch_execz .LBB282_70
; %bb.69:                               ;   in Loop: Header=BB282_57 Depth=1
	v_div_scale_f64 v[12:13], s[18:19], v[26:27], v[26:27], s[12:13]
	v_rcp_f64_e32 v[14:15], v[12:13]
	v_div_scale_f64 v[16:17], vcc, s[12:13], v[26:27], s[12:13]
	v_fma_f64 v[18:19], -v[12:13], v[14:15], 1.0
	v_fmac_f64_e32 v[14:15], v[14:15], v[18:19]
	v_fma_f64 v[18:19], -v[12:13], v[14:15], 1.0
	v_fmac_f64_e32 v[14:15], v[14:15], v[18:19]
	v_mul_f64 v[18:19], v[16:17], v[14:15]
	v_fma_f64 v[12:13], -v[12:13], v[18:19], v[16:17]
	v_div_scale_f64 v[16:17], s[18:19], v[24:25], v[24:25], s[14:15]
	v_rcp_f64_e32 v[28:29], v[16:17]
	v_div_fmas_f64 v[12:13], v[12:13], v[14:15], v[18:19]
	v_div_fixup_f64 v[12:13], v[12:13], v[26:27], s[12:13]
	v_fma_f64 v[14:15], -v[16:17], v[28:29], 1.0
	v_fmac_f64_e32 v[28:29], v[28:29], v[14:15]
	v_fma_f64 v[14:15], -v[16:17], v[28:29], 1.0
	v_fmac_f64_e32 v[28:29], v[28:29], v[14:15]
	v_div_scale_f64 v[14:15], vcc, s[14:15], v[24:25], s[14:15]
	v_mul_f64 v[18:19], v[14:15], v[28:29]
	v_fma_f64 v[14:15], -v[16:17], v[18:19], v[14:15]
	s_nop 1
	v_div_fmas_f64 v[14:15], v[14:15], v[28:29], v[18:19]
	v_div_fixup_f64 v[14:15], v[14:15], v[24:25], s[14:15]
.LBB282_70:                             ;   in Loop: Header=BB282_57 Depth=1
	s_or_b64 exec, exec, s[0:1]
                                        ; implicit-def: $vgpr18_vgpr19
.LBB282_71:                             ;   in Loop: Header=BB282_57 Depth=1
	s_andn2_saveexec_b64 s[0:1], s[6:7]
	s_cbranch_execz .LBB282_73
; %bb.72:                               ;   in Loop: Header=BB282_57 Depth=1
	v_div_scale_f64 v[12:13], s[6:7], v[18:19], v[18:19], v[16:17]
	v_rcp_f64_e32 v[14:15], v[12:13]
	v_div_scale_f64 v[24:25], vcc, v[16:17], v[18:19], v[16:17]
	v_fma_f64 v[26:27], -v[12:13], v[14:15], 1.0
	v_fmac_f64_e32 v[14:15], v[14:15], v[26:27]
	v_fma_f64 v[26:27], -v[12:13], v[14:15], 1.0
	v_fmac_f64_e32 v[14:15], v[14:15], v[26:27]
	v_mul_f64 v[26:27], v[24:25], v[14:15]
	v_fma_f64 v[12:13], -v[12:13], v[26:27], v[24:25]
	v_div_fmas_f64 v[12:13], v[12:13], v[14:15], v[26:27]
	v_div_fixup_f64 v[14:15], v[12:13], v[18:19], v[16:17]
	v_fmac_f64_e32 v[18:19], v[16:17], v[14:15]
	v_div_scale_f64 v[12:13], s[6:7], v[18:19], v[18:19], 1.0
	v_rcp_f64_e32 v[16:17], v[12:13]
	v_fma_f64 v[24:25], -v[12:13], v[16:17], 1.0
	v_fmac_f64_e32 v[16:17], v[16:17], v[24:25]
	v_fma_f64 v[24:25], -v[12:13], v[16:17], 1.0
	v_fmac_f64_e32 v[16:17], v[16:17], v[24:25]
	v_div_scale_f64 v[24:25], vcc, 1.0, v[18:19], 1.0
	v_mul_f64 v[26:27], v[24:25], v[16:17]
	v_fma_f64 v[12:13], -v[12:13], v[26:27], v[24:25]
	s_nop 1
	v_div_fmas_f64 v[12:13], v[12:13], v[16:17], v[26:27]
	v_div_fixup_f64 v[16:17], v[12:13], v[18:19], 1.0
	v_pk_mov_b32 v[12:13], s[14:15], s[14:15] op_sel:[0,1]
	v_pk_mov_b32 v[18:19], s[12:13], s[12:13] op_sel:[0,1]
	v_fma_f64 v[12:13], s[12:13], v[14:15], v[12:13]
	v_fma_f64 v[14:15], s[14:15], v[14:15], -v[18:19]
	v_mul_f64 v[12:13], v[12:13], v[16:17]
	v_mul_f64 v[14:15], v[14:15], v[16:17]
.LBB282_73:                             ;   in Loop: Header=BB282_57 Depth=1
	s_or_b64 exec, exec, s[0:1]
	s_waitcnt vmcnt(0)
	v_xor_b32_e32 v16, 0x80000000, v9
	v_cmp_gt_f64_e32 vcc, 0, v[8:9]
	v_cndmask_b32_e32 v27, v9, v16, vcc
	v_xor_b32_e32 v16, 0x80000000, v11
	v_cmp_gt_f64_e32 vcc, 0, v[10:11]
	v_mov_b32_e32 v26, v8
	v_cndmask_b32_e32 v25, v11, v16, vcc
	v_mov_b32_e32 v24, v10
	v_cmp_ge_f64_e32 vcc, v[26:27], v[24:25]
                                        ; implicit-def: $vgpr18_vgpr19
	s_and_saveexec_b64 s[0:1], vcc
	s_xor_b64 s[6:7], exec, s[0:1]
	s_cbranch_execz .LBB282_79
; %bb.74:                               ;   in Loop: Header=BB282_57 Depth=1
	v_cmp_neq_f64_e32 vcc, 0, v[8:9]
	v_cmp_neq_f64_e64 s[0:1], 0, v[10:11]
	s_or_b64 s[0:1], vcc, s[0:1]
                                        ; implicit-def: $vgpr18_vgpr19
	s_and_saveexec_b64 s[18:19], s[0:1]
	s_xor_b64 s[0:1], exec, s[18:19]
	s_cbranch_execz .LBB282_76
; %bb.75:                               ;   in Loop: Header=BB282_57 Depth=1
	v_div_scale_f64 v[16:17], s[18:19], v[8:9], v[8:9], v[10:11]
	v_rcp_f64_e32 v[18:19], v[16:17]
	v_div_scale_f64 v[24:25], vcc, v[10:11], v[8:9], v[10:11]
	v_fma_f64 v[26:27], -v[16:17], v[18:19], 1.0
	v_fmac_f64_e32 v[18:19], v[18:19], v[26:27]
	v_fma_f64 v[26:27], -v[16:17], v[18:19], 1.0
	v_fmac_f64_e32 v[18:19], v[18:19], v[26:27]
	v_mul_f64 v[26:27], v[24:25], v[18:19]
	v_fma_f64 v[16:17], -v[16:17], v[26:27], v[24:25]
	v_div_fmas_f64 v[16:17], v[16:17], v[18:19], v[26:27]
	v_div_fixup_f64 v[18:19], v[16:17], v[8:9], v[10:11]
	v_fmac_f64_e32 v[8:9], v[10:11], v[18:19]
	v_div_scale_f64 v[10:11], s[18:19], v[8:9], v[8:9], 1.0
	v_rcp_f64_e32 v[16:17], v[10:11]
	v_fma_f64 v[24:25], -v[10:11], v[16:17], 1.0
	v_fmac_f64_e32 v[16:17], v[16:17], v[24:25]
	v_fma_f64 v[24:25], -v[10:11], v[16:17], 1.0
	v_fmac_f64_e32 v[16:17], v[16:17], v[24:25]
	v_div_scale_f64 v[24:25], vcc, 1.0, v[8:9], 1.0
	v_mul_f64 v[26:27], v[24:25], v[16:17]
	v_fma_f64 v[10:11], -v[10:11], v[26:27], v[24:25]
                                        ; implicit-def: $vgpr24_vgpr25
	s_nop 1
	v_div_fmas_f64 v[10:11], v[10:11], v[16:17], v[26:27]
	v_div_fixup_f64 v[8:9], v[10:11], v[8:9], 1.0
	v_pk_mov_b32 v[10:11], s[12:13], s[12:13] op_sel:[0,1]
	v_fma_f64 v[10:11], s[14:15], v[18:19], v[10:11]
	v_mul_f64 v[16:17], v[10:11], v[8:9]
	v_pk_mov_b32 v[10:11], s[14:15], s[14:15] op_sel:[0,1]
	v_fma_f64 v[10:11], -s[12:13], v[18:19], v[10:11]
	v_mul_f64 v[18:19], v[10:11], v[8:9]
                                        ; implicit-def: $vgpr26_vgpr27
.LBB282_76:                             ;   in Loop: Header=BB282_57 Depth=1
	s_andn2_saveexec_b64 s[0:1], s[0:1]
	s_cbranch_execz .LBB282_78
; %bb.77:                               ;   in Loop: Header=BB282_57 Depth=1
	v_div_scale_f64 v[8:9], s[18:19], v[26:27], v[26:27], s[12:13]
	v_rcp_f64_e32 v[10:11], v[8:9]
	v_div_scale_f64 v[28:29], s[18:19], v[24:25], v[24:25], s[14:15]
	v_div_scale_f64 v[16:17], vcc, s[12:13], v[26:27], s[12:13]
	v_fma_f64 v[18:19], -v[8:9], v[10:11], 1.0
	v_fmac_f64_e32 v[10:11], v[10:11], v[18:19]
	v_fma_f64 v[18:19], -v[8:9], v[10:11], 1.0
	v_fmac_f64_e32 v[10:11], v[10:11], v[18:19]
	v_rcp_f64_e32 v[30:31], v[28:29]
	v_mul_f64 v[18:19], v[16:17], v[10:11]
	v_fma_f64 v[8:9], -v[8:9], v[18:19], v[16:17]
	v_div_fmas_f64 v[8:9], v[8:9], v[10:11], v[18:19]
	v_div_fixup_f64 v[16:17], v[8:9], v[26:27], s[12:13]
	v_fma_f64 v[8:9], -v[28:29], v[30:31], 1.0
	v_fmac_f64_e32 v[30:31], v[30:31], v[8:9]
	v_fma_f64 v[8:9], -v[28:29], v[30:31], 1.0
	v_fmac_f64_e32 v[30:31], v[30:31], v[8:9]
	v_div_scale_f64 v[8:9], vcc, s[14:15], v[24:25], s[14:15]
	v_mul_f64 v[10:11], v[8:9], v[30:31]
	v_fma_f64 v[8:9], -v[28:29], v[10:11], v[8:9]
	s_nop 1
	v_div_fmas_f64 v[8:9], v[8:9], v[30:31], v[10:11]
	v_div_fixup_f64 v[18:19], v[8:9], v[24:25], s[14:15]
.LBB282_78:                             ;   in Loop: Header=BB282_57 Depth=1
	s_or_b64 exec, exec, s[0:1]
                                        ; implicit-def: $vgpr10_vgpr11
.LBB282_79:                             ;   in Loop: Header=BB282_57 Depth=1
	s_andn2_saveexec_b64 s[0:1], s[6:7]
	s_cbranch_execz .LBB282_81
; %bb.80:                               ;   in Loop: Header=BB282_57 Depth=1
	v_div_scale_f64 v[16:17], s[6:7], v[10:11], v[10:11], v[8:9]
	v_rcp_f64_e32 v[18:19], v[16:17]
	v_div_scale_f64 v[24:25], vcc, v[8:9], v[10:11], v[8:9]
	v_fma_f64 v[26:27], -v[16:17], v[18:19], 1.0
	v_fmac_f64_e32 v[18:19], v[18:19], v[26:27]
	v_fma_f64 v[26:27], -v[16:17], v[18:19], 1.0
	v_fmac_f64_e32 v[18:19], v[18:19], v[26:27]
	v_mul_f64 v[26:27], v[24:25], v[18:19]
	v_fma_f64 v[16:17], -v[16:17], v[26:27], v[24:25]
	v_div_fmas_f64 v[16:17], v[16:17], v[18:19], v[26:27]
	v_div_fixup_f64 v[18:19], v[16:17], v[10:11], v[8:9]
	v_fmac_f64_e32 v[10:11], v[8:9], v[18:19]
	v_div_scale_f64 v[8:9], s[6:7], v[10:11], v[10:11], 1.0
	v_rcp_f64_e32 v[16:17], v[8:9]
	v_fma_f64 v[24:25], -v[8:9], v[16:17], 1.0
	v_fmac_f64_e32 v[16:17], v[16:17], v[24:25]
	v_fma_f64 v[24:25], -v[8:9], v[16:17], 1.0
	v_fmac_f64_e32 v[16:17], v[16:17], v[24:25]
	v_div_scale_f64 v[24:25], vcc, 1.0, v[10:11], 1.0
	v_mul_f64 v[26:27], v[24:25], v[16:17]
	v_fma_f64 v[8:9], -v[8:9], v[26:27], v[24:25]
	s_nop 1
	v_div_fmas_f64 v[8:9], v[8:9], v[16:17], v[26:27]
	v_div_fixup_f64 v[8:9], v[8:9], v[10:11], 1.0
	v_pk_mov_b32 v[10:11], s[14:15], s[14:15] op_sel:[0,1]
	v_fma_f64 v[10:11], s[12:13], v[18:19], v[10:11]
	v_mul_f64 v[16:17], v[10:11], v[8:9]
	v_pk_mov_b32 v[10:11], s[12:13], s[12:13] op_sel:[0,1]
	v_fma_f64 v[10:11], s[14:15], v[18:19], -v[10:11]
	v_mul_f64 v[18:19], v[10:11], v[8:9]
.LBB282_81:                             ;   in Loop: Header=BB282_57 Depth=1
	s_or_b64 exec, exec, s[0:1]
	v_xor_b32_e32 v8, 0x80000000, v1
	v_cmp_gt_f64_e32 vcc, 0, v[0:1]
	v_cndmask_b32_e32 v27, v1, v8, vcc
	v_xor_b32_e32 v8, 0x80000000, v3
	v_cmp_gt_f64_e32 vcc, 0, v[2:3]
	v_mov_b32_e32 v26, v0
	v_cndmask_b32_e32 v25, v3, v8, vcc
	v_mov_b32_e32 v24, v2
	v_cmp_ge_f64_e32 vcc, v[26:27], v[24:25]
                                        ; implicit-def: $vgpr10_vgpr11
	s_and_saveexec_b64 s[0:1], vcc
	s_xor_b64 s[6:7], exec, s[0:1]
	s_cbranch_execz .LBB282_87
; %bb.82:                               ;   in Loop: Header=BB282_57 Depth=1
	v_cmp_neq_f64_e32 vcc, 0, v[0:1]
	v_cmp_neq_f64_e64 s[0:1], 0, v[2:3]
	s_or_b64 s[0:1], vcc, s[0:1]
                                        ; implicit-def: $vgpr10_vgpr11
	s_and_saveexec_b64 s[18:19], s[0:1]
	s_xor_b64 s[0:1], exec, s[18:19]
	s_cbranch_execz .LBB282_84
; %bb.83:                               ;   in Loop: Header=BB282_57 Depth=1
	v_div_scale_f64 v[8:9], s[18:19], v[0:1], v[0:1], v[2:3]
	v_rcp_f64_e32 v[10:11], v[8:9]
	v_div_scale_f64 v[24:25], vcc, v[2:3], v[0:1], v[2:3]
	v_fma_f64 v[26:27], -v[8:9], v[10:11], 1.0
	v_fmac_f64_e32 v[10:11], v[10:11], v[26:27]
	v_fma_f64 v[26:27], -v[8:9], v[10:11], 1.0
	v_fmac_f64_e32 v[10:11], v[10:11], v[26:27]
	v_mul_f64 v[26:27], v[24:25], v[10:11]
	v_fma_f64 v[8:9], -v[8:9], v[26:27], v[24:25]
	v_div_fmas_f64 v[8:9], v[8:9], v[10:11], v[26:27]
	v_div_fixup_f64 v[10:11], v[8:9], v[0:1], v[2:3]
	v_fmac_f64_e32 v[0:1], v[2:3], v[10:11]
	v_div_scale_f64 v[2:3], s[18:19], v[0:1], v[0:1], 1.0
	v_rcp_f64_e32 v[8:9], v[2:3]
	v_fma_f64 v[24:25], -v[2:3], v[8:9], 1.0
	v_fmac_f64_e32 v[8:9], v[8:9], v[24:25]
	v_fma_f64 v[24:25], -v[2:3], v[8:9], 1.0
	v_fmac_f64_e32 v[8:9], v[8:9], v[24:25]
	v_div_scale_f64 v[24:25], vcc, 1.0, v[0:1], 1.0
	v_mul_f64 v[26:27], v[24:25], v[8:9]
	v_fma_f64 v[2:3], -v[2:3], v[26:27], v[24:25]
                                        ; implicit-def: $vgpr24_vgpr25
	s_nop 1
	v_div_fmas_f64 v[2:3], v[2:3], v[8:9], v[26:27]
	v_div_fixup_f64 v[0:1], v[2:3], v[0:1], 1.0
	v_pk_mov_b32 v[2:3], s[12:13], s[12:13] op_sel:[0,1]
	v_fma_f64 v[2:3], s[14:15], v[10:11], v[2:3]
	v_mul_f64 v[8:9], v[2:3], v[0:1]
	v_pk_mov_b32 v[2:3], s[14:15], s[14:15] op_sel:[0,1]
	v_fma_f64 v[2:3], -s[12:13], v[10:11], v[2:3]
	v_mul_f64 v[10:11], v[2:3], v[0:1]
                                        ; implicit-def: $vgpr26_vgpr27
.LBB282_84:                             ;   in Loop: Header=BB282_57 Depth=1
	s_andn2_saveexec_b64 s[0:1], s[0:1]
	s_cbranch_execz .LBB282_86
; %bb.85:                               ;   in Loop: Header=BB282_57 Depth=1
	v_div_scale_f64 v[0:1], s[18:19], v[26:27], v[26:27], s[12:13]
	v_rcp_f64_e32 v[2:3], v[0:1]
	v_div_scale_f64 v[28:29], s[18:19], v[24:25], v[24:25], s[14:15]
	v_div_scale_f64 v[8:9], vcc, s[12:13], v[26:27], s[12:13]
	v_fma_f64 v[10:11], -v[0:1], v[2:3], 1.0
	v_fmac_f64_e32 v[2:3], v[2:3], v[10:11]
	v_fma_f64 v[10:11], -v[0:1], v[2:3], 1.0
	v_fmac_f64_e32 v[2:3], v[2:3], v[10:11]
	v_rcp_f64_e32 v[30:31], v[28:29]
	v_mul_f64 v[10:11], v[8:9], v[2:3]
	v_fma_f64 v[0:1], -v[0:1], v[10:11], v[8:9]
	v_div_fmas_f64 v[0:1], v[0:1], v[2:3], v[10:11]
	v_div_fixup_f64 v[8:9], v[0:1], v[26:27], s[12:13]
	v_fma_f64 v[0:1], -v[28:29], v[30:31], 1.0
	v_fmac_f64_e32 v[30:31], v[30:31], v[0:1]
	v_fma_f64 v[0:1], -v[28:29], v[30:31], 1.0
	v_fmac_f64_e32 v[30:31], v[30:31], v[0:1]
	v_div_scale_f64 v[0:1], vcc, s[14:15], v[24:25], s[14:15]
	v_mul_f64 v[2:3], v[0:1], v[30:31]
	v_fma_f64 v[0:1], -v[28:29], v[2:3], v[0:1]
	s_nop 1
	v_div_fmas_f64 v[0:1], v[0:1], v[30:31], v[2:3]
	v_div_fixup_f64 v[10:11], v[0:1], v[24:25], s[14:15]
.LBB282_86:                             ;   in Loop: Header=BB282_57 Depth=1
	s_or_b64 exec, exec, s[0:1]
                                        ; implicit-def: $vgpr2_vgpr3
.LBB282_87:                             ;   in Loop: Header=BB282_57 Depth=1
	s_andn2_saveexec_b64 s[0:1], s[6:7]
	s_cbranch_execz .LBB282_56
; %bb.88:                               ;   in Loop: Header=BB282_57 Depth=1
	v_div_scale_f64 v[8:9], s[6:7], v[2:3], v[2:3], v[0:1]
	v_rcp_f64_e32 v[10:11], v[8:9]
	v_div_scale_f64 v[24:25], vcc, v[0:1], v[2:3], v[0:1]
	v_fma_f64 v[26:27], -v[8:9], v[10:11], 1.0
	v_fmac_f64_e32 v[10:11], v[10:11], v[26:27]
	v_fma_f64 v[26:27], -v[8:9], v[10:11], 1.0
	v_fmac_f64_e32 v[10:11], v[10:11], v[26:27]
	v_mul_f64 v[26:27], v[24:25], v[10:11]
	v_fma_f64 v[8:9], -v[8:9], v[26:27], v[24:25]
	v_div_fmas_f64 v[8:9], v[8:9], v[10:11], v[26:27]
	v_div_fixup_f64 v[10:11], v[8:9], v[2:3], v[0:1]
	v_fmac_f64_e32 v[2:3], v[0:1], v[10:11]
	v_div_scale_f64 v[0:1], s[6:7], v[2:3], v[2:3], 1.0
	v_rcp_f64_e32 v[8:9], v[0:1]
	v_fma_f64 v[24:25], -v[0:1], v[8:9], 1.0
	v_fmac_f64_e32 v[8:9], v[8:9], v[24:25]
	v_fma_f64 v[24:25], -v[0:1], v[8:9], 1.0
	v_fmac_f64_e32 v[8:9], v[8:9], v[24:25]
	v_div_scale_f64 v[24:25], vcc, 1.0, v[2:3], 1.0
	v_mul_f64 v[26:27], v[24:25], v[8:9]
	v_fma_f64 v[0:1], -v[0:1], v[26:27], v[24:25]
	s_nop 1
	v_div_fmas_f64 v[0:1], v[0:1], v[8:9], v[26:27]
	v_div_fixup_f64 v[0:1], v[0:1], v[2:3], 1.0
	v_pk_mov_b32 v[2:3], s[14:15], s[14:15] op_sel:[0,1]
	v_fma_f64 v[2:3], s[12:13], v[10:11], v[2:3]
	v_mul_f64 v[8:9], v[2:3], v[0:1]
	v_pk_mov_b32 v[2:3], s[12:13], s[12:13] op_sel:[0,1]
	v_fma_f64 v[2:3], s[14:15], v[10:11], -v[2:3]
	v_mul_f64 v[10:11], v[2:3], v[0:1]
	s_branch .LBB282_56
.LBB282_89:
	s_endpgm
	.section	.rodata,"a",@progbits
	.p2align	6, 0x0
	.amdhsa_kernel _ZN2at6native12_GLOBAL__N_125multi_tensor_apply_kernelINS1_18TensorListMetadataILi1EEENS1_14UnaryOpFunctorIN3c107complexIdEELi1ELi1ELi0EEEJNS0_10ReciprocalIS8_EEEEEvT_T0_DpT1_
		.amdhsa_group_segment_fixed_size 0
		.amdhsa_private_segment_fixed_size 0
		.amdhsa_kernarg_size 3648
		.amdhsa_user_sgpr_count 6
		.amdhsa_user_sgpr_private_segment_buffer 1
		.amdhsa_user_sgpr_dispatch_ptr 0
		.amdhsa_user_sgpr_queue_ptr 0
		.amdhsa_user_sgpr_kernarg_segment_ptr 1
		.amdhsa_user_sgpr_dispatch_id 0
		.amdhsa_user_sgpr_flat_scratch_init 0
		.amdhsa_user_sgpr_kernarg_preload_length 0
		.amdhsa_user_sgpr_kernarg_preload_offset 0
		.amdhsa_user_sgpr_private_segment_size 0
		.amdhsa_uses_dynamic_stack 0
		.amdhsa_system_sgpr_private_segment_wavefront_offset 0
		.amdhsa_system_sgpr_workgroup_id_x 1
		.amdhsa_system_sgpr_workgroup_id_y 0
		.amdhsa_system_sgpr_workgroup_id_z 0
		.amdhsa_system_sgpr_workgroup_info 0
		.amdhsa_system_vgpr_workitem_id 0
		.amdhsa_next_free_vgpr 42
		.amdhsa_next_free_sgpr 36
		.amdhsa_accum_offset 44
		.amdhsa_reserve_vcc 1
		.amdhsa_reserve_flat_scratch 0
		.amdhsa_float_round_mode_32 0
		.amdhsa_float_round_mode_16_64 0
		.amdhsa_float_denorm_mode_32 3
		.amdhsa_float_denorm_mode_16_64 3
		.amdhsa_dx10_clamp 1
		.amdhsa_ieee_mode 1
		.amdhsa_fp16_overflow 0
		.amdhsa_tg_split 0
		.amdhsa_exception_fp_ieee_invalid_op 0
		.amdhsa_exception_fp_denorm_src 0
		.amdhsa_exception_fp_ieee_div_zero 0
		.amdhsa_exception_fp_ieee_overflow 0
		.amdhsa_exception_fp_ieee_underflow 0
		.amdhsa_exception_fp_ieee_inexact 0
		.amdhsa_exception_int_div_zero 0
	.end_amdhsa_kernel
	.section	.text._ZN2at6native12_GLOBAL__N_125multi_tensor_apply_kernelINS1_18TensorListMetadataILi1EEENS1_14UnaryOpFunctorIN3c107complexIdEELi1ELi1ELi0EEEJNS0_10ReciprocalIS8_EEEEEvT_T0_DpT1_,"axG",@progbits,_ZN2at6native12_GLOBAL__N_125multi_tensor_apply_kernelINS1_18TensorListMetadataILi1EEENS1_14UnaryOpFunctorIN3c107complexIdEELi1ELi1ELi0EEEJNS0_10ReciprocalIS8_EEEEEvT_T0_DpT1_,comdat
.Lfunc_end282:
	.size	_ZN2at6native12_GLOBAL__N_125multi_tensor_apply_kernelINS1_18TensorListMetadataILi1EEENS1_14UnaryOpFunctorIN3c107complexIdEELi1ELi1ELi0EEEJNS0_10ReciprocalIS8_EEEEEvT_T0_DpT1_, .Lfunc_end282-_ZN2at6native12_GLOBAL__N_125multi_tensor_apply_kernelINS1_18TensorListMetadataILi1EEENS1_14UnaryOpFunctorIN3c107complexIdEELi1ELi1ELi0EEEJNS0_10ReciprocalIS8_EEEEEvT_T0_DpT1_
                                        ; -- End function
	.section	.AMDGPU.csdata,"",@progbits
; Kernel info:
; codeLenInByte = 6540
; NumSgprs: 40
; NumVgprs: 42
; NumAgprs: 0
; TotalNumVgprs: 42
; ScratchSize: 0
; MemoryBound: 1
; FloatMode: 240
; IeeeMode: 1
; LDSByteSize: 0 bytes/workgroup (compile time only)
; SGPRBlocks: 4
; VGPRBlocks: 5
; NumSGPRsForWavesPerEU: 40
; NumVGPRsForWavesPerEU: 42
; AccumOffset: 44
; Occupancy: 8
; WaveLimiterHint : 0
; COMPUTE_PGM_RSRC2:SCRATCH_EN: 0
; COMPUTE_PGM_RSRC2:USER_SGPR: 6
; COMPUTE_PGM_RSRC2:TRAP_HANDLER: 0
; COMPUTE_PGM_RSRC2:TGID_X_EN: 1
; COMPUTE_PGM_RSRC2:TGID_Y_EN: 0
; COMPUTE_PGM_RSRC2:TGID_Z_EN: 0
; COMPUTE_PGM_RSRC2:TIDIG_COMP_CNT: 0
; COMPUTE_PGM_RSRC3_GFX90A:ACCUM_OFFSET: 10
; COMPUTE_PGM_RSRC3_GFX90A:TG_SPLIT: 0
	.section	.text._ZN2at6native12_GLOBAL__N_125multi_tensor_apply_kernelINS1_18TensorListMetadataILi1EEENS1_14UnaryOpFunctorIN3c107complexIfEELi1ELi1ELi0EEEJNS0_10ReciprocalIS8_EEEEEvT_T0_DpT1_,"axG",@progbits,_ZN2at6native12_GLOBAL__N_125multi_tensor_apply_kernelINS1_18TensorListMetadataILi1EEENS1_14UnaryOpFunctorIN3c107complexIfEELi1ELi1ELi0EEEJNS0_10ReciprocalIS8_EEEEEvT_T0_DpT1_,comdat
	.globl	_ZN2at6native12_GLOBAL__N_125multi_tensor_apply_kernelINS1_18TensorListMetadataILi1EEENS1_14UnaryOpFunctorIN3c107complexIfEELi1ELi1ELi0EEEJNS0_10ReciprocalIS8_EEEEEvT_T0_DpT1_ ; -- Begin function _ZN2at6native12_GLOBAL__N_125multi_tensor_apply_kernelINS1_18TensorListMetadataILi1EEENS1_14UnaryOpFunctorIN3c107complexIfEELi1ELi1ELi0EEEJNS0_10ReciprocalIS8_EEEEEvT_T0_DpT1_
	.p2align	8
	.type	_ZN2at6native12_GLOBAL__N_125multi_tensor_apply_kernelINS1_18TensorListMetadataILi1EEENS1_14UnaryOpFunctorIN3c107complexIfEELi1ELi1ELi0EEEJNS0_10ReciprocalIS8_EEEEEvT_T0_DpT1_,@function
_ZN2at6native12_GLOBAL__N_125multi_tensor_apply_kernelINS1_18TensorListMetadataILi1EEENS1_14UnaryOpFunctorIN3c107complexIfEELi1ELi1ELi0EEEJNS0_10ReciprocalIS8_EEEEEvT_T0_DpT1_: ; @_ZN2at6native12_GLOBAL__N_125multi_tensor_apply_kernelINS1_18TensorListMetadataILi1EEENS1_14UnaryOpFunctorIN3c107complexIfEELi1ELi1ELi0EEEJNS0_10ReciprocalIS8_EEEEEvT_T0_DpT1_
; %bb.0:
	v_mov_b32_e32 v1, s6
	global_load_ubyte v1, v1, s[4:5] offset:1760
	s_add_u32 s0, s4, s6
	s_mul_hi_u32 s1, s6, 3
	s_mul_i32 s6, s6, 3
	s_addc_u32 s2, s5, 0
	s_add_u32 s0, s0, s6
	s_addc_u32 s1, s2, s1
	s_load_dword s0, s[0:1], 0x820
	s_mov_b32 s7, 0
	s_waitcnt vmcnt(0)
	v_readfirstlane_b32 s1, v1
	s_lshl_b32 s1, s1, 3
	s_load_dwordx2 s[12:13], s[4:5], 0xd30
	s_load_dwordx2 s[2:3], s[4:5], s1 offset:0x370
	s_load_dwordx2 s[16:17], s[4:5], s1 offset:0x0
	s_waitcnt lgkmcnt(0)
	s_ashr_i32 s1, s0, 31
	s_lshl_b64 s[18:19], s[0:1], 19
	s_lshl_b64 s[0:1], s[0:1], 16
	s_and_b32 s6, s16, 31
	s_sub_u32 s14, s2, s0
	s_subb_u32 s15, s3, s1
	s_and_b32 s0, s2, 3
	s_mov_b32 s1, s7
	s_or_b64 s[0:1], s[6:7], s[0:1]
	s_cmp_eq_u64 s[0:1], 0
	s_cbranch_scc1 .LBB283_53
; %bb.1:
	v_cmp_lt_i64_e64 s[0:1], s[14:15], 1
	s_and_b64 vcc, exec, s[0:1]
	s_cbranch_vccnz .LBB283_52
; %bb.2:
	s_load_dword s0, s[4:5], 0xd44
	v_mov_b32_e32 v2, 0x10000
	v_mov_b32_e32 v3, 0
	v_cmp_lt_u64_e32 vcc, s[14:15], v[2:3]
	v_lshlrev_b32_e32 v1, 3, v0
	s_waitcnt lgkmcnt(0)
	s_and_b32 s2, s0, 0xffff
	s_and_b64 s[0:1], vcc, exec
	s_cselect_b32 s21, s15, 0
	s_cselect_b32 s20, s14, 0x10000
	s_lshl_b32 s3, s2, 1
	s_lshl_b32 s29, s2, 2
	s_add_u32 s6, s16, s18
	s_addc_u32 s7, s17, s19
	v_mov_b32_e32 v3, s7
	v_add_co_u32_e32 v2, vcc, s6, v1
	s_mul_i32 s0, s2, 3
	v_addc_co_u32_e32 v3, vcc, 0, v3, vcc
	v_add_co_u32_e32 v1, vcc, s0, v0
	v_addc_co_u32_e64 v16, s[0:1], 0, 0, vcc
	v_add_co_u32_e32 v17, vcc, s3, v0
	v_addc_co_u32_e64 v18, s[0:1], 0, 0, vcc
	v_add_co_u32_e32 v19, vcc, s2, v0
	v_lshlrev_b32_e32 v4, 3, v19
	s_mov_b32 s28, 0
	v_addc_co_u32_e64 v20, s[0:1], 0, 0, vcc
	v_mov_b32_e32 v5, s7
	v_add_co_u32_e32 v4, vcc, s6, v4
	s_mov_b32 s22, s13
	s_mov_b32 s23, s12
	s_lshl_b32 s30, s2, 5
	s_mul_i32 s31, s2, 24
	s_mov_b32 s33, s28
	s_lshl_b32 s34, s2, 4
	s_mov_b32 s35, s28
	v_addc_co_u32_e32 v5, vcc, 0, v5, vcc
	s_mov_b64 s[24:25], 0
	s_branch .LBB283_4
.LBB283_3:                              ;   in Loop: Header=BB283_4 Depth=1
	s_or_b64 exec, exec, s[0:1]
	s_add_u32 s24, s24, s29
	s_addc_u32 s25, s25, 0
	v_pk_mov_b32 v[6:7], s[14:15], s[14:15] op_sel:[0,1]
	v_cmp_ge_i64_e32 vcc, s[24:25], v[6:7]
	v_mov_b32_e32 v6, 0xffff
	v_mov_b32_e32 v7, 0
	v_cmp_gt_u64_e64 s[0:1], s[24:25], v[6:7]
	s_or_b64 s[0:1], vcc, s[0:1]
	v_mov_b32_e32 v6, s28
	v_add_co_u32_e32 v2, vcc, s30, v2
	v_addc_co_u32_e32 v3, vcc, v3, v6, vcc
	v_add_co_u32_e32 v4, vcc, s30, v4
	v_addc_co_u32_e32 v5, vcc, v5, v6, vcc
	s_and_b64 vcc, exec, s[0:1]
	s_cbranch_vccnz .LBB283_52
.LBB283_4:                              ; =>This Inner Loop Header: Depth=1
	v_mov_b32_e32 v7, s25
	v_add_co_u32_e32 v6, vcc, s24, v0
	v_addc_co_u32_e32 v7, vcc, 0, v7, vcc
	v_cmp_gt_u64_e64 s[0:1], s[20:21], v[6:7]
	v_mov_b32_e32 v12, 0
	v_mov_b32_e32 v13, 0
	s_and_saveexec_b64 s[2:3], s[0:1]
	s_cbranch_execz .LBB283_6
; %bb.5:                                ;   in Loop: Header=BB283_4 Depth=1
	global_load_dwordx2 v[12:13], v[2:3], off
.LBB283_6:                              ;   in Loop: Header=BB283_4 Depth=1
	s_or_b64 exec, exec, s[2:3]
	v_mov_b32_e32 v7, s25
	v_add_co_u32_e32 v6, vcc, s24, v19
	v_addc_co_u32_e32 v7, vcc, v20, v7, vcc
	v_cmp_gt_u64_e64 s[2:3], s[20:21], v[6:7]
	v_mov_b32_e32 v10, 0
	v_mov_b32_e32 v14, 0
	;; [unrolled: 1-line block ×3, first 2 shown]
	s_and_saveexec_b64 s[6:7], s[2:3]
	s_cbranch_execz .LBB283_8
; %bb.7:                                ;   in Loop: Header=BB283_4 Depth=1
	global_load_dwordx2 v[14:15], v[4:5], off
.LBB283_8:                              ;   in Loop: Header=BB283_4 Depth=1
	s_or_b64 exec, exec, s[6:7]
	v_mov_b32_e32 v7, s25
	v_add_co_u32_e32 v6, vcc, s24, v17
	v_addc_co_u32_e32 v7, vcc, v18, v7, vcc
	v_cmp_gt_u64_e64 s[6:7], s[20:21], v[6:7]
	v_mov_b32_e32 v11, 0
	s_and_saveexec_b64 s[8:9], s[6:7]
	s_cbranch_execz .LBB283_10
; %bb.9:                                ;   in Loop: Header=BB283_4 Depth=1
	v_mov_b32_e32 v7, s35
	v_add_co_u32_e32 v6, vcc, s34, v2
	v_addc_co_u32_e32 v7, vcc, v3, v7, vcc
	global_load_dwordx2 v[10:11], v[6:7], off
.LBB283_10:                             ;   in Loop: Header=BB283_4 Depth=1
	s_or_b64 exec, exec, s[8:9]
	v_mov_b32_e32 v7, s25
	v_add_co_u32_e32 v6, vcc, s24, v1
	v_addc_co_u32_e32 v7, vcc, v16, v7, vcc
	v_cmp_gt_u64_e64 s[8:9], s[20:21], v[6:7]
	v_mov_b32_e32 v6, 0
	v_mov_b32_e32 v7, 0
	s_and_saveexec_b64 s[10:11], s[8:9]
	s_cbranch_execz .LBB283_12
; %bb.11:                               ;   in Loop: Header=BB283_4 Depth=1
	v_mov_b32_e32 v7, s33
	v_add_co_u32_e32 v6, vcc, s31, v2
	v_addc_co_u32_e32 v7, vcc, v3, v7, vcc
	global_load_dwordx2 v[6:7], v[6:7], off
.LBB283_12:                             ;   in Loop: Header=BB283_4 Depth=1
	s_or_b64 exec, exec, s[10:11]
	s_waitcnt vmcnt(0)
	v_cmp_gt_f32_e32 vcc, 0, v13
	v_cndmask_b32_e64 v22, v13, -v13, vcc
	v_cmp_gt_f32_e32 vcc, 0, v12
	v_cndmask_b32_e64 v21, v12, -v12, vcc
	v_cmp_ge_f32_e32 vcc, v21, v22
                                        ; implicit-def: $vgpr8_vgpr9
	s_and_saveexec_b64 s[10:11], vcc
	s_xor_b64 s[26:27], exec, s[10:11]
	s_cbranch_execz .LBB283_18
; %bb.13:                               ;   in Loop: Header=BB283_4 Depth=1
	v_cmp_neq_f32_e32 vcc, 0, v12
	v_cmp_neq_f32_e64 s[10:11], 0, v13
	s_or_b64 s[10:11], s[10:11], vcc
                                        ; implicit-def: $vgpr8_vgpr9
	s_and_saveexec_b64 s[36:37], s[10:11]
	s_xor_b64 s[10:11], exec, s[36:37]
	s_cbranch_execz .LBB283_15
; %bb.14:                               ;   in Loop: Header=BB283_4 Depth=1
	v_div_scale_f32 v8, s[36:37], v12, v12, v13
	v_rcp_f32_e32 v9, v8
	v_div_scale_f32 v21, vcc, v13, v12, v13
	v_fma_f32 v22, -v8, v9, 1.0
	v_fmac_f32_e32 v9, v22, v9
	v_mul_f32_e32 v22, v21, v9
	v_fma_f32 v23, -v8, v22, v21
	v_fmac_f32_e32 v22, v23, v9
	v_fma_f32 v8, -v8, v22, v21
	v_div_fmas_f32 v8, v8, v9, v22
	v_div_fixup_f32 v8, v8, v12, v13
	v_fmac_f32_e32 v12, v13, v8
	v_div_scale_f32 v9, s[36:37], v12, v12, 1.0
	v_rcp_f32_e32 v13, v9
	v_fma_f32 v21, -v9, v13, 1.0
	v_fmac_f32_e32 v13, v21, v13
	v_div_scale_f32 v21, vcc, 1.0, v12, 1.0
	v_mul_f32_e32 v22, v21, v13
	v_fma_f32 v23, -v9, v22, v21
	v_fmac_f32_e32 v22, v23, v13
	v_fma_f32 v9, -v9, v22, v21
	v_div_fmas_f32 v9, v9, v13, v22
	v_div_fixup_f32 v12, v9, v12, 1.0
	v_pk_mul_f32 v[8:9], v[8:9], s[12:13] op_sel_hi:[0,1]
	v_pk_add_f32 v[22:23], v[8:9], s[12:13] op_sel:[1,0] op_sel_hi:[0,1]
	v_pk_add_f32 v[8:9], s[12:13], v[8:9] op_sel:[0,1] op_sel_hi:[1,0] neg_lo:[0,1] neg_hi:[0,1]
	v_mov_b32_e32 v23, v9
	v_pk_mul_f32 v[8:9], v[22:23], v[12:13] op_sel_hi:[1,0]
                                        ; implicit-def: $vgpr22
                                        ; implicit-def: $vgpr21
.LBB283_15:                             ;   in Loop: Header=BB283_4 Depth=1
	s_andn2_saveexec_b64 s[10:11], s[10:11]
	s_cbranch_execz .LBB283_17
; %bb.16:                               ;   in Loop: Header=BB283_4 Depth=1
	v_div_scale_f32 v8, s[36:37], v22, v22, s13
	v_rcp_f32_e32 v9, v8
	v_div_scale_f32 v12, vcc, s13, v22, s13
	v_fma_f32 v13, -v8, v9, 1.0
	v_fmac_f32_e32 v9, v13, v9
	v_mul_f32_e32 v13, v12, v9
	v_fma_f32 v23, -v8, v13, v12
	v_fmac_f32_e32 v13, v23, v9
	v_fma_f32 v8, -v8, v13, v12
	v_div_scale_f32 v12, s[36:37], v21, v21, s12
	v_rcp_f32_e32 v23, v12
	v_div_fmas_f32 v8, v8, v9, v13
	v_div_fixup_f32 v9, v8, v22, s13
	v_fma_f32 v8, -v12, v23, 1.0
	v_fmac_f32_e32 v23, v8, v23
	v_div_scale_f32 v8, vcc, s12, v21, s12
	v_mul_f32_e32 v13, v8, v23
	v_fma_f32 v22, -v12, v13, v8
	v_fmac_f32_e32 v13, v22, v23
	v_fma_f32 v8, -v12, v13, v8
	v_div_fmas_f32 v8, v8, v23, v13
	v_div_fixup_f32 v8, v8, v21, s12
.LBB283_17:                             ;   in Loop: Header=BB283_4 Depth=1
	s_or_b64 exec, exec, s[10:11]
                                        ; implicit-def: $vgpr13
.LBB283_18:                             ;   in Loop: Header=BB283_4 Depth=1
	s_andn2_saveexec_b64 s[10:11], s[26:27]
	s_cbranch_execz .LBB283_20
; %bb.19:                               ;   in Loop: Header=BB283_4 Depth=1
	v_div_scale_f32 v8, s[26:27], v13, v13, v12
	v_rcp_f32_e32 v9, v8
	v_div_scale_f32 v21, vcc, v12, v13, v12
	v_fma_f32 v22, -v8, v9, 1.0
	v_fmac_f32_e32 v9, v22, v9
	v_mul_f32_e32 v22, v21, v9
	v_fma_f32 v23, -v8, v22, v21
	v_fmac_f32_e32 v22, v23, v9
	v_fma_f32 v8, -v8, v22, v21
	v_div_fmas_f32 v8, v8, v9, v22
	v_div_fixup_f32 v8, v8, v13, v12
	v_fmac_f32_e32 v13, v12, v8
	v_div_scale_f32 v9, s[26:27], v13, v13, 1.0
	v_rcp_f32_e32 v12, v9
	v_fma_f32 v21, -v9, v12, 1.0
	v_fmac_f32_e32 v12, v21, v12
	v_div_scale_f32 v21, vcc, 1.0, v13, 1.0
	v_mul_f32_e32 v22, v21, v12
	v_fma_f32 v23, -v9, v22, v21
	v_fmac_f32_e32 v22, v23, v12
	v_fma_f32 v9, -v9, v22, v21
	v_div_fmas_f32 v9, v9, v12, v22
	v_pk_mov_b32 v[22:23], s[22:23], s[22:23] op_sel:[0,1]
	v_div_fixup_f32 v12, v9, v13, 1.0
	v_pk_fma_f32 v[24:25], v[8:9], s[12:13], v[22:23]
	v_pk_fma_f32 v[8:9], v[8:9], s[12:13], v[22:23] op_sel_hi:[0,1,1] neg_lo:[0,0,1] neg_hi:[0,0,1]
	v_mov_b32_e32 v25, v9
	v_pk_mul_f32 v[8:9], v[24:25], v[12:13] op_sel_hi:[1,0]
.LBB283_20:                             ;   in Loop: Header=BB283_4 Depth=1
	s_or_b64 exec, exec, s[10:11]
	v_cmp_gt_f32_e32 vcc, 0, v15
	v_cndmask_b32_e64 v22, v15, -v15, vcc
	v_cmp_gt_f32_e32 vcc, 0, v14
	v_cndmask_b32_e64 v21, v14, -v14, vcc
	v_cmp_ge_f32_e32 vcc, v21, v22
                                        ; implicit-def: $vgpr12_vgpr13
	s_and_saveexec_b64 s[10:11], vcc
	s_xor_b64 s[26:27], exec, s[10:11]
	s_cbranch_execz .LBB283_26
; %bb.21:                               ;   in Loop: Header=BB283_4 Depth=1
	v_cmp_neq_f32_e32 vcc, 0, v14
	v_cmp_neq_f32_e64 s[10:11], 0, v15
	s_or_b64 s[10:11], s[10:11], vcc
                                        ; implicit-def: $vgpr12_vgpr13
	s_and_saveexec_b64 s[36:37], s[10:11]
	s_xor_b64 s[10:11], exec, s[36:37]
	s_cbranch_execz .LBB283_23
; %bb.22:                               ;   in Loop: Header=BB283_4 Depth=1
	v_div_scale_f32 v12, s[36:37], v14, v14, v15
	v_rcp_f32_e32 v13, v12
	v_div_scale_f32 v21, vcc, v15, v14, v15
	v_fma_f32 v22, -v12, v13, 1.0
	v_fmac_f32_e32 v13, v22, v13
	v_mul_f32_e32 v22, v21, v13
	v_fma_f32 v23, -v12, v22, v21
	v_fmac_f32_e32 v22, v23, v13
	v_fma_f32 v12, -v12, v22, v21
	v_div_fmas_f32 v12, v12, v13, v22
	v_div_fixup_f32 v12, v12, v14, v15
	v_fmac_f32_e32 v14, v15, v12
	v_div_scale_f32 v13, s[36:37], v14, v14, 1.0
	v_rcp_f32_e32 v15, v13
	v_fma_f32 v21, -v13, v15, 1.0
	v_fmac_f32_e32 v15, v21, v15
	v_div_scale_f32 v21, vcc, 1.0, v14, 1.0
	v_mul_f32_e32 v22, v21, v15
	v_fma_f32 v23, -v13, v22, v21
	v_fmac_f32_e32 v22, v23, v15
	v_fma_f32 v13, -v13, v22, v21
	v_div_fmas_f32 v13, v13, v15, v22
	v_div_fixup_f32 v14, v13, v14, 1.0
	v_pk_mul_f32 v[12:13], v[12:13], s[12:13] op_sel_hi:[0,1]
	v_pk_add_f32 v[22:23], v[12:13], s[12:13] op_sel:[1,0] op_sel_hi:[0,1]
	v_pk_add_f32 v[12:13], s[12:13], v[12:13] op_sel:[0,1] op_sel_hi:[1,0] neg_lo:[0,1] neg_hi:[0,1]
	v_mov_b32_e32 v23, v13
	v_pk_mul_f32 v[12:13], v[22:23], v[14:15] op_sel_hi:[1,0]
                                        ; implicit-def: $vgpr22
                                        ; implicit-def: $vgpr21
.LBB283_23:                             ;   in Loop: Header=BB283_4 Depth=1
	s_andn2_saveexec_b64 s[10:11], s[10:11]
	s_cbranch_execz .LBB283_25
; %bb.24:                               ;   in Loop: Header=BB283_4 Depth=1
	v_div_scale_f32 v12, s[36:37], v22, v22, s13
	v_rcp_f32_e32 v13, v12
	v_div_scale_f32 v14, vcc, s13, v22, s13
	v_fma_f32 v15, -v12, v13, 1.0
	v_fmac_f32_e32 v13, v15, v13
	v_mul_f32_e32 v15, v14, v13
	v_fma_f32 v23, -v12, v15, v14
	v_fmac_f32_e32 v15, v23, v13
	v_fma_f32 v12, -v12, v15, v14
	v_div_scale_f32 v14, s[36:37], v21, v21, s12
	v_rcp_f32_e32 v23, v14
	v_div_fmas_f32 v12, v12, v13, v15
	v_div_fixup_f32 v13, v12, v22, s13
	v_fma_f32 v12, -v14, v23, 1.0
	v_fmac_f32_e32 v23, v12, v23
	v_div_scale_f32 v12, vcc, s12, v21, s12
	v_mul_f32_e32 v15, v12, v23
	v_fma_f32 v22, -v14, v15, v12
	v_fmac_f32_e32 v15, v22, v23
	v_fma_f32 v12, -v14, v15, v12
	v_div_fmas_f32 v12, v12, v23, v15
	v_div_fixup_f32 v12, v12, v21, s12
.LBB283_25:                             ;   in Loop: Header=BB283_4 Depth=1
	s_or_b64 exec, exec, s[10:11]
                                        ; implicit-def: $vgpr15
.LBB283_26:                             ;   in Loop: Header=BB283_4 Depth=1
	s_andn2_saveexec_b64 s[10:11], s[26:27]
	s_cbranch_execz .LBB283_28
; %bb.27:                               ;   in Loop: Header=BB283_4 Depth=1
	v_div_scale_f32 v12, s[26:27], v15, v15, v14
	v_rcp_f32_e32 v13, v12
	v_div_scale_f32 v21, vcc, v14, v15, v14
	v_fma_f32 v22, -v12, v13, 1.0
	v_fmac_f32_e32 v13, v22, v13
	v_mul_f32_e32 v22, v21, v13
	v_fma_f32 v23, -v12, v22, v21
	v_fmac_f32_e32 v22, v23, v13
	v_fma_f32 v12, -v12, v22, v21
	v_div_fmas_f32 v12, v12, v13, v22
	v_div_fixup_f32 v12, v12, v15, v14
	v_fmac_f32_e32 v15, v14, v12
	v_div_scale_f32 v13, s[26:27], v15, v15, 1.0
	v_rcp_f32_e32 v14, v13
	v_fma_f32 v21, -v13, v14, 1.0
	v_fmac_f32_e32 v14, v21, v14
	v_div_scale_f32 v21, vcc, 1.0, v15, 1.0
	v_mul_f32_e32 v22, v21, v14
	v_fma_f32 v23, -v13, v22, v21
	v_fmac_f32_e32 v22, v23, v14
	v_fma_f32 v13, -v13, v22, v21
	v_div_fmas_f32 v13, v13, v14, v22
	v_pk_mov_b32 v[22:23], s[22:23], s[22:23] op_sel:[0,1]
	v_div_fixup_f32 v14, v13, v15, 1.0
	v_pk_fma_f32 v[24:25], v[12:13], s[12:13], v[22:23]
	v_pk_fma_f32 v[12:13], v[12:13], s[12:13], v[22:23] op_sel_hi:[0,1,1] neg_lo:[0,0,1] neg_hi:[0,0,1]
	v_mov_b32_e32 v25, v13
	v_pk_mul_f32 v[12:13], v[24:25], v[14:15] op_sel_hi:[1,0]
.LBB283_28:                             ;   in Loop: Header=BB283_4 Depth=1
	s_or_b64 exec, exec, s[10:11]
	v_cmp_gt_f32_e32 vcc, 0, v11
	v_cndmask_b32_e64 v22, v11, -v11, vcc
	v_cmp_gt_f32_e32 vcc, 0, v10
	v_cndmask_b32_e64 v21, v10, -v10, vcc
	v_cmp_ge_f32_e32 vcc, v21, v22
                                        ; implicit-def: $vgpr14_vgpr15
	s_and_saveexec_b64 s[10:11], vcc
	s_xor_b64 s[26:27], exec, s[10:11]
	s_cbranch_execz .LBB283_34
; %bb.29:                               ;   in Loop: Header=BB283_4 Depth=1
	v_cmp_neq_f32_e32 vcc, 0, v10
	v_cmp_neq_f32_e64 s[10:11], 0, v11
	s_or_b64 s[10:11], s[10:11], vcc
                                        ; implicit-def: $vgpr14_vgpr15
	s_and_saveexec_b64 s[36:37], s[10:11]
	s_xor_b64 s[10:11], exec, s[36:37]
	s_cbranch_execz .LBB283_31
; %bb.30:                               ;   in Loop: Header=BB283_4 Depth=1
	v_div_scale_f32 v14, s[36:37], v10, v10, v11
	v_rcp_f32_e32 v15, v14
	v_div_scale_f32 v21, vcc, v11, v10, v11
	v_fma_f32 v22, -v14, v15, 1.0
	v_fmac_f32_e32 v15, v22, v15
	v_mul_f32_e32 v22, v21, v15
	v_fma_f32 v23, -v14, v22, v21
	v_fmac_f32_e32 v22, v23, v15
	v_fma_f32 v14, -v14, v22, v21
	v_div_fmas_f32 v14, v14, v15, v22
	v_div_fixup_f32 v14, v14, v10, v11
	v_fmac_f32_e32 v10, v11, v14
	v_div_scale_f32 v11, s[36:37], v10, v10, 1.0
	v_rcp_f32_e32 v15, v11
	v_fma_f32 v21, -v11, v15, 1.0
	v_fmac_f32_e32 v15, v21, v15
	v_div_scale_f32 v21, vcc, 1.0, v10, 1.0
	v_mul_f32_e32 v22, v21, v15
	v_fma_f32 v23, -v11, v22, v21
	v_fmac_f32_e32 v22, v23, v15
	v_fma_f32 v11, -v11, v22, v21
	v_div_fmas_f32 v11, v11, v15, v22
	v_pk_mul_f32 v[14:15], v[14:15], s[12:13] op_sel_hi:[0,1]
	v_pk_add_f32 v[22:23], v[14:15], s[12:13] op_sel:[1,0] op_sel_hi:[0,1]
	v_pk_add_f32 v[14:15], s[12:13], v[14:15] op_sel:[0,1] op_sel_hi:[1,0] neg_lo:[0,1] neg_hi:[0,1]
	v_div_fixup_f32 v10, v11, v10, 1.0
	v_mov_b32_e32 v23, v15
	v_pk_mul_f32 v[14:15], v[22:23], v[10:11] op_sel_hi:[1,0]
                                        ; implicit-def: $vgpr22
                                        ; implicit-def: $vgpr21
.LBB283_31:                             ;   in Loop: Header=BB283_4 Depth=1
	s_andn2_saveexec_b64 s[10:11], s[10:11]
	s_cbranch_execz .LBB283_33
; %bb.32:                               ;   in Loop: Header=BB283_4 Depth=1
	v_div_scale_f32 v10, s[36:37], v22, v22, s13
	v_rcp_f32_e32 v11, v10
	v_div_scale_f32 v14, vcc, s13, v22, s13
	v_fma_f32 v15, -v10, v11, 1.0
	v_fmac_f32_e32 v11, v15, v11
	v_mul_f32_e32 v15, v14, v11
	v_fma_f32 v23, -v10, v15, v14
	v_fmac_f32_e32 v15, v23, v11
	v_fma_f32 v10, -v10, v15, v14
	v_div_scale_f32 v14, s[36:37], v21, v21, s12
	v_rcp_f32_e32 v23, v14
	v_div_fmas_f32 v10, v10, v11, v15
	v_div_fixup_f32 v15, v10, v22, s13
	v_fma_f32 v10, -v14, v23, 1.0
	v_fmac_f32_e32 v23, v10, v23
	v_div_scale_f32 v10, vcc, s12, v21, s12
	v_mul_f32_e32 v11, v10, v23
	v_fma_f32 v22, -v14, v11, v10
	v_fmac_f32_e32 v11, v22, v23
	v_fma_f32 v10, -v14, v11, v10
	v_div_fmas_f32 v10, v10, v23, v11
	v_div_fixup_f32 v14, v10, v21, s12
.LBB283_33:                             ;   in Loop: Header=BB283_4 Depth=1
	s_or_b64 exec, exec, s[10:11]
                                        ; implicit-def: $vgpr11
.LBB283_34:                             ;   in Loop: Header=BB283_4 Depth=1
	s_andn2_saveexec_b64 s[10:11], s[26:27]
	s_cbranch_execz .LBB283_36
; %bb.35:                               ;   in Loop: Header=BB283_4 Depth=1
	v_div_scale_f32 v14, s[26:27], v11, v11, v10
	v_rcp_f32_e32 v15, v14
	v_div_scale_f32 v21, vcc, v10, v11, v10
	v_fma_f32 v22, -v14, v15, 1.0
	v_fmac_f32_e32 v15, v22, v15
	v_mul_f32_e32 v22, v21, v15
	v_fma_f32 v23, -v14, v22, v21
	v_fmac_f32_e32 v22, v23, v15
	v_fma_f32 v14, -v14, v22, v21
	v_div_fmas_f32 v14, v14, v15, v22
	v_div_fixup_f32 v14, v14, v11, v10
	v_fmac_f32_e32 v11, v10, v14
	v_div_scale_f32 v10, s[26:27], v11, v11, 1.0
	v_rcp_f32_e32 v15, v10
	v_fma_f32 v21, -v10, v15, 1.0
	v_fmac_f32_e32 v15, v21, v15
	v_div_scale_f32 v21, vcc, 1.0, v11, 1.0
	v_mul_f32_e32 v22, v21, v15
	v_fma_f32 v23, -v10, v22, v21
	v_fmac_f32_e32 v22, v23, v15
	v_fma_f32 v10, -v10, v22, v21
	v_div_fmas_f32 v10, v10, v15, v22
	v_pk_mov_b32 v[22:23], s[22:23], s[22:23] op_sel:[0,1]
	v_pk_fma_f32 v[24:25], v[14:15], s[12:13], v[22:23]
	v_pk_fma_f32 v[14:15], v[14:15], s[12:13], v[22:23] op_sel_hi:[0,1,1] neg_lo:[0,0,1] neg_hi:[0,0,1]
	v_div_fixup_f32 v10, v10, v11, 1.0
	v_mov_b32_e32 v25, v15
	v_pk_mul_f32 v[14:15], v[24:25], v[10:11] op_sel_hi:[1,0]
.LBB283_36:                             ;   in Loop: Header=BB283_4 Depth=1
	s_or_b64 exec, exec, s[10:11]
	v_cmp_gt_f32_e32 vcc, 0, v7
	v_cndmask_b32_e64 v22, v7, -v7, vcc
	v_cmp_gt_f32_e32 vcc, 0, v6
	v_cndmask_b32_e64 v21, v6, -v6, vcc
	v_cmp_ge_f32_e32 vcc, v21, v22
                                        ; implicit-def: $vgpr10_vgpr11
	s_and_saveexec_b64 s[10:11], vcc
	s_xor_b64 s[26:27], exec, s[10:11]
	s_cbranch_execnz .LBB283_42
; %bb.37:                               ;   in Loop: Header=BB283_4 Depth=1
	s_andn2_saveexec_b64 s[10:11], s[26:27]
	s_cbranch_execnz .LBB283_47
.LBB283_38:                             ;   in Loop: Header=BB283_4 Depth=1
	s_or_b64 exec, exec, s[10:11]
	s_and_saveexec_b64 s[10:11], s[0:1]
	s_xor_b64 s[0:1], exec, s[10:11]
	s_cbranch_execnz .LBB283_48
.LBB283_39:                             ;   in Loop: Header=BB283_4 Depth=1
	s_or_b64 exec, exec, s[0:1]
	s_and_saveexec_b64 s[0:1], s[2:3]
	s_cbranch_execnz .LBB283_49
.LBB283_40:                             ;   in Loop: Header=BB283_4 Depth=1
	s_or_b64 exec, exec, s[0:1]
	s_and_saveexec_b64 s[0:1], s[6:7]
	s_cbranch_execnz .LBB283_50
.LBB283_41:                             ;   in Loop: Header=BB283_4 Depth=1
	s_or_b64 exec, exec, s[0:1]
	s_and_saveexec_b64 s[0:1], s[8:9]
	s_cbranch_execz .LBB283_3
	s_branch .LBB283_51
.LBB283_42:                             ;   in Loop: Header=BB283_4 Depth=1
	v_cmp_neq_f32_e32 vcc, 0, v6
	v_cmp_neq_f32_e64 s[10:11], 0, v7
	s_or_b64 s[10:11], s[10:11], vcc
                                        ; implicit-def: $vgpr10_vgpr11
	s_and_saveexec_b64 s[36:37], s[10:11]
	s_xor_b64 s[10:11], exec, s[36:37]
	s_cbranch_execz .LBB283_44
; %bb.43:                               ;   in Loop: Header=BB283_4 Depth=1
	v_div_scale_f32 v10, s[36:37], v6, v6, v7
	v_rcp_f32_e32 v11, v10
	v_div_scale_f32 v21, vcc, v7, v6, v7
	v_fma_f32 v22, -v10, v11, 1.0
	v_fmac_f32_e32 v11, v22, v11
	v_mul_f32_e32 v22, v21, v11
	v_fma_f32 v23, -v10, v22, v21
	v_fmac_f32_e32 v22, v23, v11
	v_fma_f32 v10, -v10, v22, v21
	v_div_fmas_f32 v10, v10, v11, v22
	v_div_fixup_f32 v10, v10, v6, v7
	v_fmac_f32_e32 v6, v7, v10
	v_div_scale_f32 v7, s[36:37], v6, v6, 1.0
	v_rcp_f32_e32 v11, v7
	v_fma_f32 v21, -v7, v11, 1.0
	v_fmac_f32_e32 v11, v21, v11
	v_div_scale_f32 v21, vcc, 1.0, v6, 1.0
	v_mul_f32_e32 v22, v21, v11
	v_fma_f32 v23, -v7, v22, v21
	v_fmac_f32_e32 v22, v23, v11
	v_fma_f32 v7, -v7, v22, v21
	v_div_fmas_f32 v7, v7, v11, v22
	v_pk_mul_f32 v[10:11], v[10:11], s[12:13] op_sel_hi:[0,1]
	v_pk_add_f32 v[22:23], v[10:11], s[12:13] op_sel:[1,0] op_sel_hi:[0,1]
	v_pk_add_f32 v[10:11], s[12:13], v[10:11] op_sel:[0,1] op_sel_hi:[1,0] neg_lo:[0,1] neg_hi:[0,1]
	v_div_fixup_f32 v6, v7, v6, 1.0
	v_mov_b32_e32 v23, v11
	v_pk_mul_f32 v[10:11], v[22:23], v[6:7] op_sel_hi:[1,0]
                                        ; implicit-def: $vgpr22
                                        ; implicit-def: $vgpr21
.LBB283_44:                             ;   in Loop: Header=BB283_4 Depth=1
	s_andn2_saveexec_b64 s[10:11], s[10:11]
	s_cbranch_execz .LBB283_46
; %bb.45:                               ;   in Loop: Header=BB283_4 Depth=1
	v_div_scale_f32 v6, s[36:37], v22, v22, s13
	v_rcp_f32_e32 v7, v6
	v_div_scale_f32 v10, vcc, s13, v22, s13
	v_fma_f32 v11, -v6, v7, 1.0
	v_fmac_f32_e32 v7, v11, v7
	v_mul_f32_e32 v11, v10, v7
	v_fma_f32 v23, -v6, v11, v10
	v_fmac_f32_e32 v11, v23, v7
	v_fma_f32 v6, -v6, v11, v10
	v_div_scale_f32 v10, s[36:37], v21, v21, s12
	v_rcp_f32_e32 v23, v10
	v_div_fmas_f32 v6, v6, v7, v11
	v_div_fixup_f32 v11, v6, v22, s13
	v_fma_f32 v6, -v10, v23, 1.0
	v_fmac_f32_e32 v23, v6, v23
	v_div_scale_f32 v6, vcc, s12, v21, s12
	v_mul_f32_e32 v7, v6, v23
	v_fma_f32 v22, -v10, v7, v6
	v_fmac_f32_e32 v7, v22, v23
	v_fma_f32 v6, -v10, v7, v6
	v_div_fmas_f32 v6, v6, v23, v7
	v_div_fixup_f32 v10, v6, v21, s12
.LBB283_46:                             ;   in Loop: Header=BB283_4 Depth=1
	s_or_b64 exec, exec, s[10:11]
                                        ; implicit-def: $vgpr7
	s_andn2_saveexec_b64 s[10:11], s[26:27]
	s_cbranch_execz .LBB283_38
.LBB283_47:                             ;   in Loop: Header=BB283_4 Depth=1
	v_div_scale_f32 v10, s[26:27], v7, v7, v6
	v_rcp_f32_e32 v11, v10
	v_div_scale_f32 v21, vcc, v6, v7, v6
	v_fma_f32 v22, -v10, v11, 1.0
	v_fmac_f32_e32 v11, v22, v11
	v_mul_f32_e32 v22, v21, v11
	v_fma_f32 v23, -v10, v22, v21
	v_fmac_f32_e32 v22, v23, v11
	v_fma_f32 v10, -v10, v22, v21
	v_div_fmas_f32 v10, v10, v11, v22
	v_div_fixup_f32 v10, v10, v7, v6
	v_fmac_f32_e32 v7, v6, v10
	v_div_scale_f32 v6, s[26:27], v7, v7, 1.0
	v_rcp_f32_e32 v11, v6
	v_fma_f32 v21, -v6, v11, 1.0
	v_fmac_f32_e32 v11, v21, v11
	v_div_scale_f32 v21, vcc, 1.0, v7, 1.0
	v_mul_f32_e32 v22, v21, v11
	v_fma_f32 v23, -v6, v22, v21
	v_fmac_f32_e32 v22, v23, v11
	v_fma_f32 v6, -v6, v22, v21
	v_div_fmas_f32 v6, v6, v11, v22
	v_pk_mov_b32 v[22:23], s[22:23], s[22:23] op_sel:[0,1]
	v_pk_fma_f32 v[24:25], v[10:11], s[12:13], v[22:23]
	v_pk_fma_f32 v[10:11], v[10:11], s[12:13], v[22:23] op_sel_hi:[0,1,1] neg_lo:[0,0,1] neg_hi:[0,0,1]
	v_div_fixup_f32 v6, v6, v7, 1.0
	v_mov_b32_e32 v25, v11
	v_pk_mul_f32 v[10:11], v[24:25], v[6:7] op_sel_hi:[1,0]
	s_or_b64 exec, exec, s[10:11]
	s_and_saveexec_b64 s[10:11], s[0:1]
	s_xor_b64 s[0:1], exec, s[10:11]
	s_cbranch_execz .LBB283_39
.LBB283_48:                             ;   in Loop: Header=BB283_4 Depth=1
	global_store_dwordx2 v[2:3], v[8:9], off
	s_or_b64 exec, exec, s[0:1]
	s_and_saveexec_b64 s[0:1], s[2:3]
	s_cbranch_execz .LBB283_40
.LBB283_49:                             ;   in Loop: Header=BB283_4 Depth=1
	global_store_dwordx2 v[4:5], v[12:13], off
	s_or_b64 exec, exec, s[0:1]
	s_and_saveexec_b64 s[0:1], s[6:7]
	s_cbranch_execz .LBB283_41
.LBB283_50:                             ;   in Loop: Header=BB283_4 Depth=1
	v_mov_b32_e32 v7, s35
	v_add_co_u32_e32 v6, vcc, s34, v2
	v_addc_co_u32_e32 v7, vcc, v3, v7, vcc
	global_store_dwordx2 v[6:7], v[14:15], off
	s_or_b64 exec, exec, s[0:1]
	s_and_saveexec_b64 s[0:1], s[8:9]
	s_cbranch_execz .LBB283_3
.LBB283_51:                             ;   in Loop: Header=BB283_4 Depth=1
	v_mov_b32_e32 v7, s33
	v_add_co_u32_e32 v6, vcc, s31, v2
	v_addc_co_u32_e32 v7, vcc, v3, v7, vcc
	global_store_dwordx2 v[6:7], v[10:11], off
	s_branch .LBB283_3
.LBB283_52:
	s_cbranch_execz .LBB283_54
	s_branch .LBB283_89
.LBB283_53:
.LBB283_54:
	v_mov_b32_e32 v13, 0
	v_lshlrev_b32_e32 v12, 2, v0
	s_mov_b32 s10, 0
	v_cmp_gt_i64_e32 vcc, s[14:15], v[12:13]
	s_and_saveexec_b64 s[0:1], vcc
	s_cbranch_execz .LBB283_89
; %bb.55:
	s_load_dword s0, s[4:5], 0xd44
	v_lshlrev_b32_e32 v1, 5, v0
	s_mov_b32 s2, s13
	s_mov_b32 s3, s12
	s_mov_b64 s[6:7], 0xffff
	s_waitcnt lgkmcnt(0)
	s_and_b32 s0, s0, 0xffff
	s_lshl_b32 s11, s0, 2
	s_add_u32 s1, s16, s18
	s_addc_u32 s4, s17, s19
	v_add_lshl_u32 v12, v0, s0, 2
	v_mov_b32_e32 v0, s4
	v_add_co_u32_e32 v1, vcc, s1, v1
	v_addc_co_u32_e32 v0, vcc, 0, v0, vcc
	v_add_co_u32_e32 v14, vcc, 16, v1
	v_addc_co_u32_e32 v15, vcc, 0, v0, vcc
	s_lshl_b32 s16, s0, 5
	s_mov_b32 s17, s10
	s_mov_b64 s[4:5], 0
	s_branch .LBB283_57
.LBB283_56:                             ;   in Loop: Header=BB283_57 Depth=1
	s_or_b64 exec, exec, s[0:1]
	v_cmp_le_i64_e32 vcc, s[14:15], v[12:13]
	v_cmp_lt_u64_e64 s[0:1], s[6:7], v[12:13]
	s_or_b64 s[0:1], vcc, s[0:1]
	v_mov_b32_e32 v0, s10
	v_add_co_u32_e32 v12, vcc, s11, v12
	v_addc_co_u32_e32 v13, vcc, v13, v0, vcc
	global_store_dwordx4 v[14:15], v[4:7], off offset:-16
	global_store_dwordx4 v[14:15], v[8:11], off
	v_mov_b32_e32 v0, s17
	s_and_b64 s[0:1], exec, s[0:1]
	v_add_co_u32_e32 v14, vcc, s16, v14
	s_or_b64 s[4:5], s[0:1], s[4:5]
	v_addc_co_u32_e32 v15, vcc, v15, v0, vcc
	s_andn2_b64 exec, exec, s[4:5]
	s_cbranch_execz .LBB283_89
.LBB283_57:                             ; =>This Inner Loop Header: Depth=1
	global_load_dwordx4 v[8:11], v[14:15], off offset:-16
	global_load_dwordx4 v[0:3], v[14:15], off
                                        ; implicit-def: $vgpr4_vgpr5
	s_waitcnt vmcnt(1)
	v_cmp_gt_f32_e32 vcc, 0, v9
	v_cndmask_b32_e64 v7, v9, -v9, vcc
	v_cmp_gt_f32_e32 vcc, 0, v8
	v_cndmask_b32_e64 v6, v8, -v8, vcc
	v_cmp_ge_f32_e32 vcc, v6, v7
	s_and_saveexec_b64 s[0:1], vcc
	s_xor_b64 s[8:9], exec, s[0:1]
	s_cbranch_execz .LBB283_63
; %bb.58:                               ;   in Loop: Header=BB283_57 Depth=1
	v_cmp_neq_f32_e32 vcc, 0, v8
	v_cmp_neq_f32_e64 s[0:1], 0, v9
	s_or_b64 s[0:1], vcc, s[0:1]
                                        ; implicit-def: $vgpr4_vgpr5
	s_and_saveexec_b64 s[18:19], s[0:1]
	s_xor_b64 s[0:1], exec, s[18:19]
	s_cbranch_execz .LBB283_60
; %bb.59:                               ;   in Loop: Header=BB283_57 Depth=1
	v_div_scale_f32 v4, s[18:19], v8, v8, v9
	v_rcp_f32_e32 v5, v4
	v_div_scale_f32 v6, vcc, v9, v8, v9
	v_fma_f32 v7, -v4, v5, 1.0
	v_fmac_f32_e32 v5, v7, v5
	v_mul_f32_e32 v7, v6, v5
	v_fma_f32 v16, -v4, v7, v6
	v_fmac_f32_e32 v7, v16, v5
	v_fma_f32 v4, -v4, v7, v6
	v_div_fmas_f32 v4, v4, v5, v7
	v_div_fixup_f32 v4, v4, v8, v9
	v_fma_f32 v5, v9, v4, v8
	v_div_scale_f32 v6, s[18:19], v5, v5, 1.0
	v_rcp_f32_e32 v7, v6
	v_fma_f32 v16, -v6, v7, 1.0
	v_fmac_f32_e32 v7, v16, v7
	v_div_scale_f32 v16, vcc, 1.0, v5, 1.0
	v_mul_f32_e32 v17, v16, v7
	v_fma_f32 v18, -v6, v17, v16
	v_fmac_f32_e32 v17, v18, v7
	v_fma_f32 v6, -v6, v17, v16
	v_div_fmas_f32 v6, v6, v7, v17
	v_pk_mov_b32 v[16:17], s[12:13], s[12:13] op_sel:[0,1]
	v_div_fixup_f32 v6, v6, v5, 1.0
	v_pk_fma_f32 v[18:19], v[4:5], s[2:3], v[16:17]
	v_pk_fma_f32 v[4:5], v[4:5], s[2:3], v[16:17] op_sel_hi:[0,1,1] neg_lo:[1,0,0] neg_hi:[1,0,0]
	v_mov_b32_e32 v19, v5
	v_pk_mul_f32 v[4:5], v[18:19], v[6:7] op_sel_hi:[1,0]
                                        ; implicit-def: $vgpr7
                                        ; implicit-def: $vgpr6
.LBB283_60:                             ;   in Loop: Header=BB283_57 Depth=1
	s_andn2_saveexec_b64 s[0:1], s[0:1]
	s_cbranch_execz .LBB283_62
; %bb.61:                               ;   in Loop: Header=BB283_57 Depth=1
	v_div_scale_f32 v4, s[18:19], v7, v7, s13
	v_rcp_f32_e32 v5, v4
	v_div_scale_f32 v16, vcc, s13, v7, s13
	v_fma_f32 v17, -v4, v5, 1.0
	v_fmac_f32_e32 v5, v17, v5
	v_mul_f32_e32 v17, v16, v5
	v_fma_f32 v18, -v4, v17, v16
	v_fmac_f32_e32 v17, v18, v5
	v_fma_f32 v4, -v4, v17, v16
	v_div_scale_f32 v16, s[18:19], v6, v6, s12
	v_rcp_f32_e32 v18, v16
	v_div_fmas_f32 v4, v4, v5, v17
	v_div_fixup_f32 v5, v4, v7, s13
	v_fma_f32 v4, -v16, v18, 1.0
	v_fmac_f32_e32 v18, v4, v18
	v_div_scale_f32 v4, vcc, s12, v6, s12
	v_mul_f32_e32 v7, v4, v18
	v_fma_f32 v17, -v16, v7, v4
	v_fmac_f32_e32 v7, v17, v18
	v_fma_f32 v4, -v16, v7, v4
	v_div_fmas_f32 v4, v4, v18, v7
	v_div_fixup_f32 v4, v4, v6, s12
.LBB283_62:                             ;   in Loop: Header=BB283_57 Depth=1
	s_or_b64 exec, exec, s[0:1]
.LBB283_63:                             ;   in Loop: Header=BB283_57 Depth=1
	s_andn2_saveexec_b64 s[0:1], s[8:9]
	s_cbranch_execz .LBB283_65
; %bb.64:                               ;   in Loop: Header=BB283_57 Depth=1
	v_div_scale_f32 v4, s[8:9], v9, v9, v8
	v_rcp_f32_e32 v5, v4
	v_div_scale_f32 v6, vcc, v8, v9, v8
	v_fma_f32 v7, -v4, v5, 1.0
	v_fmac_f32_e32 v5, v7, v5
	v_mul_f32_e32 v7, v6, v5
	v_fma_f32 v16, -v4, v7, v6
	v_fmac_f32_e32 v7, v16, v5
	v_fma_f32 v4, -v4, v7, v6
	v_div_fmas_f32 v4, v4, v5, v7
	v_div_fixup_f32 v4, v4, v9, v8
	v_fma_f32 v5, v8, v4, v9
	v_div_scale_f32 v6, s[8:9], v5, v5, 1.0
	v_rcp_f32_e32 v7, v6
	v_fma_f32 v8, -v6, v7, 1.0
	v_fmac_f32_e32 v7, v8, v7
	v_div_scale_f32 v8, vcc, 1.0, v5, 1.0
	v_mul_f32_e32 v9, v8, v7
	v_fma_f32 v16, -v6, v9, v8
	v_fmac_f32_e32 v9, v16, v7
	v_fma_f32 v6, -v6, v9, v8
	v_div_fmas_f32 v6, v6, v7, v9
	v_pk_mov_b32 v[8:9], s[2:3], s[2:3] op_sel:[0,1]
	v_div_fixup_f32 v6, v6, v5, 1.0
	v_pk_fma_f32 v[16:17], v[4:5], s[12:13], v[8:9]
	v_pk_fma_f32 v[4:5], v[4:5], s[12:13], v[8:9] op_sel_hi:[0,1,1] neg_lo:[0,0,1] neg_hi:[0,0,1]
	v_mov_b32_e32 v17, v5
	v_pk_mul_f32 v[4:5], v[16:17], v[6:7] op_sel_hi:[1,0]
.LBB283_65:                             ;   in Loop: Header=BB283_57 Depth=1
	s_or_b64 exec, exec, s[0:1]
	v_cmp_gt_f32_e32 vcc, 0, v11
	v_cndmask_b32_e64 v9, v11, -v11, vcc
	v_cmp_gt_f32_e32 vcc, 0, v10
	v_cndmask_b32_e64 v8, v10, -v10, vcc
	v_cmp_ge_f32_e32 vcc, v8, v9
	s_and_saveexec_b64 s[0:1], vcc
	s_xor_b64 s[8:9], exec, s[0:1]
	s_cbranch_execz .LBB283_71
; %bb.66:                               ;   in Loop: Header=BB283_57 Depth=1
	v_cmp_neq_f32_e32 vcc, 0, v10
	v_cmp_neq_f32_e64 s[0:1], 0, v11
	s_or_b64 s[0:1], vcc, s[0:1]
	s_and_saveexec_b64 s[18:19], s[0:1]
	s_xor_b64 s[0:1], exec, s[18:19]
	s_cbranch_execz .LBB283_68
; %bb.67:                               ;   in Loop: Header=BB283_57 Depth=1
	v_div_scale_f32 v6, s[18:19], v10, v10, v11
	v_rcp_f32_e32 v7, v6
	v_div_scale_f32 v8, vcc, v11, v10, v11
	v_fma_f32 v9, -v6, v7, 1.0
	v_fmac_f32_e32 v7, v9, v7
	v_mul_f32_e32 v9, v8, v7
	v_fma_f32 v16, -v6, v9, v8
	v_fmac_f32_e32 v9, v16, v7
	v_fma_f32 v6, -v6, v9, v8
	v_div_fmas_f32 v6, v6, v7, v9
	v_div_fixup_f32 v6, v6, v10, v11
	v_fmac_f32_e32 v10, v11, v6
	v_div_scale_f32 v7, s[18:19], v10, v10, 1.0
	v_rcp_f32_e32 v8, v7
	v_fma_f32 v9, -v7, v8, 1.0
	v_fmac_f32_e32 v8, v9, v8
	v_div_scale_f32 v9, vcc, 1.0, v10, 1.0
	v_mul_f32_e32 v11, v9, v8
	v_fma_f32 v16, -v7, v11, v9
	v_fmac_f32_e32 v11, v16, v8
	v_fma_f32 v7, -v7, v11, v9
	v_div_fmas_f32 v7, v7, v8, v11
	v_div_fixup_f32 v8, v7, v10, 1.0
	v_pk_mul_f32 v[6:7], v[6:7], s[12:13] op_sel_hi:[0,1]
	v_pk_add_f32 v[10:11], v[6:7], s[12:13] op_sel:[1,0] op_sel_hi:[0,1]
	v_pk_add_f32 v[6:7], s[12:13], v[6:7] op_sel:[0,1] op_sel_hi:[1,0] neg_lo:[0,1] neg_hi:[0,1]
	v_mov_b32_e32 v11, v7
	v_pk_mul_f32 v[6:7], v[10:11], v[8:9] op_sel_hi:[1,0]
                                        ; implicit-def: $vgpr9
                                        ; implicit-def: $vgpr8
.LBB283_68:                             ;   in Loop: Header=BB283_57 Depth=1
	s_andn2_saveexec_b64 s[0:1], s[0:1]
	s_cbranch_execz .LBB283_70
; %bb.69:                               ;   in Loop: Header=BB283_57 Depth=1
	v_div_scale_f32 v6, s[18:19], v9, v9, s13
	v_rcp_f32_e32 v7, v6
	v_div_scale_f32 v10, vcc, s13, v9, s13
	v_fma_f32 v11, -v6, v7, 1.0
	v_fmac_f32_e32 v7, v11, v7
	v_mul_f32_e32 v11, v10, v7
	v_fma_f32 v16, -v6, v11, v10
	v_fmac_f32_e32 v11, v16, v7
	v_fma_f32 v6, -v6, v11, v10
	v_div_scale_f32 v10, s[18:19], v8, v8, s12
	v_rcp_f32_e32 v16, v10
	v_div_fmas_f32 v6, v6, v7, v11
	v_div_fixup_f32 v7, v6, v9, s13
	v_fma_f32 v6, -v10, v16, 1.0
	v_fmac_f32_e32 v16, v6, v16
	v_div_scale_f32 v6, vcc, s12, v8, s12
	v_mul_f32_e32 v9, v6, v16
	v_fma_f32 v11, -v10, v9, v6
	v_fmac_f32_e32 v9, v11, v16
	v_fma_f32 v6, -v10, v9, v6
	v_div_fmas_f32 v6, v6, v16, v9
	v_div_fixup_f32 v6, v6, v8, s12
.LBB283_70:                             ;   in Loop: Header=BB283_57 Depth=1
	s_or_b64 exec, exec, s[0:1]
                                        ; implicit-def: $vgpr8_vgpr9_vgpr10_vgpr11
.LBB283_71:                             ;   in Loop: Header=BB283_57 Depth=1
	s_andn2_saveexec_b64 s[0:1], s[8:9]
	s_cbranch_execz .LBB283_73
; %bb.72:                               ;   in Loop: Header=BB283_57 Depth=1
	v_div_scale_f32 v6, s[8:9], v11, v11, v10
	v_rcp_f32_e32 v7, v6
	v_div_scale_f32 v8, vcc, v10, v11, v10
	v_fma_f32 v9, -v6, v7, 1.0
	v_fmac_f32_e32 v7, v9, v7
	v_mul_f32_e32 v9, v8, v7
	v_fma_f32 v16, -v6, v9, v8
	v_fmac_f32_e32 v9, v16, v7
	v_fma_f32 v6, -v6, v9, v8
	v_div_fmas_f32 v6, v6, v7, v9
	v_div_fixup_f32 v6, v6, v11, v10
	v_fmac_f32_e32 v11, v10, v6
	v_div_scale_f32 v7, s[8:9], v11, v11, 1.0
	v_rcp_f32_e32 v8, v7
	v_fma_f32 v9, -v7, v8, 1.0
	v_fmac_f32_e32 v8, v9, v8
	v_div_scale_f32 v9, vcc, 1.0, v11, 1.0
	v_mul_f32_e32 v10, v9, v8
	v_fma_f32 v16, -v7, v10, v9
	v_fmac_f32_e32 v10, v16, v8
	v_fma_f32 v7, -v7, v10, v9
	v_div_fmas_f32 v7, v7, v8, v10
	v_div_fixup_f32 v8, v7, v11, 1.0
	v_pk_mov_b32 v[10:11], s[2:3], s[2:3] op_sel:[0,1]
	v_pk_fma_f32 v[16:17], v[6:7], s[12:13], v[10:11]
	v_pk_fma_f32 v[6:7], v[6:7], s[12:13], v[10:11] op_sel_hi:[0,1,1] neg_lo:[0,0,1] neg_hi:[0,0,1]
	v_mov_b32_e32 v17, v7
	v_pk_mul_f32 v[6:7], v[16:17], v[8:9] op_sel_hi:[1,0]
.LBB283_73:                             ;   in Loop: Header=BB283_57 Depth=1
	s_or_b64 exec, exec, s[0:1]
	s_waitcnt vmcnt(0)
	v_cmp_gt_f32_e32 vcc, 0, v1
	v_cndmask_b32_e64 v11, v1, -v1, vcc
	v_cmp_gt_f32_e32 vcc, 0, v0
	v_cndmask_b32_e64 v10, v0, -v0, vcc
	v_cmp_ge_f32_e32 vcc, v10, v11
                                        ; implicit-def: $vgpr8_vgpr9
	s_and_saveexec_b64 s[0:1], vcc
	s_xor_b64 s[8:9], exec, s[0:1]
	s_cbranch_execz .LBB283_79
; %bb.74:                               ;   in Loop: Header=BB283_57 Depth=1
	v_cmp_neq_f32_e32 vcc, 0, v0
	v_cmp_neq_f32_e64 s[0:1], 0, v1
	s_or_b64 s[0:1], vcc, s[0:1]
                                        ; implicit-def: $vgpr8_vgpr9
	s_and_saveexec_b64 s[18:19], s[0:1]
	s_xor_b64 s[0:1], exec, s[18:19]
	s_cbranch_execz .LBB283_76
; %bb.75:                               ;   in Loop: Header=BB283_57 Depth=1
	v_div_scale_f32 v8, s[18:19], v0, v0, v1
	v_rcp_f32_e32 v9, v8
	v_div_scale_f32 v10, vcc, v1, v0, v1
	v_fma_f32 v11, -v8, v9, 1.0
	v_fmac_f32_e32 v9, v11, v9
	v_mul_f32_e32 v11, v10, v9
	v_fma_f32 v16, -v8, v11, v10
	v_fmac_f32_e32 v11, v16, v9
	v_fma_f32 v8, -v8, v11, v10
	v_div_fmas_f32 v8, v8, v9, v11
	v_div_fixup_f32 v8, v8, v0, v1
	v_fma_f32 v9, v1, v8, v0
	v_div_scale_f32 v10, s[18:19], v9, v9, 1.0
	v_rcp_f32_e32 v11, v10
	v_fma_f32 v16, -v10, v11, 1.0
	v_fmac_f32_e32 v11, v16, v11
	v_div_scale_f32 v16, vcc, 1.0, v9, 1.0
	v_mul_f32_e32 v17, v16, v11
	v_fma_f32 v18, -v10, v17, v16
	v_fmac_f32_e32 v17, v18, v11
	v_fma_f32 v10, -v10, v17, v16
	v_div_fmas_f32 v10, v10, v11, v17
	v_div_fixup_f32 v10, v10, v9, 1.0
	v_pk_mul_f32 v[8:9], v[8:9], s[12:13] op_sel_hi:[0,1]
	v_pk_add_f32 v[16:17], v[8:9], s[12:13] op_sel:[1,0] op_sel_hi:[0,1]
	v_pk_add_f32 v[8:9], s[12:13], v[8:9] op_sel:[0,1] op_sel_hi:[1,0] neg_lo:[0,1] neg_hi:[0,1]
	v_mov_b32_e32 v17, v9
	v_pk_mul_f32 v[8:9], v[16:17], v[10:11] op_sel_hi:[1,0]
                                        ; implicit-def: $vgpr11
                                        ; implicit-def: $vgpr10
.LBB283_76:                             ;   in Loop: Header=BB283_57 Depth=1
	s_andn2_saveexec_b64 s[0:1], s[0:1]
	s_cbranch_execz .LBB283_78
; %bb.77:                               ;   in Loop: Header=BB283_57 Depth=1
	v_div_scale_f32 v8, s[18:19], v11, v11, s13
	v_rcp_f32_e32 v9, v8
	v_div_scale_f32 v16, vcc, s13, v11, s13
	v_fma_f32 v17, -v8, v9, 1.0
	v_fmac_f32_e32 v9, v17, v9
	v_mul_f32_e32 v17, v16, v9
	v_fma_f32 v18, -v8, v17, v16
	v_fmac_f32_e32 v17, v18, v9
	v_fma_f32 v8, -v8, v17, v16
	v_div_scale_f32 v16, s[18:19], v10, v10, s12
	v_rcp_f32_e32 v18, v16
	v_div_fmas_f32 v8, v8, v9, v17
	v_div_fixup_f32 v9, v8, v11, s13
	v_fma_f32 v8, -v16, v18, 1.0
	v_fmac_f32_e32 v18, v8, v18
	v_div_scale_f32 v8, vcc, s12, v10, s12
	v_mul_f32_e32 v11, v8, v18
	v_fma_f32 v17, -v16, v11, v8
	v_fmac_f32_e32 v11, v17, v18
	v_fma_f32 v8, -v16, v11, v8
	v_div_fmas_f32 v8, v8, v18, v11
	v_div_fixup_f32 v8, v8, v10, s12
.LBB283_78:                             ;   in Loop: Header=BB283_57 Depth=1
	s_or_b64 exec, exec, s[0:1]
.LBB283_79:                             ;   in Loop: Header=BB283_57 Depth=1
	s_andn2_saveexec_b64 s[0:1], s[8:9]
	s_cbranch_execz .LBB283_81
; %bb.80:                               ;   in Loop: Header=BB283_57 Depth=1
	v_div_scale_f32 v8, s[8:9], v1, v1, v0
	v_rcp_f32_e32 v9, v8
	v_div_scale_f32 v10, vcc, v0, v1, v0
	v_fma_f32 v11, -v8, v9, 1.0
	v_fmac_f32_e32 v9, v11, v9
	v_mul_f32_e32 v11, v10, v9
	v_fma_f32 v16, -v8, v11, v10
	v_fmac_f32_e32 v11, v16, v9
	v_fma_f32 v8, -v8, v11, v10
	v_div_fmas_f32 v8, v8, v9, v11
	v_div_fixup_f32 v8, v8, v1, v0
	v_fma_f32 v0, v0, v8, v1
	v_div_scale_f32 v1, s[8:9], v0, v0, 1.0
	v_rcp_f32_e32 v9, v1
	v_fma_f32 v10, -v1, v9, 1.0
	v_fmac_f32_e32 v9, v10, v9
	v_div_scale_f32 v10, vcc, 1.0, v0, 1.0
	v_mul_f32_e32 v11, v10, v9
	v_fma_f32 v16, -v1, v11, v10
	v_fmac_f32_e32 v11, v16, v9
	v_fma_f32 v1, -v1, v11, v10
	v_div_fmas_f32 v1, v1, v9, v11
	v_pk_mov_b32 v[10:11], s[2:3], s[2:3] op_sel:[0,1]
	v_pk_fma_f32 v[16:17], v[8:9], s[12:13], v[10:11]
	v_pk_fma_f32 v[8:9], v[8:9], s[12:13], v[10:11] op_sel_hi:[0,1,1] neg_lo:[0,0,1] neg_hi:[0,0,1]
	v_div_fixup_f32 v0, v1, v0, 1.0
	v_mov_b32_e32 v17, v9
	v_pk_mul_f32 v[8:9], v[16:17], v[0:1] op_sel_hi:[1,0]
.LBB283_81:                             ;   in Loop: Header=BB283_57 Depth=1
	s_or_b64 exec, exec, s[0:1]
	v_cmp_gt_f32_e32 vcc, 0, v3
	v_cndmask_b32_e64 v1, v3, -v3, vcc
	v_cmp_gt_f32_e32 vcc, 0, v2
	v_cndmask_b32_e64 v0, v2, -v2, vcc
	v_cmp_ge_f32_e32 vcc, v0, v1
	s_and_saveexec_b64 s[0:1], vcc
	s_xor_b64 s[8:9], exec, s[0:1]
	s_cbranch_execz .LBB283_87
; %bb.82:                               ;   in Loop: Header=BB283_57 Depth=1
	v_cmp_neq_f32_e32 vcc, 0, v2
	v_cmp_neq_f32_e64 s[0:1], 0, v3
	s_or_b64 s[0:1], vcc, s[0:1]
	s_and_saveexec_b64 s[18:19], s[0:1]
	s_xor_b64 s[0:1], exec, s[18:19]
	s_cbranch_execz .LBB283_84
; %bb.83:                               ;   in Loop: Header=BB283_57 Depth=1
	v_div_scale_f32 v0, s[18:19], v2, v2, v3
	v_rcp_f32_e32 v1, v0
	v_div_scale_f32 v10, vcc, v3, v2, v3
	v_fma_f32 v11, -v0, v1, 1.0
	v_fmac_f32_e32 v1, v11, v1
	v_mul_f32_e32 v11, v10, v1
	v_fma_f32 v16, -v0, v11, v10
	v_fmac_f32_e32 v11, v16, v1
	v_fma_f32 v0, -v0, v11, v10
	v_div_fmas_f32 v0, v0, v1, v11
	v_div_fixup_f32 v0, v0, v2, v3
	v_fmac_f32_e32 v2, v3, v0
	v_div_scale_f32 v1, s[18:19], v2, v2, 1.0
	v_rcp_f32_e32 v3, v1
	v_fma_f32 v10, -v1, v3, 1.0
	v_fmac_f32_e32 v3, v10, v3
	v_div_scale_f32 v10, vcc, 1.0, v2, 1.0
	v_mul_f32_e32 v11, v10, v3
	v_fma_f32 v16, -v1, v11, v10
	v_fmac_f32_e32 v11, v16, v3
	v_fma_f32 v1, -v1, v11, v10
	v_div_fmas_f32 v1, v1, v3, v11
	v_div_fixup_f32 v2, v1, v2, 1.0
	v_pk_mul_f32 v[0:1], v[0:1], s[12:13] op_sel_hi:[0,1]
	v_pk_add_f32 v[10:11], v[0:1], s[12:13] op_sel:[1,0] op_sel_hi:[0,1]
	v_pk_add_f32 v[0:1], s[12:13], v[0:1] op_sel:[0,1] op_sel_hi:[1,0] neg_lo:[0,1] neg_hi:[0,1]
	v_mov_b32_e32 v11, v1
	v_pk_mul_f32 v[10:11], v[10:11], v[2:3] op_sel_hi:[1,0]
                                        ; implicit-def: $vgpr1
                                        ; implicit-def: $vgpr0
.LBB283_84:                             ;   in Loop: Header=BB283_57 Depth=1
	s_andn2_saveexec_b64 s[0:1], s[0:1]
	s_cbranch_execz .LBB283_86
; %bb.85:                               ;   in Loop: Header=BB283_57 Depth=1
	v_div_scale_f32 v2, s[18:19], v1, v1, s13
	v_rcp_f32_e32 v3, v2
	v_div_scale_f32 v10, vcc, s13, v1, s13
	v_fma_f32 v11, -v2, v3, 1.0
	v_fmac_f32_e32 v3, v11, v3
	v_mul_f32_e32 v11, v10, v3
	v_fma_f32 v16, -v2, v11, v10
	v_fmac_f32_e32 v11, v16, v3
	v_fma_f32 v2, -v2, v11, v10
	v_div_scale_f32 v10, s[18:19], v0, v0, s12
	v_rcp_f32_e32 v16, v10
	v_div_fmas_f32 v2, v2, v3, v11
	v_div_fixup_f32 v11, v2, v1, s13
	v_fma_f32 v1, -v10, v16, 1.0
	v_fmac_f32_e32 v16, v1, v16
	v_div_scale_f32 v1, vcc, s12, v0, s12
	v_mul_f32_e32 v2, v1, v16
	v_fma_f32 v3, -v10, v2, v1
	v_fmac_f32_e32 v2, v3, v16
	v_fma_f32 v1, -v10, v2, v1
	v_div_fmas_f32 v1, v1, v16, v2
	v_div_fixup_f32 v10, v1, v0, s12
.LBB283_86:                             ;   in Loop: Header=BB283_57 Depth=1
	s_or_b64 exec, exec, s[0:1]
                                        ; implicit-def: $vgpr0_vgpr1_vgpr2_vgpr3
.LBB283_87:                             ;   in Loop: Header=BB283_57 Depth=1
	s_andn2_saveexec_b64 s[0:1], s[8:9]
	s_cbranch_execz .LBB283_56
; %bb.88:                               ;   in Loop: Header=BB283_57 Depth=1
	v_div_scale_f32 v0, s[8:9], v3, v3, v2
	v_rcp_f32_e32 v1, v0
	v_div_scale_f32 v10, vcc, v2, v3, v2
	v_fma_f32 v11, -v0, v1, 1.0
	v_fmac_f32_e32 v1, v11, v1
	v_mul_f32_e32 v11, v10, v1
	v_fma_f32 v16, -v0, v11, v10
	v_fmac_f32_e32 v11, v16, v1
	v_fma_f32 v0, -v0, v11, v10
	v_div_fmas_f32 v0, v0, v1, v11
	v_div_fixup_f32 v0, v0, v3, v2
	v_fmac_f32_e32 v3, v2, v0
	v_div_scale_f32 v1, s[8:9], v3, v3, 1.0
	v_rcp_f32_e32 v2, v1
	v_fma_f32 v10, -v1, v2, 1.0
	v_fmac_f32_e32 v2, v10, v2
	v_div_scale_f32 v10, vcc, 1.0, v3, 1.0
	v_mul_f32_e32 v11, v10, v2
	v_fma_f32 v16, -v1, v11, v10
	v_fmac_f32_e32 v11, v16, v2
	v_fma_f32 v1, -v1, v11, v10
	v_div_fmas_f32 v1, v1, v2, v11
	v_pk_mov_b32 v[10:11], s[2:3], s[2:3] op_sel:[0,1]
	v_div_fixup_f32 v2, v1, v3, 1.0
	v_pk_fma_f32 v[16:17], v[0:1], s[12:13], v[10:11]
	v_pk_fma_f32 v[0:1], v[0:1], s[12:13], v[10:11] op_sel_hi:[0,1,1] neg_lo:[0,0,1] neg_hi:[0,0,1]
	v_mov_b32_e32 v17, v1
	v_pk_mul_f32 v[10:11], v[16:17], v[2:3] op_sel_hi:[1,0]
	s_branch .LBB283_56
.LBB283_89:
	s_endpgm
	.section	.rodata,"a",@progbits
	.p2align	6, 0x0
	.amdhsa_kernel _ZN2at6native12_GLOBAL__N_125multi_tensor_apply_kernelINS1_18TensorListMetadataILi1EEENS1_14UnaryOpFunctorIN3c107complexIfEELi1ELi1ELi0EEEJNS0_10ReciprocalIS8_EEEEEvT_T0_DpT1_
		.amdhsa_group_segment_fixed_size 0
		.amdhsa_private_segment_fixed_size 0
		.amdhsa_kernarg_size 3640
		.amdhsa_user_sgpr_count 6
		.amdhsa_user_sgpr_private_segment_buffer 1
		.amdhsa_user_sgpr_dispatch_ptr 0
		.amdhsa_user_sgpr_queue_ptr 0
		.amdhsa_user_sgpr_kernarg_segment_ptr 1
		.amdhsa_user_sgpr_dispatch_id 0
		.amdhsa_user_sgpr_flat_scratch_init 0
		.amdhsa_user_sgpr_kernarg_preload_length 0
		.amdhsa_user_sgpr_kernarg_preload_offset 0
		.amdhsa_user_sgpr_private_segment_size 0
		.amdhsa_uses_dynamic_stack 0
		.amdhsa_system_sgpr_private_segment_wavefront_offset 0
		.amdhsa_system_sgpr_workgroup_id_x 1
		.amdhsa_system_sgpr_workgroup_id_y 0
		.amdhsa_system_sgpr_workgroup_id_z 0
		.amdhsa_system_sgpr_workgroup_info 0
		.amdhsa_system_vgpr_workitem_id 0
		.amdhsa_next_free_vgpr 26
		.amdhsa_next_free_sgpr 38
		.amdhsa_accum_offset 28
		.amdhsa_reserve_vcc 1
		.amdhsa_reserve_flat_scratch 0
		.amdhsa_float_round_mode_32 0
		.amdhsa_float_round_mode_16_64 0
		.amdhsa_float_denorm_mode_32 3
		.amdhsa_float_denorm_mode_16_64 3
		.amdhsa_dx10_clamp 1
		.amdhsa_ieee_mode 1
		.amdhsa_fp16_overflow 0
		.amdhsa_tg_split 0
		.amdhsa_exception_fp_ieee_invalid_op 0
		.amdhsa_exception_fp_denorm_src 0
		.amdhsa_exception_fp_ieee_div_zero 0
		.amdhsa_exception_fp_ieee_overflow 0
		.amdhsa_exception_fp_ieee_underflow 0
		.amdhsa_exception_fp_ieee_inexact 0
		.amdhsa_exception_int_div_zero 0
	.end_amdhsa_kernel
	.section	.text._ZN2at6native12_GLOBAL__N_125multi_tensor_apply_kernelINS1_18TensorListMetadataILi1EEENS1_14UnaryOpFunctorIN3c107complexIfEELi1ELi1ELi0EEEJNS0_10ReciprocalIS8_EEEEEvT_T0_DpT1_,"axG",@progbits,_ZN2at6native12_GLOBAL__N_125multi_tensor_apply_kernelINS1_18TensorListMetadataILi1EEENS1_14UnaryOpFunctorIN3c107complexIfEELi1ELi1ELi0EEEJNS0_10ReciprocalIS8_EEEEEvT_T0_DpT1_,comdat
.Lfunc_end283:
	.size	_ZN2at6native12_GLOBAL__N_125multi_tensor_apply_kernelINS1_18TensorListMetadataILi1EEENS1_14UnaryOpFunctorIN3c107complexIfEELi1ELi1ELi0EEEJNS0_10ReciprocalIS8_EEEEEvT_T0_DpT1_, .Lfunc_end283-_ZN2at6native12_GLOBAL__N_125multi_tensor_apply_kernelINS1_18TensorListMetadataILi1EEENS1_14UnaryOpFunctorIN3c107complexIfEELi1ELi1ELi0EEEJNS0_10ReciprocalIS8_EEEEEvT_T0_DpT1_
                                        ; -- End function
	.section	.AMDGPU.csdata,"",@progbits
; Kernel info:
; codeLenInByte = 5876
; NumSgprs: 42
; NumVgprs: 26
; NumAgprs: 0
; TotalNumVgprs: 26
; ScratchSize: 0
; MemoryBound: 0
; FloatMode: 240
; IeeeMode: 1
; LDSByteSize: 0 bytes/workgroup (compile time only)
; SGPRBlocks: 5
; VGPRBlocks: 3
; NumSGPRsForWavesPerEU: 42
; NumVGPRsForWavesPerEU: 26
; AccumOffset: 28
; Occupancy: 8
; WaveLimiterHint : 0
; COMPUTE_PGM_RSRC2:SCRATCH_EN: 0
; COMPUTE_PGM_RSRC2:USER_SGPR: 6
; COMPUTE_PGM_RSRC2:TRAP_HANDLER: 0
; COMPUTE_PGM_RSRC2:TGID_X_EN: 1
; COMPUTE_PGM_RSRC2:TGID_Y_EN: 0
; COMPUTE_PGM_RSRC2:TGID_Z_EN: 0
; COMPUTE_PGM_RSRC2:TIDIG_COMP_CNT: 0
; COMPUTE_PGM_RSRC3_GFX90A:ACCUM_OFFSET: 6
; COMPUTE_PGM_RSRC3_GFX90A:TG_SPLIT: 0
	.section	.text._ZN2at6native12_GLOBAL__N_125multi_tensor_apply_kernelINS1_18TensorListMetadataILi1EEENS1_14UnaryOpFunctorIN3c104HalfELi1ELi1ELi0EEEJNS0_10ReciprocalIfEEEEEvT_T0_DpT1_,"axG",@progbits,_ZN2at6native12_GLOBAL__N_125multi_tensor_apply_kernelINS1_18TensorListMetadataILi1EEENS1_14UnaryOpFunctorIN3c104HalfELi1ELi1ELi0EEEJNS0_10ReciprocalIfEEEEEvT_T0_DpT1_,comdat
	.globl	_ZN2at6native12_GLOBAL__N_125multi_tensor_apply_kernelINS1_18TensorListMetadataILi1EEENS1_14UnaryOpFunctorIN3c104HalfELi1ELi1ELi0EEEJNS0_10ReciprocalIfEEEEEvT_T0_DpT1_ ; -- Begin function _ZN2at6native12_GLOBAL__N_125multi_tensor_apply_kernelINS1_18TensorListMetadataILi1EEENS1_14UnaryOpFunctorIN3c104HalfELi1ELi1ELi0EEEJNS0_10ReciprocalIfEEEEEvT_T0_DpT1_
	.p2align	8
	.type	_ZN2at6native12_GLOBAL__N_125multi_tensor_apply_kernelINS1_18TensorListMetadataILi1EEENS1_14UnaryOpFunctorIN3c104HalfELi1ELi1ELi0EEEJNS0_10ReciprocalIfEEEEEvT_T0_DpT1_,@function
_ZN2at6native12_GLOBAL__N_125multi_tensor_apply_kernelINS1_18TensorListMetadataILi1EEENS1_14UnaryOpFunctorIN3c104HalfELi1ELi1ELi0EEEJNS0_10ReciprocalIfEEEEEvT_T0_DpT1_: ; @_ZN2at6native12_GLOBAL__N_125multi_tensor_apply_kernelINS1_18TensorListMetadataILi1EEENS1_14UnaryOpFunctorIN3c104HalfELi1ELi1ELi0EEEJNS0_10ReciprocalIfEEEEEvT_T0_DpT1_
; %bb.0:
	v_mov_b32_e32 v1, s6
	global_load_ubyte v1, v1, s[4:5] offset:1760
	s_add_u32 s0, s4, s6
	s_mul_hi_u32 s1, s6, 3
	s_mul_i32 s6, s6, 3
	s_addc_u32 s2, s5, 0
	s_add_u32 s0, s0, s6
	s_addc_u32 s1, s2, s1
	s_load_dword s0, s[0:1], 0x820
	s_mov_b32 s7, 0
	s_waitcnt vmcnt(0)
	v_readfirstlane_b32 s1, v1
	s_lshl_b32 s1, s1, 3
	s_load_dword s22, s[4:5], 0xd2c
	s_load_dwordx2 s[2:3], s[4:5], s1 offset:0x370
	s_load_dwordx2 s[12:13], s[4:5], s1 offset:0x0
	s_waitcnt lgkmcnt(0)
	s_ashr_i32 s1, s0, 31
	s_lshl_b64 s[14:15], s[0:1], 17
	s_lshl_b64 s[0:1], s[0:1], 16
	s_and_b32 s6, s12, 7
	s_sub_u32 s10, s2, s0
	s_subb_u32 s11, s3, s1
	s_and_b32 s0, s2, 3
	s_mov_b32 s1, s7
	s_or_b64 s[0:1], s[6:7], s[0:1]
	s_cmp_eq_u64 s[0:1], 0
	s_cbranch_scc1 .LBB284_21
; %bb.1:
	v_cmp_lt_i64_e64 s[0:1], s[10:11], 1
	s_and_b64 vcc, exec, s[0:1]
	s_cbranch_vccnz .LBB284_20
; %bb.2:
	s_load_dword s0, s[4:5], 0xd3c
	v_mov_b32_e32 v2, 0x10000
	v_mov_b32_e32 v3, 0
	v_cmp_lt_u64_e32 vcc, s[10:11], v[2:3]
	v_lshlrev_b32_e32 v1, 1, v0
	s_waitcnt lgkmcnt(0)
	s_and_b32 s2, s0, 0xffff
	s_and_b64 s[0:1], vcc, exec
	s_cselect_b32 s17, s11, 0
	s_cselect_b32 s16, s10, 0x10000
	s_lshl_b32 s3, s2, 1
	s_lshl_b32 s24, s2, 2
	s_add_u32 s6, s12, s14
	s_addc_u32 s7, s13, s15
	v_mov_b32_e32 v3, s7
	v_add_co_u32_e32 v2, vcc, s6, v1
	s_mul_i32 s0, s2, 3
	v_addc_co_u32_e32 v3, vcc, 0, v3, vcc
	v_add_co_u32_e32 v1, vcc, s0, v0
	v_addc_co_u32_e64 v8, s[0:1], 0, 0, vcc
	v_add_co_u32_e32 v9, vcc, s3, v0
	v_addc_co_u32_e64 v10, s[0:1], 0, 0, vcc
	v_add_co_u32_e32 v11, vcc, s2, v0
	v_lshlrev_b32_e32 v4, 1, v11
	s_mov_b32 s23, 0
	v_addc_co_u32_e64 v12, s[0:1], 0, 0, vcc
	v_mov_b32_e32 v5, s7
	v_add_co_u32_e32 v4, vcc, s6, v4
	s_lshl_b32 s25, s2, 3
	s_mul_i32 s26, s2, 6
	s_mov_b32 s27, s23
	v_addc_co_u32_e32 v5, vcc, 0, v5, vcc
	s_mov_b64 s[18:19], 0
	v_pk_mov_b32 v[6:7], s[10:11], s[10:11] op_sel:[0,1]
	v_mov_b32_e32 v13, s23
	s_branch .LBB284_4
.LBB284_3:                              ;   in Loop: Header=BB284_4 Depth=1
	s_or_b64 exec, exec, s[2:3]
	s_add_u32 s18, s18, s24
	s_waitcnt vmcnt(0)
	v_mov_b32_e32 v14, 0x10000
	s_addc_u32 s19, s19, 0
	v_mov_b32_e32 v15, 0
	v_cmp_lt_i64_e32 vcc, s[18:19], v[6:7]
	v_cmp_lt_u64_e64 s[0:1], s[18:19], v[14:15]
	s_and_b64 s[0:1], vcc, s[0:1]
	v_add_co_u32_e32 v2, vcc, s25, v2
	v_addc_co_u32_e32 v3, vcc, v3, v13, vcc
	v_add_co_u32_e32 v4, vcc, s25, v4
	v_addc_co_u32_e32 v5, vcc, v5, v13, vcc
	s_and_b64 vcc, exec, s[0:1]
	s_cbranch_vccz .LBB284_20
.LBB284_4:                              ; =>This Inner Loop Header: Depth=1
	v_mov_b32_e32 v15, s19
	v_add_co_u32_e32 v14, vcc, s18, v0
	v_addc_co_u32_e32 v15, vcc, 0, v15, vcc
	v_cmp_gt_u64_e32 vcc, s[16:17], v[14:15]
	v_mov_b32_e32 v17, 0
	s_and_saveexec_b64 s[0:1], vcc
	s_cbranch_execz .LBB284_6
; %bb.5:                                ;   in Loop: Header=BB284_4 Depth=1
	global_load_ushort v17, v[2:3], off
.LBB284_6:                              ;   in Loop: Header=BB284_4 Depth=1
	s_or_b64 exec, exec, s[0:1]
	v_mov_b32_e32 v15, s19
	v_add_co_u32_e64 v14, s[0:1], s18, v11
	v_addc_co_u32_e64 v15, s[0:1], v12, v15, s[0:1]
	v_cmp_gt_u64_e64 s[6:7], s[16:17], v[14:15]
	v_mov_b32_e32 v16, 0
	s_and_saveexec_b64 s[0:1], s[6:7]
	s_cbranch_execz .LBB284_8
; %bb.7:                                ;   in Loop: Header=BB284_4 Depth=1
	global_load_ushort v16, v[4:5], off
.LBB284_8:                              ;   in Loop: Header=BB284_4 Depth=1
	s_or_b64 exec, exec, s[0:1]
	v_mov_b32_e32 v15, s19
	v_add_co_u32_e64 v14, s[0:1], s18, v9
	v_addc_co_u32_e64 v15, s[0:1], v10, v15, s[0:1]
	v_cmp_gt_u64_e64 s[2:3], s[16:17], v[14:15]
	v_mov_b32_e32 v14, 0
	v_mov_b32_e32 v15, 0
	s_and_saveexec_b64 s[8:9], s[2:3]
	s_cbranch_execz .LBB284_10
; %bb.9:                                ;   in Loop: Header=BB284_4 Depth=1
	v_mov_b32_e32 v15, s23
	v_add_co_u32_e64 v18, s[0:1], s24, v2
	v_addc_co_u32_e64 v19, s[0:1], v3, v15, s[0:1]
	global_load_ushort v15, v[18:19], off
.LBB284_10:                             ;   in Loop: Header=BB284_4 Depth=1
	s_or_b64 exec, exec, s[8:9]
	v_mov_b32_e32 v19, s19
	v_add_co_u32_e64 v18, s[0:1], s18, v1
	v_addc_co_u32_e64 v19, s[0:1], v8, v19, s[0:1]
	v_cmp_gt_u64_e64 s[0:1], s[16:17], v[18:19]
	s_and_saveexec_b64 s[20:21], s[0:1]
	s_cbranch_execnz .LBB284_15
; %bb.11:                               ;   in Loop: Header=BB284_4 Depth=1
	s_or_b64 exec, exec, s[20:21]
	s_and_saveexec_b64 s[8:9], vcc
	s_cbranch_execnz .LBB284_16
.LBB284_12:                             ;   in Loop: Header=BB284_4 Depth=1
	s_or_b64 exec, exec, s[8:9]
	s_and_saveexec_b64 s[8:9], s[6:7]
	s_cbranch_execnz .LBB284_17
.LBB284_13:                             ;   in Loop: Header=BB284_4 Depth=1
	s_or_b64 exec, exec, s[8:9]
	s_and_saveexec_b64 s[6:7], s[2:3]
	s_cbranch_execnz .LBB284_18
.LBB284_14:                             ;   in Loop: Header=BB284_4 Depth=1
	s_or_b64 exec, exec, s[6:7]
	s_and_saveexec_b64 s[2:3], s[0:1]
	s_cbranch_execz .LBB284_3
	s_branch .LBB284_19
.LBB284_15:                             ;   in Loop: Header=BB284_4 Depth=1
	v_mov_b32_e32 v14, s27
	v_add_co_u32_e64 v18, s[8:9], s26, v2
	v_addc_co_u32_e64 v19, s[8:9], v3, v14, s[8:9]
	global_load_ushort v14, v[18:19], off
	s_or_b64 exec, exec, s[20:21]
	s_and_saveexec_b64 s[8:9], vcc
	s_cbranch_execz .LBB284_12
.LBB284_16:                             ;   in Loop: Header=BB284_4 Depth=1
	s_waitcnt vmcnt(0)
	v_cvt_f32_f16_e32 v17, v17
	v_div_scale_f32 v18, s[20:21], v17, v17, s22
	v_rcp_f32_e32 v19, v18
	v_div_scale_f32 v20, vcc, s22, v17, s22
	v_fma_f32 v21, -v18, v19, 1.0
	v_fmac_f32_e32 v19, v21, v19
	v_mul_f32_e32 v21, v20, v19
	v_fma_f32 v22, -v18, v21, v20
	v_fmac_f32_e32 v21, v22, v19
	v_fma_f32 v18, -v18, v21, v20
	v_div_fmas_f32 v18, v18, v19, v21
	v_div_fixup_f32 v17, v18, v17, s22
	v_cvt_f16_f32_e32 v17, v17
	global_store_short v[2:3], v17, off
	s_or_b64 exec, exec, s[8:9]
	s_and_saveexec_b64 s[8:9], s[6:7]
	s_cbranch_execz .LBB284_13
.LBB284_17:                             ;   in Loop: Header=BB284_4 Depth=1
	s_waitcnt vmcnt(0)
	v_cvt_f32_f16_e32 v16, v16
	v_div_scale_f32 v17, s[6:7], v16, v16, s22
	v_rcp_f32_e32 v18, v17
	v_div_scale_f32 v19, vcc, s22, v16, s22
	v_fma_f32 v20, -v17, v18, 1.0
	v_fmac_f32_e32 v18, v20, v18
	v_mul_f32_e32 v20, v19, v18
	v_fma_f32 v21, -v17, v20, v19
	v_fmac_f32_e32 v20, v21, v18
	v_fma_f32 v17, -v17, v20, v19
	v_div_fmas_f32 v17, v17, v18, v20
	v_div_fixup_f32 v16, v17, v16, s22
	v_cvt_f16_f32_e32 v16, v16
	global_store_short v[4:5], v16, off
	s_or_b64 exec, exec, s[8:9]
	s_and_saveexec_b64 s[6:7], s[2:3]
	s_cbranch_execz .LBB284_14
.LBB284_18:                             ;   in Loop: Header=BB284_4 Depth=1
	s_waitcnt vmcnt(0)
	v_cvt_f32_f16_e32 v15, v15
	v_mov_b32_e32 v18, s23
	v_div_scale_f32 v16, s[2:3], v15, v15, s22
	v_rcp_f32_e32 v17, v16
	v_div_scale_f32 v19, vcc, s22, v15, s22
	v_fma_f32 v20, -v16, v17, 1.0
	v_fmac_f32_e32 v17, v20, v17
	v_mul_f32_e32 v20, v19, v17
	v_fma_f32 v21, -v16, v20, v19
	v_fmac_f32_e32 v20, v21, v17
	v_fma_f32 v16, -v16, v20, v19
	v_div_fmas_f32 v16, v16, v17, v20
	v_div_fixup_f32 v15, v16, v15, s22
	v_cvt_f16_f32_e32 v15, v15
	v_add_co_u32_e32 v16, vcc, s24, v2
	v_addc_co_u32_e32 v17, vcc, v3, v18, vcc
	global_store_short v[16:17], v15, off
	s_or_b64 exec, exec, s[6:7]
	s_and_saveexec_b64 s[2:3], s[0:1]
	s_cbranch_execz .LBB284_3
.LBB284_19:                             ;   in Loop: Header=BB284_4 Depth=1
	s_waitcnt vmcnt(0)
	v_cvt_f32_f16_e32 v14, v14
	v_mov_b32_e32 v17, s27
	v_div_scale_f32 v15, s[0:1], v14, v14, s22
	v_rcp_f32_e32 v16, v15
	v_div_scale_f32 v18, vcc, s22, v14, s22
	v_fma_f32 v19, -v15, v16, 1.0
	v_fmac_f32_e32 v16, v19, v16
	v_mul_f32_e32 v19, v18, v16
	v_fma_f32 v20, -v15, v19, v18
	v_fmac_f32_e32 v19, v20, v16
	v_fma_f32 v15, -v15, v19, v18
	v_div_fmas_f32 v15, v15, v16, v19
	v_div_fixup_f32 v14, v15, v14, s22
	v_cvt_f16_f32_e32 v16, v14
	v_add_co_u32_e32 v14, vcc, s26, v2
	v_addc_co_u32_e32 v15, vcc, v3, v17, vcc
	global_store_short v[14:15], v16, off
	s_branch .LBB284_3
.LBB284_20:
	s_cbranch_execz .LBB284_22
	s_branch .LBB284_25
.LBB284_21:
.LBB284_22:
	v_mov_b32_e32 v3, 0
	v_lshlrev_b32_e32 v2, 2, v0
	s_mov_b32 s0, 0
	v_cmp_gt_i64_e32 vcc, s[10:11], v[2:3]
	s_and_saveexec_b64 s[2:3], vcc
	s_cbranch_execz .LBB284_25
; %bb.23:
	s_load_dword s1, s[4:5], 0xd3c
	v_lshlrev_b32_e32 v1, 3, v0
	s_mov_b64 s[6:7], 0
	s_mov_b64 s[8:9], 0xffff
	v_mov_b32_e32 v5, s0
	s_waitcnt lgkmcnt(0)
	s_and_b32 s1, s1, 0xffff
	s_lshl_b32 s16, s1, 2
	s_add_u32 s2, s12, s14
	s_addc_u32 s3, s13, s15
	v_add_lshl_u32 v2, v0, s1, 2
	v_mov_b32_e32 v0, s3
	v_add_co_u32_e32 v1, vcc, s2, v1
	v_addc_co_u32_e32 v4, vcc, 0, v0, vcc
	v_add_co_u32_e32 v0, vcc, 4, v1
	v_addc_co_u32_e32 v1, vcc, 0, v4, vcc
	s_lshl_b32 s12, s1, 3
	v_mov_b32_e32 v4, s0
.LBB284_24:                             ; =>This Inner Loop Header: Depth=1
	global_load_dwordx2 v[6:7], v[0:1], off offset:-4
	v_cmp_le_i64_e32 vcc, s[10:11], v[2:3]
	v_cmp_lt_u64_e64 s[0:1], s[8:9], v[2:3]
	s_or_b64 s[14:15], vcc, s[0:1]
	v_add_co_u32_e64 v2, s[2:3], s16, v2
	v_addc_co_u32_e64 v3, s[2:3], v3, v4, s[2:3]
	s_waitcnt vmcnt(0)
	v_cvt_f32_f16_e32 v8, v6
	v_cvt_f32_f16_sdwa v6, v6 dst_sel:DWORD dst_unused:UNUSED_PAD src0_sel:WORD_1
	v_cvt_f32_f16_e32 v9, v7
	v_cvt_f32_f16_sdwa v7, v7 dst_sel:DWORD dst_unused:UNUSED_PAD src0_sel:WORD_1
	v_div_scale_f32 v10, s[0:1], v8, v8, s22
	v_div_scale_f32 v12, s[0:1], v6, v6, s22
	v_rcp_f32_e32 v18, v10
	v_div_scale_f32 v14, s[2:3], v9, v9, s22
	v_rcp_f32_e32 v19, v12
	;; [unrolled: 2-line block ×3, first 2 shown]
	v_rcp_f32_e32 v21, v16
	v_fma_f32 v22, -v10, v18, 1.0
	v_div_scale_f32 v11, vcc, s22, v8, s22
	v_fma_f32 v23, -v12, v19, 1.0
	v_fmac_f32_e32 v18, v22, v18
	v_div_scale_f32 v13, s[0:1], s22, v6, s22
	v_fma_f32 v24, -v14, v20, 1.0
	v_fmac_f32_e32 v19, v23, v19
	v_mul_f32_e32 v22, v11, v18
	v_div_scale_f32 v15, s[2:3], s22, v9, s22
	v_fma_f32 v25, -v16, v21, 1.0
	v_fmac_f32_e32 v20, v24, v20
	v_mul_f32_e32 v23, v13, v19
	v_fma_f32 v26, -v10, v22, v11
	v_div_scale_f32 v17, s[4:5], s22, v7, s22
	v_fmac_f32_e32 v21, v25, v21
	v_mul_f32_e32 v24, v15, v20
	v_fma_f32 v27, -v12, v23, v13
	v_fmac_f32_e32 v22, v26, v18
	v_mul_f32_e32 v25, v17, v21
	v_fma_f32 v28, -v14, v24, v15
	v_fmac_f32_e32 v23, v27, v19
	v_fma_f32 v10, -v10, v22, v11
	v_fma_f32 v29, -v16, v25, v17
	v_fmac_f32_e32 v24, v28, v20
	v_fma_f32 v11, -v12, v23, v13
	v_div_fmas_f32 v10, v10, v18, v22
	s_mov_b64 vcc, s[0:1]
	v_fmac_f32_e32 v25, v29, v21
	v_fma_f32 v12, -v14, v24, v15
	v_div_fixup_f32 v8, v10, v8, s22
	v_div_fmas_f32 v10, v11, v19, v23
	s_mov_b64 vcc, s[2:3]
	v_fma_f32 v13, -v16, v25, v17
	v_div_fixup_f32 v6, v10, v6, s22
	v_div_fmas_f32 v10, v12, v20, v24
	s_mov_b64 vcc, s[4:5]
	v_div_fixup_f32 v9, v10, v9, s22
	v_div_fmas_f32 v10, v13, v21, v25
	v_div_fixup_f32 v7, v10, v7, s22
	v_cvt_f16_f32_e32 v8, v8
	v_cvt_f16_f32_e32 v6, v6
	;; [unrolled: 1-line block ×4, first 2 shown]
	s_and_b64 s[0:1], exec, s[14:15]
	v_pack_b32_f16 v6, v8, v6
	s_or_b64 s[6:7], s[0:1], s[6:7]
	v_pack_b32_f16 v7, v9, v7
	global_store_dwordx2 v[0:1], v[6:7], off offset:-4
	v_add_co_u32_e32 v0, vcc, s12, v0
	v_addc_co_u32_e32 v1, vcc, v1, v5, vcc
	s_andn2_b64 exec, exec, s[6:7]
	s_cbranch_execnz .LBB284_24
.LBB284_25:
	s_endpgm
	.section	.rodata,"a",@progbits
	.p2align	6, 0x0
	.amdhsa_kernel _ZN2at6native12_GLOBAL__N_125multi_tensor_apply_kernelINS1_18TensorListMetadataILi1EEENS1_14UnaryOpFunctorIN3c104HalfELi1ELi1ELi0EEEJNS0_10ReciprocalIfEEEEEvT_T0_DpT1_
		.amdhsa_group_segment_fixed_size 0
		.amdhsa_private_segment_fixed_size 0
		.amdhsa_kernarg_size 3632
		.amdhsa_user_sgpr_count 6
		.amdhsa_user_sgpr_private_segment_buffer 1
		.amdhsa_user_sgpr_dispatch_ptr 0
		.amdhsa_user_sgpr_queue_ptr 0
		.amdhsa_user_sgpr_kernarg_segment_ptr 1
		.amdhsa_user_sgpr_dispatch_id 0
		.amdhsa_user_sgpr_flat_scratch_init 0
		.amdhsa_user_sgpr_kernarg_preload_length 0
		.amdhsa_user_sgpr_kernarg_preload_offset 0
		.amdhsa_user_sgpr_private_segment_size 0
		.amdhsa_uses_dynamic_stack 0
		.amdhsa_system_sgpr_private_segment_wavefront_offset 0
		.amdhsa_system_sgpr_workgroup_id_x 1
		.amdhsa_system_sgpr_workgroup_id_y 0
		.amdhsa_system_sgpr_workgroup_id_z 0
		.amdhsa_system_sgpr_workgroup_info 0
		.amdhsa_system_vgpr_workitem_id 0
		.amdhsa_next_free_vgpr 30
		.amdhsa_next_free_sgpr 28
		.amdhsa_accum_offset 32
		.amdhsa_reserve_vcc 1
		.amdhsa_reserve_flat_scratch 0
		.amdhsa_float_round_mode_32 0
		.amdhsa_float_round_mode_16_64 0
		.amdhsa_float_denorm_mode_32 3
		.amdhsa_float_denorm_mode_16_64 3
		.amdhsa_dx10_clamp 1
		.amdhsa_ieee_mode 1
		.amdhsa_fp16_overflow 0
		.amdhsa_tg_split 0
		.amdhsa_exception_fp_ieee_invalid_op 0
		.amdhsa_exception_fp_denorm_src 0
		.amdhsa_exception_fp_ieee_div_zero 0
		.amdhsa_exception_fp_ieee_overflow 0
		.amdhsa_exception_fp_ieee_underflow 0
		.amdhsa_exception_fp_ieee_inexact 0
		.amdhsa_exception_int_div_zero 0
	.end_amdhsa_kernel
	.section	.text._ZN2at6native12_GLOBAL__N_125multi_tensor_apply_kernelINS1_18TensorListMetadataILi1EEENS1_14UnaryOpFunctorIN3c104HalfELi1ELi1ELi0EEEJNS0_10ReciprocalIfEEEEEvT_T0_DpT1_,"axG",@progbits,_ZN2at6native12_GLOBAL__N_125multi_tensor_apply_kernelINS1_18TensorListMetadataILi1EEENS1_14UnaryOpFunctorIN3c104HalfELi1ELi1ELi0EEEJNS0_10ReciprocalIfEEEEEvT_T0_DpT1_,comdat
.Lfunc_end284:
	.size	_ZN2at6native12_GLOBAL__N_125multi_tensor_apply_kernelINS1_18TensorListMetadataILi1EEENS1_14UnaryOpFunctorIN3c104HalfELi1ELi1ELi0EEEJNS0_10ReciprocalIfEEEEEvT_T0_DpT1_, .Lfunc_end284-_ZN2at6native12_GLOBAL__N_125multi_tensor_apply_kernelINS1_18TensorListMetadataILi1EEENS1_14UnaryOpFunctorIN3c104HalfELi1ELi1ELi0EEEJNS0_10ReciprocalIfEEEEEvT_T0_DpT1_
                                        ; -- End function
	.section	.AMDGPU.csdata,"",@progbits
; Kernel info:
; codeLenInByte = 1676
; NumSgprs: 32
; NumVgprs: 30
; NumAgprs: 0
; TotalNumVgprs: 30
; ScratchSize: 0
; MemoryBound: 0
; FloatMode: 240
; IeeeMode: 1
; LDSByteSize: 0 bytes/workgroup (compile time only)
; SGPRBlocks: 3
; VGPRBlocks: 3
; NumSGPRsForWavesPerEU: 32
; NumVGPRsForWavesPerEU: 30
; AccumOffset: 32
; Occupancy: 8
; WaveLimiterHint : 0
; COMPUTE_PGM_RSRC2:SCRATCH_EN: 0
; COMPUTE_PGM_RSRC2:USER_SGPR: 6
; COMPUTE_PGM_RSRC2:TRAP_HANDLER: 0
; COMPUTE_PGM_RSRC2:TGID_X_EN: 1
; COMPUTE_PGM_RSRC2:TGID_Y_EN: 0
; COMPUTE_PGM_RSRC2:TGID_Z_EN: 0
; COMPUTE_PGM_RSRC2:TIDIG_COMP_CNT: 0
; COMPUTE_PGM_RSRC3_GFX90A:ACCUM_OFFSET: 7
; COMPUTE_PGM_RSRC3_GFX90A:TG_SPLIT: 0
	.section	.text._ZN2at6native12_GLOBAL__N_125multi_tensor_apply_kernelINS1_18TensorListMetadataILi1EEENS1_14UnaryOpFunctorIN3c108BFloat16ELi1ELi1ELi0EEEJNS0_10ReciprocalIfEEEEEvT_T0_DpT1_,"axG",@progbits,_ZN2at6native12_GLOBAL__N_125multi_tensor_apply_kernelINS1_18TensorListMetadataILi1EEENS1_14UnaryOpFunctorIN3c108BFloat16ELi1ELi1ELi0EEEJNS0_10ReciprocalIfEEEEEvT_T0_DpT1_,comdat
	.globl	_ZN2at6native12_GLOBAL__N_125multi_tensor_apply_kernelINS1_18TensorListMetadataILi1EEENS1_14UnaryOpFunctorIN3c108BFloat16ELi1ELi1ELi0EEEJNS0_10ReciprocalIfEEEEEvT_T0_DpT1_ ; -- Begin function _ZN2at6native12_GLOBAL__N_125multi_tensor_apply_kernelINS1_18TensorListMetadataILi1EEENS1_14UnaryOpFunctorIN3c108BFloat16ELi1ELi1ELi0EEEJNS0_10ReciprocalIfEEEEEvT_T0_DpT1_
	.p2align	8
	.type	_ZN2at6native12_GLOBAL__N_125multi_tensor_apply_kernelINS1_18TensorListMetadataILi1EEENS1_14UnaryOpFunctorIN3c108BFloat16ELi1ELi1ELi0EEEJNS0_10ReciprocalIfEEEEEvT_T0_DpT1_,@function
_ZN2at6native12_GLOBAL__N_125multi_tensor_apply_kernelINS1_18TensorListMetadataILi1EEENS1_14UnaryOpFunctorIN3c108BFloat16ELi1ELi1ELi0EEEJNS0_10ReciprocalIfEEEEEvT_T0_DpT1_: ; @_ZN2at6native12_GLOBAL__N_125multi_tensor_apply_kernelINS1_18TensorListMetadataILi1EEENS1_14UnaryOpFunctorIN3c108BFloat16ELi1ELi1ELi0EEEJNS0_10ReciprocalIfEEEEEvT_T0_DpT1_
; %bb.0:
	v_mov_b32_e32 v1, s6
	global_load_ubyte v1, v1, s[4:5] offset:1760
	s_add_u32 s0, s4, s6
	s_mul_hi_u32 s1, s6, 3
	s_mul_i32 s6, s6, 3
	s_addc_u32 s2, s5, 0
	s_add_u32 s0, s0, s6
	s_addc_u32 s1, s2, s1
	s_load_dword s0, s[0:1], 0x820
	s_mov_b32 s7, 0
	s_waitcnt vmcnt(0)
	v_readfirstlane_b32 s1, v1
	s_lshl_b32 s1, s1, 3
	s_load_dword s22, s[4:5], 0xd2c
	s_load_dwordx2 s[2:3], s[4:5], s1 offset:0x370
	s_load_dwordx2 s[12:13], s[4:5], s1 offset:0x0
	s_waitcnt lgkmcnt(0)
	s_ashr_i32 s1, s0, 31
	s_lshl_b64 s[14:15], s[0:1], 17
	s_lshl_b64 s[0:1], s[0:1], 16
	s_and_b32 s6, s12, 7
	s_sub_u32 s10, s2, s0
	s_subb_u32 s11, s3, s1
	s_and_b32 s0, s2, 3
	s_mov_b32 s1, s7
	s_or_b64 s[0:1], s[6:7], s[0:1]
	s_cmp_eq_u64 s[0:1], 0
	s_cbranch_scc1 .LBB285_21
; %bb.1:
	v_cmp_lt_i64_e64 s[0:1], s[10:11], 1
	s_and_b64 vcc, exec, s[0:1]
	s_cbranch_vccnz .LBB285_20
; %bb.2:
	s_load_dword s0, s[4:5], 0xd3c
	v_mov_b32_e32 v2, 0x10000
	v_mov_b32_e32 v3, 0
	v_cmp_lt_u64_e32 vcc, s[10:11], v[2:3]
	v_lshlrev_b32_e32 v1, 1, v0
	s_waitcnt lgkmcnt(0)
	s_and_b32 s2, s0, 0xffff
	s_and_b64 s[0:1], vcc, exec
	s_cselect_b32 s17, s11, 0
	s_cselect_b32 s16, s10, 0x10000
	s_lshl_b32 s3, s2, 1
	s_lshl_b32 s24, s2, 2
	s_add_u32 s6, s12, s14
	s_addc_u32 s7, s13, s15
	v_mov_b32_e32 v3, s7
	v_add_co_u32_e32 v2, vcc, s6, v1
	s_mul_i32 s0, s2, 3
	v_addc_co_u32_e32 v3, vcc, 0, v3, vcc
	v_add_co_u32_e32 v1, vcc, s0, v0
	v_addc_co_u32_e64 v8, s[0:1], 0, 0, vcc
	v_add_co_u32_e32 v9, vcc, s3, v0
	v_addc_co_u32_e64 v10, s[0:1], 0, 0, vcc
	v_add_co_u32_e32 v11, vcc, s2, v0
	v_lshlrev_b32_e32 v4, 1, v11
	s_mov_b32 s23, 0
	v_addc_co_u32_e64 v12, s[0:1], 0, 0, vcc
	v_mov_b32_e32 v5, s7
	v_add_co_u32_e32 v4, vcc, s6, v4
	s_lshl_b32 s25, s2, 3
	s_mov_b32 s26, s23
	s_mul_i32 s27, s2, 6
	s_mov_b32 s28, s23
	v_addc_co_u32_e32 v5, vcc, 0, v5, vcc
	s_mov_b64 s[18:19], 0
	s_movk_i32 s29, 0x7fff
	v_mov_b32_e32 v13, 0x7fc0
	v_pk_mov_b32 v[6:7], s[10:11], s[10:11] op_sel:[0,1]
	s_branch .LBB285_4
.LBB285_3:                              ;   in Loop: Header=BB285_4 Depth=1
	s_or_b64 exec, exec, s[2:3]
	s_add_u32 s18, s18, s24
	s_waitcnt vmcnt(0)
	v_mov_b32_e32 v14, 0x10000
	s_addc_u32 s19, s19, 0
	v_mov_b32_e32 v15, 0
	v_cmp_lt_i64_e32 vcc, s[18:19], v[6:7]
	v_cmp_lt_u64_e64 s[0:1], s[18:19], v[14:15]
	s_and_b64 s[0:1], vcc, s[0:1]
	v_mov_b32_e32 v14, s26
	v_add_co_u32_e32 v2, vcc, s25, v2
	v_addc_co_u32_e32 v3, vcc, v3, v14, vcc
	v_add_co_u32_e32 v4, vcc, s25, v4
	v_addc_co_u32_e32 v5, vcc, v5, v14, vcc
	s_and_b64 vcc, exec, s[0:1]
	s_cbranch_vccz .LBB285_20
.LBB285_4:                              ; =>This Inner Loop Header: Depth=1
	v_mov_b32_e32 v15, s19
	v_add_co_u32_e32 v14, vcc, s18, v0
	v_addc_co_u32_e32 v15, vcc, 0, v15, vcc
	v_cmp_gt_u64_e32 vcc, s[16:17], v[14:15]
	v_mov_b32_e32 v17, 0
	s_and_saveexec_b64 s[0:1], vcc
	s_cbranch_execz .LBB285_6
; %bb.5:                                ;   in Loop: Header=BB285_4 Depth=1
	global_load_ushort v17, v[2:3], off
.LBB285_6:                              ;   in Loop: Header=BB285_4 Depth=1
	s_or_b64 exec, exec, s[0:1]
	v_mov_b32_e32 v15, s19
	v_add_co_u32_e64 v14, s[0:1], s18, v11
	v_addc_co_u32_e64 v15, s[0:1], v12, v15, s[0:1]
	v_cmp_gt_u64_e64 s[6:7], s[16:17], v[14:15]
	v_mov_b32_e32 v16, 0
	s_and_saveexec_b64 s[0:1], s[6:7]
	s_cbranch_execz .LBB285_8
; %bb.7:                                ;   in Loop: Header=BB285_4 Depth=1
	global_load_ushort v16, v[4:5], off
.LBB285_8:                              ;   in Loop: Header=BB285_4 Depth=1
	s_or_b64 exec, exec, s[0:1]
	v_mov_b32_e32 v15, s19
	v_add_co_u32_e64 v14, s[0:1], s18, v9
	v_addc_co_u32_e64 v15, s[0:1], v10, v15, s[0:1]
	v_cmp_gt_u64_e64 s[2:3], s[16:17], v[14:15]
	v_mov_b32_e32 v14, 0
	v_mov_b32_e32 v15, 0
	s_and_saveexec_b64 s[8:9], s[2:3]
	s_cbranch_execz .LBB285_10
; %bb.9:                                ;   in Loop: Header=BB285_4 Depth=1
	v_mov_b32_e32 v15, s23
	v_add_co_u32_e64 v18, s[0:1], s24, v2
	v_addc_co_u32_e64 v19, s[0:1], v3, v15, s[0:1]
	global_load_ushort v15, v[18:19], off
.LBB285_10:                             ;   in Loop: Header=BB285_4 Depth=1
	s_or_b64 exec, exec, s[8:9]
	v_mov_b32_e32 v19, s19
	v_add_co_u32_e64 v18, s[0:1], s18, v1
	v_addc_co_u32_e64 v19, s[0:1], v8, v19, s[0:1]
	v_cmp_gt_u64_e64 s[0:1], s[16:17], v[18:19]
	s_and_saveexec_b64 s[20:21], s[0:1]
	s_cbranch_execnz .LBB285_15
; %bb.11:                               ;   in Loop: Header=BB285_4 Depth=1
	s_or_b64 exec, exec, s[20:21]
	s_and_saveexec_b64 s[8:9], vcc
	s_cbranch_execnz .LBB285_16
.LBB285_12:                             ;   in Loop: Header=BB285_4 Depth=1
	s_or_b64 exec, exec, s[8:9]
	s_and_saveexec_b64 s[8:9], s[6:7]
	s_cbranch_execnz .LBB285_17
.LBB285_13:                             ;   in Loop: Header=BB285_4 Depth=1
	s_or_b64 exec, exec, s[8:9]
	s_and_saveexec_b64 s[6:7], s[2:3]
	s_cbranch_execnz .LBB285_18
.LBB285_14:                             ;   in Loop: Header=BB285_4 Depth=1
	s_or_b64 exec, exec, s[6:7]
	s_and_saveexec_b64 s[2:3], s[0:1]
	s_cbranch_execz .LBB285_3
	s_branch .LBB285_19
.LBB285_15:                             ;   in Loop: Header=BB285_4 Depth=1
	v_mov_b32_e32 v14, s28
	v_add_co_u32_e64 v18, s[8:9], s27, v2
	v_addc_co_u32_e64 v19, s[8:9], v3, v14, s[8:9]
	global_load_ushort v14, v[18:19], off
	s_or_b64 exec, exec, s[20:21]
	s_and_saveexec_b64 s[8:9], vcc
	s_cbranch_execz .LBB285_12
.LBB285_16:                             ;   in Loop: Header=BB285_4 Depth=1
	s_waitcnt vmcnt(0)
	v_lshlrev_b32_e32 v17, 16, v17
	v_div_scale_f32 v18, s[20:21], v17, v17, s22
	v_rcp_f32_e32 v19, v18
	v_div_scale_f32 v20, vcc, s22, v17, s22
	v_fma_f32 v21, -v18, v19, 1.0
	v_fmac_f32_e32 v19, v21, v19
	v_mul_f32_e32 v21, v20, v19
	v_fma_f32 v22, -v18, v21, v20
	v_fmac_f32_e32 v21, v22, v19
	v_fma_f32 v18, -v18, v21, v20
	v_div_fmas_f32 v18, v18, v19, v21
	v_div_fixup_f32 v17, v18, v17, s22
	v_bfe_u32 v18, v17, 16, 1
	v_add3_u32 v18, v17, v18, s29
	v_lshrrev_b32_e32 v18, 16, v18
	v_cmp_o_f32_e32 vcc, v17, v17
	v_cndmask_b32_e32 v17, v13, v18, vcc
	global_store_short v[2:3], v17, off
	s_or_b64 exec, exec, s[8:9]
	s_and_saveexec_b64 s[8:9], s[6:7]
	s_cbranch_execz .LBB285_13
.LBB285_17:                             ;   in Loop: Header=BB285_4 Depth=1
	s_waitcnt vmcnt(0)
	v_lshlrev_b32_e32 v16, 16, v16
	v_div_scale_f32 v17, s[6:7], v16, v16, s22
	v_rcp_f32_e32 v18, v17
	v_div_scale_f32 v19, vcc, s22, v16, s22
	v_fma_f32 v20, -v17, v18, 1.0
	v_fmac_f32_e32 v18, v20, v18
	v_mul_f32_e32 v20, v19, v18
	v_fma_f32 v21, -v17, v20, v19
	v_fmac_f32_e32 v20, v21, v18
	v_fma_f32 v17, -v17, v20, v19
	v_div_fmas_f32 v17, v17, v18, v20
	v_div_fixup_f32 v16, v17, v16, s22
	v_bfe_u32 v17, v16, 16, 1
	v_add3_u32 v17, v16, v17, s29
	v_lshrrev_b32_e32 v17, 16, v17
	v_cmp_o_f32_e32 vcc, v16, v16
	v_cndmask_b32_e32 v16, v13, v17, vcc
	global_store_short v[4:5], v16, off
	s_or_b64 exec, exec, s[8:9]
	s_and_saveexec_b64 s[6:7], s[2:3]
	s_cbranch_execz .LBB285_14
.LBB285_18:                             ;   in Loop: Header=BB285_4 Depth=1
	s_waitcnt vmcnt(0)
	v_lshlrev_b32_e32 v15, 16, v15
	v_div_scale_f32 v16, s[2:3], v15, v15, s22
	v_rcp_f32_e32 v17, v16
	v_div_scale_f32 v18, vcc, s22, v15, s22
	v_fma_f32 v19, -v16, v17, 1.0
	v_fmac_f32_e32 v17, v19, v17
	v_mul_f32_e32 v19, v18, v17
	v_fma_f32 v20, -v16, v19, v18
	v_fmac_f32_e32 v19, v20, v17
	v_fma_f32 v16, -v16, v19, v18
	v_div_fmas_f32 v16, v16, v17, v19
	v_div_fixup_f32 v15, v16, v15, s22
	v_bfe_u32 v16, v15, 16, 1
	v_add3_u32 v16, v15, v16, s29
	v_lshrrev_b32_e32 v16, 16, v16
	v_cmp_o_f32_e32 vcc, v15, v15
	v_cndmask_b32_e32 v15, v13, v16, vcc
	v_mov_b32_e32 v17, s23
	v_add_co_u32_e32 v16, vcc, s24, v2
	v_addc_co_u32_e32 v17, vcc, v3, v17, vcc
	global_store_short v[16:17], v15, off
	s_or_b64 exec, exec, s[6:7]
	s_and_saveexec_b64 s[2:3], s[0:1]
	s_cbranch_execz .LBB285_3
.LBB285_19:                             ;   in Loop: Header=BB285_4 Depth=1
	s_waitcnt vmcnt(0)
	v_lshlrev_b32_e32 v14, 16, v14
	v_div_scale_f32 v15, s[0:1], v14, v14, s22
	v_rcp_f32_e32 v16, v15
	v_div_scale_f32 v17, vcc, s22, v14, s22
	v_fma_f32 v18, -v15, v16, 1.0
	v_fmac_f32_e32 v16, v18, v16
	v_mul_f32_e32 v18, v17, v16
	v_fma_f32 v19, -v15, v18, v17
	v_fmac_f32_e32 v18, v19, v16
	v_fma_f32 v15, -v15, v18, v17
	v_div_fmas_f32 v15, v15, v16, v18
	v_div_fixup_f32 v14, v15, v14, s22
	v_bfe_u32 v15, v14, 16, 1
	v_add3_u32 v15, v14, v15, s29
	v_lshrrev_b32_e32 v15, 16, v15
	v_cmp_o_f32_e32 vcc, v14, v14
	v_cndmask_b32_e32 v16, v13, v15, vcc
	v_mov_b32_e32 v15, s28
	v_add_co_u32_e32 v14, vcc, s27, v2
	v_addc_co_u32_e32 v15, vcc, v3, v15, vcc
	global_store_short v[14:15], v16, off
	s_branch .LBB285_3
.LBB285_20:
	s_cbranch_execz .LBB285_22
	s_branch .LBB285_25
.LBB285_21:
.LBB285_22:
	v_mov_b32_e32 v3, 0
	v_lshlrev_b32_e32 v2, 2, v0
	s_mov_b32 s0, 0
	v_cmp_gt_i64_e32 vcc, s[10:11], v[2:3]
	s_and_saveexec_b64 s[2:3], vcc
	s_cbranch_execz .LBB285_25
; %bb.23:
	s_load_dword s1, s[4:5], 0xd3c
	v_lshlrev_b32_e32 v1, 3, v0
	s_mov_b64 s[6:7], 0
	s_mov_b64 s[8:9], 0xffff
	v_mov_b32_e32 v6, s0
	s_waitcnt lgkmcnt(0)
	s_and_b32 s1, s1, 0xffff
	s_add_u32 s2, s12, s14
	s_addc_u32 s3, s13, s15
	v_mov_b32_e32 v2, s3
	v_add_co_u32_e32 v4, vcc, s2, v1
	v_addc_co_u32_e32 v5, vcc, 0, v2, vcc
	s_lshl_b32 s12, s1, 3
	v_add_lshl_u32 v2, v0, s1, 2
	s_lshl_b32 s13, s1, 2
	s_movk_i32 s14, 0x7fff
	v_mov_b32_e32 v0, 0x7fc00000
	v_mov_b32_e32 v1, 0x7fc0
	;; [unrolled: 1-line block ×3, first 2 shown]
.LBB285_24:                             ; =>This Inner Loop Header: Depth=1
	global_load_dwordx2 v[8:9], v[4:5], off
	v_cmp_le_i64_e32 vcc, s[10:11], v[2:3]
	v_cmp_lt_u64_e64 s[0:1], s[8:9], v[2:3]
	s_or_b64 s[0:1], vcc, s[0:1]
	s_and_b64 s[0:1], exec, s[0:1]
	s_or_b64 s[6:7], s[0:1], s[6:7]
	s_waitcnt vmcnt(0)
	v_lshlrev_b32_e32 v11, 16, v8
	v_and_b32_e32 v10, 0xffff0000, v8
	v_alignbit_b32 v8, v9, v8, 16
	v_div_scale_f32 v12, s[0:1], v11, v11, s22
	v_and_b32_e32 v9, 0xffff0000, v9
	v_div_scale_f32 v14, s[0:1], v10, v10, s22
	v_and_b32_e32 v8, 0xffff0000, v8
	v_rcp_f32_e32 v18, v12
	v_div_scale_f32 v16, s[2:3], v9, v9, s22
	v_rcp_f32_e32 v19, v14
	v_div_scale_f32 v20, s[4:5], v8, v8, s22
	v_rcp_f32_e32 v22, v16
	v_rcp_f32_e32 v23, v20
	v_fma_f32 v24, -v12, v18, 1.0
	v_div_scale_f32 v13, vcc, s22, v11, s22
	v_fma_f32 v25, -v14, v19, 1.0
	v_fmac_f32_e32 v18, v24, v18
	v_div_scale_f32 v15, s[0:1], s22, v10, s22
	v_fma_f32 v26, -v16, v22, 1.0
	v_fmac_f32_e32 v19, v25, v19
	v_fma_f32 v24, -v20, v23, 1.0
	v_mul_f32_e32 v25, v13, v18
	v_div_scale_f32 v21, s[4:5], s22, v8, s22
	v_fmac_f32_e32 v22, v26, v22
	v_mul_f32_e32 v26, v15, v19
	v_fmac_f32_e32 v23, v24, v23
	v_fma_f32 v27, -v12, v25, v13
	v_div_scale_f32 v17, s[2:3], s22, v9, s22
	v_fma_f32 v28, -v14, v26, v15
	v_mul_f32_e32 v29, v21, v23
	v_fmac_f32_e32 v25, v27, v18
	v_mul_f32_e32 v24, v17, v22
	v_fmac_f32_e32 v26, v28, v19
	v_fma_f32 v27, -v20, v29, v21
	v_fma_f32 v12, -v12, v25, v13
	;; [unrolled: 1-line block ×4, first 2 shown]
	v_fmac_f32_e32 v29, v27, v23
	v_div_fmas_f32 v12, v12, v18, v25
	s_mov_b64 vcc, s[0:1]
	v_fmac_f32_e32 v24, v30, v22
	v_fma_f32 v15, -v20, v29, v21
	v_div_fixup_f32 v11, v12, v11, s22
	v_div_fmas_f32 v12, v13, v19, v26
	s_mov_b64 vcc, s[4:5]
	v_fma_f32 v14, -v16, v24, v17
	v_bfe_u32 v13, v11, 16, 1
	v_div_fixup_f32 v10, v12, v10, s22
	v_div_fmas_f32 v12, v15, v23, v29
	s_mov_b64 vcc, s[2:3]
	v_add3_u32 v13, v11, v13, s14
	v_bfe_u32 v15, v10, 16, 1
	v_div_fixup_f32 v8, v12, v8, s22
	v_div_fmas_f32 v12, v14, v22, v24
	v_lshrrev_b32_e32 v13, 16, v13
	v_add3_u32 v14, v10, v15, s14
	v_bfe_u32 v15, v8, 16, 1
	v_div_fixup_f32 v9, v12, v9, s22
	v_cmp_o_f32_e32 vcc, v11, v11
	v_and_b32_e32 v12, 0xffff0000, v14
	v_add3_u32 v14, v8, v15, s14
	v_bfe_u32 v15, v9, 16, 1
	v_cndmask_b32_e32 v11, v1, v13, vcc
	v_cmp_o_f32_e32 vcc, v10, v10
	v_lshrrev_b32_e32 v13, 16, v14
	v_add3_u32 v14, v9, v15, s14
	v_cndmask_b32_e32 v10, v0, v12, vcc
	v_cmp_o_f32_e32 vcc, v8, v8
	v_and_b32_e32 v12, 0xffff0000, v14
	v_cndmask_b32_e32 v13, v1, v13, vcc
	v_cmp_o_f32_e32 vcc, v9, v9
	v_or_b32_e32 v8, v11, v10
	v_cndmask_b32_e32 v9, v0, v12, vcc
	v_or3_b32 v8, v8, 0, 0
	v_or3_b32 v9, 0, v13, v9
	global_store_dwordx2 v[4:5], v[8:9], off
	v_add_co_u32_e32 v4, vcc, s12, v4
	v_addc_co_u32_e32 v5, vcc, v5, v6, vcc
	v_add_co_u32_e32 v2, vcc, s13, v2
	v_addc_co_u32_e32 v3, vcc, v3, v7, vcc
	s_andn2_b64 exec, exec, s[6:7]
	s_cbranch_execnz .LBB285_24
.LBB285_25:
	s_endpgm
	.section	.rodata,"a",@progbits
	.p2align	6, 0x0
	.amdhsa_kernel _ZN2at6native12_GLOBAL__N_125multi_tensor_apply_kernelINS1_18TensorListMetadataILi1EEENS1_14UnaryOpFunctorIN3c108BFloat16ELi1ELi1ELi0EEEJNS0_10ReciprocalIfEEEEEvT_T0_DpT1_
		.amdhsa_group_segment_fixed_size 0
		.amdhsa_private_segment_fixed_size 0
		.amdhsa_kernarg_size 3632
		.amdhsa_user_sgpr_count 6
		.amdhsa_user_sgpr_private_segment_buffer 1
		.amdhsa_user_sgpr_dispatch_ptr 0
		.amdhsa_user_sgpr_queue_ptr 0
		.amdhsa_user_sgpr_kernarg_segment_ptr 1
		.amdhsa_user_sgpr_dispatch_id 0
		.amdhsa_user_sgpr_flat_scratch_init 0
		.amdhsa_user_sgpr_kernarg_preload_length 0
		.amdhsa_user_sgpr_kernarg_preload_offset 0
		.amdhsa_user_sgpr_private_segment_size 0
		.amdhsa_uses_dynamic_stack 0
		.amdhsa_system_sgpr_private_segment_wavefront_offset 0
		.amdhsa_system_sgpr_workgroup_id_x 1
		.amdhsa_system_sgpr_workgroup_id_y 0
		.amdhsa_system_sgpr_workgroup_id_z 0
		.amdhsa_system_sgpr_workgroup_info 0
		.amdhsa_system_vgpr_workitem_id 0
		.amdhsa_next_free_vgpr 31
		.amdhsa_next_free_sgpr 30
		.amdhsa_accum_offset 32
		.amdhsa_reserve_vcc 1
		.amdhsa_reserve_flat_scratch 0
		.amdhsa_float_round_mode_32 0
		.amdhsa_float_round_mode_16_64 0
		.amdhsa_float_denorm_mode_32 3
		.amdhsa_float_denorm_mode_16_64 3
		.amdhsa_dx10_clamp 1
		.amdhsa_ieee_mode 1
		.amdhsa_fp16_overflow 0
		.amdhsa_tg_split 0
		.amdhsa_exception_fp_ieee_invalid_op 0
		.amdhsa_exception_fp_denorm_src 0
		.amdhsa_exception_fp_ieee_div_zero 0
		.amdhsa_exception_fp_ieee_overflow 0
		.amdhsa_exception_fp_ieee_underflow 0
		.amdhsa_exception_fp_ieee_inexact 0
		.amdhsa_exception_int_div_zero 0
	.end_amdhsa_kernel
	.section	.text._ZN2at6native12_GLOBAL__N_125multi_tensor_apply_kernelINS1_18TensorListMetadataILi1EEENS1_14UnaryOpFunctorIN3c108BFloat16ELi1ELi1ELi0EEEJNS0_10ReciprocalIfEEEEEvT_T0_DpT1_,"axG",@progbits,_ZN2at6native12_GLOBAL__N_125multi_tensor_apply_kernelINS1_18TensorListMetadataILi1EEENS1_14UnaryOpFunctorIN3c108BFloat16ELi1ELi1ELi0EEEJNS0_10ReciprocalIfEEEEEvT_T0_DpT1_,comdat
.Lfunc_end285:
	.size	_ZN2at6native12_GLOBAL__N_125multi_tensor_apply_kernelINS1_18TensorListMetadataILi1EEENS1_14UnaryOpFunctorIN3c108BFloat16ELi1ELi1ELi0EEEJNS0_10ReciprocalIfEEEEEvT_T0_DpT1_, .Lfunc_end285-_ZN2at6native12_GLOBAL__N_125multi_tensor_apply_kernelINS1_18TensorListMetadataILi1EEENS1_14UnaryOpFunctorIN3c108BFloat16ELi1ELi1ELi0EEEJNS0_10ReciprocalIfEEEEEvT_T0_DpT1_
                                        ; -- End function
	.section	.AMDGPU.csdata,"",@progbits
; Kernel info:
; codeLenInByte = 1912
; NumSgprs: 34
; NumVgprs: 31
; NumAgprs: 0
; TotalNumVgprs: 31
; ScratchSize: 0
; MemoryBound: 0
; FloatMode: 240
; IeeeMode: 1
; LDSByteSize: 0 bytes/workgroup (compile time only)
; SGPRBlocks: 4
; VGPRBlocks: 3
; NumSGPRsForWavesPerEU: 34
; NumVGPRsForWavesPerEU: 31
; AccumOffset: 32
; Occupancy: 8
; WaveLimiterHint : 0
; COMPUTE_PGM_RSRC2:SCRATCH_EN: 0
; COMPUTE_PGM_RSRC2:USER_SGPR: 6
; COMPUTE_PGM_RSRC2:TRAP_HANDLER: 0
; COMPUTE_PGM_RSRC2:TGID_X_EN: 1
; COMPUTE_PGM_RSRC2:TGID_Y_EN: 0
; COMPUTE_PGM_RSRC2:TGID_Z_EN: 0
; COMPUTE_PGM_RSRC2:TIDIG_COMP_CNT: 0
; COMPUTE_PGM_RSRC3_GFX90A:ACCUM_OFFSET: 7
; COMPUTE_PGM_RSRC3_GFX90A:TG_SPLIT: 0
	.section	.text._ZN2at6native12_GLOBAL__N_125multi_tensor_apply_kernelINS1_18TensorListMetadataILi2EEENS1_14UnaryOpFunctorIdLi2ELi1ELi1EEEJNS0_4SignIdEEEEEvT_T0_DpT1_,"axG",@progbits,_ZN2at6native12_GLOBAL__N_125multi_tensor_apply_kernelINS1_18TensorListMetadataILi2EEENS1_14UnaryOpFunctorIdLi2ELi1ELi1EEEJNS0_4SignIdEEEEEvT_T0_DpT1_,comdat
	.globl	_ZN2at6native12_GLOBAL__N_125multi_tensor_apply_kernelINS1_18TensorListMetadataILi2EEENS1_14UnaryOpFunctorIdLi2ELi1ELi1EEEJNS0_4SignIdEEEEEvT_T0_DpT1_ ; -- Begin function _ZN2at6native12_GLOBAL__N_125multi_tensor_apply_kernelINS1_18TensorListMetadataILi2EEENS1_14UnaryOpFunctorIdLi2ELi1ELi1EEEJNS0_4SignIdEEEEEvT_T0_DpT1_
	.p2align	8
	.type	_ZN2at6native12_GLOBAL__N_125multi_tensor_apply_kernelINS1_18TensorListMetadataILi2EEENS1_14UnaryOpFunctorIdLi2ELi1ELi1EEEJNS0_4SignIdEEEEEvT_T0_DpT1_,@function
_ZN2at6native12_GLOBAL__N_125multi_tensor_apply_kernelINS1_18TensorListMetadataILi2EEENS1_14UnaryOpFunctorIdLi2ELi1ELi1EEEJNS0_4SignIdEEEEEvT_T0_DpT1_: ; @_ZN2at6native12_GLOBAL__N_125multi_tensor_apply_kernelINS1_18TensorListMetadataILi2EEENS1_14UnaryOpFunctorIdLi2ELi1ELi1EEEJNS0_4SignIdEEEEEvT_T0_DpT1_
; %bb.0:
	v_mov_b32_e32 v1, s6
	global_load_ubyte v1, v1, s[4:5] offset:1536
	s_add_u32 s0, s4, s6
	s_mul_hi_u32 s2, s6, 3
	s_mul_i32 s6, s6, 3
	s_addc_u32 s9, s5, 0
	s_add_u32 s8, s0, s6
	s_addc_u32 s9, s9, s2
	s_load_dword s10, s[8:9], 0x740
	s_mov_b32 s1, 0
	s_mov_b32 s7, s1
	;; [unrolled: 1-line block ×3, first 2 shown]
	s_waitcnt lgkmcnt(0)
	s_ashr_i32 s11, s10, 31
	s_lshl_b64 s[8:9], s[10:11], 19
	s_waitcnt vmcnt(0)
	v_readfirstlane_b32 s0, v1
	s_lshl_b32 s0, s0, 3
	s_load_dwordx2 s[16:17], s[4:5], s0 offset:0x0
	s_load_dwordx2 s[12:13], s[4:5], s0 offset:0x400
	;; [unrolled: 1-line block ×3, first 2 shown]
	s_waitcnt lgkmcnt(0)
	s_add_u32 s22, s16, s8
	s_addc_u32 s23, s17, s9
	s_and_b32 s0, s22, 31
	s_add_u32 s24, s14, s8
	s_addc_u32 s25, s15, s9
	s_and_b32 s6, s12, 3
	s_and_b32 s2, s24, 31
	s_or_b64 s[6:7], s[0:1], s[6:7]
	s_or_b64 s[2:3], s[2:3], s[6:7]
	s_lshl_b64 s[6:7], s[10:11], 16
	s_sub_u32 s10, s12, s6
	s_subb_u32 s11, s13, s7
	s_cmp_eq_u64 s[2:3], 0
	s_mov_b64 s[2:3], -1
	s_cbranch_scc0 .LBB286_5
; %bb.1:
	v_mov_b32_e32 v3, 0
	v_lshlrev_b32_e32 v2, 2, v0
	v_cmp_gt_i64_e32 vcc, s[10:11], v[2:3]
	s_and_saveexec_b64 s[12:13], vcc
	s_cbranch_execz .LBB286_4
; %bb.2:
	s_load_dword s0, s[4:5], 0xc5c
	v_lshlrev_b32_e32 v4, 5, v0
	s_mov_b64 s[18:19], 0
	s_mov_b64 s[20:21], 0xffff
	v_mov_b32_e32 v1, s1
	s_waitcnt lgkmcnt(0)
	s_and_b32 s0, s0, 0xffff
	v_add_lshl_u32 v2, v0, s0, 2
	s_lshl_b32 s26, s0, 2
	s_lshl_b32 s27, s0, 5
.LBB286_3:                              ; =>This Inner Loop Header: Depth=1
	v_mov_b32_e32 v5, s23
	v_add_co_u32_e32 v14, vcc, s22, v4
	v_addc_co_u32_e32 v15, vcc, 0, v5, vcc
	global_load_dwordx4 v[6:9], v[14:15], off
	global_load_dwordx4 v[10:13], v[14:15], off offset:16
	v_cmp_le_i64_e32 vcc, s[10:11], v[2:3]
	v_cmp_lt_u64_e64 s[0:1], s[20:21], v[2:3]
	s_or_b64 s[0:1], vcc, s[0:1]
	v_add_co_u32_e64 v2, s[2:3], s26, v2
	s_add_u32 s22, s22, s27
	v_addc_co_u32_e64 v3, s[2:3], v3, v1, s[2:3]
	s_addc_u32 s23, s23, 0
	v_add_co_u32_e64 v14, s[2:3], s24, v4
	s_add_u32 s24, s24, s27
	v_mov_b32_e32 v5, s25
	s_addc_u32 s25, s25, 0
	v_addc_co_u32_e64 v15, s[2:3], 0, v5, s[2:3]
	s_and_b64 s[0:1], exec, s[0:1]
	s_or_b64 s[18:19], s[0:1], s[18:19]
	s_waitcnt vmcnt(1)
	v_cmp_lt_f64_e32 vcc, 0, v[6:7]
	v_cndmask_b32_e64 v5, 0, 1, vcc
	v_cmp_lt_f64_e32 vcc, 0, v[8:9]
	v_cndmask_b32_e64 v16, 0, 1, vcc
	v_cmp_gt_f64_e32 vcc, 0, v[8:9]
	s_waitcnt vmcnt(0)
	v_cmp_lt_f64_e64 s[0:1], 0, v[10:11]
	v_cmp_lt_f64_e64 s[2:3], 0, v[12:13]
	v_cmp_gt_f64_e64 s[6:7], 0, v[6:7]
	v_cndmask_b32_e64 v8, 0, 1, s[0:1]
	v_cmp_gt_f64_e64 s[0:1], 0, v[10:11]
	v_cndmask_b32_e64 v9, 0, 1, s[2:3]
	v_cmp_gt_f64_e64 s[2:3], 0, v[12:13]
	v_subbrev_co_u32_e64 v5, s[6:7], 0, v5, s[6:7]
	v_subbrev_co_u32_e32 v10, vcc, 0, v16, vcc
	v_subbrev_co_u32_e64 v11, vcc, 0, v8, s[0:1]
	v_subbrev_co_u32_e64 v12, vcc, 0, v9, s[2:3]
	v_cvt_f64_i32_e32 v[6:7], v5
	v_cvt_f64_i32_e32 v[8:9], v10
	;; [unrolled: 1-line block ×4, first 2 shown]
	global_store_dwordx4 v[14:15], v[6:9], off
	global_store_dwordx4 v[14:15], v[10:13], off offset:16
	s_andn2_b64 exec, exec, s[18:19]
	s_cbranch_execnz .LBB286_3
.LBB286_4:
	s_or_b64 exec, exec, s[12:13]
	s_mov_b64 s[2:3], 0
.LBB286_5:
	s_andn2_b64 vcc, exec, s[2:3]
	s_cbranch_vccnz .LBB286_25
; %bb.6:
	v_cmp_lt_i64_e64 s[0:1], s[10:11], 1
	s_and_b64 vcc, exec, s[0:1]
	s_cbranch_vccnz .LBB286_25
; %bb.7:
	s_load_dword s0, s[4:5], 0xc5c
	v_mov_b32_e32 v2, 0x10000
	v_mov_b32_e32 v3, 0
	v_cmp_lt_u64_e32 vcc, s[10:11], v[2:3]
	v_lshlrev_b32_e32 v10, 3, v0
	s_waitcnt lgkmcnt(0)
	s_and_b32 s2, s0, 0xffff
	s_and_b64 s[0:1], vcc, exec
	v_mov_b32_e32 v13, s17
	v_add_co_u32_e32 v2, vcc, s16, v10
	v_addc_co_u32_e32 v1, vcc, 0, v13, vcc
	v_mov_b32_e32 v11, 0
	v_mov_b32_e32 v15, s15
	v_add_co_u32_e32 v4, vcc, s14, v10
	v_addc_co_u32_e32 v3, vcc, 0, v15, vcc
	v_mad_u64_u32 v[8:9], s[0:1], s2, 24, v[10:11]
	v_add_co_u32_e32 v6, vcc, s16, v8
	v_addc_co_u32_e32 v5, vcc, v13, v9, vcc
	v_add_co_u32_e32 v8, vcc, s14, v8
	s_mul_i32 s4, s2, 3
	v_addc_co_u32_e32 v7, vcc, v15, v9, vcc
	v_add_co_u32_e32 v17, vcc, s4, v0
	v_addc_co_u32_e64 v26, s[0:1], 0, 0, vcc
	s_cselect_b32 s13, s11, 0
	s_cselect_b32 s12, s10, 0x10000
	s_lshl_b32 s0, s2, 4
	v_add_co_u32_e32 v11, vcc, s0, v10
	v_addc_co_u32_e64 v14, s[0:1], 0, 0, vcc
	v_add_co_u32_e32 v10, vcc, s16, v11
	v_addc_co_u32_e32 v9, vcc, v13, v14, vcc
	v_add_co_u32_e32 v12, vcc, s14, v11
	s_lshl_b32 s3, s2, 1
	v_addc_co_u32_e32 v11, vcc, v15, v14, vcc
	v_add_co_u32_e32 v27, vcc, s3, v0
	v_addc_co_u32_e64 v28, s[0:1], 0, 0, vcc
	v_add_co_u32_e32 v29, vcc, s2, v0
	v_lshlrev_b32_e32 v16, 3, v29
	v_addc_co_u32_e64 v30, s[0:1], 0, 0, vcc
	v_add_co_u32_e32 v14, vcc, s16, v16
	v_addc_co_u32_e32 v13, vcc, 0, v13, vcc
	v_add_co_u32_e32 v16, vcc, s14, v16
	s_mov_b32 s18, 0
	s_lshl_b32 s19, s2, 2
	s_lshl_b32 s20, s2, 5
	v_addc_co_u32_e32 v15, vcc, 0, v15, vcc
	s_mov_b64 s[14:15], 0
	s_branch .LBB286_9
.LBB286_8:                              ;   in Loop: Header=BB286_9 Depth=1
	s_or_b64 exec, exec, s[0:1]
	s_add_u32 s14, s14, s19
	s_addc_u32 s15, s15, 0
	s_waitcnt vmcnt(0)
	v_pk_mov_b32 v[18:19], s[10:11], s[10:11] op_sel:[0,1]
	v_cmp_ge_i64_e32 vcc, s[14:15], v[18:19]
	v_mov_b32_e32 v18, 0xffff
	v_mov_b32_e32 v19, 0
	v_cmp_gt_u64_e64 s[0:1], s[14:15], v[18:19]
	s_or_b64 s[0:1], vcc, s[0:1]
	v_mov_b32_e32 v18, s18
	v_add_co_u32_e32 v2, vcc, s20, v2
	v_addc_co_u32_e32 v1, vcc, v1, v18, vcc
	v_add_co_u32_e32 v4, vcc, s20, v4
	v_addc_co_u32_e32 v3, vcc, v3, v18, vcc
	;; [unrolled: 2-line block ×8, first 2 shown]
	s_and_b64 vcc, exec, s[0:1]
	s_cbranch_vccnz .LBB286_25
.LBB286_9:                              ; =>This Inner Loop Header: Depth=1
	v_mov_b32_e32 v19, s15
	v_add_co_u32_e32 v18, vcc, s14, v0
	v_addc_co_u32_e32 v19, vcc, 0, v19, vcc
	v_cmp_gt_u64_e32 vcc, s[12:13], v[18:19]
	v_pk_mov_b32 v[18:19], 0, 0
	v_pk_mov_b32 v[22:23], v[18:19], v[18:19] op_sel:[0,1]
	s_and_saveexec_b64 s[2:3], vcc
	s_cbranch_execz .LBB286_11
; %bb.10:                               ;   in Loop: Header=BB286_9 Depth=1
	v_mov_b32_e32 v21, s9
	v_add_co_u32_e64 v20, s[0:1], s8, v2
	v_addc_co_u32_e64 v21, s[0:1], v1, v21, s[0:1]
	global_load_dwordx2 v[22:23], v[20:21], off
.LBB286_11:                             ;   in Loop: Header=BB286_9 Depth=1
	s_or_b64 exec, exec, s[2:3]
	v_mov_b32_e32 v21, s15
	v_add_co_u32_e64 v20, s[0:1], s14, v29
	v_addc_co_u32_e64 v21, s[0:1], v30, v21, s[0:1]
	v_cmp_gt_u64_e64 s[0:1], s[12:13], v[20:21]
	s_and_saveexec_b64 s[4:5], s[0:1]
	s_cbranch_execz .LBB286_13
; %bb.12:                               ;   in Loop: Header=BB286_9 Depth=1
	v_mov_b32_e32 v19, s9
	v_add_co_u32_e64 v18, s[2:3], s8, v14
	v_addc_co_u32_e64 v19, s[2:3], v13, v19, s[2:3]
	global_load_dwordx2 v[18:19], v[18:19], off
.LBB286_13:                             ;   in Loop: Header=BB286_9 Depth=1
	s_or_b64 exec, exec, s[4:5]
	v_mov_b32_e32 v21, s15
	v_add_co_u32_e64 v20, s[2:3], s14, v27
	v_addc_co_u32_e64 v21, s[2:3], v28, v21, s[2:3]
	v_cmp_gt_u64_e64 s[2:3], s[12:13], v[20:21]
	v_pk_mov_b32 v[20:21], 0, 0
	v_pk_mov_b32 v[24:25], v[20:21], v[20:21] op_sel:[0,1]
	s_and_saveexec_b64 s[6:7], s[2:3]
	s_cbranch_execz .LBB286_15
; %bb.14:                               ;   in Loop: Header=BB286_9 Depth=1
	v_mov_b32_e32 v25, s9
	v_add_co_u32_e64 v24, s[4:5], s8, v10
	v_addc_co_u32_e64 v25, s[4:5], v9, v25, s[4:5]
	global_load_dwordx2 v[24:25], v[24:25], off
.LBB286_15:                             ;   in Loop: Header=BB286_9 Depth=1
	s_or_b64 exec, exec, s[6:7]
	v_mov_b32_e32 v31, s15
	v_add_co_u32_e64 v32, s[4:5], s14, v17
	v_addc_co_u32_e64 v33, s[4:5], v26, v31, s[4:5]
	v_cmp_gt_u64_e64 s[4:5], s[12:13], v[32:33]
	s_and_saveexec_b64 s[16:17], s[4:5]
	s_cbranch_execnz .LBB286_20
; %bb.16:                               ;   in Loop: Header=BB286_9 Depth=1
	s_or_b64 exec, exec, s[16:17]
	s_and_saveexec_b64 s[6:7], vcc
	s_cbranch_execnz .LBB286_21
.LBB286_17:                             ;   in Loop: Header=BB286_9 Depth=1
	s_or_b64 exec, exec, s[6:7]
	s_and_saveexec_b64 s[6:7], s[0:1]
	s_cbranch_execnz .LBB286_22
.LBB286_18:                             ;   in Loop: Header=BB286_9 Depth=1
	s_or_b64 exec, exec, s[6:7]
	s_and_saveexec_b64 s[0:1], s[2:3]
	s_cbranch_execnz .LBB286_23
.LBB286_19:                             ;   in Loop: Header=BB286_9 Depth=1
	s_or_b64 exec, exec, s[0:1]
	s_and_saveexec_b64 s[0:1], s[4:5]
	s_cbranch_execz .LBB286_8
	s_branch .LBB286_24
.LBB286_20:                             ;   in Loop: Header=BB286_9 Depth=1
	v_mov_b32_e32 v21, s9
	v_add_co_u32_e64 v20, s[6:7], s8, v6
	v_addc_co_u32_e64 v21, s[6:7], v5, v21, s[6:7]
	global_load_dwordx2 v[20:21], v[20:21], off
	s_or_b64 exec, exec, s[16:17]
	s_and_saveexec_b64 s[6:7], vcc
	s_cbranch_execz .LBB286_17
.LBB286_21:                             ;   in Loop: Header=BB286_9 Depth=1
	v_mov_b32_e32 v31, s9
	v_add_co_u32_e32 v32, vcc, s8, v4
	v_addc_co_u32_e32 v33, vcc, v3, v31, vcc
	s_waitcnt vmcnt(0)
	v_cmp_lt_f64_e32 vcc, 0, v[22:23]
	v_cndmask_b32_e64 v31, 0, 1, vcc
	v_cmp_gt_f64_e32 vcc, 0, v[22:23]
	v_subbrev_co_u32_e32 v22, vcc, 0, v31, vcc
	v_cvt_f64_i32_e32 v[22:23], v22
	global_store_dwordx2 v[32:33], v[22:23], off
	s_or_b64 exec, exec, s[6:7]
	s_and_saveexec_b64 s[6:7], s[0:1]
	s_cbranch_execz .LBB286_18
.LBB286_22:                             ;   in Loop: Header=BB286_9 Depth=1
	s_waitcnt vmcnt(0)
	v_cmp_lt_f64_e32 vcc, 0, v[18:19]
	v_cndmask_b32_e64 v22, 0, 1, vcc
	v_cmp_gt_f64_e32 vcc, 0, v[18:19]
	v_subbrev_co_u32_e32 v18, vcc, 0, v22, vcc
	v_mov_b32_e32 v23, s9
	v_add_co_u32_e32 v22, vcc, s8, v16
	v_cvt_f64_i32_e32 v[18:19], v18
	v_addc_co_u32_e32 v23, vcc, v15, v23, vcc
	global_store_dwordx2 v[22:23], v[18:19], off
	s_or_b64 exec, exec, s[6:7]
	s_and_saveexec_b64 s[0:1], s[2:3]
	s_cbranch_execz .LBB286_19
.LBB286_23:                             ;   in Loop: Header=BB286_9 Depth=1
	s_waitcnt vmcnt(0)
	v_cmp_lt_f64_e32 vcc, 0, v[24:25]
	v_cndmask_b32_e64 v18, 0, 1, vcc
	v_cmp_gt_f64_e32 vcc, 0, v[24:25]
	v_subbrev_co_u32_e32 v18, vcc, 0, v18, vcc
	v_mov_b32_e32 v23, s9
	v_add_co_u32_e32 v22, vcc, s8, v12
	v_cvt_f64_i32_e32 v[18:19], v18
	v_addc_co_u32_e32 v23, vcc, v11, v23, vcc
	global_store_dwordx2 v[22:23], v[18:19], off
	s_or_b64 exec, exec, s[0:1]
	s_and_saveexec_b64 s[0:1], s[4:5]
	s_cbranch_execz .LBB286_8
.LBB286_24:                             ;   in Loop: Header=BB286_9 Depth=1
	s_waitcnt vmcnt(0)
	v_cmp_lt_f64_e32 vcc, 0, v[20:21]
	v_cndmask_b32_e64 v18, 0, 1, vcc
	v_cmp_gt_f64_e32 vcc, 0, v[20:21]
	v_subbrev_co_u32_e32 v18, vcc, 0, v18, vcc
	v_mov_b32_e32 v21, s9
	v_add_co_u32_e32 v20, vcc, s8, v8
	v_cvt_f64_i32_e32 v[18:19], v18
	v_addc_co_u32_e32 v21, vcc, v7, v21, vcc
	global_store_dwordx2 v[20:21], v[18:19], off
	s_branch .LBB286_8
.LBB286_25:
	s_endpgm
	.section	.rodata,"a",@progbits
	.p2align	6, 0x0
	.amdhsa_kernel _ZN2at6native12_GLOBAL__N_125multi_tensor_apply_kernelINS1_18TensorListMetadataILi2EEENS1_14UnaryOpFunctorIdLi2ELi1ELi1EEEJNS0_4SignIdEEEEEvT_T0_DpT1_
		.amdhsa_group_segment_fixed_size 0
		.amdhsa_private_segment_fixed_size 0
		.amdhsa_kernarg_size 3408
		.amdhsa_user_sgpr_count 6
		.amdhsa_user_sgpr_private_segment_buffer 1
		.amdhsa_user_sgpr_dispatch_ptr 0
		.amdhsa_user_sgpr_queue_ptr 0
		.amdhsa_user_sgpr_kernarg_segment_ptr 1
		.amdhsa_user_sgpr_dispatch_id 0
		.amdhsa_user_sgpr_flat_scratch_init 0
		.amdhsa_user_sgpr_kernarg_preload_length 0
		.amdhsa_user_sgpr_kernarg_preload_offset 0
		.amdhsa_user_sgpr_private_segment_size 0
		.amdhsa_uses_dynamic_stack 0
		.amdhsa_system_sgpr_private_segment_wavefront_offset 0
		.amdhsa_system_sgpr_workgroup_id_x 1
		.amdhsa_system_sgpr_workgroup_id_y 0
		.amdhsa_system_sgpr_workgroup_id_z 0
		.amdhsa_system_sgpr_workgroup_info 0
		.amdhsa_system_vgpr_workitem_id 0
		.amdhsa_next_free_vgpr 34
		.amdhsa_next_free_sgpr 28
		.amdhsa_accum_offset 36
		.amdhsa_reserve_vcc 1
		.amdhsa_reserve_flat_scratch 0
		.amdhsa_float_round_mode_32 0
		.amdhsa_float_round_mode_16_64 0
		.amdhsa_float_denorm_mode_32 3
		.amdhsa_float_denorm_mode_16_64 3
		.amdhsa_dx10_clamp 1
		.amdhsa_ieee_mode 1
		.amdhsa_fp16_overflow 0
		.amdhsa_tg_split 0
		.amdhsa_exception_fp_ieee_invalid_op 0
		.amdhsa_exception_fp_denorm_src 0
		.amdhsa_exception_fp_ieee_div_zero 0
		.amdhsa_exception_fp_ieee_overflow 0
		.amdhsa_exception_fp_ieee_underflow 0
		.amdhsa_exception_fp_ieee_inexact 0
		.amdhsa_exception_int_div_zero 0
	.end_amdhsa_kernel
	.section	.text._ZN2at6native12_GLOBAL__N_125multi_tensor_apply_kernelINS1_18TensorListMetadataILi2EEENS1_14UnaryOpFunctorIdLi2ELi1ELi1EEEJNS0_4SignIdEEEEEvT_T0_DpT1_,"axG",@progbits,_ZN2at6native12_GLOBAL__N_125multi_tensor_apply_kernelINS1_18TensorListMetadataILi2EEENS1_14UnaryOpFunctorIdLi2ELi1ELi1EEEJNS0_4SignIdEEEEEvT_T0_DpT1_,comdat
.Lfunc_end286:
	.size	_ZN2at6native12_GLOBAL__N_125multi_tensor_apply_kernelINS1_18TensorListMetadataILi2EEENS1_14UnaryOpFunctorIdLi2ELi1ELi1EEEJNS0_4SignIdEEEEEvT_T0_DpT1_, .Lfunc_end286-_ZN2at6native12_GLOBAL__N_125multi_tensor_apply_kernelINS1_18TensorListMetadataILi2EEENS1_14UnaryOpFunctorIdLi2ELi1ELi1EEEJNS0_4SignIdEEEEEvT_T0_DpT1_
                                        ; -- End function
	.section	.AMDGPU.csdata,"",@progbits
; Kernel info:
; codeLenInByte = 1480
; NumSgprs: 32
; NumVgprs: 34
; NumAgprs: 0
; TotalNumVgprs: 34
; ScratchSize: 0
; MemoryBound: 0
; FloatMode: 240
; IeeeMode: 1
; LDSByteSize: 0 bytes/workgroup (compile time only)
; SGPRBlocks: 3
; VGPRBlocks: 4
; NumSGPRsForWavesPerEU: 32
; NumVGPRsForWavesPerEU: 34
; AccumOffset: 36
; Occupancy: 8
; WaveLimiterHint : 0
; COMPUTE_PGM_RSRC2:SCRATCH_EN: 0
; COMPUTE_PGM_RSRC2:USER_SGPR: 6
; COMPUTE_PGM_RSRC2:TRAP_HANDLER: 0
; COMPUTE_PGM_RSRC2:TGID_X_EN: 1
; COMPUTE_PGM_RSRC2:TGID_Y_EN: 0
; COMPUTE_PGM_RSRC2:TGID_Z_EN: 0
; COMPUTE_PGM_RSRC2:TIDIG_COMP_CNT: 0
; COMPUTE_PGM_RSRC3_GFX90A:ACCUM_OFFSET: 8
; COMPUTE_PGM_RSRC3_GFX90A:TG_SPLIT: 0
	.section	.text._ZN2at6native12_GLOBAL__N_125multi_tensor_apply_kernelINS1_18TensorListMetadataILi2EEENS1_14UnaryOpFunctorIfLi2ELi1ELi1EEEJNS0_4SignIfEEEEEvT_T0_DpT1_,"axG",@progbits,_ZN2at6native12_GLOBAL__N_125multi_tensor_apply_kernelINS1_18TensorListMetadataILi2EEENS1_14UnaryOpFunctorIfLi2ELi1ELi1EEEJNS0_4SignIfEEEEEvT_T0_DpT1_,comdat
	.globl	_ZN2at6native12_GLOBAL__N_125multi_tensor_apply_kernelINS1_18TensorListMetadataILi2EEENS1_14UnaryOpFunctorIfLi2ELi1ELi1EEEJNS0_4SignIfEEEEEvT_T0_DpT1_ ; -- Begin function _ZN2at6native12_GLOBAL__N_125multi_tensor_apply_kernelINS1_18TensorListMetadataILi2EEENS1_14UnaryOpFunctorIfLi2ELi1ELi1EEEJNS0_4SignIfEEEEEvT_T0_DpT1_
	.p2align	8
	.type	_ZN2at6native12_GLOBAL__N_125multi_tensor_apply_kernelINS1_18TensorListMetadataILi2EEENS1_14UnaryOpFunctorIfLi2ELi1ELi1EEEJNS0_4SignIfEEEEEvT_T0_DpT1_,@function
_ZN2at6native12_GLOBAL__N_125multi_tensor_apply_kernelINS1_18TensorListMetadataILi2EEENS1_14UnaryOpFunctorIfLi2ELi1ELi1EEEJNS0_4SignIfEEEEEvT_T0_DpT1_: ; @_ZN2at6native12_GLOBAL__N_125multi_tensor_apply_kernelINS1_18TensorListMetadataILi2EEENS1_14UnaryOpFunctorIfLi2ELi1ELi1EEEJNS0_4SignIfEEEEEvT_T0_DpT1_
; %bb.0:
	v_mov_b32_e32 v1, s6
	global_load_ubyte v1, v1, s[4:5] offset:1536
	s_add_u32 s0, s4, s6
	s_mul_hi_u32 s2, s6, 3
	s_mul_i32 s6, s6, 3
	s_addc_u32 s7, s5, 0
	s_add_u32 s8, s0, s6
	s_addc_u32 s9, s7, s2
	s_mov_b32 s1, 0
	s_mov_b32 s17, s1
	;; [unrolled: 1-line block ×3, first 2 shown]
	s_waitcnt vmcnt(0)
	v_readfirstlane_b32 s0, v1
	s_lshl_b32 s0, s0, 3
	s_load_dword s10, s[8:9], 0x740
	s_load_dwordx2 s[14:15], s[4:5], s0 offset:0x0
	s_load_dwordx2 s[12:13], s[4:5], s0 offset:0x400
	;; [unrolled: 1-line block ×3, first 2 shown]
	s_waitcnt lgkmcnt(0)
	s_ashr_i32 s11, s10, 31
	s_and_b32 s0, s14, 15
	s_and_b32 s16, s12, 3
	s_and_b32 s2, s6, 15
	s_or_b64 s[16:17], s[0:1], s[16:17]
	s_lshl_b64 s[8:9], s[10:11], 18
	s_or_b64 s[2:3], s[2:3], s[16:17]
	s_lshl_b64 s[10:11], s[10:11], 16
	s_sub_u32 s10, s12, s10
	s_subb_u32 s11, s13, s11
	s_cmp_eq_u64 s[2:3], 0
	s_mov_b64 s[2:3], -1
	s_cbranch_scc0 .LBB287_5
; %bb.1:
	v_mov_b32_e32 v3, 0
	v_lshlrev_b32_e32 v2, 2, v0
	v_cmp_gt_i64_e32 vcc, s[10:11], v[2:3]
	s_and_saveexec_b64 s[12:13], vcc
	s_cbranch_execz .LBB287_4
; %bb.2:
	s_load_dword s0, s[4:5], 0xc5c
	v_lshlrev_b32_e32 v1, 4, v0
	v_mov_b32_e32 v4, s9
	v_add_co_u32_e32 v1, vcc, s8, v1
	v_addc_co_u32_e32 v5, vcc, 0, v4, vcc
	s_waitcnt lgkmcnt(0)
	s_and_b32 s0, s0, 0xffff
	v_add_co_u32_e32 v4, vcc, 8, v1
	v_add_lshl_u32 v2, v0, s0, 2
	s_lshl_b32 s20, s0, 2
	v_addc_co_u32_e32 v1, vcc, 0, v5, vcc
	s_lshl_b32 s21, s0, 4
	s_mov_b64 s[16:17], 0
	v_mov_b32_e32 v5, s15
	v_mov_b32_e32 v6, s7
	s_mov_b64 s[18:19], 0xffff
	v_mov_b32_e32 v7, s1
	v_mov_b32_e32 v8, s1
.LBB287_3:                              ; =>This Inner Loop Header: Depth=1
	v_add_co_u32_e32 v10, vcc, s14, v4
	v_addc_co_u32_e32 v11, vcc, v5, v1, vcc
	global_load_dwordx4 v[10:13], v[10:11], off offset:-8
	v_add_co_u32_e32 v14, vcc, s6, v4
	v_addc_co_u32_e32 v15, vcc, v6, v1, vcc
	v_cmp_le_i64_e32 vcc, s[10:11], v[2:3]
	v_cmp_lt_u64_e64 s[0:1], s[18:19], v[2:3]
	v_add_co_u32_e64 v2, s[2:3], s20, v2
	v_addc_co_u32_e64 v3, s[2:3], v3, v7, s[2:3]
	v_add_co_u32_e64 v4, s[2:3], s21, v4
	v_addc_co_u32_e64 v1, s[2:3], v1, v8, s[2:3]
	s_or_b64 s[0:1], vcc, s[0:1]
	s_and_b64 s[0:1], exec, s[0:1]
	s_or_b64 s[16:17], s[0:1], s[16:17]
	s_waitcnt vmcnt(0)
	v_cmp_lt_f32_e64 s[2:3], 0, v11
	v_cndmask_b32_e64 v9, 0, 1, s[2:3]
	v_cmp_lt_f32_e64 s[2:3], 0, v10
	v_cndmask_b32_e64 v16, 0, 1, s[2:3]
	v_cmp_gt_f32_e64 s[2:3], 0, v10
	v_cndmask_b32_e64 v10, 0, 1, s[2:3]
	v_cmp_gt_f32_e64 s[2:3], 0, v11
	v_cndmask_b32_e64 v11, 0, 1, s[2:3]
	v_cmp_lt_f32_e64 s[2:3], 0, v13
	v_cndmask_b32_e64 v17, 0, 1, s[2:3]
	v_cmp_lt_f32_e64 s[2:3], 0, v12
	v_cndmask_b32_e64 v18, 0, 1, s[2:3]
	v_cmp_gt_f32_e64 s[2:3], 0, v12
	v_cndmask_b32_e64 v12, 0, 1, s[2:3]
	v_cmp_gt_f32_e64 s[2:3], 0, v13
	v_cndmask_b32_e64 v13, 0, 1, s[2:3]
	v_sub_u16_e32 v10, v16, v10
	v_sub_u16_e32 v9, v9, v11
	;; [unrolled: 1-line block ×4, first 2 shown]
	v_cvt_f32_i32_sdwa v11, sext(v9) dst_sel:DWORD dst_unused:UNUSED_PAD src0_sel:WORD_0
	v_cvt_f32_i32_sdwa v10, sext(v10) dst_sel:DWORD dst_unused:UNUSED_PAD src0_sel:WORD_0
	;; [unrolled: 1-line block ×4, first 2 shown]
	global_store_dwordx4 v[14:15], v[10:13], off offset:-8
	s_andn2_b64 exec, exec, s[16:17]
	s_cbranch_execnz .LBB287_3
.LBB287_4:
	s_or_b64 exec, exec, s[12:13]
	s_mov_b64 s[2:3], 0
.LBB287_5:
	s_andn2_b64 vcc, exec, s[2:3]
	s_cbranch_vccnz .LBB287_25
; %bb.6:
	v_cmp_lt_i64_e64 s[0:1], s[10:11], 1
	s_and_b64 vcc, exec, s[0:1]
	s_cbranch_vccnz .LBB287_25
; %bb.7:
	s_load_dword s0, s[4:5], 0xc5c
	v_mov_b32_e32 v2, 0x10000
	v_mov_b32_e32 v3, 0
	v_cmp_lt_u64_e32 vcc, s[10:11], v[2:3]
	v_lshlrev_b32_e32 v10, 2, v0
	s_waitcnt lgkmcnt(0)
	s_and_b32 s2, s0, 0xffff
	s_and_b64 s[0:1], vcc, exec
	v_mov_b32_e32 v13, s15
	v_add_co_u32_e32 v2, vcc, s14, v10
	v_addc_co_u32_e32 v1, vcc, 0, v13, vcc
	v_mov_b32_e32 v11, 0
	v_mov_b32_e32 v15, s7
	v_add_co_u32_e32 v4, vcc, s6, v10
	v_addc_co_u32_e32 v3, vcc, 0, v15, vcc
	v_mad_u64_u32 v[8:9], s[0:1], s2, 12, v[10:11]
	v_add_co_u32_e32 v6, vcc, s14, v8
	v_addc_co_u32_e32 v5, vcc, v13, v9, vcc
	v_add_co_u32_e32 v8, vcc, s6, v8
	s_mul_i32 s4, s2, 3
	v_addc_co_u32_e32 v7, vcc, v15, v9, vcc
	v_add_co_u32_e32 v17, vcc, s4, v0
	v_addc_co_u32_e64 v18, s[0:1], 0, 0, vcc
	s_cselect_b32 s13, s11, 0
	s_cselect_b32 s12, s10, 0x10000
	s_lshl_b32 s0, s2, 3
	v_add_co_u32_e32 v11, vcc, s0, v10
	v_addc_co_u32_e64 v14, s[0:1], 0, 0, vcc
	v_add_co_u32_e32 v10, vcc, s14, v11
	v_addc_co_u32_e32 v9, vcc, v13, v14, vcc
	v_add_co_u32_e32 v12, vcc, s6, v11
	s_lshl_b32 s3, s2, 1
	v_addc_co_u32_e32 v11, vcc, v15, v14, vcc
	v_add_co_u32_e32 v19, vcc, s3, v0
	v_addc_co_u32_e64 v20, s[0:1], 0, 0, vcc
	v_add_co_u32_e32 v21, vcc, s2, v0
	v_lshlrev_b32_e32 v16, 2, v21
	v_addc_co_u32_e64 v22, s[0:1], 0, 0, vcc
	v_add_co_u32_e32 v14, vcc, s14, v16
	v_addc_co_u32_e32 v13, vcc, 0, v13, vcc
	v_add_co_u32_e32 v16, vcc, s6, v16
	s_mov_b32 s18, 0
	s_lshl_b32 s19, s2, 2
	s_lshl_b32 s20, s2, 4
	v_addc_co_u32_e32 v15, vcc, 0, v15, vcc
	s_mov_b64 s[14:15], 0
	s_branch .LBB287_9
.LBB287_8:                              ;   in Loop: Header=BB287_9 Depth=1
	s_or_b64 exec, exec, s[0:1]
	s_add_u32 s14, s14, s19
	s_addc_u32 s15, s15, 0
	s_waitcnt vmcnt(0)
	v_pk_mov_b32 v[24:25], s[10:11], s[10:11] op_sel:[0,1]
	v_cmp_ge_i64_e32 vcc, s[14:15], v[24:25]
	v_mov_b32_e32 v24, 0xffff
	v_mov_b32_e32 v25, 0
	v_cmp_gt_u64_e64 s[0:1], s[14:15], v[24:25]
	s_or_b64 s[0:1], vcc, s[0:1]
	v_mov_b32_e32 v23, s18
	v_add_co_u32_e32 v2, vcc, s20, v2
	v_addc_co_u32_e32 v1, vcc, v1, v23, vcc
	v_add_co_u32_e32 v4, vcc, s20, v4
	v_addc_co_u32_e32 v3, vcc, v3, v23, vcc
	;; [unrolled: 2-line block ×8, first 2 shown]
	s_and_b64 vcc, exec, s[0:1]
	s_cbranch_vccnz .LBB287_25
.LBB287_9:                              ; =>This Inner Loop Header: Depth=1
	v_mov_b32_e32 v23, s15
	v_add_co_u32_e32 v24, vcc, s14, v0
	v_addc_co_u32_e32 v25, vcc, 0, v23, vcc
	v_cmp_gt_u64_e32 vcc, s[12:13], v[24:25]
	v_mov_b32_e32 v24, 0
	s_and_saveexec_b64 s[2:3], vcc
	s_cbranch_execz .LBB287_11
; %bb.10:                               ;   in Loop: Header=BB287_9 Depth=1
	v_mov_b32_e32 v23, s9
	v_add_co_u32_e64 v24, s[0:1], s8, v2
	v_addc_co_u32_e64 v25, s[0:1], v1, v23, s[0:1]
	global_load_dword v24, v[24:25], off
.LBB287_11:                             ;   in Loop: Header=BB287_9 Depth=1
	s_or_b64 exec, exec, s[2:3]
	v_mov_b32_e32 v23, s15
	v_add_co_u32_e64 v26, s[0:1], s14, v21
	v_addc_co_u32_e64 v27, s[0:1], v22, v23, s[0:1]
	v_cmp_gt_u64_e64 s[0:1], s[12:13], v[26:27]
	v_mov_b32_e32 v25, 0
	s_and_saveexec_b64 s[4:5], s[0:1]
	s_cbranch_execz .LBB287_13
; %bb.12:                               ;   in Loop: Header=BB287_9 Depth=1
	v_mov_b32_e32 v23, s9
	v_add_co_u32_e64 v26, s[2:3], s8, v14
	v_addc_co_u32_e64 v27, s[2:3], v13, v23, s[2:3]
	global_load_dword v25, v[26:27], off
.LBB287_13:                             ;   in Loop: Header=BB287_9 Depth=1
	s_or_b64 exec, exec, s[4:5]
	v_mov_b32_e32 v23, s15
	v_add_co_u32_e64 v26, s[2:3], s14, v19
	v_addc_co_u32_e64 v27, s[2:3], v20, v23, s[2:3]
	v_cmp_gt_u64_e64 s[2:3], s[12:13], v[26:27]
	v_mov_b32_e32 v23, 0
	v_mov_b32_e32 v26, 0
	s_and_saveexec_b64 s[6:7], s[2:3]
	s_cbranch_execz .LBB287_15
; %bb.14:                               ;   in Loop: Header=BB287_9 Depth=1
	v_mov_b32_e32 v27, s9
	v_add_co_u32_e64 v26, s[4:5], s8, v10
	v_addc_co_u32_e64 v27, s[4:5], v9, v27, s[4:5]
	global_load_dword v26, v[26:27], off
.LBB287_15:                             ;   in Loop: Header=BB287_9 Depth=1
	s_or_b64 exec, exec, s[6:7]
	v_mov_b32_e32 v27, s15
	v_add_co_u32_e64 v28, s[4:5], s14, v17
	v_addc_co_u32_e64 v29, s[4:5], v18, v27, s[4:5]
	v_cmp_gt_u64_e64 s[4:5], s[12:13], v[28:29]
	s_and_saveexec_b64 s[16:17], s[4:5]
	s_cbranch_execnz .LBB287_20
; %bb.16:                               ;   in Loop: Header=BB287_9 Depth=1
	s_or_b64 exec, exec, s[16:17]
	s_and_saveexec_b64 s[6:7], vcc
	s_cbranch_execnz .LBB287_21
.LBB287_17:                             ;   in Loop: Header=BB287_9 Depth=1
	s_or_b64 exec, exec, s[6:7]
	s_and_saveexec_b64 s[6:7], s[0:1]
	s_cbranch_execnz .LBB287_22
.LBB287_18:                             ;   in Loop: Header=BB287_9 Depth=1
	s_or_b64 exec, exec, s[6:7]
	s_and_saveexec_b64 s[0:1], s[2:3]
	s_cbranch_execnz .LBB287_23
.LBB287_19:                             ;   in Loop: Header=BB287_9 Depth=1
	s_or_b64 exec, exec, s[0:1]
	s_and_saveexec_b64 s[0:1], s[4:5]
	s_cbranch_execz .LBB287_8
	s_branch .LBB287_24
.LBB287_20:                             ;   in Loop: Header=BB287_9 Depth=1
	v_mov_b32_e32 v23, s9
	v_add_co_u32_e64 v28, s[6:7], s8, v6
	v_addc_co_u32_e64 v29, s[6:7], v5, v23, s[6:7]
	global_load_dword v23, v[28:29], off
	s_or_b64 exec, exec, s[16:17]
	s_and_saveexec_b64 s[6:7], vcc
	s_cbranch_execz .LBB287_17
.LBB287_21:                             ;   in Loop: Header=BB287_9 Depth=1
	s_waitcnt vmcnt(0)
	v_cmp_lt_f32_e32 vcc, 0, v24
	v_cndmask_b32_e64 v28, 0, 1, vcc
	v_cmp_gt_f32_e32 vcc, 0, v24
	v_subbrev_co_u32_e32 v24, vcc, 0, v28, vcc
	v_cvt_f32_i32_e32 v24, v24
	v_mov_b32_e32 v27, s9
	v_add_co_u32_e32 v28, vcc, s8, v4
	v_addc_co_u32_e32 v29, vcc, v3, v27, vcc
	global_store_dword v[28:29], v24, off
	s_or_b64 exec, exec, s[6:7]
	s_and_saveexec_b64 s[6:7], s[0:1]
	s_cbranch_execz .LBB287_18
.LBB287_22:                             ;   in Loop: Header=BB287_9 Depth=1
	s_waitcnt vmcnt(0)
	v_cmp_lt_f32_e32 vcc, 0, v25
	v_cndmask_b32_e64 v24, 0, 1, vcc
	v_cmp_gt_f32_e32 vcc, 0, v25
	v_subbrev_co_u32_e32 v24, vcc, 0, v24, vcc
	v_cvt_f32_i32_e32 v27, v24
	v_mov_b32_e32 v25, s9
	v_add_co_u32_e32 v24, vcc, s8, v16
	v_addc_co_u32_e32 v25, vcc, v15, v25, vcc
	global_store_dword v[24:25], v27, off
	s_or_b64 exec, exec, s[6:7]
	s_and_saveexec_b64 s[0:1], s[2:3]
	s_cbranch_execz .LBB287_19
.LBB287_23:                             ;   in Loop: Header=BB287_9 Depth=1
	s_waitcnt vmcnt(0)
	v_cmp_lt_f32_e32 vcc, 0, v26
	v_cndmask_b32_e64 v24, 0, 1, vcc
	v_cmp_gt_f32_e32 vcc, 0, v26
	v_subbrev_co_u32_e32 v24, vcc, 0, v24, vcc
	v_cvt_f32_i32_e32 v26, v24
	v_mov_b32_e32 v25, s9
	v_add_co_u32_e32 v24, vcc, s8, v12
	v_addc_co_u32_e32 v25, vcc, v11, v25, vcc
	global_store_dword v[24:25], v26, off
	s_or_b64 exec, exec, s[0:1]
	s_and_saveexec_b64 s[0:1], s[4:5]
	s_cbranch_execz .LBB287_8
.LBB287_24:                             ;   in Loop: Header=BB287_9 Depth=1
	s_waitcnt vmcnt(0)
	v_cmp_lt_f32_e32 vcc, 0, v23
	v_cndmask_b32_e64 v24, 0, 1, vcc
	v_cmp_gt_f32_e32 vcc, 0, v23
	v_subbrev_co_u32_e32 v23, vcc, 0, v24, vcc
	v_cvt_f32_i32_e32 v23, v23
	v_mov_b32_e32 v25, s9
	v_add_co_u32_e32 v24, vcc, s8, v8
	v_addc_co_u32_e32 v25, vcc, v7, v25, vcc
	global_store_dword v[24:25], v23, off
	s_branch .LBB287_8
.LBB287_25:
	s_endpgm
	.section	.rodata,"a",@progbits
	.p2align	6, 0x0
	.amdhsa_kernel _ZN2at6native12_GLOBAL__N_125multi_tensor_apply_kernelINS1_18TensorListMetadataILi2EEENS1_14UnaryOpFunctorIfLi2ELi1ELi1EEEJNS0_4SignIfEEEEEvT_T0_DpT1_
		.amdhsa_group_segment_fixed_size 0
		.amdhsa_private_segment_fixed_size 0
		.amdhsa_kernarg_size 3408
		.amdhsa_user_sgpr_count 6
		.amdhsa_user_sgpr_private_segment_buffer 1
		.amdhsa_user_sgpr_dispatch_ptr 0
		.amdhsa_user_sgpr_queue_ptr 0
		.amdhsa_user_sgpr_kernarg_segment_ptr 1
		.amdhsa_user_sgpr_dispatch_id 0
		.amdhsa_user_sgpr_flat_scratch_init 0
		.amdhsa_user_sgpr_kernarg_preload_length 0
		.amdhsa_user_sgpr_kernarg_preload_offset 0
		.amdhsa_user_sgpr_private_segment_size 0
		.amdhsa_uses_dynamic_stack 0
		.amdhsa_system_sgpr_private_segment_wavefront_offset 0
		.amdhsa_system_sgpr_workgroup_id_x 1
		.amdhsa_system_sgpr_workgroup_id_y 0
		.amdhsa_system_sgpr_workgroup_id_z 0
		.amdhsa_system_sgpr_workgroup_info 0
		.amdhsa_system_vgpr_workitem_id 0
		.amdhsa_next_free_vgpr 30
		.amdhsa_next_free_sgpr 22
		.amdhsa_accum_offset 32
		.amdhsa_reserve_vcc 1
		.amdhsa_reserve_flat_scratch 0
		.amdhsa_float_round_mode_32 0
		.amdhsa_float_round_mode_16_64 0
		.amdhsa_float_denorm_mode_32 3
		.amdhsa_float_denorm_mode_16_64 3
		.amdhsa_dx10_clamp 1
		.amdhsa_ieee_mode 1
		.amdhsa_fp16_overflow 0
		.amdhsa_tg_split 0
		.amdhsa_exception_fp_ieee_invalid_op 0
		.amdhsa_exception_fp_denorm_src 0
		.amdhsa_exception_fp_ieee_div_zero 0
		.amdhsa_exception_fp_ieee_overflow 0
		.amdhsa_exception_fp_ieee_underflow 0
		.amdhsa_exception_fp_ieee_inexact 0
		.amdhsa_exception_int_div_zero 0
	.end_amdhsa_kernel
	.section	.text._ZN2at6native12_GLOBAL__N_125multi_tensor_apply_kernelINS1_18TensorListMetadataILi2EEENS1_14UnaryOpFunctorIfLi2ELi1ELi1EEEJNS0_4SignIfEEEEEvT_T0_DpT1_,"axG",@progbits,_ZN2at6native12_GLOBAL__N_125multi_tensor_apply_kernelINS1_18TensorListMetadataILi2EEENS1_14UnaryOpFunctorIfLi2ELi1ELi1EEEJNS0_4SignIfEEEEEvT_T0_DpT1_,comdat
.Lfunc_end287:
	.size	_ZN2at6native12_GLOBAL__N_125multi_tensor_apply_kernelINS1_18TensorListMetadataILi2EEENS1_14UnaryOpFunctorIfLi2ELi1ELi1EEEJNS0_4SignIfEEEEEvT_T0_DpT1_, .Lfunc_end287-_ZN2at6native12_GLOBAL__N_125multi_tensor_apply_kernelINS1_18TensorListMetadataILi2EEENS1_14UnaryOpFunctorIfLi2ELi1ELi1EEEJNS0_4SignIfEEEEEvT_T0_DpT1_
                                        ; -- End function
	.section	.AMDGPU.csdata,"",@progbits
; Kernel info:
; codeLenInByte = 1488
; NumSgprs: 26
; NumVgprs: 30
; NumAgprs: 0
; TotalNumVgprs: 30
; ScratchSize: 0
; MemoryBound: 0
; FloatMode: 240
; IeeeMode: 1
; LDSByteSize: 0 bytes/workgroup (compile time only)
; SGPRBlocks: 3
; VGPRBlocks: 3
; NumSGPRsForWavesPerEU: 26
; NumVGPRsForWavesPerEU: 30
; AccumOffset: 32
; Occupancy: 8
; WaveLimiterHint : 0
; COMPUTE_PGM_RSRC2:SCRATCH_EN: 0
; COMPUTE_PGM_RSRC2:USER_SGPR: 6
; COMPUTE_PGM_RSRC2:TRAP_HANDLER: 0
; COMPUTE_PGM_RSRC2:TGID_X_EN: 1
; COMPUTE_PGM_RSRC2:TGID_Y_EN: 0
; COMPUTE_PGM_RSRC2:TGID_Z_EN: 0
; COMPUTE_PGM_RSRC2:TIDIG_COMP_CNT: 0
; COMPUTE_PGM_RSRC3_GFX90A:ACCUM_OFFSET: 7
; COMPUTE_PGM_RSRC3_GFX90A:TG_SPLIT: 0
	.section	.text._ZN2at6native12_GLOBAL__N_125multi_tensor_apply_kernelINS1_18TensorListMetadataILi2EEENS1_14UnaryOpFunctorIN3c104HalfELi2ELi1ELi1EEEJNS0_4SignIfEEEEEvT_T0_DpT1_,"axG",@progbits,_ZN2at6native12_GLOBAL__N_125multi_tensor_apply_kernelINS1_18TensorListMetadataILi2EEENS1_14UnaryOpFunctorIN3c104HalfELi2ELi1ELi1EEEJNS0_4SignIfEEEEEvT_T0_DpT1_,comdat
	.globl	_ZN2at6native12_GLOBAL__N_125multi_tensor_apply_kernelINS1_18TensorListMetadataILi2EEENS1_14UnaryOpFunctorIN3c104HalfELi2ELi1ELi1EEEJNS0_4SignIfEEEEEvT_T0_DpT1_ ; -- Begin function _ZN2at6native12_GLOBAL__N_125multi_tensor_apply_kernelINS1_18TensorListMetadataILi2EEENS1_14UnaryOpFunctorIN3c104HalfELi2ELi1ELi1EEEJNS0_4SignIfEEEEEvT_T0_DpT1_
	.p2align	8
	.type	_ZN2at6native12_GLOBAL__N_125multi_tensor_apply_kernelINS1_18TensorListMetadataILi2EEENS1_14UnaryOpFunctorIN3c104HalfELi2ELi1ELi1EEEJNS0_4SignIfEEEEEvT_T0_DpT1_,@function
_ZN2at6native12_GLOBAL__N_125multi_tensor_apply_kernelINS1_18TensorListMetadataILi2EEENS1_14UnaryOpFunctorIN3c104HalfELi2ELi1ELi1EEEJNS0_4SignIfEEEEEvT_T0_DpT1_: ; @_ZN2at6native12_GLOBAL__N_125multi_tensor_apply_kernelINS1_18TensorListMetadataILi2EEENS1_14UnaryOpFunctorIN3c104HalfELi2ELi1ELi1EEEJNS0_4SignIfEEEEEvT_T0_DpT1_
; %bb.0:
	v_mov_b32_e32 v1, s6
	global_load_ubyte v1, v1, s[4:5] offset:1536
	s_add_u32 s0, s4, s6
	s_mul_hi_u32 s2, s6, 3
	s_mul_i32 s6, s6, 3
	s_addc_u32 s9, s5, 0
	s_add_u32 s8, s0, s6
	s_addc_u32 s9, s9, s2
	s_load_dword s10, s[8:9], 0x740
	s_mov_b32 s1, 0
	s_mov_b32 s7, s1
	;; [unrolled: 1-line block ×3, first 2 shown]
	s_waitcnt lgkmcnt(0)
	s_ashr_i32 s11, s10, 31
	s_lshl_b64 s[8:9], s[10:11], 17
	s_waitcnt vmcnt(0)
	v_readfirstlane_b32 s0, v1
	s_lshl_b32 s0, s0, 3
	s_load_dwordx2 s[16:17], s[4:5], s0 offset:0x0
	s_load_dwordx2 s[12:13], s[4:5], s0 offset:0x400
	;; [unrolled: 1-line block ×3, first 2 shown]
	s_waitcnt lgkmcnt(0)
	s_add_u32 s22, s16, s8
	s_addc_u32 s23, s17, s9
	s_and_b32 s0, s22, 7
	s_add_u32 s24, s14, s8
	s_addc_u32 s25, s15, s9
	s_and_b32 s6, s12, 3
	s_and_b32 s2, s24, 7
	s_or_b64 s[6:7], s[0:1], s[6:7]
	s_or_b64 s[2:3], s[2:3], s[6:7]
	s_lshl_b64 s[6:7], s[10:11], 16
	s_sub_u32 s10, s12, s6
	s_subb_u32 s11, s13, s7
	s_cmp_eq_u64 s[2:3], 0
	s_mov_b64 s[2:3], -1
	s_cbranch_scc0 .LBB288_5
; %bb.1:
	v_mov_b32_e32 v3, 0
	v_lshlrev_b32_e32 v2, 2, v0
	v_cmp_gt_i64_e32 vcc, s[10:11], v[2:3]
	s_and_saveexec_b64 s[12:13], vcc
	s_cbranch_execz .LBB288_4
; %bb.2:
	s_load_dword s0, s[4:5], 0xc5c
	v_lshlrev_b32_e32 v4, 3, v0
	s_mov_b64 s[18:19], 0
	s_mov_b64 s[20:21], 0xffff
	v_mov_b32_e32 v1, s1
	s_waitcnt lgkmcnt(0)
	s_and_b32 s0, s0, 0xffff
	v_add_lshl_u32 v2, v0, s0, 2
	s_lshl_b32 s26, s0, 2
	s_lshl_b32 s27, s0, 3
	v_pk_mov_b32 v[6:7], v[2:3], v[2:3] op_sel:[0,1]
.LBB288_3:                              ; =>This Inner Loop Header: Depth=1
	v_mov_b32_e32 v2, s23
	v_add_co_u32_e32 v8, vcc, s22, v4
	v_addc_co_u32_e32 v9, vcc, 0, v2, vcc
	global_load_dwordx2 v[8:9], v[8:9], off
	v_cmp_le_i64_e32 vcc, s[10:11], v[6:7]
	v_cmp_lt_u64_e64 s[0:1], s[20:21], v[6:7]
	v_add_co_u32_e64 v6, s[2:3], s26, v6
	v_addc_co_u32_e64 v7, s[2:3], v7, v1, s[2:3]
	v_mov_b32_e32 v2, s25
	v_add_co_u32_e64 v10, s[2:3], s24, v4
	v_addc_co_u32_e64 v11, s[2:3], 0, v2, s[2:3]
	s_or_b64 s[28:29], vcc, s[0:1]
	s_add_u32 s22, s22, s27
	s_addc_u32 s23, s23, 0
	s_add_u32 s24, s24, s27
	s_addc_u32 s25, s25, 0
	s_waitcnt vmcnt(0)
	v_cmp_gt_f16_sdwa s[0:1], v8, v3 src0_sel:WORD_1 src1_sel:DWORD
	v_cmp_lt_f16_e32 vcc, 0, v8
	v_cndmask_b32_e64 v5, 0, 1, s[0:1]
	v_cmp_lt_f16_e64 s[0:1], 0, v9
	v_cmp_gt_f16_sdwa s[2:3], v9, v3 src0_sel:WORD_1 src1_sel:DWORD
	v_cndmask_b32_e64 v2, 0, 1, vcc
	v_cmp_lt_f16_sdwa vcc, v8, v3 src0_sel:WORD_1 src1_sel:DWORD
	v_cndmask_b32_e64 v12, 0, 1, s[0:1]
	v_cmp_gt_f16_e64 s[0:1], 0, v9
	v_cndmask_b32_e64 v13, 0, 1, s[2:3]
	v_cmp_lt_f16_sdwa s[2:3], v9, v3 src0_sel:WORD_1 src1_sel:DWORD
	v_cmp_gt_f16_e64 s[6:7], 0, v8
	v_subbrev_co_u32_e64 v2, s[6:7], 0, v2, s[6:7]
	v_subbrev_co_u32_e32 v5, vcc, 0, v5, vcc
	v_subbrev_co_u32_e64 v8, vcc, 0, v12, s[0:1]
	v_subbrev_co_u32_e64 v9, vcc, 0, v13, s[2:3]
	v_cvt_f32_i32_e32 v2, v2
	v_cvt_f32_i32_e32 v8, v8
	;; [unrolled: 1-line block ×4, first 2 shown]
	v_cvt_f16_f32_e32 v2, v2
	v_cvt_f16_f32_e32 v8, v8
	;; [unrolled: 1-line block ×4, first 2 shown]
	s_and_b64 s[0:1], exec, s[28:29]
	s_or_b64 s[18:19], s[0:1], s[18:19]
	v_pack_b32_f16 v9, v8, v9
	v_pack_b32_f16 v8, v2, v5
	global_store_dwordx2 v[10:11], v[8:9], off
	s_andn2_b64 exec, exec, s[18:19]
	s_cbranch_execnz .LBB288_3
.LBB288_4:
	s_or_b64 exec, exec, s[12:13]
	s_mov_b64 s[2:3], 0
.LBB288_5:
	s_andn2_b64 vcc, exec, s[2:3]
	s_cbranch_vccnz .LBB288_25
; %bb.6:
	v_cmp_lt_i64_e64 s[0:1], s[10:11], 1
	s_and_b64 vcc, exec, s[0:1]
	s_cbranch_vccnz .LBB288_25
; %bb.7:
	s_load_dword s0, s[4:5], 0xc5c
	v_mov_b32_e32 v2, 0x10000
	v_mov_b32_e32 v3, 0
	v_cmp_lt_u64_e32 vcc, s[10:11], v[2:3]
	v_lshlrev_b32_e32 v10, 1, v0
	s_waitcnt lgkmcnt(0)
	s_and_b32 s2, s0, 0xffff
	s_and_b64 s[0:1], vcc, exec
	v_mov_b32_e32 v13, s17
	v_add_co_u32_e32 v2, vcc, s16, v10
	v_addc_co_u32_e32 v1, vcc, 0, v13, vcc
	v_mov_b32_e32 v11, 0
	v_mov_b32_e32 v15, s15
	v_add_co_u32_e32 v4, vcc, s14, v10
	v_addc_co_u32_e32 v3, vcc, 0, v15, vcc
	v_mad_u64_u32 v[8:9], s[0:1], s2, 6, v[10:11]
	v_add_co_u32_e32 v6, vcc, s16, v8
	v_addc_co_u32_e32 v5, vcc, v13, v9, vcc
	v_add_co_u32_e32 v8, vcc, s14, v8
	s_mul_i32 s4, s2, 3
	v_addc_co_u32_e32 v7, vcc, v15, v9, vcc
	s_cselect_b32 s13, s11, 0
	s_cselect_b32 s12, s10, 0x10000
	s_lshl_b32 s19, s2, 2
	v_add_co_u32_e32 v17, vcc, s4, v0
	v_addc_co_u32_e64 v18, s[0:1], 0, 0, vcc
	v_add_co_u32_e32 v11, vcc, s19, v10
	v_addc_co_u32_e64 v14, s[0:1], 0, 0, vcc
	v_add_co_u32_e32 v10, vcc, s16, v11
	v_addc_co_u32_e32 v9, vcc, v13, v14, vcc
	v_add_co_u32_e32 v12, vcc, s14, v11
	s_lshl_b32 s3, s2, 1
	v_addc_co_u32_e32 v11, vcc, v15, v14, vcc
	v_add_co_u32_e32 v19, vcc, s3, v0
	v_addc_co_u32_e64 v20, s[0:1], 0, 0, vcc
	v_add_co_u32_e32 v21, vcc, s2, v0
	v_lshlrev_b32_e32 v16, 1, v21
	v_addc_co_u32_e64 v22, s[0:1], 0, 0, vcc
	v_add_co_u32_e32 v14, vcc, s16, v16
	v_addc_co_u32_e32 v13, vcc, 0, v13, vcc
	v_add_co_u32_e32 v16, vcc, s14, v16
	s_mov_b32 s18, 0
	s_lshl_b32 s20, s2, 3
	v_addc_co_u32_e32 v15, vcc, 0, v15, vcc
	s_mov_b64 s[14:15], 0
	s_branch .LBB288_9
.LBB288_8:                              ;   in Loop: Header=BB288_9 Depth=1
	s_or_b64 exec, exec, s[0:1]
	s_add_u32 s14, s14, s19
	s_addc_u32 s15, s15, 0
	s_waitcnt vmcnt(0)
	v_pk_mov_b32 v[24:25], s[10:11], s[10:11] op_sel:[0,1]
	v_cmp_ge_i64_e32 vcc, s[14:15], v[24:25]
	v_mov_b32_e32 v24, 0xffff
	v_mov_b32_e32 v25, 0
	v_cmp_gt_u64_e64 s[0:1], s[14:15], v[24:25]
	s_or_b64 s[0:1], vcc, s[0:1]
	v_mov_b32_e32 v23, s18
	v_add_co_u32_e32 v2, vcc, s20, v2
	v_addc_co_u32_e32 v1, vcc, v1, v23, vcc
	v_add_co_u32_e32 v4, vcc, s20, v4
	v_addc_co_u32_e32 v3, vcc, v3, v23, vcc
	;; [unrolled: 2-line block ×8, first 2 shown]
	s_and_b64 vcc, exec, s[0:1]
	s_cbranch_vccnz .LBB288_25
.LBB288_9:                              ; =>This Inner Loop Header: Depth=1
	v_mov_b32_e32 v23, s15
	v_add_co_u32_e32 v24, vcc, s14, v0
	v_addc_co_u32_e32 v25, vcc, 0, v23, vcc
	v_cmp_gt_u64_e32 vcc, s[12:13], v[24:25]
	v_mov_b32_e32 v24, 0
	s_and_saveexec_b64 s[2:3], vcc
	s_cbranch_execz .LBB288_11
; %bb.10:                               ;   in Loop: Header=BB288_9 Depth=1
	v_mov_b32_e32 v23, s9
	v_add_co_u32_e64 v24, s[0:1], s8, v2
	v_addc_co_u32_e64 v25, s[0:1], v1, v23, s[0:1]
	global_load_ushort v24, v[24:25], off
.LBB288_11:                             ;   in Loop: Header=BB288_9 Depth=1
	s_or_b64 exec, exec, s[2:3]
	v_mov_b32_e32 v23, s15
	v_add_co_u32_e64 v26, s[0:1], s14, v21
	v_addc_co_u32_e64 v27, s[0:1], v22, v23, s[0:1]
	v_cmp_gt_u64_e64 s[0:1], s[12:13], v[26:27]
	v_mov_b32_e32 v25, 0
	s_and_saveexec_b64 s[4:5], s[0:1]
	s_cbranch_execz .LBB288_13
; %bb.12:                               ;   in Loop: Header=BB288_9 Depth=1
	v_mov_b32_e32 v23, s9
	v_add_co_u32_e64 v26, s[2:3], s8, v14
	v_addc_co_u32_e64 v27, s[2:3], v13, v23, s[2:3]
	global_load_ushort v25, v[26:27], off
.LBB288_13:                             ;   in Loop: Header=BB288_9 Depth=1
	s_or_b64 exec, exec, s[4:5]
	v_mov_b32_e32 v23, s15
	v_add_co_u32_e64 v26, s[2:3], s14, v19
	v_addc_co_u32_e64 v27, s[2:3], v20, v23, s[2:3]
	v_cmp_gt_u64_e64 s[2:3], s[12:13], v[26:27]
	v_mov_b32_e32 v23, 0
	v_mov_b32_e32 v26, 0
	s_and_saveexec_b64 s[6:7], s[2:3]
	s_cbranch_execz .LBB288_15
; %bb.14:                               ;   in Loop: Header=BB288_9 Depth=1
	v_mov_b32_e32 v27, s9
	v_add_co_u32_e64 v26, s[4:5], s8, v10
	v_addc_co_u32_e64 v27, s[4:5], v9, v27, s[4:5]
	global_load_ushort v26, v[26:27], off
.LBB288_15:                             ;   in Loop: Header=BB288_9 Depth=1
	s_or_b64 exec, exec, s[6:7]
	v_mov_b32_e32 v27, s15
	v_add_co_u32_e64 v28, s[4:5], s14, v17
	v_addc_co_u32_e64 v29, s[4:5], v18, v27, s[4:5]
	v_cmp_gt_u64_e64 s[4:5], s[12:13], v[28:29]
	s_and_saveexec_b64 s[16:17], s[4:5]
	s_cbranch_execnz .LBB288_20
; %bb.16:                               ;   in Loop: Header=BB288_9 Depth=1
	s_or_b64 exec, exec, s[16:17]
	s_and_saveexec_b64 s[6:7], vcc
	s_cbranch_execnz .LBB288_21
.LBB288_17:                             ;   in Loop: Header=BB288_9 Depth=1
	s_or_b64 exec, exec, s[6:7]
	s_and_saveexec_b64 s[6:7], s[0:1]
	s_cbranch_execnz .LBB288_22
.LBB288_18:                             ;   in Loop: Header=BB288_9 Depth=1
	s_or_b64 exec, exec, s[6:7]
	s_and_saveexec_b64 s[0:1], s[2:3]
	s_cbranch_execnz .LBB288_23
.LBB288_19:                             ;   in Loop: Header=BB288_9 Depth=1
	s_or_b64 exec, exec, s[0:1]
	s_and_saveexec_b64 s[0:1], s[4:5]
	s_cbranch_execz .LBB288_8
	s_branch .LBB288_24
.LBB288_20:                             ;   in Loop: Header=BB288_9 Depth=1
	v_mov_b32_e32 v23, s9
	v_add_co_u32_e64 v28, s[6:7], s8, v6
	v_addc_co_u32_e64 v29, s[6:7], v5, v23, s[6:7]
	global_load_ushort v23, v[28:29], off
	s_or_b64 exec, exec, s[16:17]
	s_and_saveexec_b64 s[6:7], vcc
	s_cbranch_execz .LBB288_17
.LBB288_21:                             ;   in Loop: Header=BB288_9 Depth=1
	s_waitcnt vmcnt(0)
	v_cmp_lt_f16_e32 vcc, 0, v24
	v_cndmask_b32_e64 v27, 0, 1, vcc
	v_cmp_gt_f16_e32 vcc, 0, v24
	v_subbrev_co_u32_e32 v24, vcc, 0, v27, vcc
	v_cvt_f32_i32_e32 v24, v24
	v_mov_b32_e32 v27, s9
	v_add_co_u32_e32 v28, vcc, s8, v4
	v_cvt_f16_f32_e32 v24, v24
	v_addc_co_u32_e32 v29, vcc, v3, v27, vcc
	global_store_short v[28:29], v24, off
	s_or_b64 exec, exec, s[6:7]
	s_and_saveexec_b64 s[6:7], s[0:1]
	s_cbranch_execz .LBB288_18
.LBB288_22:                             ;   in Loop: Header=BB288_9 Depth=1
	s_waitcnt vmcnt(0)
	v_cmp_lt_f16_e32 vcc, 0, v25
	v_cndmask_b32_e64 v24, 0, 1, vcc
	v_cmp_gt_f16_e32 vcc, 0, v25
	v_subbrev_co_u32_e32 v24, vcc, 0, v24, vcc
	v_cvt_f32_i32_e32 v24, v24
	v_mov_b32_e32 v25, s9
	v_cvt_f16_f32_e32 v27, v24
	v_add_co_u32_e32 v24, vcc, s8, v16
	v_addc_co_u32_e32 v25, vcc, v15, v25, vcc
	global_store_short v[24:25], v27, off
	s_or_b64 exec, exec, s[6:7]
	s_and_saveexec_b64 s[0:1], s[2:3]
	s_cbranch_execz .LBB288_19
.LBB288_23:                             ;   in Loop: Header=BB288_9 Depth=1
	s_waitcnt vmcnt(0)
	v_cmp_lt_f16_e32 vcc, 0, v26
	v_cndmask_b32_e64 v24, 0, 1, vcc
	v_cmp_gt_f16_e32 vcc, 0, v26
	v_subbrev_co_u32_e32 v24, vcc, 0, v24, vcc
	v_cvt_f32_i32_e32 v24, v24
	v_mov_b32_e32 v25, s9
	v_cvt_f16_f32_e32 v26, v24
	v_add_co_u32_e32 v24, vcc, s8, v12
	v_addc_co_u32_e32 v25, vcc, v11, v25, vcc
	global_store_short v[24:25], v26, off
	s_or_b64 exec, exec, s[0:1]
	s_and_saveexec_b64 s[0:1], s[4:5]
	s_cbranch_execz .LBB288_8
.LBB288_24:                             ;   in Loop: Header=BB288_9 Depth=1
	s_waitcnt vmcnt(0)
	v_cmp_lt_f16_e32 vcc, 0, v23
	v_cndmask_b32_e64 v24, 0, 1, vcc
	v_cmp_gt_f16_e32 vcc, 0, v23
	v_subbrev_co_u32_e32 v23, vcc, 0, v24, vcc
	v_cvt_f32_i32_e32 v23, v23
	v_mov_b32_e32 v25, s9
	v_add_co_u32_e32 v24, vcc, s8, v8
	v_cvt_f16_f32_e32 v23, v23
	v_addc_co_u32_e32 v25, vcc, v7, v25, vcc
	global_store_short v[24:25], v23, off
	s_branch .LBB288_8
.LBB288_25:
	s_endpgm
	.section	.rodata,"a",@progbits
	.p2align	6, 0x0
	.amdhsa_kernel _ZN2at6native12_GLOBAL__N_125multi_tensor_apply_kernelINS1_18TensorListMetadataILi2EEENS1_14UnaryOpFunctorIN3c104HalfELi2ELi1ELi1EEEJNS0_4SignIfEEEEEvT_T0_DpT1_
		.amdhsa_group_segment_fixed_size 0
		.amdhsa_private_segment_fixed_size 0
		.amdhsa_kernarg_size 3408
		.amdhsa_user_sgpr_count 6
		.amdhsa_user_sgpr_private_segment_buffer 1
		.amdhsa_user_sgpr_dispatch_ptr 0
		.amdhsa_user_sgpr_queue_ptr 0
		.amdhsa_user_sgpr_kernarg_segment_ptr 1
		.amdhsa_user_sgpr_dispatch_id 0
		.amdhsa_user_sgpr_flat_scratch_init 0
		.amdhsa_user_sgpr_kernarg_preload_length 0
		.amdhsa_user_sgpr_kernarg_preload_offset 0
		.amdhsa_user_sgpr_private_segment_size 0
		.amdhsa_uses_dynamic_stack 0
		.amdhsa_system_sgpr_private_segment_wavefront_offset 0
		.amdhsa_system_sgpr_workgroup_id_x 1
		.amdhsa_system_sgpr_workgroup_id_y 0
		.amdhsa_system_sgpr_workgroup_id_z 0
		.amdhsa_system_sgpr_workgroup_info 0
		.amdhsa_system_vgpr_workitem_id 0
		.amdhsa_next_free_vgpr 30
		.amdhsa_next_free_sgpr 30
		.amdhsa_accum_offset 32
		.amdhsa_reserve_vcc 1
		.amdhsa_reserve_flat_scratch 0
		.amdhsa_float_round_mode_32 0
		.amdhsa_float_round_mode_16_64 0
		.amdhsa_float_denorm_mode_32 3
		.amdhsa_float_denorm_mode_16_64 3
		.amdhsa_dx10_clamp 1
		.amdhsa_ieee_mode 1
		.amdhsa_fp16_overflow 0
		.amdhsa_tg_split 0
		.amdhsa_exception_fp_ieee_invalid_op 0
		.amdhsa_exception_fp_denorm_src 0
		.amdhsa_exception_fp_ieee_div_zero 0
		.amdhsa_exception_fp_ieee_overflow 0
		.amdhsa_exception_fp_ieee_underflow 0
		.amdhsa_exception_fp_ieee_inexact 0
		.amdhsa_exception_int_div_zero 0
	.end_amdhsa_kernel
	.section	.text._ZN2at6native12_GLOBAL__N_125multi_tensor_apply_kernelINS1_18TensorListMetadataILi2EEENS1_14UnaryOpFunctorIN3c104HalfELi2ELi1ELi1EEEJNS0_4SignIfEEEEEvT_T0_DpT1_,"axG",@progbits,_ZN2at6native12_GLOBAL__N_125multi_tensor_apply_kernelINS1_18TensorListMetadataILi2EEENS1_14UnaryOpFunctorIN3c104HalfELi2ELi1ELi1EEEJNS0_4SignIfEEEEEvT_T0_DpT1_,comdat
.Lfunc_end288:
	.size	_ZN2at6native12_GLOBAL__N_125multi_tensor_apply_kernelINS1_18TensorListMetadataILi2EEENS1_14UnaryOpFunctorIN3c104HalfELi2ELi1ELi1EEEJNS0_4SignIfEEEEEvT_T0_DpT1_, .Lfunc_end288-_ZN2at6native12_GLOBAL__N_125multi_tensor_apply_kernelINS1_18TensorListMetadataILi2EEENS1_14UnaryOpFunctorIN3c104HalfELi2ELi1ELi1EEEJNS0_4SignIfEEEEEvT_T0_DpT1_
                                        ; -- End function
	.section	.AMDGPU.csdata,"",@progbits
; Kernel info:
; codeLenInByte = 1504
; NumSgprs: 34
; NumVgprs: 30
; NumAgprs: 0
; TotalNumVgprs: 30
; ScratchSize: 0
; MemoryBound: 0
; FloatMode: 240
; IeeeMode: 1
; LDSByteSize: 0 bytes/workgroup (compile time only)
; SGPRBlocks: 4
; VGPRBlocks: 3
; NumSGPRsForWavesPerEU: 34
; NumVGPRsForWavesPerEU: 30
; AccumOffset: 32
; Occupancy: 8
; WaveLimiterHint : 0
; COMPUTE_PGM_RSRC2:SCRATCH_EN: 0
; COMPUTE_PGM_RSRC2:USER_SGPR: 6
; COMPUTE_PGM_RSRC2:TRAP_HANDLER: 0
; COMPUTE_PGM_RSRC2:TGID_X_EN: 1
; COMPUTE_PGM_RSRC2:TGID_Y_EN: 0
; COMPUTE_PGM_RSRC2:TGID_Z_EN: 0
; COMPUTE_PGM_RSRC2:TIDIG_COMP_CNT: 0
; COMPUTE_PGM_RSRC3_GFX90A:ACCUM_OFFSET: 7
; COMPUTE_PGM_RSRC3_GFX90A:TG_SPLIT: 0
	.section	.text._ZN2at6native12_GLOBAL__N_125multi_tensor_apply_kernelINS1_18TensorListMetadataILi2EEENS1_14UnaryOpFunctorIN3c108BFloat16ELi2ELi1ELi1EEEJNS0_4SignIfEEEEEvT_T0_DpT1_,"axG",@progbits,_ZN2at6native12_GLOBAL__N_125multi_tensor_apply_kernelINS1_18TensorListMetadataILi2EEENS1_14UnaryOpFunctorIN3c108BFloat16ELi2ELi1ELi1EEEJNS0_4SignIfEEEEEvT_T0_DpT1_,comdat
	.globl	_ZN2at6native12_GLOBAL__N_125multi_tensor_apply_kernelINS1_18TensorListMetadataILi2EEENS1_14UnaryOpFunctorIN3c108BFloat16ELi2ELi1ELi1EEEJNS0_4SignIfEEEEEvT_T0_DpT1_ ; -- Begin function _ZN2at6native12_GLOBAL__N_125multi_tensor_apply_kernelINS1_18TensorListMetadataILi2EEENS1_14UnaryOpFunctorIN3c108BFloat16ELi2ELi1ELi1EEEJNS0_4SignIfEEEEEvT_T0_DpT1_
	.p2align	8
	.type	_ZN2at6native12_GLOBAL__N_125multi_tensor_apply_kernelINS1_18TensorListMetadataILi2EEENS1_14UnaryOpFunctorIN3c108BFloat16ELi2ELi1ELi1EEEJNS0_4SignIfEEEEEvT_T0_DpT1_,@function
_ZN2at6native12_GLOBAL__N_125multi_tensor_apply_kernelINS1_18TensorListMetadataILi2EEENS1_14UnaryOpFunctorIN3c108BFloat16ELi2ELi1ELi1EEEJNS0_4SignIfEEEEEvT_T0_DpT1_: ; @_ZN2at6native12_GLOBAL__N_125multi_tensor_apply_kernelINS1_18TensorListMetadataILi2EEENS1_14UnaryOpFunctorIN3c108BFloat16ELi2ELi1ELi1EEEJNS0_4SignIfEEEEEvT_T0_DpT1_
; %bb.0:
	v_mov_b32_e32 v1, s6
	global_load_ubyte v1, v1, s[4:5] offset:1536
	s_add_u32 s0, s4, s6
	s_mul_hi_u32 s2, s6, 3
	s_mul_i32 s6, s6, 3
	s_addc_u32 s7, s5, 0
	s_add_u32 s8, s0, s6
	s_addc_u32 s9, s7, s2
	s_mov_b32 s1, 0
	s_mov_b32 s17, s1
	;; [unrolled: 1-line block ×3, first 2 shown]
	s_waitcnt vmcnt(0)
	v_readfirstlane_b32 s0, v1
	s_lshl_b32 s0, s0, 3
	s_load_dword s10, s[8:9], 0x740
	s_load_dwordx2 s[14:15], s[4:5], s0 offset:0x0
	s_load_dwordx2 s[12:13], s[4:5], s0 offset:0x400
	;; [unrolled: 1-line block ×3, first 2 shown]
	s_waitcnt lgkmcnt(0)
	s_ashr_i32 s11, s10, 31
	s_and_b32 s0, s14, 7
	s_and_b32 s16, s12, 3
	;; [unrolled: 1-line block ×3, first 2 shown]
	s_or_b64 s[16:17], s[0:1], s[16:17]
	s_lshl_b64 s[8:9], s[10:11], 17
	s_or_b64 s[2:3], s[2:3], s[16:17]
	s_lshl_b64 s[10:11], s[10:11], 16
	s_sub_u32 s10, s12, s10
	s_subb_u32 s11, s13, s11
	s_cmp_eq_u64 s[2:3], 0
	s_mov_b64 s[2:3], -1
	s_cbranch_scc0 .LBB289_5
; %bb.1:
	v_mov_b32_e32 v3, 0
	v_lshlrev_b32_e32 v2, 2, v0
	v_cmp_gt_i64_e32 vcc, s[10:11], v[2:3]
	s_and_saveexec_b64 s[12:13], vcc
	s_cbranch_execz .LBB289_4
; %bb.2:
	s_load_dword s0, s[4:5], 0xc5c
	v_lshlrev_b32_e32 v1, 3, v0
	v_mov_b32_e32 v2, s9
	v_add_co_u32_e32 v4, vcc, s8, v1
	s_waitcnt lgkmcnt(0)
	s_and_b32 s0, s0, 0xffff
	v_addc_co_u32_e32 v1, vcc, 0, v2, vcc
	s_lshl_b32 s20, s0, 3
	v_add_lshl_u32 v2, v0, s0, 2
	s_lshl_b32 s21, s0, 2
	s_mov_b64 s[16:17], 0
	v_mov_b32_e32 v5, s15
	s_mov_b32 s22, 0xffff0000
	s_movk_i32 s23, 0x7fff
	v_mov_b32_e32 v6, s7
	s_mov_b64 s[18:19], 0xffff
	v_mov_b32_e32 v7, s1
	v_mov_b32_e32 v8, s1
.LBB289_3:                              ; =>This Inner Loop Header: Depth=1
	v_add_co_u32_e32 v10, vcc, s14, v4
	v_addc_co_u32_e32 v11, vcc, v5, v1, vcc
	global_load_dwordx2 v[10:11], v[10:11], off
	v_add_co_u32_e32 v12, vcc, s6, v4
	v_addc_co_u32_e32 v13, vcc, v6, v1, vcc
	v_cmp_le_i64_e32 vcc, s[10:11], v[2:3]
	v_cmp_lt_u64_e64 s[0:1], s[18:19], v[2:3]
	v_add_co_u32_e64 v4, s[2:3], s20, v4
	v_addc_co_u32_e64 v1, s[2:3], v1, v7, s[2:3]
	s_or_b64 s[0:1], vcc, s[0:1]
	v_add_co_u32_e64 v2, s[2:3], s21, v2
	v_addc_co_u32_e64 v3, s[2:3], v3, v8, s[2:3]
	s_and_b64 s[0:1], exec, s[0:1]
	s_or_b64 s[16:17], s[0:1], s[16:17]
	s_waitcnt vmcnt(0)
	v_lshlrev_b32_e32 v14, 16, v10
	v_and_b32_e32 v9, 0xffff0000, v10
	v_cmp_lt_f32_e32 vcc, 0, v14
	v_cndmask_b32_e64 v15, 0, 1, vcc
	v_cmp_lt_f32_e32 vcc, 0, v9
	v_alignbit_b32 v10, v11, v10, 16
	v_and_b32_e32 v11, 0xffff0000, v11
	v_cndmask_b32_e64 v16, 0, 1, vcc
	v_cmp_gt_f32_e32 vcc, 0, v9
	v_and_b32_e32 v9, 0xffff0000, v10
	v_cmp_lt_f32_e64 s[0:1], 0, v11
	v_cmp_gt_f32_e64 s[2:3], 0, v14
	v_subbrev_co_u32_e32 v14, vcc, 0, v16, vcc
	v_cndmask_b32_e64 v10, 0, 1, s[0:1]
	v_cmp_gt_f32_e64 s[0:1], 0, v11
	v_cmp_lt_f32_e32 vcc, 0, v9
	v_subbrev_co_u32_e64 v11, s[2:3], 0, v15, s[2:3]
	v_cndmask_b32_e64 v15, 0, 1, vcc
	v_subbrev_co_u32_e64 v10, vcc, 0, v10, s[0:1]
	v_cmp_gt_f32_e32 vcc, 0, v9
	v_cvt_f32_i32_e32 v9, v11
	v_cvt_f32_i32_e32 v11, v14
	v_subbrev_co_u32_e32 v14, vcc, 0, v15, vcc
	v_cvt_f32_i32_e32 v10, v10
	v_cvt_f32_i32_e32 v14, v14
	v_bfe_u32 v15, v9, 16, 1
	v_bfe_u32 v16, v11, 16, 1
	;; [unrolled: 1-line block ×3, first 2 shown]
	v_add3_u32 v9, v9, v15, s23
	v_add3_u32 v15, v11, v16, s23
	v_bfe_u32 v11, v14, 16, 1
	v_add3_u32 v10, v10, v17, s23
	v_lshrrev_b32_e32 v9, 16, v9
	v_add3_u32 v11, v14, v11, s23
	v_and_b32_e32 v10, 0xffff0000, v10
	v_or_b32_sdwa v11, v10, v11 dst_sel:DWORD dst_unused:UNUSED_PAD src0_sel:DWORD src1_sel:WORD_1
	v_and_or_b32 v10, v15, s22, v9
	global_store_dwordx2 v[12:13], v[10:11], off
	s_andn2_b64 exec, exec, s[16:17]
	s_cbranch_execnz .LBB289_3
.LBB289_4:
	s_or_b64 exec, exec, s[12:13]
	s_mov_b64 s[2:3], 0
.LBB289_5:
	s_andn2_b64 vcc, exec, s[2:3]
	s_cbranch_vccnz .LBB289_25
; %bb.6:
	v_cmp_lt_i64_e64 s[0:1], s[10:11], 1
	s_and_b64 vcc, exec, s[0:1]
	s_cbranch_vccnz .LBB289_25
; %bb.7:
	s_load_dword s0, s[4:5], 0xc5c
	v_mov_b32_e32 v2, 0x10000
	v_mov_b32_e32 v3, 0
	v_cmp_lt_u64_e32 vcc, s[10:11], v[2:3]
	v_lshlrev_b32_e32 v10, 1, v0
	s_waitcnt lgkmcnt(0)
	s_and_b32 s2, s0, 0xffff
	s_and_b64 s[0:1], vcc, exec
	v_mov_b32_e32 v13, s15
	v_add_co_u32_e32 v2, vcc, s14, v10
	v_addc_co_u32_e32 v1, vcc, 0, v13, vcc
	v_mov_b32_e32 v11, 0
	v_mov_b32_e32 v15, s7
	v_add_co_u32_e32 v4, vcc, s6, v10
	v_addc_co_u32_e32 v3, vcc, 0, v15, vcc
	v_mad_u64_u32 v[8:9], s[0:1], s2, 6, v[10:11]
	v_add_co_u32_e32 v6, vcc, s14, v8
	v_addc_co_u32_e32 v5, vcc, v13, v9, vcc
	v_add_co_u32_e32 v8, vcc, s6, v8
	s_mul_i32 s4, s2, 3
	v_addc_co_u32_e32 v7, vcc, v15, v9, vcc
	s_cselect_b32 s13, s11, 0
	s_cselect_b32 s12, s10, 0x10000
	s_lshl_b32 s19, s2, 2
	v_add_co_u32_e32 v17, vcc, s4, v0
	v_addc_co_u32_e64 v18, s[0:1], 0, 0, vcc
	v_add_co_u32_e32 v11, vcc, s19, v10
	v_addc_co_u32_e64 v14, s[0:1], 0, 0, vcc
	v_add_co_u32_e32 v10, vcc, s14, v11
	v_addc_co_u32_e32 v9, vcc, v13, v14, vcc
	v_add_co_u32_e32 v12, vcc, s6, v11
	s_lshl_b32 s3, s2, 1
	v_addc_co_u32_e32 v11, vcc, v15, v14, vcc
	v_add_co_u32_e32 v19, vcc, s3, v0
	v_addc_co_u32_e64 v20, s[0:1], 0, 0, vcc
	v_add_co_u32_e32 v21, vcc, s2, v0
	v_lshlrev_b32_e32 v16, 1, v21
	v_addc_co_u32_e64 v22, s[0:1], 0, 0, vcc
	v_add_co_u32_e32 v14, vcc, s14, v16
	v_addc_co_u32_e32 v13, vcc, 0, v13, vcc
	v_add_co_u32_e32 v16, vcc, s6, v16
	s_mov_b32 s18, 0
	s_lshl_b32 s20, s2, 3
	v_addc_co_u32_e32 v15, vcc, 0, v15, vcc
	s_mov_b64 s[14:15], 0
	s_movk_i32 s21, 0x7fff
	s_branch .LBB289_9
.LBB289_8:                              ;   in Loop: Header=BB289_9 Depth=1
	s_or_b64 exec, exec, s[0:1]
	s_add_u32 s14, s14, s19
	s_addc_u32 s15, s15, 0
	s_waitcnt vmcnt(0)
	v_pk_mov_b32 v[24:25], s[10:11], s[10:11] op_sel:[0,1]
	v_cmp_ge_i64_e32 vcc, s[14:15], v[24:25]
	v_mov_b32_e32 v24, 0xffff
	v_mov_b32_e32 v25, 0
	v_cmp_gt_u64_e64 s[0:1], s[14:15], v[24:25]
	s_or_b64 s[0:1], vcc, s[0:1]
	v_mov_b32_e32 v23, s18
	v_add_co_u32_e32 v2, vcc, s20, v2
	v_addc_co_u32_e32 v1, vcc, v1, v23, vcc
	v_add_co_u32_e32 v4, vcc, s20, v4
	v_addc_co_u32_e32 v3, vcc, v3, v23, vcc
	;; [unrolled: 2-line block ×8, first 2 shown]
	s_and_b64 vcc, exec, s[0:1]
	s_cbranch_vccnz .LBB289_25
.LBB289_9:                              ; =>This Inner Loop Header: Depth=1
	v_mov_b32_e32 v23, s15
	v_add_co_u32_e32 v24, vcc, s14, v0
	v_addc_co_u32_e32 v25, vcc, 0, v23, vcc
	v_cmp_gt_u64_e32 vcc, s[12:13], v[24:25]
	v_mov_b32_e32 v24, 0
	s_and_saveexec_b64 s[2:3], vcc
	s_cbranch_execz .LBB289_11
; %bb.10:                               ;   in Loop: Header=BB289_9 Depth=1
	v_mov_b32_e32 v23, s9
	v_add_co_u32_e64 v24, s[0:1], s8, v2
	v_addc_co_u32_e64 v25, s[0:1], v1, v23, s[0:1]
	global_load_ushort v24, v[24:25], off
.LBB289_11:                             ;   in Loop: Header=BB289_9 Depth=1
	s_or_b64 exec, exec, s[2:3]
	v_mov_b32_e32 v23, s15
	v_add_co_u32_e64 v26, s[0:1], s14, v21
	v_addc_co_u32_e64 v27, s[0:1], v22, v23, s[0:1]
	v_cmp_gt_u64_e64 s[0:1], s[12:13], v[26:27]
	v_mov_b32_e32 v25, 0
	s_and_saveexec_b64 s[4:5], s[0:1]
	s_cbranch_execz .LBB289_13
; %bb.12:                               ;   in Loop: Header=BB289_9 Depth=1
	v_mov_b32_e32 v23, s9
	v_add_co_u32_e64 v26, s[2:3], s8, v14
	v_addc_co_u32_e64 v27, s[2:3], v13, v23, s[2:3]
	global_load_ushort v25, v[26:27], off
.LBB289_13:                             ;   in Loop: Header=BB289_9 Depth=1
	s_or_b64 exec, exec, s[4:5]
	v_mov_b32_e32 v23, s15
	v_add_co_u32_e64 v26, s[2:3], s14, v19
	v_addc_co_u32_e64 v27, s[2:3], v20, v23, s[2:3]
	v_cmp_gt_u64_e64 s[2:3], s[12:13], v[26:27]
	v_mov_b32_e32 v23, 0
	v_mov_b32_e32 v26, 0
	s_and_saveexec_b64 s[6:7], s[2:3]
	s_cbranch_execz .LBB289_15
; %bb.14:                               ;   in Loop: Header=BB289_9 Depth=1
	v_mov_b32_e32 v27, s9
	v_add_co_u32_e64 v26, s[4:5], s8, v10
	v_addc_co_u32_e64 v27, s[4:5], v9, v27, s[4:5]
	global_load_ushort v26, v[26:27], off
.LBB289_15:                             ;   in Loop: Header=BB289_9 Depth=1
	s_or_b64 exec, exec, s[6:7]
	v_mov_b32_e32 v27, s15
	v_add_co_u32_e64 v28, s[4:5], s14, v17
	v_addc_co_u32_e64 v29, s[4:5], v18, v27, s[4:5]
	v_cmp_gt_u64_e64 s[4:5], s[12:13], v[28:29]
	s_and_saveexec_b64 s[16:17], s[4:5]
	s_cbranch_execnz .LBB289_20
; %bb.16:                               ;   in Loop: Header=BB289_9 Depth=1
	s_or_b64 exec, exec, s[16:17]
	s_and_saveexec_b64 s[6:7], vcc
	s_cbranch_execnz .LBB289_21
.LBB289_17:                             ;   in Loop: Header=BB289_9 Depth=1
	s_or_b64 exec, exec, s[6:7]
	s_and_saveexec_b64 s[6:7], s[0:1]
	s_cbranch_execnz .LBB289_22
.LBB289_18:                             ;   in Loop: Header=BB289_9 Depth=1
	s_or_b64 exec, exec, s[6:7]
	s_and_saveexec_b64 s[0:1], s[2:3]
	s_cbranch_execnz .LBB289_23
.LBB289_19:                             ;   in Loop: Header=BB289_9 Depth=1
	s_or_b64 exec, exec, s[0:1]
	s_and_saveexec_b64 s[0:1], s[4:5]
	s_cbranch_execz .LBB289_8
	s_branch .LBB289_24
.LBB289_20:                             ;   in Loop: Header=BB289_9 Depth=1
	v_mov_b32_e32 v23, s9
	v_add_co_u32_e64 v28, s[6:7], s8, v6
	v_addc_co_u32_e64 v29, s[6:7], v5, v23, s[6:7]
	global_load_ushort v23, v[28:29], off
	s_or_b64 exec, exec, s[16:17]
	s_and_saveexec_b64 s[6:7], vcc
	s_cbranch_execz .LBB289_17
.LBB289_21:                             ;   in Loop: Header=BB289_9 Depth=1
	s_waitcnt vmcnt(0)
	v_lshlrev_b32_e32 v24, 16, v24
	v_cmp_lt_f32_e32 vcc, 0, v24
	v_cndmask_b32_e64 v27, 0, 1, vcc
	v_cmp_gt_f32_e32 vcc, 0, v24
	v_subbrev_co_u32_e32 v24, vcc, 0, v27, vcc
	v_cvt_f32_i32_e32 v24, v24
	v_add_co_u32_e32 v28, vcc, s8, v4
	v_bfe_u32 v27, v24, 16, 1
	v_add3_u32 v24, v24, v27, s21
	v_mov_b32_e32 v27, s9
	v_addc_co_u32_e32 v29, vcc, v3, v27, vcc
	global_store_short_d16_hi v[28:29], v24, off
	s_or_b64 exec, exec, s[6:7]
	s_and_saveexec_b64 s[6:7], s[0:1]
	s_cbranch_execz .LBB289_18
.LBB289_22:                             ;   in Loop: Header=BB289_9 Depth=1
	s_waitcnt vmcnt(0)
	v_lshlrev_b32_e32 v24, 16, v25
	v_cmp_lt_f32_e32 vcc, 0, v24
	v_cndmask_b32_e64 v25, 0, 1, vcc
	v_cmp_gt_f32_e32 vcc, 0, v24
	v_subbrev_co_u32_e32 v24, vcc, 0, v25, vcc
	v_cvt_f32_i32_e32 v24, v24
	v_bfe_u32 v25, v24, 16, 1
	v_add3_u32 v27, v24, v25, s21
	v_mov_b32_e32 v25, s9
	v_add_co_u32_e32 v24, vcc, s8, v16
	v_addc_co_u32_e32 v25, vcc, v15, v25, vcc
	global_store_short_d16_hi v[24:25], v27, off
	s_or_b64 exec, exec, s[6:7]
	s_and_saveexec_b64 s[0:1], s[2:3]
	s_cbranch_execz .LBB289_19
.LBB289_23:                             ;   in Loop: Header=BB289_9 Depth=1
	s_waitcnt vmcnt(0)
	v_lshlrev_b32_e32 v24, 16, v26
	v_cmp_lt_f32_e32 vcc, 0, v24
	v_cndmask_b32_e64 v25, 0, 1, vcc
	v_cmp_gt_f32_e32 vcc, 0, v24
	v_subbrev_co_u32_e32 v24, vcc, 0, v25, vcc
	v_cvt_f32_i32_e32 v24, v24
	v_bfe_u32 v25, v24, 16, 1
	v_add3_u32 v26, v24, v25, s21
	v_mov_b32_e32 v25, s9
	v_add_co_u32_e32 v24, vcc, s8, v12
	v_addc_co_u32_e32 v25, vcc, v11, v25, vcc
	global_store_short_d16_hi v[24:25], v26, off
	s_or_b64 exec, exec, s[0:1]
	s_and_saveexec_b64 s[0:1], s[4:5]
	s_cbranch_execz .LBB289_8
.LBB289_24:                             ;   in Loop: Header=BB289_9 Depth=1
	s_waitcnt vmcnt(0)
	v_lshlrev_b32_e32 v23, 16, v23
	v_cmp_lt_f32_e32 vcc, 0, v23
	v_cndmask_b32_e64 v24, 0, 1, vcc
	v_cmp_gt_f32_e32 vcc, 0, v23
	v_subbrev_co_u32_e32 v23, vcc, 0, v24, vcc
	v_cvt_f32_i32_e32 v23, v23
	v_mov_b32_e32 v25, s9
	v_bfe_u32 v24, v23, 16, 1
	v_add3_u32 v23, v23, v24, s21
	v_add_co_u32_e32 v24, vcc, s8, v8
	v_addc_co_u32_e32 v25, vcc, v7, v25, vcc
	global_store_short_d16_hi v[24:25], v23, off
	s_branch .LBB289_8
.LBB289_25:
	s_endpgm
	.section	.rodata,"a",@progbits
	.p2align	6, 0x0
	.amdhsa_kernel _ZN2at6native12_GLOBAL__N_125multi_tensor_apply_kernelINS1_18TensorListMetadataILi2EEENS1_14UnaryOpFunctorIN3c108BFloat16ELi2ELi1ELi1EEEJNS0_4SignIfEEEEEvT_T0_DpT1_
		.amdhsa_group_segment_fixed_size 0
		.amdhsa_private_segment_fixed_size 0
		.amdhsa_kernarg_size 3408
		.amdhsa_user_sgpr_count 6
		.amdhsa_user_sgpr_private_segment_buffer 1
		.amdhsa_user_sgpr_dispatch_ptr 0
		.amdhsa_user_sgpr_queue_ptr 0
		.amdhsa_user_sgpr_kernarg_segment_ptr 1
		.amdhsa_user_sgpr_dispatch_id 0
		.amdhsa_user_sgpr_flat_scratch_init 0
		.amdhsa_user_sgpr_kernarg_preload_length 0
		.amdhsa_user_sgpr_kernarg_preload_offset 0
		.amdhsa_user_sgpr_private_segment_size 0
		.amdhsa_uses_dynamic_stack 0
		.amdhsa_system_sgpr_private_segment_wavefront_offset 0
		.amdhsa_system_sgpr_workgroup_id_x 1
		.amdhsa_system_sgpr_workgroup_id_y 0
		.amdhsa_system_sgpr_workgroup_id_z 0
		.amdhsa_system_sgpr_workgroup_info 0
		.amdhsa_system_vgpr_workitem_id 0
		.amdhsa_next_free_vgpr 30
		.amdhsa_next_free_sgpr 24
		.amdhsa_accum_offset 32
		.amdhsa_reserve_vcc 1
		.amdhsa_reserve_flat_scratch 0
		.amdhsa_float_round_mode_32 0
		.amdhsa_float_round_mode_16_64 0
		.amdhsa_float_denorm_mode_32 3
		.amdhsa_float_denorm_mode_16_64 3
		.amdhsa_dx10_clamp 1
		.amdhsa_ieee_mode 1
		.amdhsa_fp16_overflow 0
		.amdhsa_tg_split 0
		.amdhsa_exception_fp_ieee_invalid_op 0
		.amdhsa_exception_fp_denorm_src 0
		.amdhsa_exception_fp_ieee_div_zero 0
		.amdhsa_exception_fp_ieee_overflow 0
		.amdhsa_exception_fp_ieee_underflow 0
		.amdhsa_exception_fp_ieee_inexact 0
		.amdhsa_exception_int_div_zero 0
	.end_amdhsa_kernel
	.section	.text._ZN2at6native12_GLOBAL__N_125multi_tensor_apply_kernelINS1_18TensorListMetadataILi2EEENS1_14UnaryOpFunctorIN3c108BFloat16ELi2ELi1ELi1EEEJNS0_4SignIfEEEEEvT_T0_DpT1_,"axG",@progbits,_ZN2at6native12_GLOBAL__N_125multi_tensor_apply_kernelINS1_18TensorListMetadataILi2EEENS1_14UnaryOpFunctorIN3c108BFloat16ELi2ELi1ELi1EEEJNS0_4SignIfEEEEEvT_T0_DpT1_,comdat
.Lfunc_end289:
	.size	_ZN2at6native12_GLOBAL__N_125multi_tensor_apply_kernelINS1_18TensorListMetadataILi2EEENS1_14UnaryOpFunctorIN3c108BFloat16ELi2ELi1ELi1EEEJNS0_4SignIfEEEEEvT_T0_DpT1_, .Lfunc_end289-_ZN2at6native12_GLOBAL__N_125multi_tensor_apply_kernelINS1_18TensorListMetadataILi2EEENS1_14UnaryOpFunctorIN3c108BFloat16ELi2ELi1ELi1EEEJNS0_4SignIfEEEEEvT_T0_DpT1_
                                        ; -- End function
	.section	.AMDGPU.csdata,"",@progbits
; Kernel info:
; codeLenInByte = 1640
; NumSgprs: 28
; NumVgprs: 30
; NumAgprs: 0
; TotalNumVgprs: 30
; ScratchSize: 0
; MemoryBound: 0
; FloatMode: 240
; IeeeMode: 1
; LDSByteSize: 0 bytes/workgroup (compile time only)
; SGPRBlocks: 3
; VGPRBlocks: 3
; NumSGPRsForWavesPerEU: 28
; NumVGPRsForWavesPerEU: 30
; AccumOffset: 32
; Occupancy: 8
; WaveLimiterHint : 0
; COMPUTE_PGM_RSRC2:SCRATCH_EN: 0
; COMPUTE_PGM_RSRC2:USER_SGPR: 6
; COMPUTE_PGM_RSRC2:TRAP_HANDLER: 0
; COMPUTE_PGM_RSRC2:TGID_X_EN: 1
; COMPUTE_PGM_RSRC2:TGID_Y_EN: 0
; COMPUTE_PGM_RSRC2:TGID_Z_EN: 0
; COMPUTE_PGM_RSRC2:TIDIG_COMP_CNT: 0
; COMPUTE_PGM_RSRC3_GFX90A:ACCUM_OFFSET: 7
; COMPUTE_PGM_RSRC3_GFX90A:TG_SPLIT: 0
	.section	.text._ZN2at6native12_GLOBAL__N_125multi_tensor_apply_kernelINS1_18TensorListMetadataILi1EEENS1_14UnaryOpFunctorIdLi1ELi1ELi0EEEJNS0_4SignIdEEEEEvT_T0_DpT1_,"axG",@progbits,_ZN2at6native12_GLOBAL__N_125multi_tensor_apply_kernelINS1_18TensorListMetadataILi1EEENS1_14UnaryOpFunctorIdLi1ELi1ELi0EEEJNS0_4SignIdEEEEEvT_T0_DpT1_,comdat
	.globl	_ZN2at6native12_GLOBAL__N_125multi_tensor_apply_kernelINS1_18TensorListMetadataILi1EEENS1_14UnaryOpFunctorIdLi1ELi1ELi0EEEJNS0_4SignIdEEEEEvT_T0_DpT1_ ; -- Begin function _ZN2at6native12_GLOBAL__N_125multi_tensor_apply_kernelINS1_18TensorListMetadataILi1EEENS1_14UnaryOpFunctorIdLi1ELi1ELi0EEEJNS0_4SignIdEEEEEvT_T0_DpT1_
	.p2align	8
	.type	_ZN2at6native12_GLOBAL__N_125multi_tensor_apply_kernelINS1_18TensorListMetadataILi1EEENS1_14UnaryOpFunctorIdLi1ELi1ELi0EEEJNS0_4SignIdEEEEEvT_T0_DpT1_,@function
_ZN2at6native12_GLOBAL__N_125multi_tensor_apply_kernelINS1_18TensorListMetadataILi1EEENS1_14UnaryOpFunctorIdLi1ELi1ELi0EEEJNS0_4SignIdEEEEEvT_T0_DpT1_: ; @_ZN2at6native12_GLOBAL__N_125multi_tensor_apply_kernelINS1_18TensorListMetadataILi1EEENS1_14UnaryOpFunctorIdLi1ELi1ELi0EEEJNS0_4SignIdEEEEEvT_T0_DpT1_
; %bb.0:
	v_mov_b32_e32 v1, s6
	global_load_ubyte v1, v1, s[4:5] offset:1760
	s_add_u32 s0, s4, s6
	s_mul_hi_u32 s1, s6, 3
	s_mul_i32 s6, s6, 3
	s_addc_u32 s2, s5, 0
	s_add_u32 s0, s0, s6
	s_addc_u32 s1, s2, s1
	s_load_dword s0, s[0:1], 0x820
	s_mov_b32 s7, 0
	s_waitcnt vmcnt(0)
	v_readfirstlane_b32 s2, v1
	s_lshl_b32 s1, s2, 3
	s_load_dwordx2 s[2:3], s[4:5], s1 offset:0x370
	s_load_dwordx2 s[12:13], s[4:5], s1 offset:0x0
	s_waitcnt lgkmcnt(0)
	s_ashr_i32 s1, s0, 31
	s_lshl_b64 s[14:15], s[0:1], 19
	s_lshl_b64 s[0:1], s[0:1], 16
	s_and_b32 s6, s12, 31
	s_sub_u32 s10, s2, s0
	s_subb_u32 s11, s3, s1
	s_and_b32 s0, s2, 3
	s_mov_b32 s1, s7
	s_or_b64 s[0:1], s[6:7], s[0:1]
	s_cmp_eq_u64 s[0:1], 0
	s_cbranch_scc1 .LBB290_21
; %bb.1:
	v_cmp_lt_i64_e64 s[0:1], s[10:11], 1
	s_and_b64 vcc, exec, s[0:1]
	s_cbranch_vccnz .LBB290_20
; %bb.2:
	s_load_dword s0, s[4:5], 0xd3c
	v_mov_b32_e32 v2, 0x10000
	v_mov_b32_e32 v3, 0
	v_cmp_lt_u64_e32 vcc, s[10:11], v[2:3]
	v_lshlrev_b32_e32 v1, 3, v0
	s_waitcnt lgkmcnt(0)
	s_and_b32 s3, s0, 0xffff
	s_and_b64 s[0:1], vcc, exec
	s_cselect_b32 s17, s11, 0
	s_cselect_b32 s16, s10, 0x10000
	s_lshl_b32 s6, s3, 1
	s_lshl_b32 s22, s3, 2
	s_add_u32 s7, s12, s14
	s_addc_u32 s8, s13, s15
	v_mov_b32_e32 v3, s8
	v_add_co_u32_e32 v2, vcc, s7, v1
	s_mul_i32 s0, s3, 3
	v_addc_co_u32_e32 v3, vcc, 0, v3, vcc
	v_add_co_u32_e32 v1, vcc, s0, v0
	v_addc_co_u32_e64 v16, s[0:1], 0, 0, vcc
	v_add_co_u32_e32 v17, vcc, s6, v0
	v_addc_co_u32_e64 v18, s[0:1], 0, 0, vcc
	v_add_co_u32_e32 v19, vcc, s3, v0
	v_lshlrev_b32_e32 v4, 3, v19
	s_mov_b32 s2, 0
	v_addc_co_u32_e64 v20, s[0:1], 0, 0, vcc
	v_mov_b32_e32 v5, s8
	v_add_co_u32_e32 v4, vcc, s7, v4
	s_lshl_b32 s23, s3, 5
	s_mul_i32 s24, s3, 24
	s_mov_b32 s25, s2
	s_lshl_b32 s26, s3, 4
	s_mov_b32 s27, s2
	v_addc_co_u32_e32 v5, vcc, 0, v5, vcc
	s_mov_b64 s[18:19], 0
	v_pk_mov_b32 v[6:7], s[10:11], s[10:11] op_sel:[0,1]
	v_mov_b32_e32 v21, s2
	s_branch .LBB290_4
.LBB290_3:                              ;   in Loop: Header=BB290_4 Depth=1
	s_or_b64 exec, exec, s[0:1]
	s_add_u32 s18, s18, s22
	s_waitcnt vmcnt(0)
	v_mov_b32_e32 v8, 0x10000
	s_addc_u32 s19, s19, 0
	v_mov_b32_e32 v9, 0
	v_cmp_lt_i64_e32 vcc, s[18:19], v[6:7]
	v_cmp_lt_u64_e64 s[0:1], s[18:19], v[8:9]
	s_and_b64 s[0:1], vcc, s[0:1]
	v_add_co_u32_e32 v2, vcc, s23, v2
	v_addc_co_u32_e32 v3, vcc, v3, v21, vcc
	v_add_co_u32_e32 v4, vcc, s23, v4
	v_addc_co_u32_e32 v5, vcc, v5, v21, vcc
	s_and_b64 vcc, exec, s[0:1]
	s_cbranch_vccz .LBB290_20
.LBB290_4:                              ; =>This Inner Loop Header: Depth=1
	v_mov_b32_e32 v9, s19
	v_add_co_u32_e32 v8, vcc, s18, v0
	v_addc_co_u32_e32 v9, vcc, 0, v9, vcc
	v_cmp_gt_u64_e32 vcc, s[16:17], v[8:9]
	v_pk_mov_b32 v[8:9], 0, 0
	v_pk_mov_b32 v[12:13], v[8:9], v[8:9] op_sel:[0,1]
	s_and_saveexec_b64 s[0:1], vcc
	s_cbranch_execz .LBB290_6
; %bb.5:                                ;   in Loop: Header=BB290_4 Depth=1
	global_load_dwordx2 v[12:13], v[2:3], off
.LBB290_6:                              ;   in Loop: Header=BB290_4 Depth=1
	s_or_b64 exec, exec, s[0:1]
	v_mov_b32_e32 v11, s19
	v_add_co_u32_e64 v10, s[0:1], s18, v19
	v_addc_co_u32_e64 v11, s[0:1], v20, v11, s[0:1]
	v_cmp_gt_u64_e64 s[0:1], s[16:17], v[10:11]
	s_and_saveexec_b64 s[2:3], s[0:1]
	s_cbranch_execz .LBB290_8
; %bb.7:                                ;   in Loop: Header=BB290_4 Depth=1
	global_load_dwordx2 v[8:9], v[4:5], off
.LBB290_8:                              ;   in Loop: Header=BB290_4 Depth=1
	s_or_b64 exec, exec, s[2:3]
	v_mov_b32_e32 v11, s19
	v_add_co_u32_e64 v10, s[2:3], s18, v17
	v_addc_co_u32_e64 v11, s[2:3], v18, v11, s[2:3]
	v_cmp_gt_u64_e64 s[2:3], s[16:17], v[10:11]
	v_pk_mov_b32 v[10:11], 0, 0
	v_pk_mov_b32 v[14:15], v[10:11], v[10:11] op_sel:[0,1]
	s_and_saveexec_b64 s[8:9], s[2:3]
	s_cbranch_execz .LBB290_10
; %bb.9:                                ;   in Loop: Header=BB290_4 Depth=1
	v_mov_b32_e32 v15, s27
	v_add_co_u32_e64 v14, s[6:7], s26, v2
	v_addc_co_u32_e64 v15, s[6:7], v3, v15, s[6:7]
	global_load_dwordx2 v[14:15], v[14:15], off
.LBB290_10:                             ;   in Loop: Header=BB290_4 Depth=1
	s_or_b64 exec, exec, s[8:9]
	v_mov_b32_e32 v23, s19
	v_add_co_u32_e64 v22, s[6:7], s18, v1
	v_addc_co_u32_e64 v23, s[6:7], v16, v23, s[6:7]
	v_cmp_gt_u64_e64 s[6:7], s[16:17], v[22:23]
	s_and_saveexec_b64 s[20:21], s[6:7]
	s_cbranch_execnz .LBB290_15
; %bb.11:                               ;   in Loop: Header=BB290_4 Depth=1
	s_or_b64 exec, exec, s[20:21]
	s_and_saveexec_b64 s[8:9], vcc
	s_cbranch_execnz .LBB290_16
.LBB290_12:                             ;   in Loop: Header=BB290_4 Depth=1
	s_or_b64 exec, exec, s[8:9]
	s_and_saveexec_b64 s[8:9], s[0:1]
	s_cbranch_execnz .LBB290_17
.LBB290_13:                             ;   in Loop: Header=BB290_4 Depth=1
	s_or_b64 exec, exec, s[8:9]
	s_and_saveexec_b64 s[0:1], s[2:3]
	s_cbranch_execnz .LBB290_18
.LBB290_14:                             ;   in Loop: Header=BB290_4 Depth=1
	s_or_b64 exec, exec, s[0:1]
	s_and_saveexec_b64 s[0:1], s[6:7]
	s_cbranch_execz .LBB290_3
	s_branch .LBB290_19
.LBB290_15:                             ;   in Loop: Header=BB290_4 Depth=1
	v_mov_b32_e32 v11, s25
	v_add_co_u32_e64 v10, s[8:9], s24, v2
	v_addc_co_u32_e64 v11, s[8:9], v3, v11, s[8:9]
	global_load_dwordx2 v[10:11], v[10:11], off
	s_or_b64 exec, exec, s[20:21]
	s_and_saveexec_b64 s[8:9], vcc
	s_cbranch_execz .LBB290_12
.LBB290_16:                             ;   in Loop: Header=BB290_4 Depth=1
	s_waitcnt vmcnt(0)
	v_cmp_lt_f64_e32 vcc, 0, v[12:13]
	v_cndmask_b32_e64 v22, 0, 1, vcc
	v_cmp_gt_f64_e32 vcc, 0, v[12:13]
	v_subbrev_co_u32_e32 v12, vcc, 0, v22, vcc
	v_cvt_f64_i32_e32 v[12:13], v12
	global_store_dwordx2 v[2:3], v[12:13], off
	s_or_b64 exec, exec, s[8:9]
	s_and_saveexec_b64 s[8:9], s[0:1]
	s_cbranch_execz .LBB290_13
.LBB290_17:                             ;   in Loop: Header=BB290_4 Depth=1
	s_waitcnt vmcnt(0)
	v_cmp_lt_f64_e32 vcc, 0, v[8:9]
	v_cndmask_b32_e64 v12, 0, 1, vcc
	v_cmp_gt_f64_e32 vcc, 0, v[8:9]
	v_subbrev_co_u32_e32 v8, vcc, 0, v12, vcc
	v_cvt_f64_i32_e32 v[8:9], v8
	global_store_dwordx2 v[4:5], v[8:9], off
	s_or_b64 exec, exec, s[8:9]
	s_and_saveexec_b64 s[0:1], s[2:3]
	s_cbranch_execz .LBB290_14
.LBB290_18:                             ;   in Loop: Header=BB290_4 Depth=1
	s_waitcnt vmcnt(0)
	v_cmp_lt_f64_e32 vcc, 0, v[14:15]
	v_cndmask_b32_e64 v8, 0, 1, vcc
	v_cmp_gt_f64_e32 vcc, 0, v[14:15]
	v_subbrev_co_u32_e32 v8, vcc, 0, v8, vcc
	v_mov_b32_e32 v13, s27
	v_add_co_u32_e32 v12, vcc, s26, v2
	v_cvt_f64_i32_e32 v[8:9], v8
	v_addc_co_u32_e32 v13, vcc, v3, v13, vcc
	global_store_dwordx2 v[12:13], v[8:9], off
	s_or_b64 exec, exec, s[0:1]
	s_and_saveexec_b64 s[0:1], s[6:7]
	s_cbranch_execz .LBB290_3
.LBB290_19:                             ;   in Loop: Header=BB290_4 Depth=1
	s_waitcnt vmcnt(0)
	v_cmp_lt_f64_e32 vcc, 0, v[10:11]
	v_cndmask_b32_e64 v8, 0, 1, vcc
	v_cmp_gt_f64_e32 vcc, 0, v[10:11]
	v_subbrev_co_u32_e32 v8, vcc, 0, v8, vcc
	v_mov_b32_e32 v11, s25
	v_add_co_u32_e32 v10, vcc, s24, v2
	v_cvt_f64_i32_e32 v[8:9], v8
	v_addc_co_u32_e32 v11, vcc, v3, v11, vcc
	global_store_dwordx2 v[10:11], v[8:9], off
	s_branch .LBB290_3
.LBB290_20:
	s_cbranch_execz .LBB290_22
	s_branch .LBB290_25
.LBB290_21:
.LBB290_22:
	v_mov_b32_e32 v3, 0
	v_lshlrev_b32_e32 v2, 2, v0
	s_mov_b32 s0, 0
	v_cmp_gt_i64_e32 vcc, s[10:11], v[2:3]
	s_and_saveexec_b64 s[2:3], vcc
	s_cbranch_execz .LBB290_25
; %bb.23:
	s_load_dword s1, s[4:5], 0xd3c
	v_lshlrev_b32_e32 v1, 5, v0
	s_mov_b64 s[4:5], 0
	s_mov_b64 s[6:7], 0xffff
	v_mov_b32_e32 v5, s0
	s_waitcnt lgkmcnt(0)
	s_and_b32 s1, s1, 0xffff
	s_lshl_b32 s8, s1, 2
	s_add_u32 s2, s12, s14
	s_addc_u32 s3, s13, s15
	v_add_lshl_u32 v2, v0, s1, 2
	v_mov_b32_e32 v0, s3
	v_add_co_u32_e32 v1, vcc, s2, v1
	v_addc_co_u32_e32 v4, vcc, 0, v0, vcc
	v_add_co_u32_e32 v0, vcc, 16, v1
	v_addc_co_u32_e32 v1, vcc, 0, v4, vcc
	s_lshl_b32 s9, s1, 5
	v_mov_b32_e32 v4, s0
.LBB290_24:                             ; =>This Inner Loop Header: Depth=1
	global_load_dwordx4 v[6:9], v[0:1], off offset:-16
	global_load_dwordx4 v[10:13], v[0:1], off
	v_cmp_le_i64_e32 vcc, s[10:11], v[2:3]
	v_cmp_lt_u64_e64 s[0:1], s[6:7], v[2:3]
	s_or_b64 s[0:1], vcc, s[0:1]
	v_add_co_u32_e64 v2, s[2:3], s8, v2
	s_and_b64 s[0:1], exec, s[0:1]
	v_addc_co_u32_e64 v3, s[2:3], v3, v4, s[2:3]
	s_or_b64 s[4:5], s[0:1], s[4:5]
	s_waitcnt vmcnt(1)
	v_cmp_lt_f64_e32 vcc, 0, v[6:7]
	v_cndmask_b32_e64 v14, 0, 1, vcc
	v_cmp_lt_f64_e32 vcc, 0, v[8:9]
	v_cndmask_b32_e64 v15, 0, 1, vcc
	s_waitcnt vmcnt(0)
	v_cmp_lt_f64_e32 vcc, 0, v[10:11]
	v_cndmask_b32_e64 v16, 0, 1, vcc
	v_cmp_lt_f64_e32 vcc, 0, v[12:13]
	v_cndmask_b32_e64 v17, 0, 1, vcc
	v_cmp_gt_f64_e32 vcc, 0, v[6:7]
	v_subbrev_co_u32_e32 v6, vcc, 0, v14, vcc
	v_cmp_gt_f64_e32 vcc, 0, v[8:9]
	v_subbrev_co_u32_e32 v8, vcc, 0, v15, vcc
	;; [unrolled: 2-line block ×4, first 2 shown]
	v_cvt_f64_i32_e32 v[6:7], v6
	v_cvt_f64_i32_e32 v[8:9], v8
	;; [unrolled: 1-line block ×4, first 2 shown]
	global_store_dwordx4 v[0:1], v[6:9], off offset:-16
	global_store_dwordx4 v[0:1], v[10:13], off
	v_add_co_u32_e32 v0, vcc, s9, v0
	v_addc_co_u32_e32 v1, vcc, v1, v5, vcc
	s_andn2_b64 exec, exec, s[4:5]
	s_cbranch_execnz .LBB290_24
.LBB290_25:
	s_endpgm
	.section	.rodata,"a",@progbits
	.p2align	6, 0x0
	.amdhsa_kernel _ZN2at6native12_GLOBAL__N_125multi_tensor_apply_kernelINS1_18TensorListMetadataILi1EEENS1_14UnaryOpFunctorIdLi1ELi1ELi0EEEJNS0_4SignIdEEEEEvT_T0_DpT1_
		.amdhsa_group_segment_fixed_size 0
		.amdhsa_private_segment_fixed_size 0
		.amdhsa_kernarg_size 3632
		.amdhsa_user_sgpr_count 6
		.amdhsa_user_sgpr_private_segment_buffer 1
		.amdhsa_user_sgpr_dispatch_ptr 0
		.amdhsa_user_sgpr_queue_ptr 0
		.amdhsa_user_sgpr_kernarg_segment_ptr 1
		.amdhsa_user_sgpr_dispatch_id 0
		.amdhsa_user_sgpr_flat_scratch_init 0
		.amdhsa_user_sgpr_kernarg_preload_length 0
		.amdhsa_user_sgpr_kernarg_preload_offset 0
		.amdhsa_user_sgpr_private_segment_size 0
		.amdhsa_uses_dynamic_stack 0
		.amdhsa_system_sgpr_private_segment_wavefront_offset 0
		.amdhsa_system_sgpr_workgroup_id_x 1
		.amdhsa_system_sgpr_workgroup_id_y 0
		.amdhsa_system_sgpr_workgroup_id_z 0
		.amdhsa_system_sgpr_workgroup_info 0
		.amdhsa_system_vgpr_workitem_id 0
		.amdhsa_next_free_vgpr 24
		.amdhsa_next_free_sgpr 28
		.amdhsa_accum_offset 24
		.amdhsa_reserve_vcc 1
		.amdhsa_reserve_flat_scratch 0
		.amdhsa_float_round_mode_32 0
		.amdhsa_float_round_mode_16_64 0
		.amdhsa_float_denorm_mode_32 3
		.amdhsa_float_denorm_mode_16_64 3
		.amdhsa_dx10_clamp 1
		.amdhsa_ieee_mode 1
		.amdhsa_fp16_overflow 0
		.amdhsa_tg_split 0
		.amdhsa_exception_fp_ieee_invalid_op 0
		.amdhsa_exception_fp_denorm_src 0
		.amdhsa_exception_fp_ieee_div_zero 0
		.amdhsa_exception_fp_ieee_overflow 0
		.amdhsa_exception_fp_ieee_underflow 0
		.amdhsa_exception_fp_ieee_inexact 0
		.amdhsa_exception_int_div_zero 0
	.end_amdhsa_kernel
	.section	.text._ZN2at6native12_GLOBAL__N_125multi_tensor_apply_kernelINS1_18TensorListMetadataILi1EEENS1_14UnaryOpFunctorIdLi1ELi1ELi0EEEJNS0_4SignIdEEEEEvT_T0_DpT1_,"axG",@progbits,_ZN2at6native12_GLOBAL__N_125multi_tensor_apply_kernelINS1_18TensorListMetadataILi1EEENS1_14UnaryOpFunctorIdLi1ELi1ELi0EEEJNS0_4SignIdEEEEEvT_T0_DpT1_,comdat
.Lfunc_end290:
	.size	_ZN2at6native12_GLOBAL__N_125multi_tensor_apply_kernelINS1_18TensorListMetadataILi1EEENS1_14UnaryOpFunctorIdLi1ELi1ELi0EEEJNS0_4SignIdEEEEEvT_T0_DpT1_, .Lfunc_end290-_ZN2at6native12_GLOBAL__N_125multi_tensor_apply_kernelINS1_18TensorListMetadataILi1EEENS1_14UnaryOpFunctorIdLi1ELi1ELi0EEEJNS0_4SignIdEEEEEvT_T0_DpT1_
                                        ; -- End function
	.section	.AMDGPU.csdata,"",@progbits
; Kernel info:
; codeLenInByte = 1228
; NumSgprs: 32
; NumVgprs: 24
; NumAgprs: 0
; TotalNumVgprs: 24
; ScratchSize: 0
; MemoryBound: 0
; FloatMode: 240
; IeeeMode: 1
; LDSByteSize: 0 bytes/workgroup (compile time only)
; SGPRBlocks: 3
; VGPRBlocks: 2
; NumSGPRsForWavesPerEU: 32
; NumVGPRsForWavesPerEU: 24
; AccumOffset: 24
; Occupancy: 8
; WaveLimiterHint : 0
; COMPUTE_PGM_RSRC2:SCRATCH_EN: 0
; COMPUTE_PGM_RSRC2:USER_SGPR: 6
; COMPUTE_PGM_RSRC2:TRAP_HANDLER: 0
; COMPUTE_PGM_RSRC2:TGID_X_EN: 1
; COMPUTE_PGM_RSRC2:TGID_Y_EN: 0
; COMPUTE_PGM_RSRC2:TGID_Z_EN: 0
; COMPUTE_PGM_RSRC2:TIDIG_COMP_CNT: 0
; COMPUTE_PGM_RSRC3_GFX90A:ACCUM_OFFSET: 5
; COMPUTE_PGM_RSRC3_GFX90A:TG_SPLIT: 0
	.section	.text._ZN2at6native12_GLOBAL__N_125multi_tensor_apply_kernelINS1_18TensorListMetadataILi1EEENS1_14UnaryOpFunctorIfLi1ELi1ELi0EEEJNS0_4SignIfEEEEEvT_T0_DpT1_,"axG",@progbits,_ZN2at6native12_GLOBAL__N_125multi_tensor_apply_kernelINS1_18TensorListMetadataILi1EEENS1_14UnaryOpFunctorIfLi1ELi1ELi0EEEJNS0_4SignIfEEEEEvT_T0_DpT1_,comdat
	.globl	_ZN2at6native12_GLOBAL__N_125multi_tensor_apply_kernelINS1_18TensorListMetadataILi1EEENS1_14UnaryOpFunctorIfLi1ELi1ELi0EEEJNS0_4SignIfEEEEEvT_T0_DpT1_ ; -- Begin function _ZN2at6native12_GLOBAL__N_125multi_tensor_apply_kernelINS1_18TensorListMetadataILi1EEENS1_14UnaryOpFunctorIfLi1ELi1ELi0EEEJNS0_4SignIfEEEEEvT_T0_DpT1_
	.p2align	8
	.type	_ZN2at6native12_GLOBAL__N_125multi_tensor_apply_kernelINS1_18TensorListMetadataILi1EEENS1_14UnaryOpFunctorIfLi1ELi1ELi0EEEJNS0_4SignIfEEEEEvT_T0_DpT1_,@function
_ZN2at6native12_GLOBAL__N_125multi_tensor_apply_kernelINS1_18TensorListMetadataILi1EEENS1_14UnaryOpFunctorIfLi1ELi1ELi0EEEJNS0_4SignIfEEEEEvT_T0_DpT1_: ; @_ZN2at6native12_GLOBAL__N_125multi_tensor_apply_kernelINS1_18TensorListMetadataILi1EEENS1_14UnaryOpFunctorIfLi1ELi1ELi0EEEJNS0_4SignIfEEEEEvT_T0_DpT1_
; %bb.0:
	v_mov_b32_e32 v1, s6
	global_load_ubyte v1, v1, s[4:5] offset:1760
	s_add_u32 s0, s4, s6
	s_mul_hi_u32 s1, s6, 3
	s_mul_i32 s6, s6, 3
	s_addc_u32 s2, s5, 0
	s_add_u32 s0, s0, s6
	s_addc_u32 s1, s2, s1
	s_load_dword s0, s[0:1], 0x820
	s_mov_b32 s7, 0
	s_waitcnt vmcnt(0)
	v_readfirstlane_b32 s2, v1
	s_lshl_b32 s1, s2, 3
	s_load_dwordx2 s[2:3], s[4:5], s1 offset:0x370
	s_load_dwordx2 s[12:13], s[4:5], s1 offset:0x0
	s_waitcnt lgkmcnt(0)
	s_ashr_i32 s1, s0, 31
	s_lshl_b64 s[14:15], s[0:1], 18
	s_lshl_b64 s[0:1], s[0:1], 16
	s_and_b32 s6, s12, 15
	s_sub_u32 s10, s2, s0
	s_subb_u32 s11, s3, s1
	s_and_b32 s0, s2, 3
	s_mov_b32 s1, s7
	s_or_b64 s[0:1], s[6:7], s[0:1]
	s_cmp_eq_u64 s[0:1], 0
	s_cbranch_scc1 .LBB291_21
; %bb.1:
	v_cmp_lt_i64_e64 s[0:1], s[10:11], 1
	s_and_b64 vcc, exec, s[0:1]
	s_cbranch_vccnz .LBB291_20
; %bb.2:
	s_load_dword s0, s[4:5], 0xd3c
	v_mov_b32_e32 v2, 0x10000
	v_mov_b32_e32 v3, 0
	v_cmp_lt_u64_e32 vcc, s[10:11], v[2:3]
	v_lshlrev_b32_e32 v1, 2, v0
	s_waitcnt lgkmcnt(0)
	s_and_b32 s3, s0, 0xffff
	s_and_b64 s[0:1], vcc, exec
	s_cselect_b32 s17, s11, 0
	s_cselect_b32 s16, s10, 0x10000
	s_lshl_b32 s6, s3, 1
	s_lshl_b32 s22, s3, 2
	s_add_u32 s7, s12, s14
	s_addc_u32 s8, s13, s15
	v_mov_b32_e32 v5, s8
	v_add_co_u32_e32 v4, vcc, s7, v1
	s_mul_i32 s0, s3, 3
	v_addc_co_u32_e32 v5, vcc, 0, v5, vcc
	v_add_co_u32_e32 v1, vcc, s0, v0
	v_addc_co_u32_e64 v10, s[0:1], 0, 0, vcc
	v_add_co_u32_e32 v11, vcc, s6, v0
	v_addc_co_u32_e64 v12, s[0:1], 0, 0, vcc
	v_add_co_u32_e32 v13, vcc, s3, v0
	v_lshlrev_b32_e32 v6, 2, v13
	s_mov_b32 s2, 0
	v_addc_co_u32_e64 v14, s[0:1], 0, 0, vcc
	v_mov_b32_e32 v7, s8
	v_add_co_u32_e32 v6, vcc, s7, v6
	s_lshl_b32 s23, s3, 4
	s_mul_i32 s24, s3, 12
	s_mov_b32 s25, s2
	s_lshl_b32 s26, s3, 3
	s_mov_b32 s27, s2
	v_addc_co_u32_e32 v7, vcc, 0, v7, vcc
	s_mov_b64 s[18:19], 0
	v_pk_mov_b32 v[8:9], s[10:11], s[10:11] op_sel:[0,1]
	v_mov_b32_e32 v15, s2
	s_branch .LBB291_4
.LBB291_3:                              ;   in Loop: Header=BB291_4 Depth=1
	s_or_b64 exec, exec, s[0:1]
	s_add_u32 s18, s18, s22
	s_addc_u32 s19, s19, 0
	v_cmp_lt_i64_e32 vcc, s[18:19], v[8:9]
	v_cmp_lt_u64_e64 s[0:1], s[18:19], v[2:3]
	s_and_b64 s[0:1], vcc, s[0:1]
	v_add_co_u32_e32 v4, vcc, s23, v4
	v_addc_co_u32_e32 v5, vcc, v5, v15, vcc
	v_add_co_u32_e32 v6, vcc, s23, v6
	v_addc_co_u32_e32 v7, vcc, v7, v15, vcc
	s_and_b64 vcc, exec, s[0:1]
	s_cbranch_vccz .LBB291_20
.LBB291_4:                              ; =>This Inner Loop Header: Depth=1
	s_waitcnt vmcnt(0)
	v_mov_b32_e32 v17, s19
	v_add_co_u32_e32 v16, vcc, s18, v0
	v_addc_co_u32_e32 v17, vcc, 0, v17, vcc
	v_cmp_gt_u64_e32 vcc, s[16:17], v[16:17]
	v_mov_b32_e32 v17, 0
	s_and_saveexec_b64 s[0:1], vcc
	s_cbranch_execz .LBB291_6
; %bb.5:                                ;   in Loop: Header=BB291_4 Depth=1
	global_load_dword v17, v[4:5], off
.LBB291_6:                              ;   in Loop: Header=BB291_4 Depth=1
	s_or_b64 exec, exec, s[0:1]
	v_mov_b32_e32 v16, s19
	v_add_co_u32_e64 v18, s[0:1], s18, v13
	v_addc_co_u32_e64 v19, s[0:1], v14, v16, s[0:1]
	v_cmp_gt_u64_e64 s[0:1], s[16:17], v[18:19]
	v_mov_b32_e32 v18, 0
	s_and_saveexec_b64 s[2:3], s[0:1]
	s_cbranch_execz .LBB291_8
; %bb.7:                                ;   in Loop: Header=BB291_4 Depth=1
	global_load_dword v18, v[6:7], off
.LBB291_8:                              ;   in Loop: Header=BB291_4 Depth=1
	s_or_b64 exec, exec, s[2:3]
	v_mov_b32_e32 v16, s19
	v_add_co_u32_e64 v20, s[2:3], s18, v11
	v_addc_co_u32_e64 v21, s[2:3], v12, v16, s[2:3]
	v_cmp_gt_u64_e64 s[2:3], s[16:17], v[20:21]
	v_mov_b32_e32 v16, 0
	v_mov_b32_e32 v19, 0
	s_and_saveexec_b64 s[8:9], s[2:3]
	s_cbranch_execz .LBB291_10
; %bb.9:                                ;   in Loop: Header=BB291_4 Depth=1
	v_mov_b32_e32 v19, s27
	v_add_co_u32_e64 v20, s[6:7], s26, v4
	v_addc_co_u32_e64 v21, s[6:7], v5, v19, s[6:7]
	global_load_dword v19, v[20:21], off
.LBB291_10:                             ;   in Loop: Header=BB291_4 Depth=1
	s_or_b64 exec, exec, s[8:9]
	v_mov_b32_e32 v21, s19
	v_add_co_u32_e64 v20, s[6:7], s18, v1
	v_addc_co_u32_e64 v21, s[6:7], v10, v21, s[6:7]
	v_cmp_gt_u64_e64 s[6:7], s[16:17], v[20:21]
	s_and_saveexec_b64 s[20:21], s[6:7]
	s_cbranch_execnz .LBB291_15
; %bb.11:                               ;   in Loop: Header=BB291_4 Depth=1
	s_or_b64 exec, exec, s[20:21]
	s_and_saveexec_b64 s[8:9], vcc
	s_cbranch_execnz .LBB291_16
.LBB291_12:                             ;   in Loop: Header=BB291_4 Depth=1
	s_or_b64 exec, exec, s[8:9]
	s_and_saveexec_b64 s[8:9], s[0:1]
	s_cbranch_execnz .LBB291_17
.LBB291_13:                             ;   in Loop: Header=BB291_4 Depth=1
	s_or_b64 exec, exec, s[8:9]
	s_and_saveexec_b64 s[0:1], s[2:3]
	s_cbranch_execnz .LBB291_18
.LBB291_14:                             ;   in Loop: Header=BB291_4 Depth=1
	s_or_b64 exec, exec, s[0:1]
	s_and_saveexec_b64 s[0:1], s[6:7]
	s_cbranch_execz .LBB291_3
	s_branch .LBB291_19
.LBB291_15:                             ;   in Loop: Header=BB291_4 Depth=1
	v_mov_b32_e32 v16, s25
	v_add_co_u32_e64 v20, s[8:9], s24, v4
	v_addc_co_u32_e64 v21, s[8:9], v5, v16, s[8:9]
	global_load_dword v16, v[20:21], off
	s_or_b64 exec, exec, s[20:21]
	s_and_saveexec_b64 s[8:9], vcc
	s_cbranch_execz .LBB291_12
.LBB291_16:                             ;   in Loop: Header=BB291_4 Depth=1
	s_waitcnt vmcnt(0)
	v_cmp_lt_f32_e32 vcc, 0, v17
	v_cndmask_b32_e64 v20, 0, 1, vcc
	v_cmp_gt_f32_e32 vcc, 0, v17
	v_subbrev_co_u32_e32 v17, vcc, 0, v20, vcc
	v_cvt_f32_i32_e32 v17, v17
	global_store_dword v[4:5], v17, off
	s_or_b64 exec, exec, s[8:9]
	s_and_saveexec_b64 s[8:9], s[0:1]
	s_cbranch_execz .LBB291_13
.LBB291_17:                             ;   in Loop: Header=BB291_4 Depth=1
	s_waitcnt vmcnt(0)
	v_cmp_lt_f32_e32 vcc, 0, v18
	v_cndmask_b32_e64 v17, 0, 1, vcc
	v_cmp_gt_f32_e32 vcc, 0, v18
	v_subbrev_co_u32_e32 v17, vcc, 0, v17, vcc
	v_cvt_f32_i32_e32 v17, v17
	global_store_dword v[6:7], v17, off
	s_or_b64 exec, exec, s[8:9]
	s_and_saveexec_b64 s[0:1], s[2:3]
	s_cbranch_execz .LBB291_14
.LBB291_18:                             ;   in Loop: Header=BB291_4 Depth=1
	s_waitcnt vmcnt(0)
	v_cmp_lt_f32_e32 vcc, 0, v19
	v_cndmask_b32_e64 v17, 0, 1, vcc
	v_cmp_gt_f32_e32 vcc, 0, v19
	v_subbrev_co_u32_e32 v17, vcc, 0, v17, vcc
	v_cvt_f32_i32_e32 v17, v17
	v_mov_b32_e32 v19, s27
	v_add_co_u32_e32 v18, vcc, s26, v4
	v_addc_co_u32_e32 v19, vcc, v5, v19, vcc
	global_store_dword v[18:19], v17, off
	s_or_b64 exec, exec, s[0:1]
	s_and_saveexec_b64 s[0:1], s[6:7]
	s_cbranch_execz .LBB291_3
.LBB291_19:                             ;   in Loop: Header=BB291_4 Depth=1
	s_waitcnt vmcnt(0)
	v_cmp_lt_f32_e32 vcc, 0, v16
	v_cndmask_b32_e64 v17, 0, 1, vcc
	v_cmp_gt_f32_e32 vcc, 0, v16
	v_subbrev_co_u32_e32 v16, vcc, 0, v17, vcc
	v_cvt_f32_i32_e32 v18, v16
	v_mov_b32_e32 v17, s25
	v_add_co_u32_e32 v16, vcc, s24, v4
	v_addc_co_u32_e32 v17, vcc, v5, v17, vcc
	global_store_dword v[16:17], v18, off
	s_branch .LBB291_3
.LBB291_20:
	s_cbranch_execz .LBB291_22
	s_branch .LBB291_25
.LBB291_21:
.LBB291_22:
	v_mov_b32_e32 v3, 0
	v_lshlrev_b32_e32 v2, 2, v0
	s_mov_b32 s0, 0
	v_cmp_gt_i64_e32 vcc, s[10:11], v[2:3]
	s_and_saveexec_b64 s[2:3], vcc
	s_cbranch_execz .LBB291_25
; %bb.23:
	s_load_dword s1, s[4:5], 0xd3c
	v_lshlrev_b32_e32 v1, 4, v0
	s_mov_b64 s[4:5], 0
	s_mov_b64 s[6:7], 0xffff
	s_waitcnt lgkmcnt(0)
	s_and_b32 s1, s1, 0xffff
	s_add_u32 s2, s12, s14
	s_addc_u32 s3, s13, s15
	v_mov_b32_e32 v2, s3
	v_add_co_u32_e32 v1, vcc, s2, v1
	v_addc_co_u32_e32 v2, vcc, 0, v2, vcc
	v_add_co_u32_e32 v4, vcc, 8, v1
	v_addc_co_u32_e32 v5, vcc, 0, v2, vcc
	s_lshl_b32 s8, s1, 4
	v_add_lshl_u32 v2, v0, s1, 2
	s_lshl_b32 s9, s1, 2
	v_mov_b32_e32 v0, s0
	v_mov_b32_e32 v1, s0
.LBB291_24:                             ; =>This Inner Loop Header: Depth=1
	global_load_dwordx4 v[6:9], v[4:5], off offset:-8
	v_cmp_le_i64_e32 vcc, s[10:11], v[2:3]
	v_cmp_lt_u64_e64 s[0:1], s[6:7], v[2:3]
	s_or_b64 s[0:1], vcc, s[0:1]
	s_and_b64 s[0:1], exec, s[0:1]
	s_or_b64 s[4:5], s[0:1], s[4:5]
	s_waitcnt vmcnt(0)
	v_cmp_lt_f32_e64 s[2:3], 0, v7
	v_cndmask_b32_e64 v10, 0, 1, s[2:3]
	v_cmp_lt_f32_e64 s[2:3], 0, v6
	v_cndmask_b32_e64 v11, 0, 1, s[2:3]
	v_cmp_gt_f32_e64 s[2:3], 0, v6
	v_cndmask_b32_e64 v6, 0, 1, s[2:3]
	v_cmp_gt_f32_e64 s[2:3], 0, v7
	v_cndmask_b32_e64 v7, 0, 1, s[2:3]
	v_cmp_lt_f32_e64 s[2:3], 0, v9
	v_cndmask_b32_e64 v12, 0, 1, s[2:3]
	v_cmp_lt_f32_e64 s[2:3], 0, v8
	v_cndmask_b32_e64 v13, 0, 1, s[2:3]
	v_cmp_gt_f32_e64 s[2:3], 0, v8
	v_cndmask_b32_e64 v8, 0, 1, s[2:3]
	v_cmp_gt_f32_e64 s[2:3], 0, v9
	v_cndmask_b32_e64 v9, 0, 1, s[2:3]
	v_sub_u16_e32 v6, v11, v6
	v_sub_u16_e32 v7, v10, v7
	;; [unrolled: 1-line block ×4, first 2 shown]
	v_cvt_f32_i32_sdwa v7, sext(v7) dst_sel:DWORD dst_unused:UNUSED_PAD src0_sel:WORD_0
	v_cvt_f32_i32_sdwa v6, sext(v6) dst_sel:DWORD dst_unused:UNUSED_PAD src0_sel:WORD_0
	;; [unrolled: 1-line block ×4, first 2 shown]
	global_store_dwordx4 v[4:5], v[6:9], off offset:-8
	v_add_co_u32_e32 v4, vcc, s8, v4
	v_addc_co_u32_e32 v5, vcc, v5, v0, vcc
	v_add_co_u32_e32 v2, vcc, s9, v2
	v_addc_co_u32_e32 v3, vcc, v3, v1, vcc
	s_andn2_b64 exec, exec, s[4:5]
	s_cbranch_execnz .LBB291_24
.LBB291_25:
	s_endpgm
	.section	.rodata,"a",@progbits
	.p2align	6, 0x0
	.amdhsa_kernel _ZN2at6native12_GLOBAL__N_125multi_tensor_apply_kernelINS1_18TensorListMetadataILi1EEENS1_14UnaryOpFunctorIfLi1ELi1ELi0EEEJNS0_4SignIfEEEEEvT_T0_DpT1_
		.amdhsa_group_segment_fixed_size 0
		.amdhsa_private_segment_fixed_size 0
		.amdhsa_kernarg_size 3632
		.amdhsa_user_sgpr_count 6
		.amdhsa_user_sgpr_private_segment_buffer 1
		.amdhsa_user_sgpr_dispatch_ptr 0
		.amdhsa_user_sgpr_queue_ptr 0
		.amdhsa_user_sgpr_kernarg_segment_ptr 1
		.amdhsa_user_sgpr_dispatch_id 0
		.amdhsa_user_sgpr_flat_scratch_init 0
		.amdhsa_user_sgpr_kernarg_preload_length 0
		.amdhsa_user_sgpr_kernarg_preload_offset 0
		.amdhsa_user_sgpr_private_segment_size 0
		.amdhsa_uses_dynamic_stack 0
		.amdhsa_system_sgpr_private_segment_wavefront_offset 0
		.amdhsa_system_sgpr_workgroup_id_x 1
		.amdhsa_system_sgpr_workgroup_id_y 0
		.amdhsa_system_sgpr_workgroup_id_z 0
		.amdhsa_system_sgpr_workgroup_info 0
		.amdhsa_system_vgpr_workitem_id 0
		.amdhsa_next_free_vgpr 22
		.amdhsa_next_free_sgpr 28
		.amdhsa_accum_offset 24
		.amdhsa_reserve_vcc 1
		.amdhsa_reserve_flat_scratch 0
		.amdhsa_float_round_mode_32 0
		.amdhsa_float_round_mode_16_64 0
		.amdhsa_float_denorm_mode_32 3
		.amdhsa_float_denorm_mode_16_64 3
		.amdhsa_dx10_clamp 1
		.amdhsa_ieee_mode 1
		.amdhsa_fp16_overflow 0
		.amdhsa_tg_split 0
		.amdhsa_exception_fp_ieee_invalid_op 0
		.amdhsa_exception_fp_denorm_src 0
		.amdhsa_exception_fp_ieee_div_zero 0
		.amdhsa_exception_fp_ieee_overflow 0
		.amdhsa_exception_fp_ieee_underflow 0
		.amdhsa_exception_fp_ieee_inexact 0
		.amdhsa_exception_int_div_zero 0
	.end_amdhsa_kernel
	.section	.text._ZN2at6native12_GLOBAL__N_125multi_tensor_apply_kernelINS1_18TensorListMetadataILi1EEENS1_14UnaryOpFunctorIfLi1ELi1ELi0EEEJNS0_4SignIfEEEEEvT_T0_DpT1_,"axG",@progbits,_ZN2at6native12_GLOBAL__N_125multi_tensor_apply_kernelINS1_18TensorListMetadataILi1EEENS1_14UnaryOpFunctorIfLi1ELi1ELi0EEEJNS0_4SignIfEEEEEvT_T0_DpT1_,comdat
.Lfunc_end291:
	.size	_ZN2at6native12_GLOBAL__N_125multi_tensor_apply_kernelINS1_18TensorListMetadataILi1EEENS1_14UnaryOpFunctorIfLi1ELi1ELi0EEEJNS0_4SignIfEEEEEvT_T0_DpT1_, .Lfunc_end291-_ZN2at6native12_GLOBAL__N_125multi_tensor_apply_kernelINS1_18TensorListMetadataILi1EEENS1_14UnaryOpFunctorIfLi1ELi1ELi0EEEJNS0_4SignIfEEEEEvT_T0_DpT1_
                                        ; -- End function
	.section	.AMDGPU.csdata,"",@progbits
; Kernel info:
; codeLenInByte = 1252
; NumSgprs: 32
; NumVgprs: 22
; NumAgprs: 0
; TotalNumVgprs: 22
; ScratchSize: 0
; MemoryBound: 0
; FloatMode: 240
; IeeeMode: 1
; LDSByteSize: 0 bytes/workgroup (compile time only)
; SGPRBlocks: 3
; VGPRBlocks: 2
; NumSGPRsForWavesPerEU: 32
; NumVGPRsForWavesPerEU: 22
; AccumOffset: 24
; Occupancy: 8
; WaveLimiterHint : 0
; COMPUTE_PGM_RSRC2:SCRATCH_EN: 0
; COMPUTE_PGM_RSRC2:USER_SGPR: 6
; COMPUTE_PGM_RSRC2:TRAP_HANDLER: 0
; COMPUTE_PGM_RSRC2:TGID_X_EN: 1
; COMPUTE_PGM_RSRC2:TGID_Y_EN: 0
; COMPUTE_PGM_RSRC2:TGID_Z_EN: 0
; COMPUTE_PGM_RSRC2:TIDIG_COMP_CNT: 0
; COMPUTE_PGM_RSRC3_GFX90A:ACCUM_OFFSET: 5
; COMPUTE_PGM_RSRC3_GFX90A:TG_SPLIT: 0
	.section	.text._ZN2at6native12_GLOBAL__N_125multi_tensor_apply_kernelINS1_18TensorListMetadataILi1EEENS1_14UnaryOpFunctorIN3c104HalfELi1ELi1ELi0EEEJNS0_4SignIfEEEEEvT_T0_DpT1_,"axG",@progbits,_ZN2at6native12_GLOBAL__N_125multi_tensor_apply_kernelINS1_18TensorListMetadataILi1EEENS1_14UnaryOpFunctorIN3c104HalfELi1ELi1ELi0EEEJNS0_4SignIfEEEEEvT_T0_DpT1_,comdat
	.globl	_ZN2at6native12_GLOBAL__N_125multi_tensor_apply_kernelINS1_18TensorListMetadataILi1EEENS1_14UnaryOpFunctorIN3c104HalfELi1ELi1ELi0EEEJNS0_4SignIfEEEEEvT_T0_DpT1_ ; -- Begin function _ZN2at6native12_GLOBAL__N_125multi_tensor_apply_kernelINS1_18TensorListMetadataILi1EEENS1_14UnaryOpFunctorIN3c104HalfELi1ELi1ELi0EEEJNS0_4SignIfEEEEEvT_T0_DpT1_
	.p2align	8
	.type	_ZN2at6native12_GLOBAL__N_125multi_tensor_apply_kernelINS1_18TensorListMetadataILi1EEENS1_14UnaryOpFunctorIN3c104HalfELi1ELi1ELi0EEEJNS0_4SignIfEEEEEvT_T0_DpT1_,@function
_ZN2at6native12_GLOBAL__N_125multi_tensor_apply_kernelINS1_18TensorListMetadataILi1EEENS1_14UnaryOpFunctorIN3c104HalfELi1ELi1ELi0EEEJNS0_4SignIfEEEEEvT_T0_DpT1_: ; @_ZN2at6native12_GLOBAL__N_125multi_tensor_apply_kernelINS1_18TensorListMetadataILi1EEENS1_14UnaryOpFunctorIN3c104HalfELi1ELi1ELi0EEEJNS0_4SignIfEEEEEvT_T0_DpT1_
; %bb.0:
	v_mov_b32_e32 v1, s6
	global_load_ubyte v1, v1, s[4:5] offset:1760
	s_add_u32 s0, s4, s6
	s_mul_hi_u32 s1, s6, 3
	s_mul_i32 s6, s6, 3
	s_addc_u32 s2, s5, 0
	s_add_u32 s0, s0, s6
	s_addc_u32 s1, s2, s1
	s_load_dword s0, s[0:1], 0x820
	s_mov_b32 s7, 0
	s_waitcnt vmcnt(0)
	v_readfirstlane_b32 s2, v1
	s_lshl_b32 s1, s2, 3
	s_load_dwordx2 s[2:3], s[4:5], s1 offset:0x370
	s_load_dwordx2 s[12:13], s[4:5], s1 offset:0x0
	s_waitcnt lgkmcnt(0)
	s_ashr_i32 s1, s0, 31
	s_lshl_b64 s[14:15], s[0:1], 17
	s_lshl_b64 s[0:1], s[0:1], 16
	s_and_b32 s6, s12, 7
	s_sub_u32 s10, s2, s0
	s_subb_u32 s11, s3, s1
	s_and_b32 s0, s2, 3
	s_mov_b32 s1, s7
	s_or_b64 s[0:1], s[6:7], s[0:1]
	s_cmp_eq_u64 s[0:1], 0
	s_cbranch_scc1 .LBB292_21
; %bb.1:
	v_cmp_lt_i64_e64 s[0:1], s[10:11], 1
	s_and_b64 vcc, exec, s[0:1]
	s_cbranch_vccnz .LBB292_20
; %bb.2:
	s_load_dword s0, s[4:5], 0xd3c
	v_mov_b32_e32 v2, 0x10000
	v_mov_b32_e32 v3, 0
	v_cmp_lt_u64_e32 vcc, s[10:11], v[2:3]
	v_lshlrev_b32_e32 v1, 1, v0
	s_waitcnt lgkmcnt(0)
	s_and_b32 s2, s0, 0xffff
	s_and_b64 s[0:1], vcc, exec
	s_cselect_b32 s17, s11, 0
	s_cselect_b32 s16, s10, 0x10000
	s_lshl_b32 s3, s2, 1
	s_lshl_b32 s23, s2, 2
	s_add_u32 s6, s12, s14
	s_addc_u32 s7, s13, s15
	v_mov_b32_e32 v5, s7
	v_add_co_u32_e32 v4, vcc, s6, v1
	s_mul_i32 s0, s2, 3
	v_addc_co_u32_e32 v5, vcc, 0, v5, vcc
	v_add_co_u32_e32 v1, vcc, s0, v0
	v_addc_co_u32_e64 v10, s[0:1], 0, 0, vcc
	v_add_co_u32_e32 v11, vcc, s3, v0
	v_addc_co_u32_e64 v12, s[0:1], 0, 0, vcc
	v_add_co_u32_e32 v13, vcc, s2, v0
	v_lshlrev_b32_e32 v6, 1, v13
	s_mov_b32 s22, 0
	v_addc_co_u32_e64 v14, s[0:1], 0, 0, vcc
	v_mov_b32_e32 v7, s7
	v_add_co_u32_e32 v6, vcc, s6, v6
	s_lshl_b32 s24, s2, 3
	s_mul_i32 s25, s2, 6
	s_mov_b32 s26, s22
	v_addc_co_u32_e32 v7, vcc, 0, v7, vcc
	s_mov_b64 s[18:19], 0
	v_pk_mov_b32 v[8:9], s[10:11], s[10:11] op_sel:[0,1]
	v_mov_b32_e32 v15, s22
	s_branch .LBB292_4
.LBB292_3:                              ;   in Loop: Header=BB292_4 Depth=1
	s_or_b64 exec, exec, s[0:1]
	s_add_u32 s18, s18, s23
	s_addc_u32 s19, s19, 0
	v_cmp_lt_i64_e32 vcc, s[18:19], v[8:9]
	v_cmp_lt_u64_e64 s[0:1], s[18:19], v[2:3]
	s_and_b64 s[0:1], vcc, s[0:1]
	v_add_co_u32_e32 v4, vcc, s24, v4
	v_addc_co_u32_e32 v5, vcc, v5, v15, vcc
	v_add_co_u32_e32 v6, vcc, s24, v6
	v_addc_co_u32_e32 v7, vcc, v7, v15, vcc
	s_and_b64 vcc, exec, s[0:1]
	s_cbranch_vccz .LBB292_20
.LBB292_4:                              ; =>This Inner Loop Header: Depth=1
	s_waitcnt vmcnt(0)
	v_mov_b32_e32 v17, s19
	v_add_co_u32_e32 v16, vcc, s18, v0
	v_addc_co_u32_e32 v17, vcc, 0, v17, vcc
	v_cmp_gt_u64_e32 vcc, s[16:17], v[16:17]
	v_mov_b32_e32 v17, 0
	s_and_saveexec_b64 s[0:1], vcc
	s_cbranch_execz .LBB292_6
; %bb.5:                                ;   in Loop: Header=BB292_4 Depth=1
	global_load_ushort v17, v[4:5], off
.LBB292_6:                              ;   in Loop: Header=BB292_4 Depth=1
	s_or_b64 exec, exec, s[0:1]
	v_mov_b32_e32 v16, s19
	v_add_co_u32_e64 v18, s[0:1], s18, v13
	v_addc_co_u32_e64 v19, s[0:1], v14, v16, s[0:1]
	v_cmp_gt_u64_e64 s[0:1], s[16:17], v[18:19]
	v_mov_b32_e32 v18, 0
	s_and_saveexec_b64 s[2:3], s[0:1]
	s_cbranch_execz .LBB292_8
; %bb.7:                                ;   in Loop: Header=BB292_4 Depth=1
	global_load_ushort v18, v[6:7], off
.LBB292_8:                              ;   in Loop: Header=BB292_4 Depth=1
	s_or_b64 exec, exec, s[2:3]
	v_mov_b32_e32 v16, s19
	v_add_co_u32_e64 v20, s[2:3], s18, v11
	v_addc_co_u32_e64 v21, s[2:3], v12, v16, s[2:3]
	v_cmp_gt_u64_e64 s[2:3], s[16:17], v[20:21]
	v_mov_b32_e32 v16, 0
	v_mov_b32_e32 v19, 0
	s_and_saveexec_b64 s[8:9], s[2:3]
	s_cbranch_execz .LBB292_10
; %bb.9:                                ;   in Loop: Header=BB292_4 Depth=1
	v_mov_b32_e32 v19, s22
	v_add_co_u32_e64 v20, s[6:7], s23, v4
	v_addc_co_u32_e64 v21, s[6:7], v5, v19, s[6:7]
	global_load_ushort v19, v[20:21], off
.LBB292_10:                             ;   in Loop: Header=BB292_4 Depth=1
	s_or_b64 exec, exec, s[8:9]
	v_mov_b32_e32 v21, s19
	v_add_co_u32_e64 v20, s[6:7], s18, v1
	v_addc_co_u32_e64 v21, s[6:7], v10, v21, s[6:7]
	v_cmp_gt_u64_e64 s[6:7], s[16:17], v[20:21]
	s_and_saveexec_b64 s[20:21], s[6:7]
	s_cbranch_execnz .LBB292_15
; %bb.11:                               ;   in Loop: Header=BB292_4 Depth=1
	s_or_b64 exec, exec, s[20:21]
	s_and_saveexec_b64 s[8:9], vcc
	s_cbranch_execnz .LBB292_16
.LBB292_12:                             ;   in Loop: Header=BB292_4 Depth=1
	s_or_b64 exec, exec, s[8:9]
	s_and_saveexec_b64 s[8:9], s[0:1]
	s_cbranch_execnz .LBB292_17
.LBB292_13:                             ;   in Loop: Header=BB292_4 Depth=1
	s_or_b64 exec, exec, s[8:9]
	s_and_saveexec_b64 s[0:1], s[2:3]
	s_cbranch_execnz .LBB292_18
.LBB292_14:                             ;   in Loop: Header=BB292_4 Depth=1
	s_or_b64 exec, exec, s[0:1]
	s_and_saveexec_b64 s[0:1], s[6:7]
	s_cbranch_execz .LBB292_3
	s_branch .LBB292_19
.LBB292_15:                             ;   in Loop: Header=BB292_4 Depth=1
	v_mov_b32_e32 v16, s26
	v_add_co_u32_e64 v20, s[8:9], s25, v4
	v_addc_co_u32_e64 v21, s[8:9], v5, v16, s[8:9]
	global_load_ushort v16, v[20:21], off
	s_or_b64 exec, exec, s[20:21]
	s_and_saveexec_b64 s[8:9], vcc
	s_cbranch_execz .LBB292_12
.LBB292_16:                             ;   in Loop: Header=BB292_4 Depth=1
	s_waitcnt vmcnt(0)
	v_cmp_lt_f16_e32 vcc, 0, v17
	v_cndmask_b32_e64 v20, 0, 1, vcc
	v_cmp_gt_f16_e32 vcc, 0, v17
	v_subbrev_co_u32_e32 v17, vcc, 0, v20, vcc
	v_cvt_f32_i32_e32 v17, v17
	v_cvt_f16_f32_e32 v17, v17
	global_store_short v[4:5], v17, off
	s_or_b64 exec, exec, s[8:9]
	s_and_saveexec_b64 s[8:9], s[0:1]
	s_cbranch_execz .LBB292_13
.LBB292_17:                             ;   in Loop: Header=BB292_4 Depth=1
	s_waitcnt vmcnt(0)
	v_cmp_lt_f16_e32 vcc, 0, v18
	v_cndmask_b32_e64 v17, 0, 1, vcc
	v_cmp_gt_f16_e32 vcc, 0, v18
	v_subbrev_co_u32_e32 v17, vcc, 0, v17, vcc
	v_cvt_f32_i32_e32 v17, v17
	v_cvt_f16_f32_e32 v17, v17
	global_store_short v[6:7], v17, off
	s_or_b64 exec, exec, s[8:9]
	s_and_saveexec_b64 s[0:1], s[2:3]
	s_cbranch_execz .LBB292_14
.LBB292_18:                             ;   in Loop: Header=BB292_4 Depth=1
	s_waitcnt vmcnt(0)
	v_cmp_lt_f16_e32 vcc, 0, v19
	v_cndmask_b32_e64 v17, 0, 1, vcc
	v_cmp_gt_f16_e32 vcc, 0, v19
	v_subbrev_co_u32_e32 v17, vcc, 0, v17, vcc
	v_cvt_f32_i32_e32 v17, v17
	v_mov_b32_e32 v19, s22
	v_add_co_u32_e32 v18, vcc, s23, v4
	v_cvt_f16_f32_e32 v17, v17
	v_addc_co_u32_e32 v19, vcc, v5, v19, vcc
	global_store_short v[18:19], v17, off
	s_or_b64 exec, exec, s[0:1]
	s_and_saveexec_b64 s[0:1], s[6:7]
	s_cbranch_execz .LBB292_3
.LBB292_19:                             ;   in Loop: Header=BB292_4 Depth=1
	s_waitcnt vmcnt(0)
	v_cmp_lt_f16_e32 vcc, 0, v16
	v_cndmask_b32_e64 v17, 0, 1, vcc
	v_cmp_gt_f16_e32 vcc, 0, v16
	v_subbrev_co_u32_e32 v16, vcc, 0, v17, vcc
	v_cvt_f32_i32_e32 v16, v16
	v_mov_b32_e32 v17, s26
	v_cvt_f16_f32_e32 v18, v16
	v_add_co_u32_e32 v16, vcc, s25, v4
	v_addc_co_u32_e32 v17, vcc, v5, v17, vcc
	global_store_short v[16:17], v18, off
	s_branch .LBB292_3
.LBB292_20:
	s_cbranch_execz .LBB292_22
	s_branch .LBB292_25
.LBB292_21:
.LBB292_22:
	v_mov_b32_e32 v3, 0
	v_lshlrev_b32_e32 v2, 2, v0
	s_mov_b32 s0, 0
	v_cmp_gt_i64_e32 vcc, s[10:11], v[2:3]
	s_and_saveexec_b64 s[2:3], vcc
	s_cbranch_execz .LBB292_25
; %bb.23:
	s_load_dword s1, s[4:5], 0xd3c
	v_lshlrev_b32_e32 v1, 3, v0
	s_mov_b64 s[4:5], 0
	s_mov_b64 s[6:7], 0xffff
	v_mov_b32_e32 v6, s0
	s_waitcnt lgkmcnt(0)
	s_and_b32 s1, s1, 0xffff
	s_lshl_b32 s8, s1, 2
	s_add_u32 s2, s12, s14
	s_addc_u32 s3, s13, s15
	v_add_lshl_u32 v2, v0, s1, 2
	v_mov_b32_e32 v0, s3
	v_add_co_u32_e32 v1, vcc, s2, v1
	v_addc_co_u32_e32 v4, vcc, 0, v0, vcc
	v_add_co_u32_e32 v0, vcc, 4, v1
	v_addc_co_u32_e32 v1, vcc, 0, v4, vcc
	s_lshl_b32 s9, s1, 3
	v_mov_b32_e32 v7, s0
	v_pk_mov_b32 v[4:5], v[2:3], v[2:3] op_sel:[0,1]
.LBB292_24:                             ; =>This Inner Loop Header: Depth=1
	global_load_dwordx2 v[8:9], v[0:1], off offset:-4
	v_cmp_le_i64_e32 vcc, s[10:11], v[4:5]
	v_cmp_lt_u64_e64 s[0:1], s[6:7], v[4:5]
	s_or_b64 s[0:1], vcc, s[0:1]
	v_add_co_u32_e64 v4, s[2:3], s8, v4
	v_addc_co_u32_e64 v5, s[2:3], v5, v6, s[2:3]
	s_and_b64 s[0:1], exec, s[0:1]
	s_or_b64 s[4:5], s[0:1], s[4:5]
	s_waitcnt vmcnt(0)
	v_cmp_lt_f16_e32 vcc, 0, v8
	v_cndmask_b32_e64 v2, 0, 1, vcc
	v_cmp_lt_f16_e32 vcc, 0, v9
	v_cndmask_b32_e64 v11, 0, 1, vcc
	v_cmp_gt_f16_e32 vcc, 0, v8
	v_cmp_gt_f16_sdwa s[2:3], v8, v3 src0_sel:WORD_1 src1_sel:DWORD
	v_subbrev_co_u32_e32 v2, vcc, 0, v2, vcc
	v_cndmask_b32_e64 v10, 0, 1, s[2:3]
	v_cmp_lt_f16_sdwa vcc, v8, v3 src0_sel:WORD_1 src1_sel:DWORD
	v_subbrev_co_u32_e32 v8, vcc, 0, v10, vcc
	v_cmp_gt_f16_e32 vcc, 0, v9
	v_cmp_gt_f16_sdwa s[2:3], v9, v3 src0_sel:WORD_1 src1_sel:DWORD
	v_subbrev_co_u32_e32 v10, vcc, 0, v11, vcc
	v_cndmask_b32_e64 v12, 0, 1, s[2:3]
	v_cmp_lt_f16_sdwa vcc, v9, v3 src0_sel:WORD_1 src1_sel:DWORD
	v_subbrev_co_u32_e32 v9, vcc, 0, v12, vcc
	v_cvt_f32_i32_e32 v2, v2
	v_cvt_f32_i32_e32 v10, v10
	;; [unrolled: 1-line block ×4, first 2 shown]
	v_cvt_f16_f32_e32 v2, v2
	v_cvt_f16_f32_e32 v10, v10
	;; [unrolled: 1-line block ×4, first 2 shown]
	v_pack_b32_f16 v9, v10, v9
	v_pack_b32_f16 v8, v2, v8
	global_store_dwordx2 v[0:1], v[8:9], off offset:-4
	v_add_co_u32_e32 v0, vcc, s9, v0
	v_addc_co_u32_e32 v1, vcc, v1, v7, vcc
	s_andn2_b64 exec, exec, s[4:5]
	s_cbranch_execnz .LBB292_24
.LBB292_25:
	s_endpgm
	.section	.rodata,"a",@progbits
	.p2align	6, 0x0
	.amdhsa_kernel _ZN2at6native12_GLOBAL__N_125multi_tensor_apply_kernelINS1_18TensorListMetadataILi1EEENS1_14UnaryOpFunctorIN3c104HalfELi1ELi1ELi0EEEJNS0_4SignIfEEEEEvT_T0_DpT1_
		.amdhsa_group_segment_fixed_size 0
		.amdhsa_private_segment_fixed_size 0
		.amdhsa_kernarg_size 3632
		.amdhsa_user_sgpr_count 6
		.amdhsa_user_sgpr_private_segment_buffer 1
		.amdhsa_user_sgpr_dispatch_ptr 0
		.amdhsa_user_sgpr_queue_ptr 0
		.amdhsa_user_sgpr_kernarg_segment_ptr 1
		.amdhsa_user_sgpr_dispatch_id 0
		.amdhsa_user_sgpr_flat_scratch_init 0
		.amdhsa_user_sgpr_kernarg_preload_length 0
		.amdhsa_user_sgpr_kernarg_preload_offset 0
		.amdhsa_user_sgpr_private_segment_size 0
		.amdhsa_uses_dynamic_stack 0
		.amdhsa_system_sgpr_private_segment_wavefront_offset 0
		.amdhsa_system_sgpr_workgroup_id_x 1
		.amdhsa_system_sgpr_workgroup_id_y 0
		.amdhsa_system_sgpr_workgroup_id_z 0
		.amdhsa_system_sgpr_workgroup_info 0
		.amdhsa_system_vgpr_workitem_id 0
		.amdhsa_next_free_vgpr 22
		.amdhsa_next_free_sgpr 27
		.amdhsa_accum_offset 24
		.amdhsa_reserve_vcc 1
		.amdhsa_reserve_flat_scratch 0
		.amdhsa_float_round_mode_32 0
		.amdhsa_float_round_mode_16_64 0
		.amdhsa_float_denorm_mode_32 3
		.amdhsa_float_denorm_mode_16_64 3
		.amdhsa_dx10_clamp 1
		.amdhsa_ieee_mode 1
		.amdhsa_fp16_overflow 0
		.amdhsa_tg_split 0
		.amdhsa_exception_fp_ieee_invalid_op 0
		.amdhsa_exception_fp_denorm_src 0
		.amdhsa_exception_fp_ieee_div_zero 0
		.amdhsa_exception_fp_ieee_overflow 0
		.amdhsa_exception_fp_ieee_underflow 0
		.amdhsa_exception_fp_ieee_inexact 0
		.amdhsa_exception_int_div_zero 0
	.end_amdhsa_kernel
	.section	.text._ZN2at6native12_GLOBAL__N_125multi_tensor_apply_kernelINS1_18TensorListMetadataILi1EEENS1_14UnaryOpFunctorIN3c104HalfELi1ELi1ELi0EEEJNS0_4SignIfEEEEEvT_T0_DpT1_,"axG",@progbits,_ZN2at6native12_GLOBAL__N_125multi_tensor_apply_kernelINS1_18TensorListMetadataILi1EEENS1_14UnaryOpFunctorIN3c104HalfELi1ELi1ELi0EEEJNS0_4SignIfEEEEEvT_T0_DpT1_,comdat
.Lfunc_end292:
	.size	_ZN2at6native12_GLOBAL__N_125multi_tensor_apply_kernelINS1_18TensorListMetadataILi1EEENS1_14UnaryOpFunctorIN3c104HalfELi1ELi1ELi0EEEJNS0_4SignIfEEEEEvT_T0_DpT1_, .Lfunc_end292-_ZN2at6native12_GLOBAL__N_125multi_tensor_apply_kernelINS1_18TensorListMetadataILi1EEENS1_14UnaryOpFunctorIN3c104HalfELi1ELi1ELi0EEEJNS0_4SignIfEEEEEvT_T0_DpT1_
                                        ; -- End function
	.section	.AMDGPU.csdata,"",@progbits
; Kernel info:
; codeLenInByte = 1244
; NumSgprs: 31
; NumVgprs: 22
; NumAgprs: 0
; TotalNumVgprs: 22
; ScratchSize: 0
; MemoryBound: 0
; FloatMode: 240
; IeeeMode: 1
; LDSByteSize: 0 bytes/workgroup (compile time only)
; SGPRBlocks: 3
; VGPRBlocks: 2
; NumSGPRsForWavesPerEU: 31
; NumVGPRsForWavesPerEU: 22
; AccumOffset: 24
; Occupancy: 8
; WaveLimiterHint : 0
; COMPUTE_PGM_RSRC2:SCRATCH_EN: 0
; COMPUTE_PGM_RSRC2:USER_SGPR: 6
; COMPUTE_PGM_RSRC2:TRAP_HANDLER: 0
; COMPUTE_PGM_RSRC2:TGID_X_EN: 1
; COMPUTE_PGM_RSRC2:TGID_Y_EN: 0
; COMPUTE_PGM_RSRC2:TGID_Z_EN: 0
; COMPUTE_PGM_RSRC2:TIDIG_COMP_CNT: 0
; COMPUTE_PGM_RSRC3_GFX90A:ACCUM_OFFSET: 5
; COMPUTE_PGM_RSRC3_GFX90A:TG_SPLIT: 0
	.section	.text._ZN2at6native12_GLOBAL__N_125multi_tensor_apply_kernelINS1_18TensorListMetadataILi1EEENS1_14UnaryOpFunctorIN3c108BFloat16ELi1ELi1ELi0EEEJNS0_4SignIfEEEEEvT_T0_DpT1_,"axG",@progbits,_ZN2at6native12_GLOBAL__N_125multi_tensor_apply_kernelINS1_18TensorListMetadataILi1EEENS1_14UnaryOpFunctorIN3c108BFloat16ELi1ELi1ELi0EEEJNS0_4SignIfEEEEEvT_T0_DpT1_,comdat
	.globl	_ZN2at6native12_GLOBAL__N_125multi_tensor_apply_kernelINS1_18TensorListMetadataILi1EEENS1_14UnaryOpFunctorIN3c108BFloat16ELi1ELi1ELi0EEEJNS0_4SignIfEEEEEvT_T0_DpT1_ ; -- Begin function _ZN2at6native12_GLOBAL__N_125multi_tensor_apply_kernelINS1_18TensorListMetadataILi1EEENS1_14UnaryOpFunctorIN3c108BFloat16ELi1ELi1ELi0EEEJNS0_4SignIfEEEEEvT_T0_DpT1_
	.p2align	8
	.type	_ZN2at6native12_GLOBAL__N_125multi_tensor_apply_kernelINS1_18TensorListMetadataILi1EEENS1_14UnaryOpFunctorIN3c108BFloat16ELi1ELi1ELi0EEEJNS0_4SignIfEEEEEvT_T0_DpT1_,@function
_ZN2at6native12_GLOBAL__N_125multi_tensor_apply_kernelINS1_18TensorListMetadataILi1EEENS1_14UnaryOpFunctorIN3c108BFloat16ELi1ELi1ELi0EEEJNS0_4SignIfEEEEEvT_T0_DpT1_: ; @_ZN2at6native12_GLOBAL__N_125multi_tensor_apply_kernelINS1_18TensorListMetadataILi1EEENS1_14UnaryOpFunctorIN3c108BFloat16ELi1ELi1ELi0EEEJNS0_4SignIfEEEEEvT_T0_DpT1_
; %bb.0:
	v_mov_b32_e32 v1, s6
	global_load_ubyte v1, v1, s[4:5] offset:1760
	s_add_u32 s0, s4, s6
	s_mul_hi_u32 s1, s6, 3
	s_mul_i32 s6, s6, 3
	s_addc_u32 s2, s5, 0
	s_add_u32 s0, s0, s6
	s_addc_u32 s1, s2, s1
	s_load_dword s0, s[0:1], 0x820
	s_mov_b32 s7, 0
	s_waitcnt vmcnt(0)
	v_readfirstlane_b32 s2, v1
	s_lshl_b32 s1, s2, 3
	s_load_dwordx2 s[2:3], s[4:5], s1 offset:0x370
	s_load_dwordx2 s[12:13], s[4:5], s1 offset:0x0
	s_waitcnt lgkmcnt(0)
	s_ashr_i32 s1, s0, 31
	s_lshl_b64 s[14:15], s[0:1], 17
	s_lshl_b64 s[0:1], s[0:1], 16
	s_and_b32 s6, s12, 7
	s_sub_u32 s10, s2, s0
	s_subb_u32 s11, s3, s1
	s_and_b32 s0, s2, 3
	s_mov_b32 s1, s7
	s_or_b64 s[0:1], s[6:7], s[0:1]
	s_cmp_eq_u64 s[0:1], 0
	s_cbranch_scc1 .LBB293_21
; %bb.1:
	v_cmp_lt_i64_e64 s[0:1], s[10:11], 1
	s_and_b64 vcc, exec, s[0:1]
	s_cbranch_vccnz .LBB293_20
; %bb.2:
	s_load_dword s0, s[4:5], 0xd3c
	v_mov_b32_e32 v2, 0x10000
	v_mov_b32_e32 v3, 0
	v_cmp_lt_u64_e32 vcc, s[10:11], v[2:3]
	v_lshlrev_b32_e32 v1, 1, v0
	s_waitcnt lgkmcnt(0)
	s_and_b32 s2, s0, 0xffff
	s_and_b64 s[0:1], vcc, exec
	s_cselect_b32 s17, s11, 0
	s_cselect_b32 s16, s10, 0x10000
	s_lshl_b32 s3, s2, 1
	s_lshl_b32 s23, s2, 2
	s_add_u32 s6, s12, s14
	s_addc_u32 s7, s13, s15
	v_mov_b32_e32 v5, s7
	v_add_co_u32_e32 v4, vcc, s6, v1
	s_mul_i32 s0, s2, 3
	v_addc_co_u32_e32 v5, vcc, 0, v5, vcc
	v_add_co_u32_e32 v1, vcc, s0, v0
	v_addc_co_u32_e64 v10, s[0:1], 0, 0, vcc
	v_add_co_u32_e32 v11, vcc, s3, v0
	v_addc_co_u32_e64 v12, s[0:1], 0, 0, vcc
	v_add_co_u32_e32 v13, vcc, s2, v0
	v_lshlrev_b32_e32 v6, 1, v13
	s_mov_b32 s22, 0
	v_addc_co_u32_e64 v14, s[0:1], 0, 0, vcc
	v_mov_b32_e32 v7, s7
	v_add_co_u32_e32 v6, vcc, s6, v6
	s_lshl_b32 s24, s2, 3
	s_mul_i32 s25, s2, 6
	s_mov_b32 s26, s22
	v_addc_co_u32_e32 v7, vcc, 0, v7, vcc
	s_mov_b64 s[18:19], 0
	s_movk_i32 s27, 0x7fff
	v_pk_mov_b32 v[8:9], s[10:11], s[10:11] op_sel:[0,1]
	v_mov_b32_e32 v15, s22
	s_branch .LBB293_4
.LBB293_3:                              ;   in Loop: Header=BB293_4 Depth=1
	s_or_b64 exec, exec, s[0:1]
	s_add_u32 s18, s18, s23
	s_addc_u32 s19, s19, 0
	v_cmp_lt_i64_e32 vcc, s[18:19], v[8:9]
	v_cmp_lt_u64_e64 s[0:1], s[18:19], v[2:3]
	s_and_b64 s[0:1], vcc, s[0:1]
	v_add_co_u32_e32 v4, vcc, s24, v4
	v_addc_co_u32_e32 v5, vcc, v5, v15, vcc
	v_add_co_u32_e32 v6, vcc, s24, v6
	v_addc_co_u32_e32 v7, vcc, v7, v15, vcc
	s_and_b64 vcc, exec, s[0:1]
	s_cbranch_vccz .LBB293_20
.LBB293_4:                              ; =>This Inner Loop Header: Depth=1
	s_waitcnt vmcnt(0)
	v_mov_b32_e32 v17, s19
	v_add_co_u32_e32 v16, vcc, s18, v0
	v_addc_co_u32_e32 v17, vcc, 0, v17, vcc
	v_cmp_gt_u64_e32 vcc, s[16:17], v[16:17]
	v_mov_b32_e32 v17, 0
	s_and_saveexec_b64 s[0:1], vcc
	s_cbranch_execz .LBB293_6
; %bb.5:                                ;   in Loop: Header=BB293_4 Depth=1
	global_load_ushort v17, v[4:5], off
.LBB293_6:                              ;   in Loop: Header=BB293_4 Depth=1
	s_or_b64 exec, exec, s[0:1]
	v_mov_b32_e32 v16, s19
	v_add_co_u32_e64 v18, s[0:1], s18, v13
	v_addc_co_u32_e64 v19, s[0:1], v14, v16, s[0:1]
	v_cmp_gt_u64_e64 s[0:1], s[16:17], v[18:19]
	v_mov_b32_e32 v18, 0
	s_and_saveexec_b64 s[2:3], s[0:1]
	s_cbranch_execz .LBB293_8
; %bb.7:                                ;   in Loop: Header=BB293_4 Depth=1
	global_load_ushort v18, v[6:7], off
.LBB293_8:                              ;   in Loop: Header=BB293_4 Depth=1
	s_or_b64 exec, exec, s[2:3]
	v_mov_b32_e32 v16, s19
	v_add_co_u32_e64 v20, s[2:3], s18, v11
	v_addc_co_u32_e64 v21, s[2:3], v12, v16, s[2:3]
	v_cmp_gt_u64_e64 s[2:3], s[16:17], v[20:21]
	v_mov_b32_e32 v16, 0
	v_mov_b32_e32 v19, 0
	s_and_saveexec_b64 s[8:9], s[2:3]
	s_cbranch_execz .LBB293_10
; %bb.9:                                ;   in Loop: Header=BB293_4 Depth=1
	v_mov_b32_e32 v19, s22
	v_add_co_u32_e64 v20, s[6:7], s23, v4
	v_addc_co_u32_e64 v21, s[6:7], v5, v19, s[6:7]
	global_load_ushort v19, v[20:21], off
.LBB293_10:                             ;   in Loop: Header=BB293_4 Depth=1
	s_or_b64 exec, exec, s[8:9]
	v_mov_b32_e32 v21, s19
	v_add_co_u32_e64 v20, s[6:7], s18, v1
	v_addc_co_u32_e64 v21, s[6:7], v10, v21, s[6:7]
	v_cmp_gt_u64_e64 s[6:7], s[16:17], v[20:21]
	s_and_saveexec_b64 s[20:21], s[6:7]
	s_cbranch_execnz .LBB293_15
; %bb.11:                               ;   in Loop: Header=BB293_4 Depth=1
	s_or_b64 exec, exec, s[20:21]
	s_and_saveexec_b64 s[8:9], vcc
	s_cbranch_execnz .LBB293_16
.LBB293_12:                             ;   in Loop: Header=BB293_4 Depth=1
	s_or_b64 exec, exec, s[8:9]
	s_and_saveexec_b64 s[8:9], s[0:1]
	s_cbranch_execnz .LBB293_17
.LBB293_13:                             ;   in Loop: Header=BB293_4 Depth=1
	s_or_b64 exec, exec, s[8:9]
	s_and_saveexec_b64 s[0:1], s[2:3]
	s_cbranch_execnz .LBB293_18
.LBB293_14:                             ;   in Loop: Header=BB293_4 Depth=1
	s_or_b64 exec, exec, s[0:1]
	s_and_saveexec_b64 s[0:1], s[6:7]
	s_cbranch_execz .LBB293_3
	s_branch .LBB293_19
.LBB293_15:                             ;   in Loop: Header=BB293_4 Depth=1
	v_mov_b32_e32 v16, s26
	v_add_co_u32_e64 v20, s[8:9], s25, v4
	v_addc_co_u32_e64 v21, s[8:9], v5, v16, s[8:9]
	global_load_ushort v16, v[20:21], off
	s_or_b64 exec, exec, s[20:21]
	s_and_saveexec_b64 s[8:9], vcc
	s_cbranch_execz .LBB293_12
.LBB293_16:                             ;   in Loop: Header=BB293_4 Depth=1
	s_waitcnt vmcnt(0)
	v_lshlrev_b32_e32 v17, 16, v17
	v_cmp_lt_f32_e32 vcc, 0, v17
	v_cndmask_b32_e64 v20, 0, 1, vcc
	v_cmp_gt_f32_e32 vcc, 0, v17
	v_subbrev_co_u32_e32 v17, vcc, 0, v20, vcc
	v_cvt_f32_i32_e32 v17, v17
	v_bfe_u32 v20, v17, 16, 1
	v_add3_u32 v17, v17, v20, s27
	global_store_short_d16_hi v[4:5], v17, off
	s_or_b64 exec, exec, s[8:9]
	s_and_saveexec_b64 s[8:9], s[0:1]
	s_cbranch_execz .LBB293_13
.LBB293_17:                             ;   in Loop: Header=BB293_4 Depth=1
	s_waitcnt vmcnt(0)
	v_lshlrev_b32_e32 v17, 16, v18
	v_cmp_lt_f32_e32 vcc, 0, v17
	v_cndmask_b32_e64 v18, 0, 1, vcc
	v_cmp_gt_f32_e32 vcc, 0, v17
	v_subbrev_co_u32_e32 v17, vcc, 0, v18, vcc
	v_cvt_f32_i32_e32 v17, v17
	v_bfe_u32 v18, v17, 16, 1
	v_add3_u32 v17, v17, v18, s27
	global_store_short_d16_hi v[6:7], v17, off
	s_or_b64 exec, exec, s[8:9]
	s_and_saveexec_b64 s[0:1], s[2:3]
	s_cbranch_execz .LBB293_14
.LBB293_18:                             ;   in Loop: Header=BB293_4 Depth=1
	s_waitcnt vmcnt(0)
	v_lshlrev_b32_e32 v17, 16, v19
	v_cmp_lt_f32_e32 vcc, 0, v17
	v_cndmask_b32_e64 v18, 0, 1, vcc
	v_cmp_gt_f32_e32 vcc, 0, v17
	v_subbrev_co_u32_e32 v17, vcc, 0, v18, vcc
	v_cvt_f32_i32_e32 v17, v17
	v_mov_b32_e32 v19, s22
	v_bfe_u32 v18, v17, 16, 1
	v_add3_u32 v17, v17, v18, s27
	v_add_co_u32_e32 v18, vcc, s23, v4
	v_addc_co_u32_e32 v19, vcc, v5, v19, vcc
	global_store_short_d16_hi v[18:19], v17, off
	s_or_b64 exec, exec, s[0:1]
	s_and_saveexec_b64 s[0:1], s[6:7]
	s_cbranch_execz .LBB293_3
.LBB293_19:                             ;   in Loop: Header=BB293_4 Depth=1
	s_waitcnt vmcnt(0)
	v_lshlrev_b32_e32 v16, 16, v16
	v_cmp_lt_f32_e32 vcc, 0, v16
	v_cndmask_b32_e64 v17, 0, 1, vcc
	v_cmp_gt_f32_e32 vcc, 0, v16
	v_subbrev_co_u32_e32 v16, vcc, 0, v17, vcc
	v_cvt_f32_i32_e32 v16, v16
	v_bfe_u32 v17, v16, 16, 1
	v_add3_u32 v18, v16, v17, s27
	v_mov_b32_e32 v17, s26
	v_add_co_u32_e32 v16, vcc, s25, v4
	v_addc_co_u32_e32 v17, vcc, v5, v17, vcc
	global_store_short_d16_hi v[16:17], v18, off
	s_branch .LBB293_3
.LBB293_20:
	s_cbranch_execz .LBB293_22
	s_branch .LBB293_25
.LBB293_21:
.LBB293_22:
	v_mov_b32_e32 v3, 0
	v_lshlrev_b32_e32 v2, 2, v0
	s_mov_b32 s0, 0
	v_cmp_gt_i64_e32 vcc, s[10:11], v[2:3]
	s_and_saveexec_b64 s[2:3], vcc
	s_cbranch_execz .LBB293_25
; %bb.23:
	s_load_dword s1, s[4:5], 0xd3c
	v_lshlrev_b32_e32 v1, 3, v0
	s_mov_b32 s8, 0xffff0000
	s_movk_i32 s9, 0x7fff
	s_mov_b64 s[4:5], 0xffff
	s_waitcnt lgkmcnt(0)
	s_and_b32 s1, s1, 0xffff
	s_add_u32 s2, s12, s14
	s_addc_u32 s3, s13, s15
	v_mov_b32_e32 v2, s3
	v_add_co_u32_e32 v4, vcc, s2, v1
	v_addc_co_u32_e32 v5, vcc, 0, v2, vcc
	s_lshl_b32 s6, s1, 3
	v_add_lshl_u32 v2, v0, s1, 2
	s_lshl_b32 s7, s1, 2
	s_mov_b64 s[2:3], 0
	v_mov_b32_e32 v0, s0
	v_mov_b32_e32 v1, s0
.LBB293_24:                             ; =>This Inner Loop Header: Depth=1
	global_load_dwordx2 v[6:7], v[4:5], off
	v_cmp_le_i64_e32 vcc, s[10:11], v[2:3]
	v_cmp_lt_u64_e64 s[0:1], s[4:5], v[2:3]
	s_or_b64 s[0:1], vcc, s[0:1]
	s_and_b64 s[0:1], exec, s[0:1]
	s_or_b64 s[2:3], s[0:1], s[2:3]
	s_waitcnt vmcnt(0)
	v_lshlrev_b32_e32 v9, 16, v6
	v_and_b32_e32 v8, 0xffff0000, v6
	v_cmp_lt_f32_e32 vcc, 0, v9
	v_alignbit_b32 v6, v7, v6, 16
	v_and_b32_e32 v7, 0xffff0000, v7
	v_cndmask_b32_e64 v10, 0, 1, vcc
	v_cmp_lt_f32_e32 vcc, 0, v8
	v_cndmask_b32_e64 v11, 0, 1, vcc
	v_cmp_lt_f32_e32 vcc, 0, v7
	v_cndmask_b32_e64 v12, 0, 1, vcc
	v_cmp_gt_f32_e32 vcc, 0, v9
	v_subbrev_co_u32_e32 v9, vcc, 0, v10, vcc
	v_cmp_gt_f32_e32 vcc, 0, v8
	v_and_b32_e32 v6, 0xffff0000, v6
	v_subbrev_co_u32_e32 v8, vcc, 0, v11, vcc
	v_cmp_lt_f32_e32 vcc, 0, v6
	v_cndmask_b32_e64 v10, 0, 1, vcc
	v_cmp_gt_f32_e32 vcc, 0, v7
	v_subbrev_co_u32_e32 v7, vcc, 0, v12, vcc
	v_cmp_gt_f32_e32 vcc, 0, v6
	v_cvt_f32_i32_e32 v9, v9
	v_subbrev_co_u32_e32 v6, vcc, 0, v10, vcc
	v_cvt_f32_i32_e32 v7, v7
	v_cvt_f32_i32_e32 v8, v8
	;; [unrolled: 1-line block ×3, first 2 shown]
	v_bfe_u32 v10, v9, 16, 1
	v_bfe_u32 v12, v7, 16, 1
	;; [unrolled: 1-line block ×3, first 2 shown]
	v_add3_u32 v9, v9, v10, s9
	v_bfe_u32 v10, v6, 16, 1
	v_add3_u32 v7, v7, v12, s9
	v_add3_u32 v8, v8, v11, s9
	v_lshrrev_b32_e32 v9, 16, v9
	v_add3_u32 v6, v6, v10, s9
	v_and_b32_e32 v7, 0xffff0000, v7
	v_or_b32_sdwa v7, v7, v6 dst_sel:DWORD dst_unused:UNUSED_PAD src0_sel:DWORD src1_sel:WORD_1
	v_and_or_b32 v6, v8, s8, v9
	global_store_dwordx2 v[4:5], v[6:7], off
	v_add_co_u32_e32 v4, vcc, s6, v4
	v_addc_co_u32_e32 v5, vcc, v5, v0, vcc
	v_add_co_u32_e32 v2, vcc, s7, v2
	v_addc_co_u32_e32 v3, vcc, v3, v1, vcc
	s_andn2_b64 exec, exec, s[2:3]
	s_cbranch_execnz .LBB293_24
.LBB293_25:
	s_endpgm
	.section	.rodata,"a",@progbits
	.p2align	6, 0x0
	.amdhsa_kernel _ZN2at6native12_GLOBAL__N_125multi_tensor_apply_kernelINS1_18TensorListMetadataILi1EEENS1_14UnaryOpFunctorIN3c108BFloat16ELi1ELi1ELi0EEEJNS0_4SignIfEEEEEvT_T0_DpT1_
		.amdhsa_group_segment_fixed_size 0
		.amdhsa_private_segment_fixed_size 0
		.amdhsa_kernarg_size 3632
		.amdhsa_user_sgpr_count 6
		.amdhsa_user_sgpr_private_segment_buffer 1
		.amdhsa_user_sgpr_dispatch_ptr 0
		.amdhsa_user_sgpr_queue_ptr 0
		.amdhsa_user_sgpr_kernarg_segment_ptr 1
		.amdhsa_user_sgpr_dispatch_id 0
		.amdhsa_user_sgpr_flat_scratch_init 0
		.amdhsa_user_sgpr_kernarg_preload_length 0
		.amdhsa_user_sgpr_kernarg_preload_offset 0
		.amdhsa_user_sgpr_private_segment_size 0
		.amdhsa_uses_dynamic_stack 0
		.amdhsa_system_sgpr_private_segment_wavefront_offset 0
		.amdhsa_system_sgpr_workgroup_id_x 1
		.amdhsa_system_sgpr_workgroup_id_y 0
		.amdhsa_system_sgpr_workgroup_id_z 0
		.amdhsa_system_sgpr_workgroup_info 0
		.amdhsa_system_vgpr_workitem_id 0
		.amdhsa_next_free_vgpr 22
		.amdhsa_next_free_sgpr 28
		.amdhsa_accum_offset 24
		.amdhsa_reserve_vcc 1
		.amdhsa_reserve_flat_scratch 0
		.amdhsa_float_round_mode_32 0
		.amdhsa_float_round_mode_16_64 0
		.amdhsa_float_denorm_mode_32 3
		.amdhsa_float_denorm_mode_16_64 3
		.amdhsa_dx10_clamp 1
		.amdhsa_ieee_mode 1
		.amdhsa_fp16_overflow 0
		.amdhsa_tg_split 0
		.amdhsa_exception_fp_ieee_invalid_op 0
		.amdhsa_exception_fp_denorm_src 0
		.amdhsa_exception_fp_ieee_div_zero 0
		.amdhsa_exception_fp_ieee_overflow 0
		.amdhsa_exception_fp_ieee_underflow 0
		.amdhsa_exception_fp_ieee_inexact 0
		.amdhsa_exception_int_div_zero 0
	.end_amdhsa_kernel
	.section	.text._ZN2at6native12_GLOBAL__N_125multi_tensor_apply_kernelINS1_18TensorListMetadataILi1EEENS1_14UnaryOpFunctorIN3c108BFloat16ELi1ELi1ELi0EEEJNS0_4SignIfEEEEEvT_T0_DpT1_,"axG",@progbits,_ZN2at6native12_GLOBAL__N_125multi_tensor_apply_kernelINS1_18TensorListMetadataILi1EEENS1_14UnaryOpFunctorIN3c108BFloat16ELi1ELi1ELi0EEEJNS0_4SignIfEEEEEvT_T0_DpT1_,comdat
.Lfunc_end293:
	.size	_ZN2at6native12_GLOBAL__N_125multi_tensor_apply_kernelINS1_18TensorListMetadataILi1EEENS1_14UnaryOpFunctorIN3c108BFloat16ELi1ELi1ELi0EEEJNS0_4SignIfEEEEEvT_T0_DpT1_, .Lfunc_end293-_ZN2at6native12_GLOBAL__N_125multi_tensor_apply_kernelINS1_18TensorListMetadataILi1EEENS1_14UnaryOpFunctorIN3c108BFloat16ELi1ELi1ELi0EEEJNS0_4SignIfEEEEEvT_T0_DpT1_
                                        ; -- End function
	.section	.AMDGPU.csdata,"",@progbits
; Kernel info:
; codeLenInByte = 1380
; NumSgprs: 32
; NumVgprs: 22
; NumAgprs: 0
; TotalNumVgprs: 22
; ScratchSize: 0
; MemoryBound: 0
; FloatMode: 240
; IeeeMode: 1
; LDSByteSize: 0 bytes/workgroup (compile time only)
; SGPRBlocks: 3
; VGPRBlocks: 2
; NumSGPRsForWavesPerEU: 32
; NumVGPRsForWavesPerEU: 22
; AccumOffset: 24
; Occupancy: 8
; WaveLimiterHint : 0
; COMPUTE_PGM_RSRC2:SCRATCH_EN: 0
; COMPUTE_PGM_RSRC2:USER_SGPR: 6
; COMPUTE_PGM_RSRC2:TRAP_HANDLER: 0
; COMPUTE_PGM_RSRC2:TGID_X_EN: 1
; COMPUTE_PGM_RSRC2:TGID_Y_EN: 0
; COMPUTE_PGM_RSRC2:TGID_Z_EN: 0
; COMPUTE_PGM_RSRC2:TIDIG_COMP_CNT: 0
; COMPUTE_PGM_RSRC3_GFX90A:ACCUM_OFFSET: 5
; COMPUTE_PGM_RSRC3_GFX90A:TG_SPLIT: 0
	.section	.text._ZN2at6native12_GLOBAL__N_125multi_tensor_apply_kernelINS1_18TensorListMetadataILi2EEENS1_14UnaryOpFunctorIdLi2ELi1ELi1EEEJNS0_5RsqrtIdEEEEEvT_T0_DpT1_,"axG",@progbits,_ZN2at6native12_GLOBAL__N_125multi_tensor_apply_kernelINS1_18TensorListMetadataILi2EEENS1_14UnaryOpFunctorIdLi2ELi1ELi1EEEJNS0_5RsqrtIdEEEEEvT_T0_DpT1_,comdat
	.globl	_ZN2at6native12_GLOBAL__N_125multi_tensor_apply_kernelINS1_18TensorListMetadataILi2EEENS1_14UnaryOpFunctorIdLi2ELi1ELi1EEEJNS0_5RsqrtIdEEEEEvT_T0_DpT1_ ; -- Begin function _ZN2at6native12_GLOBAL__N_125multi_tensor_apply_kernelINS1_18TensorListMetadataILi2EEENS1_14UnaryOpFunctorIdLi2ELi1ELi1EEEJNS0_5RsqrtIdEEEEEvT_T0_DpT1_
	.p2align	8
	.type	_ZN2at6native12_GLOBAL__N_125multi_tensor_apply_kernelINS1_18TensorListMetadataILi2EEENS1_14UnaryOpFunctorIdLi2ELi1ELi1EEEJNS0_5RsqrtIdEEEEEvT_T0_DpT1_,@function
_ZN2at6native12_GLOBAL__N_125multi_tensor_apply_kernelINS1_18TensorListMetadataILi2EEENS1_14UnaryOpFunctorIdLi2ELi1ELi1EEEJNS0_5RsqrtIdEEEEEvT_T0_DpT1_: ; @_ZN2at6native12_GLOBAL__N_125multi_tensor_apply_kernelINS1_18TensorListMetadataILi2EEENS1_14UnaryOpFunctorIdLi2ELi1ELi1EEEJNS0_5RsqrtIdEEEEEvT_T0_DpT1_
; %bb.0:
	v_mov_b32_e32 v1, s6
	global_load_ubyte v1, v1, s[4:5] offset:1536
	s_add_u32 s0, s4, s6
	s_mul_hi_u32 s2, s6, 3
	s_mul_i32 s6, s6, 3
	s_addc_u32 s9, s5, 0
	s_add_u32 s8, s0, s6
	s_addc_u32 s9, s9, s2
	s_load_dword s10, s[8:9], 0x740
	s_mov_b32 s1, 0
	s_mov_b32 s7, s1
	;; [unrolled: 1-line block ×3, first 2 shown]
	s_waitcnt lgkmcnt(0)
	s_ashr_i32 s11, s10, 31
	s_lshl_b64 s[8:9], s[10:11], 19
	s_waitcnt vmcnt(0)
	v_readfirstlane_b32 s0, v1
	s_lshl_b32 s0, s0, 3
	s_load_dwordx2 s[16:17], s[4:5], s0 offset:0x0
	s_load_dwordx2 s[12:13], s[4:5], s0 offset:0x400
	;; [unrolled: 1-line block ×3, first 2 shown]
	s_waitcnt lgkmcnt(0)
	s_add_u32 s24, s16, s8
	s_addc_u32 s25, s17, s9
	s_and_b32 s0, s24, 31
	s_add_u32 s26, s14, s8
	s_addc_u32 s27, s15, s9
	s_and_b32 s6, s12, 3
	s_and_b32 s2, s26, 31
	s_or_b64 s[6:7], s[0:1], s[6:7]
	s_or_b64 s[2:3], s[2:3], s[6:7]
	s_lshl_b64 s[6:7], s[10:11], 16
	s_sub_u32 s10, s12, s6
	s_subb_u32 s11, s13, s7
	s_cmp_eq_u64 s[2:3], 0
	s_mov_b64 s[2:3], -1
	s_cbranch_scc0 .LBB294_5
; %bb.1:
	v_mov_b32_e32 v3, 0
	v_lshlrev_b32_e32 v2, 2, v0
	v_cmp_gt_i64_e32 vcc, s[10:11], v[2:3]
	s_and_saveexec_b64 s[12:13], vcc
	s_cbranch_execz .LBB294_4
; %bb.2:
	s_load_dword s0, s[4:5], 0xc5c
	s_mov_b32 s20, 0
	v_lshlrev_b32_e32 v4, 5, v0
	s_mov_b64 s[18:19], 0
	s_mov_b32 s21, 0x3fd80000
	s_waitcnt lgkmcnt(0)
	s_and_b32 s0, s0, 0xffff
	v_add_lshl_u32 v2, v0, s0, 2
	s_lshl_b32 s28, s0, 2
	s_lshl_b32 s29, s0, 5
	v_mov_b32_e32 v1, 0x180
	s_mov_b64 s[22:23], 0xffff
	v_mov_b32_e32 v5, s1
.LBB294_3:                              ; =>This Inner Loop Header: Depth=1
	v_mov_b32_e32 v6, s25
	v_add_co_u32_e32 v14, vcc, s24, v4
	v_addc_co_u32_e32 v15, vcc, 0, v6, vcc
	global_load_dwordx4 v[6:9], v[14:15], off
	global_load_dwordx4 v[10:13], v[14:15], off offset:16
	v_cmp_le_i64_e32 vcc, s[10:11], v[2:3]
	v_cmp_lt_u64_e64 s[0:1], s[22:23], v[2:3]
	s_or_b64 s[0:1], vcc, s[0:1]
	v_add_co_u32_e64 v2, s[2:3], s28, v2
	s_add_u32 s24, s24, s29
	v_addc_co_u32_e64 v3, s[2:3], v3, v5, s[2:3]
	s_addc_u32 s25, s25, 0
	v_add_co_u32_e64 v14, s[2:3], s26, v4
	s_add_u32 s26, s26, s29
	v_mov_b32_e32 v15, s27
	s_addc_u32 s27, s27, 0
	v_addc_co_u32_e64 v15, s[2:3], 0, v15, s[2:3]
	s_and_b64 s[0:1], exec, s[0:1]
	s_or_b64 s[18:19], s[0:1], s[18:19]
	s_waitcnt vmcnt(1)
	v_rsq_f64_e32 v[16:17], v[6:7]
	v_rsq_f64_e32 v[18:19], v[8:9]
	s_waitcnt vmcnt(0)
	v_rsq_f64_e32 v[20:21], v[10:11]
	v_rsq_f64_e32 v[22:23], v[12:13]
	v_mul_f64 v[6:7], v[16:17], -v[6:7]
	v_mul_f64 v[8:9], v[18:19], -v[8:9]
	;; [unrolled: 1-line block ×4, first 2 shown]
	v_fma_f64 v[6:7], v[6:7], v[16:17], 1.0
	v_fma_f64 v[8:9], v[8:9], v[18:19], 1.0
	;; [unrolled: 1-line block ×4, first 2 shown]
	v_mul_f64 v[24:25], v[16:17], v[6:7]
	v_fma_f64 v[6:7], v[6:7], s[20:21], 0.5
	v_mul_f64 v[26:27], v[18:19], v[8:9]
	v_fma_f64 v[8:9], v[8:9], s[20:21], 0.5
	;; [unrolled: 2-line block ×4, first 2 shown]
	v_fma_f64 v[6:7], v[24:25], v[6:7], v[16:17]
	v_fma_f64 v[8:9], v[26:27], v[8:9], v[18:19]
	v_cmp_class_f64_e32 vcc, v[18:19], v1
	v_cmp_class_f64_e64 s[6:7], v[16:17], v1
	v_fma_f64 v[10:11], v[28:29], v[10:11], v[20:21]
	v_cmp_class_f64_e64 s[0:1], v[20:21], v1
	v_fma_f64 v[12:13], v[30:31], v[12:13], v[22:23]
	v_cmp_class_f64_e64 s[2:3], v[22:23], v1
	v_cndmask_b32_e64 v7, v17, v7, s[6:7]
	v_cndmask_b32_e64 v6, v16, v6, s[6:7]
	v_cndmask_b32_e32 v9, v19, v9, vcc
	v_cndmask_b32_e32 v8, v18, v8, vcc
	v_cndmask_b32_e64 v11, v21, v11, s[0:1]
	v_cndmask_b32_e64 v10, v20, v10, s[0:1]
	;; [unrolled: 1-line block ×4, first 2 shown]
	global_store_dwordx4 v[14:15], v[6:9], off
	global_store_dwordx4 v[14:15], v[10:13], off offset:16
	s_andn2_b64 exec, exec, s[18:19]
	s_cbranch_execnz .LBB294_3
.LBB294_4:
	s_or_b64 exec, exec, s[12:13]
	s_mov_b64 s[2:3], 0
.LBB294_5:
	s_andn2_b64 vcc, exec, s[2:3]
	s_cbranch_vccnz .LBB294_25
; %bb.6:
	v_cmp_lt_i64_e64 s[0:1], s[10:11], 1
	s_and_b64 vcc, exec, s[0:1]
	s_cbranch_vccnz .LBB294_25
; %bb.7:
	s_load_dword s0, s[4:5], 0xc5c
	v_mov_b32_e32 v2, 0x10000
	v_mov_b32_e32 v3, 0
	v_cmp_lt_u64_e32 vcc, s[10:11], v[2:3]
	v_lshlrev_b32_e32 v10, 3, v0
	s_waitcnt lgkmcnt(0)
	s_and_b32 s2, s0, 0xffff
	s_and_b64 s[0:1], vcc, exec
	v_mov_b32_e32 v13, s17
	v_add_co_u32_e32 v2, vcc, s16, v10
	v_addc_co_u32_e32 v1, vcc, 0, v13, vcc
	v_mov_b32_e32 v11, 0
	v_mov_b32_e32 v15, s15
	v_add_co_u32_e32 v4, vcc, s14, v10
	v_addc_co_u32_e32 v3, vcc, 0, v15, vcc
	v_mad_u64_u32 v[8:9], s[0:1], s2, 24, v[10:11]
	v_add_co_u32_e32 v6, vcc, s16, v8
	v_addc_co_u32_e32 v5, vcc, v13, v9, vcc
	v_add_co_u32_e32 v8, vcc, s14, v8
	s_mul_i32 s4, s2, 3
	v_addc_co_u32_e32 v7, vcc, v15, v9, vcc
	v_add_co_u32_e32 v17, vcc, s4, v0
	v_addc_co_u32_e64 v26, s[0:1], 0, 0, vcc
	s_cselect_b32 s13, s11, 0
	s_cselect_b32 s12, s10, 0x10000
	s_lshl_b32 s0, s2, 4
	v_add_co_u32_e32 v11, vcc, s0, v10
	v_addc_co_u32_e64 v14, s[0:1], 0, 0, vcc
	v_add_co_u32_e32 v10, vcc, s16, v11
	v_addc_co_u32_e32 v9, vcc, v13, v14, vcc
	v_add_co_u32_e32 v12, vcc, s14, v11
	s_lshl_b32 s3, s2, 1
	v_addc_co_u32_e32 v11, vcc, v15, v14, vcc
	v_add_co_u32_e32 v27, vcc, s3, v0
	v_addc_co_u32_e64 v28, s[0:1], 0, 0, vcc
	v_add_co_u32_e32 v29, vcc, s2, v0
	v_lshlrev_b32_e32 v16, 3, v29
	v_addc_co_u32_e64 v30, s[0:1], 0, 0, vcc
	v_add_co_u32_e32 v14, vcc, s16, v16
	v_addc_co_u32_e32 v13, vcc, 0, v13, vcc
	v_add_co_u32_e32 v16, vcc, s14, v16
	s_mov_b32 s16, 0
	s_mov_b32 s20, 0
	s_lshl_b32 s21, s2, 2
	s_lshl_b32 s22, s2, 5
	v_addc_co_u32_e32 v15, vcc, 0, v15, vcc
	s_mov_b64 s[14:15], 0
	v_mov_b32_e32 v31, 0x180
	s_mov_b32 s17, 0x3fd80000
	s_branch .LBB294_9
.LBB294_8:                              ;   in Loop: Header=BB294_9 Depth=1
	s_or_b64 exec, exec, s[2:3]
	s_add_u32 s14, s14, s21
	s_addc_u32 s15, s15, 0
	s_waitcnt vmcnt(0)
	v_pk_mov_b32 v[18:19], s[10:11], s[10:11] op_sel:[0,1]
	v_cmp_ge_i64_e32 vcc, s[14:15], v[18:19]
	v_mov_b32_e32 v18, 0xffff
	v_mov_b32_e32 v19, 0
	v_cmp_gt_u64_e64 s[0:1], s[14:15], v[18:19]
	s_or_b64 s[0:1], vcc, s[0:1]
	v_mov_b32_e32 v18, s20
	v_add_co_u32_e32 v2, vcc, s22, v2
	v_addc_co_u32_e32 v1, vcc, v1, v18, vcc
	v_add_co_u32_e32 v4, vcc, s22, v4
	v_addc_co_u32_e32 v3, vcc, v3, v18, vcc
	;; [unrolled: 2-line block ×8, first 2 shown]
	s_and_b64 vcc, exec, s[0:1]
	s_cbranch_vccnz .LBB294_25
.LBB294_9:                              ; =>This Inner Loop Header: Depth=1
	v_mov_b32_e32 v19, s15
	v_add_co_u32_e32 v18, vcc, s14, v0
	v_addc_co_u32_e32 v19, vcc, 0, v19, vcc
	v_pk_mov_b32 v[20:21], 0, 0
	v_cmp_gt_u64_e64 s[4:5], s[12:13], v[18:19]
	v_pk_mov_b32 v[24:25], v[20:21], v[20:21] op_sel:[0,1]
	s_and_saveexec_b64 s[0:1], s[4:5]
	s_cbranch_execz .LBB294_11
; %bb.10:                               ;   in Loop: Header=BB294_9 Depth=1
	v_mov_b32_e32 v19, s9
	v_add_co_u32_e32 v18, vcc, s8, v2
	v_addc_co_u32_e32 v19, vcc, v1, v19, vcc
	global_load_dwordx2 v[24:25], v[18:19], off
.LBB294_11:                             ;   in Loop: Header=BB294_9 Depth=1
	s_or_b64 exec, exec, s[0:1]
	v_mov_b32_e32 v19, s15
	v_add_co_u32_e32 v18, vcc, s14, v29
	v_addc_co_u32_e32 v19, vcc, v30, v19, vcc
	v_cmp_gt_u64_e64 s[2:3], s[12:13], v[18:19]
	s_and_saveexec_b64 s[0:1], s[2:3]
	s_cbranch_execz .LBB294_13
; %bb.12:                               ;   in Loop: Header=BB294_9 Depth=1
	v_mov_b32_e32 v19, s9
	v_add_co_u32_e32 v18, vcc, s8, v14
	v_addc_co_u32_e32 v19, vcc, v13, v19, vcc
	global_load_dwordx2 v[20:21], v[18:19], off
.LBB294_13:                             ;   in Loop: Header=BB294_9 Depth=1
	s_or_b64 exec, exec, s[0:1]
	v_mov_b32_e32 v19, s15
	v_add_co_u32_e32 v18, vcc, s14, v27
	v_addc_co_u32_e32 v19, vcc, v28, v19, vcc
	v_cmp_gt_u64_e32 vcc, s[12:13], v[18:19]
	v_pk_mov_b32 v[18:19], 0, 0
	v_pk_mov_b32 v[22:23], v[18:19], v[18:19] op_sel:[0,1]
	s_and_saveexec_b64 s[6:7], vcc
	s_cbranch_execz .LBB294_15
; %bb.14:                               ;   in Loop: Header=BB294_9 Depth=1
	v_mov_b32_e32 v23, s9
	v_add_co_u32_e64 v22, s[0:1], s8, v10
	v_addc_co_u32_e64 v23, s[0:1], v9, v23, s[0:1]
	global_load_dwordx2 v[22:23], v[22:23], off
.LBB294_15:                             ;   in Loop: Header=BB294_9 Depth=1
	s_or_b64 exec, exec, s[6:7]
	v_mov_b32_e32 v33, s15
	v_add_co_u32_e64 v32, s[0:1], s14, v17
	v_addc_co_u32_e64 v33, s[0:1], v26, v33, s[0:1]
	v_cmp_gt_u64_e64 s[0:1], s[12:13], v[32:33]
	s_and_saveexec_b64 s[18:19], s[0:1]
	s_cbranch_execnz .LBB294_20
; %bb.16:                               ;   in Loop: Header=BB294_9 Depth=1
	s_or_b64 exec, exec, s[18:19]
	s_and_saveexec_b64 s[6:7], s[4:5]
	s_cbranch_execnz .LBB294_21
.LBB294_17:                             ;   in Loop: Header=BB294_9 Depth=1
	s_or_b64 exec, exec, s[6:7]
	s_and_saveexec_b64 s[4:5], s[2:3]
	s_cbranch_execnz .LBB294_22
.LBB294_18:                             ;   in Loop: Header=BB294_9 Depth=1
	s_or_b64 exec, exec, s[4:5]
	s_and_saveexec_b64 s[2:3], vcc
	s_cbranch_execnz .LBB294_23
.LBB294_19:                             ;   in Loop: Header=BB294_9 Depth=1
	s_or_b64 exec, exec, s[2:3]
	s_and_saveexec_b64 s[2:3], s[0:1]
	s_cbranch_execz .LBB294_8
	s_branch .LBB294_24
.LBB294_20:                             ;   in Loop: Header=BB294_9 Depth=1
	v_mov_b32_e32 v19, s9
	v_add_co_u32_e64 v18, s[6:7], s8, v6
	v_addc_co_u32_e64 v19, s[6:7], v5, v19, s[6:7]
	global_load_dwordx2 v[18:19], v[18:19], off
	s_or_b64 exec, exec, s[18:19]
	s_and_saveexec_b64 s[6:7], s[4:5]
	s_cbranch_execz .LBB294_17
.LBB294_21:                             ;   in Loop: Header=BB294_9 Depth=1
	s_waitcnt vmcnt(0)
	v_rsq_f64_e32 v[32:33], v[24:25]
	v_mul_f64 v[24:25], v[32:33], -v[24:25]
	v_fma_f64 v[24:25], v[24:25], v[32:33], 1.0
	v_mul_f64 v[34:35], v[32:33], v[24:25]
	v_fma_f64 v[24:25], v[24:25], s[16:17], 0.5
	v_fma_f64 v[24:25], v[34:35], v[24:25], v[32:33]
	v_cmp_class_f64_e64 s[4:5], v[32:33], v31
	v_cndmask_b32_e64 v25, v33, v25, s[4:5]
	v_cndmask_b32_e64 v24, v32, v24, s[4:5]
	v_mov_b32_e32 v33, s9
	v_add_co_u32_e64 v32, s[4:5], s8, v4
	v_addc_co_u32_e64 v33, s[4:5], v3, v33, s[4:5]
	global_store_dwordx2 v[32:33], v[24:25], off
	s_or_b64 exec, exec, s[6:7]
	s_and_saveexec_b64 s[4:5], s[2:3]
	s_cbranch_execz .LBB294_18
.LBB294_22:                             ;   in Loop: Header=BB294_9 Depth=1
	s_waitcnt vmcnt(0)
	v_rsq_f64_e32 v[24:25], v[20:21]
	v_mul_f64 v[20:21], v[24:25], -v[20:21]
	v_fma_f64 v[20:21], v[20:21], v[24:25], 1.0
	v_mul_f64 v[32:33], v[24:25], v[20:21]
	v_fma_f64 v[20:21], v[20:21], s[16:17], 0.5
	v_fma_f64 v[20:21], v[32:33], v[20:21], v[24:25]
	v_cmp_class_f64_e64 s[2:3], v[24:25], v31
	v_cndmask_b32_e64 v21, v25, v21, s[2:3]
	v_cndmask_b32_e64 v20, v24, v20, s[2:3]
	v_mov_b32_e32 v25, s9
	v_add_co_u32_e64 v24, s[2:3], s8, v16
	v_addc_co_u32_e64 v25, s[2:3], v15, v25, s[2:3]
	global_store_dwordx2 v[24:25], v[20:21], off
	s_or_b64 exec, exec, s[4:5]
	s_and_saveexec_b64 s[2:3], vcc
	s_cbranch_execz .LBB294_19
.LBB294_23:                             ;   in Loop: Header=BB294_9 Depth=1
	s_waitcnt vmcnt(0)
	v_rsq_f64_e32 v[20:21], v[22:23]
	v_mul_f64 v[22:23], v[20:21], -v[22:23]
	v_fma_f64 v[22:23], v[22:23], v[20:21], 1.0
	v_mul_f64 v[24:25], v[20:21], v[22:23]
	v_fma_f64 v[22:23], v[22:23], s[16:17], 0.5
	v_fma_f64 v[22:23], v[24:25], v[22:23], v[20:21]
	v_cmp_class_f64_e32 vcc, v[20:21], v31
	v_cndmask_b32_e32 v21, v21, v23, vcc
	v_cndmask_b32_e32 v20, v20, v22, vcc
	v_mov_b32_e32 v23, s9
	v_add_co_u32_e32 v22, vcc, s8, v12
	v_addc_co_u32_e32 v23, vcc, v11, v23, vcc
	global_store_dwordx2 v[22:23], v[20:21], off
	s_or_b64 exec, exec, s[2:3]
	s_and_saveexec_b64 s[2:3], s[0:1]
	s_cbranch_execz .LBB294_8
.LBB294_24:                             ;   in Loop: Header=BB294_9 Depth=1
	s_waitcnt vmcnt(0)
	v_rsq_f64_e32 v[20:21], v[18:19]
	v_mul_f64 v[18:19], v[20:21], -v[18:19]
	v_fma_f64 v[18:19], v[18:19], v[20:21], 1.0
	v_mul_f64 v[22:23], v[20:21], v[18:19]
	v_fma_f64 v[18:19], v[18:19], s[16:17], 0.5
	v_fma_f64 v[18:19], v[22:23], v[18:19], v[20:21]
	v_cmp_class_f64_e32 vcc, v[20:21], v31
	v_cndmask_b32_e32 v19, v21, v19, vcc
	v_cndmask_b32_e32 v18, v20, v18, vcc
	v_mov_b32_e32 v21, s9
	v_add_co_u32_e32 v20, vcc, s8, v8
	v_addc_co_u32_e32 v21, vcc, v7, v21, vcc
	global_store_dwordx2 v[20:21], v[18:19], off
	s_branch .LBB294_8
.LBB294_25:
	s_endpgm
	.section	.rodata,"a",@progbits
	.p2align	6, 0x0
	.amdhsa_kernel _ZN2at6native12_GLOBAL__N_125multi_tensor_apply_kernelINS1_18TensorListMetadataILi2EEENS1_14UnaryOpFunctorIdLi2ELi1ELi1EEEJNS0_5RsqrtIdEEEEEvT_T0_DpT1_
		.amdhsa_group_segment_fixed_size 0
		.amdhsa_private_segment_fixed_size 0
		.amdhsa_kernarg_size 3408
		.amdhsa_user_sgpr_count 6
		.amdhsa_user_sgpr_private_segment_buffer 1
		.amdhsa_user_sgpr_dispatch_ptr 0
		.amdhsa_user_sgpr_queue_ptr 0
		.amdhsa_user_sgpr_kernarg_segment_ptr 1
		.amdhsa_user_sgpr_dispatch_id 0
		.amdhsa_user_sgpr_flat_scratch_init 0
		.amdhsa_user_sgpr_kernarg_preload_length 0
		.amdhsa_user_sgpr_kernarg_preload_offset 0
		.amdhsa_user_sgpr_private_segment_size 0
		.amdhsa_uses_dynamic_stack 0
		.amdhsa_system_sgpr_private_segment_wavefront_offset 0
		.amdhsa_system_sgpr_workgroup_id_x 1
		.amdhsa_system_sgpr_workgroup_id_y 0
		.amdhsa_system_sgpr_workgroup_id_z 0
		.amdhsa_system_sgpr_workgroup_info 0
		.amdhsa_system_vgpr_workitem_id 0
		.amdhsa_next_free_vgpr 36
		.amdhsa_next_free_sgpr 30
		.amdhsa_accum_offset 36
		.amdhsa_reserve_vcc 1
		.amdhsa_reserve_flat_scratch 0
		.amdhsa_float_round_mode_32 0
		.amdhsa_float_round_mode_16_64 0
		.amdhsa_float_denorm_mode_32 3
		.amdhsa_float_denorm_mode_16_64 3
		.amdhsa_dx10_clamp 1
		.amdhsa_ieee_mode 1
		.amdhsa_fp16_overflow 0
		.amdhsa_tg_split 0
		.amdhsa_exception_fp_ieee_invalid_op 0
		.amdhsa_exception_fp_denorm_src 0
		.amdhsa_exception_fp_ieee_div_zero 0
		.amdhsa_exception_fp_ieee_overflow 0
		.amdhsa_exception_fp_ieee_underflow 0
		.amdhsa_exception_fp_ieee_inexact 0
		.amdhsa_exception_int_div_zero 0
	.end_amdhsa_kernel
	.section	.text._ZN2at6native12_GLOBAL__N_125multi_tensor_apply_kernelINS1_18TensorListMetadataILi2EEENS1_14UnaryOpFunctorIdLi2ELi1ELi1EEEJNS0_5RsqrtIdEEEEEvT_T0_DpT1_,"axG",@progbits,_ZN2at6native12_GLOBAL__N_125multi_tensor_apply_kernelINS1_18TensorListMetadataILi2EEENS1_14UnaryOpFunctorIdLi2ELi1ELi1EEEJNS0_5RsqrtIdEEEEEvT_T0_DpT1_,comdat
.Lfunc_end294:
	.size	_ZN2at6native12_GLOBAL__N_125multi_tensor_apply_kernelINS1_18TensorListMetadataILi2EEENS1_14UnaryOpFunctorIdLi2ELi1ELi1EEEJNS0_5RsqrtIdEEEEEvT_T0_DpT1_, .Lfunc_end294-_ZN2at6native12_GLOBAL__N_125multi_tensor_apply_kernelINS1_18TensorListMetadataILi2EEENS1_14UnaryOpFunctorIdLi2ELi1ELi1EEEJNS0_5RsqrtIdEEEEEvT_T0_DpT1_
                                        ; -- End function
	.section	.AMDGPU.csdata,"",@progbits
; Kernel info:
; codeLenInByte = 1788
; NumSgprs: 34
; NumVgprs: 36
; NumAgprs: 0
; TotalNumVgprs: 36
; ScratchSize: 0
; MemoryBound: 0
; FloatMode: 240
; IeeeMode: 1
; LDSByteSize: 0 bytes/workgroup (compile time only)
; SGPRBlocks: 4
; VGPRBlocks: 4
; NumSGPRsForWavesPerEU: 34
; NumVGPRsForWavesPerEU: 36
; AccumOffset: 36
; Occupancy: 8
; WaveLimiterHint : 0
; COMPUTE_PGM_RSRC2:SCRATCH_EN: 0
; COMPUTE_PGM_RSRC2:USER_SGPR: 6
; COMPUTE_PGM_RSRC2:TRAP_HANDLER: 0
; COMPUTE_PGM_RSRC2:TGID_X_EN: 1
; COMPUTE_PGM_RSRC2:TGID_Y_EN: 0
; COMPUTE_PGM_RSRC2:TGID_Z_EN: 0
; COMPUTE_PGM_RSRC2:TIDIG_COMP_CNT: 0
; COMPUTE_PGM_RSRC3_GFX90A:ACCUM_OFFSET: 8
; COMPUTE_PGM_RSRC3_GFX90A:TG_SPLIT: 0
	.section	.text._ZN2at6native12_GLOBAL__N_125multi_tensor_apply_kernelINS1_18TensorListMetadataILi2EEENS1_14UnaryOpFunctorIfLi2ELi1ELi1EEEJNS0_5RsqrtIfEEEEEvT_T0_DpT1_,"axG",@progbits,_ZN2at6native12_GLOBAL__N_125multi_tensor_apply_kernelINS1_18TensorListMetadataILi2EEENS1_14UnaryOpFunctorIfLi2ELi1ELi1EEEJNS0_5RsqrtIfEEEEEvT_T0_DpT1_,comdat
	.globl	_ZN2at6native12_GLOBAL__N_125multi_tensor_apply_kernelINS1_18TensorListMetadataILi2EEENS1_14UnaryOpFunctorIfLi2ELi1ELi1EEEJNS0_5RsqrtIfEEEEEvT_T0_DpT1_ ; -- Begin function _ZN2at6native12_GLOBAL__N_125multi_tensor_apply_kernelINS1_18TensorListMetadataILi2EEENS1_14UnaryOpFunctorIfLi2ELi1ELi1EEEJNS0_5RsqrtIfEEEEEvT_T0_DpT1_
	.p2align	8
	.type	_ZN2at6native12_GLOBAL__N_125multi_tensor_apply_kernelINS1_18TensorListMetadataILi2EEENS1_14UnaryOpFunctorIfLi2ELi1ELi1EEEJNS0_5RsqrtIfEEEEEvT_T0_DpT1_,@function
_ZN2at6native12_GLOBAL__N_125multi_tensor_apply_kernelINS1_18TensorListMetadataILi2EEENS1_14UnaryOpFunctorIfLi2ELi1ELi1EEEJNS0_5RsqrtIfEEEEEvT_T0_DpT1_: ; @_ZN2at6native12_GLOBAL__N_125multi_tensor_apply_kernelINS1_18TensorListMetadataILi2EEENS1_14UnaryOpFunctorIfLi2ELi1ELi1EEEJNS0_5RsqrtIfEEEEEvT_T0_DpT1_
; %bb.0:
	v_mov_b32_e32 v1, s6
	global_load_ubyte v1, v1, s[4:5] offset:1536
	s_add_u32 s0, s4, s6
	s_mul_hi_u32 s2, s6, 3
	s_mul_i32 s6, s6, 3
	s_addc_u32 s7, s5, 0
	s_add_u32 s6, s0, s6
	s_addc_u32 s7, s7, s2
	s_mov_b32 s1, 0
	s_mov_b32 s3, s1
	s_waitcnt vmcnt(0)
	v_readfirstlane_b32 s0, v1
	s_lshl_b32 s0, s0, 3
	s_load_dword s10, s[6:7], 0x740
	s_load_dwordx2 s[16:17], s[4:5], s0 offset:0x0
	s_load_dwordx2 s[12:13], s[4:5], s0 offset:0x400
	;; [unrolled: 1-line block ×3, first 2 shown]
	s_mov_b32 s7, s1
	s_waitcnt lgkmcnt(0)
	s_ashr_i32 s11, s10, 31
	s_and_b32 s0, s16, 15
	s_and_b32 s6, s12, 3
	;; [unrolled: 1-line block ×3, first 2 shown]
	s_or_b64 s[6:7], s[0:1], s[6:7]
	s_lshl_b64 s[8:9], s[10:11], 18
	s_or_b64 s[2:3], s[2:3], s[6:7]
	s_lshl_b64 s[6:7], s[10:11], 16
	s_sub_u32 s10, s12, s6
	s_subb_u32 s11, s13, s7
	s_cmp_eq_u64 s[2:3], 0
	s_mov_b64 s[2:3], -1
	s_cbranch_scc0 .LBB295_5
; %bb.1:
	v_mov_b32_e32 v3, 0
	v_lshlrev_b32_e32 v2, 2, v0
	v_cmp_gt_i64_e32 vcc, s[10:11], v[2:3]
	s_and_saveexec_b64 s[12:13], vcc
	s_cbranch_execz .LBB295_4
; %bb.2:
	s_load_dword s0, s[4:5], 0xc5c
	v_lshlrev_b32_e32 v1, 4, v0
	v_mov_b32_e32 v4, s9
	v_add_co_u32_e32 v1, vcc, s8, v1
	v_addc_co_u32_e32 v5, vcc, 0, v4, vcc
	s_waitcnt lgkmcnt(0)
	s_and_b32 s0, s0, 0xffff
	v_add_co_u32_e32 v4, vcc, 8, v1
	v_add_lshl_u32 v2, v0, s0, 2
	s_lshl_b32 s21, s0, 2
	v_addc_co_u32_e32 v1, vcc, 0, v5, vcc
	s_lshl_b32 s24, s0, 4
	s_mov_b64 s[18:19], 0
	v_mov_b32_e32 v5, s17
	v_mov_b32_e32 v6, s15
	s_mov_b32 s25, 0x800000
	s_mov_b32 s20, 0x45800000
	s_mov_b64 s[22:23], 0xffff
	v_mov_b32_e32 v7, s1
	v_mov_b32_e32 v8, s1
.LBB295_3:                              ; =>This Inner Loop Header: Depth=1
	v_add_co_u32_e32 v10, vcc, s16, v4
	v_addc_co_u32_e32 v11, vcc, v5, v1, vcc
	global_load_dwordx4 v[10:13], v[10:11], off offset:-8
	v_add_co_u32_e32 v14, vcc, s14, v4
	v_addc_co_u32_e32 v15, vcc, v6, v1, vcc
	v_cmp_le_i64_e32 vcc, s[10:11], v[2:3]
	v_cmp_lt_u64_e64 s[0:1], s[22:23], v[2:3]
	v_add_co_u32_e64 v2, s[2:3], s21, v2
	v_addc_co_u32_e64 v3, s[2:3], v3, v7, s[2:3]
	v_add_co_u32_e64 v4, s[2:3], s24, v4
	s_or_b64 s[0:1], vcc, s[0:1]
	v_addc_co_u32_e64 v1, s[2:3], v1, v8, s[2:3]
	s_and_b64 s[0:1], exec, s[0:1]
	s_or_b64 s[18:19], s[0:1], s[18:19]
	s_waitcnt vmcnt(0)
	v_mul_f32_e32 v9, 0x4b800000, v10
	v_mul_f32_e32 v16, 0x4b800000, v11
	v_cmp_gt_f32_e32 vcc, s25, v11
	v_mul_f32_e32 v17, 0x4b800000, v12
	v_mul_f32_e32 v18, 0x4b800000, v13
	v_cmp_gt_f32_e64 s[0:1], s25, v13
	v_cmp_gt_f32_e64 s[2:3], s25, v12
	;; [unrolled: 1-line block ×3, first 2 shown]
	v_cndmask_b32_e64 v9, v10, v9, s[6:7]
	v_cndmask_b32_e32 v11, v11, v16, vcc
	v_cndmask_b32_e64 v12, v12, v17, s[2:3]
	v_cndmask_b32_e64 v13, v13, v18, s[0:1]
	v_rsq_f32_e32 v10, v9
	v_rsq_f32_e32 v11, v11
	;; [unrolled: 1-line block ×4, first 2 shown]
	v_pk_mul_f32 v[16:17], v[10:11], s[20:21] op_sel_hi:[1,0]
	v_cndmask_b32_e32 v11, v11, v17, vcc
	v_pk_mul_f32 v[18:19], v[12:13], s[20:21] op_sel_hi:[1,0]
	v_cndmask_b32_e64 v10, v10, v16, s[6:7]
	v_cndmask_b32_e64 v13, v13, v19, s[0:1]
	;; [unrolled: 1-line block ×3, first 2 shown]
	global_store_dwordx4 v[14:15], v[10:13], off offset:-8
	s_andn2_b64 exec, exec, s[18:19]
	s_cbranch_execnz .LBB295_3
.LBB295_4:
	s_or_b64 exec, exec, s[12:13]
	s_mov_b64 s[2:3], 0
.LBB295_5:
	s_andn2_b64 vcc, exec, s[2:3]
	s_cbranch_vccnz .LBB295_25
; %bb.6:
	v_cmp_lt_i64_e64 s[0:1], s[10:11], 1
	s_and_b64 vcc, exec, s[0:1]
	s_cbranch_vccnz .LBB295_25
; %bb.7:
	s_load_dword s0, s[4:5], 0xc5c
	v_mov_b32_e32 v2, 0x10000
	v_mov_b32_e32 v3, 0
	v_cmp_lt_u64_e32 vcc, s[10:11], v[2:3]
	v_lshlrev_b32_e32 v10, 2, v0
	s_waitcnt lgkmcnt(0)
	s_and_b32 s2, s0, 0xffff
	s_and_b64 s[0:1], vcc, exec
	v_mov_b32_e32 v13, s17
	v_add_co_u32_e32 v2, vcc, s16, v10
	v_addc_co_u32_e32 v1, vcc, 0, v13, vcc
	v_mov_b32_e32 v11, 0
	v_mov_b32_e32 v15, s15
	v_add_co_u32_e32 v4, vcc, s14, v10
	v_addc_co_u32_e32 v3, vcc, 0, v15, vcc
	v_mad_u64_u32 v[8:9], s[0:1], s2, 12, v[10:11]
	v_add_co_u32_e32 v6, vcc, s16, v8
	v_addc_co_u32_e32 v5, vcc, v13, v9, vcc
	v_add_co_u32_e32 v8, vcc, s14, v8
	s_mul_i32 s4, s2, 3
	v_addc_co_u32_e32 v7, vcc, v15, v9, vcc
	v_add_co_u32_e32 v17, vcc, s4, v0
	v_addc_co_u32_e64 v18, s[0:1], 0, 0, vcc
	s_cselect_b32 s13, s11, 0
	s_cselect_b32 s12, s10, 0x10000
	s_lshl_b32 s0, s2, 3
	v_add_co_u32_e32 v11, vcc, s0, v10
	v_addc_co_u32_e64 v14, s[0:1], 0, 0, vcc
	v_add_co_u32_e32 v10, vcc, s16, v11
	v_addc_co_u32_e32 v9, vcc, v13, v14, vcc
	v_add_co_u32_e32 v12, vcc, s14, v11
	s_lshl_b32 s3, s2, 1
	v_addc_co_u32_e32 v11, vcc, v15, v14, vcc
	v_add_co_u32_e32 v19, vcc, s3, v0
	v_addc_co_u32_e64 v20, s[0:1], 0, 0, vcc
	v_add_co_u32_e32 v21, vcc, s2, v0
	v_lshlrev_b32_e32 v16, 2, v21
	v_addc_co_u32_e64 v22, s[0:1], 0, 0, vcc
	v_add_co_u32_e32 v14, vcc, s16, v16
	v_addc_co_u32_e32 v13, vcc, 0, v13, vcc
	v_add_co_u32_e32 v16, vcc, s14, v16
	s_mov_b32 s18, 0
	s_lshl_b32 s19, s2, 2
	s_lshl_b32 s20, s2, 4
	v_addc_co_u32_e32 v15, vcc, 0, v15, vcc
	s_mov_b64 s[14:15], 0
	s_mov_b32 s21, 0x800000
	s_branch .LBB295_9
.LBB295_8:                              ;   in Loop: Header=BB295_9 Depth=1
	s_or_b64 exec, exec, s[0:1]
	s_add_u32 s14, s14, s19
	s_addc_u32 s15, s15, 0
	s_waitcnt vmcnt(0)
	v_pk_mov_b32 v[24:25], s[10:11], s[10:11] op_sel:[0,1]
	v_cmp_ge_i64_e32 vcc, s[14:15], v[24:25]
	v_mov_b32_e32 v24, 0xffff
	v_mov_b32_e32 v25, 0
	v_cmp_gt_u64_e64 s[0:1], s[14:15], v[24:25]
	s_or_b64 s[0:1], vcc, s[0:1]
	v_mov_b32_e32 v23, s18
	v_add_co_u32_e32 v2, vcc, s20, v2
	v_addc_co_u32_e32 v1, vcc, v1, v23, vcc
	v_add_co_u32_e32 v4, vcc, s20, v4
	v_addc_co_u32_e32 v3, vcc, v3, v23, vcc
	;; [unrolled: 2-line block ×8, first 2 shown]
	s_and_b64 vcc, exec, s[0:1]
	s_cbranch_vccnz .LBB295_25
.LBB295_9:                              ; =>This Inner Loop Header: Depth=1
	v_mov_b32_e32 v23, s15
	v_add_co_u32_e32 v24, vcc, s14, v0
	v_addc_co_u32_e32 v25, vcc, 0, v23, vcc
	v_cmp_gt_u64_e32 vcc, s[12:13], v[24:25]
	v_mov_b32_e32 v24, 0
	s_and_saveexec_b64 s[2:3], vcc
	s_cbranch_execz .LBB295_11
; %bb.10:                               ;   in Loop: Header=BB295_9 Depth=1
	v_mov_b32_e32 v23, s9
	v_add_co_u32_e64 v24, s[0:1], s8, v2
	v_addc_co_u32_e64 v25, s[0:1], v1, v23, s[0:1]
	global_load_dword v24, v[24:25], off
.LBB295_11:                             ;   in Loop: Header=BB295_9 Depth=1
	s_or_b64 exec, exec, s[2:3]
	v_mov_b32_e32 v23, s15
	v_add_co_u32_e64 v26, s[0:1], s14, v21
	v_addc_co_u32_e64 v27, s[0:1], v22, v23, s[0:1]
	v_cmp_gt_u64_e64 s[0:1], s[12:13], v[26:27]
	v_mov_b32_e32 v25, 0
	s_and_saveexec_b64 s[4:5], s[0:1]
	s_cbranch_execz .LBB295_13
; %bb.12:                               ;   in Loop: Header=BB295_9 Depth=1
	v_mov_b32_e32 v23, s9
	v_add_co_u32_e64 v26, s[2:3], s8, v14
	v_addc_co_u32_e64 v27, s[2:3], v13, v23, s[2:3]
	global_load_dword v25, v[26:27], off
.LBB295_13:                             ;   in Loop: Header=BB295_9 Depth=1
	s_or_b64 exec, exec, s[4:5]
	v_mov_b32_e32 v23, s15
	v_add_co_u32_e64 v26, s[2:3], s14, v19
	v_addc_co_u32_e64 v27, s[2:3], v20, v23, s[2:3]
	v_cmp_gt_u64_e64 s[2:3], s[12:13], v[26:27]
	v_mov_b32_e32 v23, 0
	v_mov_b32_e32 v26, 0
	s_and_saveexec_b64 s[6:7], s[2:3]
	s_cbranch_execz .LBB295_15
; %bb.14:                               ;   in Loop: Header=BB295_9 Depth=1
	v_mov_b32_e32 v27, s9
	v_add_co_u32_e64 v26, s[4:5], s8, v10
	v_addc_co_u32_e64 v27, s[4:5], v9, v27, s[4:5]
	global_load_dword v26, v[26:27], off
.LBB295_15:                             ;   in Loop: Header=BB295_9 Depth=1
	s_or_b64 exec, exec, s[6:7]
	v_mov_b32_e32 v27, s15
	v_add_co_u32_e64 v28, s[4:5], s14, v17
	v_addc_co_u32_e64 v29, s[4:5], v18, v27, s[4:5]
	v_cmp_gt_u64_e64 s[4:5], s[12:13], v[28:29]
	s_and_saveexec_b64 s[16:17], s[4:5]
	s_cbranch_execnz .LBB295_20
; %bb.16:                               ;   in Loop: Header=BB295_9 Depth=1
	s_or_b64 exec, exec, s[16:17]
	s_and_saveexec_b64 s[16:17], vcc
	s_cbranch_execnz .LBB295_21
.LBB295_17:                             ;   in Loop: Header=BB295_9 Depth=1
	s_or_b64 exec, exec, s[16:17]
	s_and_saveexec_b64 s[6:7], s[0:1]
	s_cbranch_execnz .LBB295_22
.LBB295_18:                             ;   in Loop: Header=BB295_9 Depth=1
	s_or_b64 exec, exec, s[6:7]
	s_and_saveexec_b64 s[0:1], s[2:3]
	s_cbranch_execnz .LBB295_23
.LBB295_19:                             ;   in Loop: Header=BB295_9 Depth=1
	s_or_b64 exec, exec, s[0:1]
	s_and_saveexec_b64 s[0:1], s[4:5]
	s_cbranch_execz .LBB295_8
	s_branch .LBB295_24
.LBB295_20:                             ;   in Loop: Header=BB295_9 Depth=1
	v_mov_b32_e32 v23, s9
	v_add_co_u32_e64 v28, s[6:7], s8, v6
	v_addc_co_u32_e64 v29, s[6:7], v5, v23, s[6:7]
	global_load_dword v23, v[28:29], off
	s_or_b64 exec, exec, s[16:17]
	s_and_saveexec_b64 s[16:17], vcc
	s_cbranch_execz .LBB295_17
.LBB295_21:                             ;   in Loop: Header=BB295_9 Depth=1
	s_waitcnt vmcnt(0)
	v_mul_f32_e32 v28, 0x4b800000, v24
	v_cmp_gt_f32_e32 vcc, s21, v24
	v_cndmask_b32_e32 v24, v24, v28, vcc
	v_rsq_f32_e32 v24, v24
	v_mov_b32_e32 v27, s9
	v_add_co_u32_e64 v28, s[6:7], s8, v4
	v_addc_co_u32_e64 v29, s[6:7], v3, v27, s[6:7]
	v_mul_f32_e32 v27, 0x45800000, v24
	v_cndmask_b32_e32 v24, v24, v27, vcc
	global_store_dword v[28:29], v24, off
	s_or_b64 exec, exec, s[16:17]
	s_and_saveexec_b64 s[6:7], s[0:1]
	s_cbranch_execz .LBB295_18
.LBB295_22:                             ;   in Loop: Header=BB295_9 Depth=1
	s_waitcnt vmcnt(0)
	v_mul_f32_e32 v24, 0x4b800000, v25
	v_cmp_gt_f32_e32 vcc, s21, v25
	v_cndmask_b32_e32 v24, v25, v24, vcc
	v_rsq_f32_e32 v24, v24
	v_mov_b32_e32 v25, s9
	v_mul_f32_e32 v27, 0x45800000, v24
	v_cndmask_b32_e32 v27, v24, v27, vcc
	v_add_co_u32_e32 v24, vcc, s8, v16
	v_addc_co_u32_e32 v25, vcc, v15, v25, vcc
	global_store_dword v[24:25], v27, off
	s_or_b64 exec, exec, s[6:7]
	s_and_saveexec_b64 s[0:1], s[2:3]
	s_cbranch_execz .LBB295_19
.LBB295_23:                             ;   in Loop: Header=BB295_9 Depth=1
	s_waitcnt vmcnt(0)
	v_mul_f32_e32 v24, 0x4b800000, v26
	v_cmp_gt_f32_e32 vcc, s21, v26
	v_cndmask_b32_e32 v24, v26, v24, vcc
	v_rsq_f32_e32 v24, v24
	v_mov_b32_e32 v25, s9
	v_mul_f32_e32 v26, 0x45800000, v24
	v_cndmask_b32_e32 v26, v24, v26, vcc
	v_add_co_u32_e32 v24, vcc, s8, v12
	v_addc_co_u32_e32 v25, vcc, v11, v25, vcc
	global_store_dword v[24:25], v26, off
	s_or_b64 exec, exec, s[0:1]
	s_and_saveexec_b64 s[0:1], s[4:5]
	s_cbranch_execz .LBB295_8
.LBB295_24:                             ;   in Loop: Header=BB295_9 Depth=1
	s_waitcnt vmcnt(0)
	v_mul_f32_e32 v24, 0x4b800000, v23
	v_cmp_gt_f32_e32 vcc, s21, v23
	v_cndmask_b32_e32 v23, v23, v24, vcc
	v_rsq_f32_e32 v23, v23
	v_mov_b32_e32 v25, s9
	v_mul_f32_e32 v24, 0x45800000, v23
	v_cndmask_b32_e32 v23, v23, v24, vcc
	v_add_co_u32_e32 v24, vcc, s8, v8
	v_addc_co_u32_e32 v25, vcc, v7, v25, vcc
	global_store_dword v[24:25], v23, off
	s_branch .LBB295_8
.LBB295_25:
	s_endpgm
	.section	.rodata,"a",@progbits
	.p2align	6, 0x0
	.amdhsa_kernel _ZN2at6native12_GLOBAL__N_125multi_tensor_apply_kernelINS1_18TensorListMetadataILi2EEENS1_14UnaryOpFunctorIfLi2ELi1ELi1EEEJNS0_5RsqrtIfEEEEEvT_T0_DpT1_
		.amdhsa_group_segment_fixed_size 0
		.amdhsa_private_segment_fixed_size 0
		.amdhsa_kernarg_size 3408
		.amdhsa_user_sgpr_count 6
		.amdhsa_user_sgpr_private_segment_buffer 1
		.amdhsa_user_sgpr_dispatch_ptr 0
		.amdhsa_user_sgpr_queue_ptr 0
		.amdhsa_user_sgpr_kernarg_segment_ptr 1
		.amdhsa_user_sgpr_dispatch_id 0
		.amdhsa_user_sgpr_flat_scratch_init 0
		.amdhsa_user_sgpr_kernarg_preload_length 0
		.amdhsa_user_sgpr_kernarg_preload_offset 0
		.amdhsa_user_sgpr_private_segment_size 0
		.amdhsa_uses_dynamic_stack 0
		.amdhsa_system_sgpr_private_segment_wavefront_offset 0
		.amdhsa_system_sgpr_workgroup_id_x 1
		.amdhsa_system_sgpr_workgroup_id_y 0
		.amdhsa_system_sgpr_workgroup_id_z 0
		.amdhsa_system_sgpr_workgroup_info 0
		.amdhsa_system_vgpr_workitem_id 0
		.amdhsa_next_free_vgpr 30
		.amdhsa_next_free_sgpr 26
		.amdhsa_accum_offset 32
		.amdhsa_reserve_vcc 1
		.amdhsa_reserve_flat_scratch 0
		.amdhsa_float_round_mode_32 0
		.amdhsa_float_round_mode_16_64 0
		.amdhsa_float_denorm_mode_32 3
		.amdhsa_float_denorm_mode_16_64 3
		.amdhsa_dx10_clamp 1
		.amdhsa_ieee_mode 1
		.amdhsa_fp16_overflow 0
		.amdhsa_tg_split 0
		.amdhsa_exception_fp_ieee_invalid_op 0
		.amdhsa_exception_fp_denorm_src 0
		.amdhsa_exception_fp_ieee_div_zero 0
		.amdhsa_exception_fp_ieee_overflow 0
		.amdhsa_exception_fp_ieee_underflow 0
		.amdhsa_exception_fp_ieee_inexact 0
		.amdhsa_exception_int_div_zero 0
	.end_amdhsa_kernel
	.section	.text._ZN2at6native12_GLOBAL__N_125multi_tensor_apply_kernelINS1_18TensorListMetadataILi2EEENS1_14UnaryOpFunctorIfLi2ELi1ELi1EEEJNS0_5RsqrtIfEEEEEvT_T0_DpT1_,"axG",@progbits,_ZN2at6native12_GLOBAL__N_125multi_tensor_apply_kernelINS1_18TensorListMetadataILi2EEENS1_14UnaryOpFunctorIfLi2ELi1ELi1EEEJNS0_5RsqrtIfEEEEEvT_T0_DpT1_,comdat
.Lfunc_end295:
	.size	_ZN2at6native12_GLOBAL__N_125multi_tensor_apply_kernelINS1_18TensorListMetadataILi2EEENS1_14UnaryOpFunctorIfLi2ELi1ELi1EEEJNS0_5RsqrtIfEEEEEvT_T0_DpT1_, .Lfunc_end295-_ZN2at6native12_GLOBAL__N_125multi_tensor_apply_kernelINS1_18TensorListMetadataILi2EEENS1_14UnaryOpFunctorIfLi2ELi1ELi1EEEJNS0_5RsqrtIfEEEEEvT_T0_DpT1_
                                        ; -- End function
	.section	.AMDGPU.csdata,"",@progbits
; Kernel info:
; codeLenInByte = 1524
; NumSgprs: 30
; NumVgprs: 30
; NumAgprs: 0
; TotalNumVgprs: 30
; ScratchSize: 0
; MemoryBound: 0
; FloatMode: 240
; IeeeMode: 1
; LDSByteSize: 0 bytes/workgroup (compile time only)
; SGPRBlocks: 3
; VGPRBlocks: 3
; NumSGPRsForWavesPerEU: 30
; NumVGPRsForWavesPerEU: 30
; AccumOffset: 32
; Occupancy: 8
; WaveLimiterHint : 0
; COMPUTE_PGM_RSRC2:SCRATCH_EN: 0
; COMPUTE_PGM_RSRC2:USER_SGPR: 6
; COMPUTE_PGM_RSRC2:TRAP_HANDLER: 0
; COMPUTE_PGM_RSRC2:TGID_X_EN: 1
; COMPUTE_PGM_RSRC2:TGID_Y_EN: 0
; COMPUTE_PGM_RSRC2:TGID_Z_EN: 0
; COMPUTE_PGM_RSRC2:TIDIG_COMP_CNT: 0
; COMPUTE_PGM_RSRC3_GFX90A:ACCUM_OFFSET: 7
; COMPUTE_PGM_RSRC3_GFX90A:TG_SPLIT: 0
	.section	.text._ZN2at6native12_GLOBAL__N_125multi_tensor_apply_kernelINS1_18TensorListMetadataILi2EEENS1_14UnaryOpFunctorIN3c107complexIdEELi2ELi1ELi1EEEJNS0_5RsqrtIS8_EEEEEvT_T0_DpT1_,"axG",@progbits,_ZN2at6native12_GLOBAL__N_125multi_tensor_apply_kernelINS1_18TensorListMetadataILi2EEENS1_14UnaryOpFunctorIN3c107complexIdEELi2ELi1ELi1EEEJNS0_5RsqrtIS8_EEEEEvT_T0_DpT1_,comdat
	.globl	_ZN2at6native12_GLOBAL__N_125multi_tensor_apply_kernelINS1_18TensorListMetadataILi2EEENS1_14UnaryOpFunctorIN3c107complexIdEELi2ELi1ELi1EEEJNS0_5RsqrtIS8_EEEEEvT_T0_DpT1_ ; -- Begin function _ZN2at6native12_GLOBAL__N_125multi_tensor_apply_kernelINS1_18TensorListMetadataILi2EEENS1_14UnaryOpFunctorIN3c107complexIdEELi2ELi1ELi1EEEJNS0_5RsqrtIS8_EEEEEvT_T0_DpT1_
	.p2align	8
	.type	_ZN2at6native12_GLOBAL__N_125multi_tensor_apply_kernelINS1_18TensorListMetadataILi2EEENS1_14UnaryOpFunctorIN3c107complexIdEELi2ELi1ELi1EEEJNS0_5RsqrtIS8_EEEEEvT_T0_DpT1_,@function
_ZN2at6native12_GLOBAL__N_125multi_tensor_apply_kernelINS1_18TensorListMetadataILi2EEENS1_14UnaryOpFunctorIN3c107complexIdEELi2ELi1ELi1EEEJNS0_5RsqrtIS8_EEEEEvT_T0_DpT1_: ; @_ZN2at6native12_GLOBAL__N_125multi_tensor_apply_kernelINS1_18TensorListMetadataILi2EEENS1_14UnaryOpFunctorIN3c107complexIdEELi2ELi1ELi1EEEJNS0_5RsqrtIS8_EEEEEvT_T0_DpT1_
; %bb.0:
	v_mov_b32_e32 v1, s6
	global_load_ubyte v1, v1, s[4:5] offset:1536
	s_add_u32 s0, s4, s6
	s_mul_hi_u32 s3, s6, 3
	s_mul_i32 s6, s6, 3
	s_addc_u32 s7, s5, 0
	s_add_u32 s2, s0, s6
	s_addc_u32 s3, s7, s3
	s_load_dword s2, s[2:3], 0x740
	s_mov_b32 s11, 0
	s_mov_b32 s1, s11
	;; [unrolled: 1-line block ×3, first 2 shown]
	s_waitcnt lgkmcnt(0)
	s_ashr_i32 s3, s2, 31
	s_lshl_b64 s[12:13], s[2:3], 20
	s_waitcnt vmcnt(0)
	v_readfirstlane_b32 s0, v1
	s_lshl_b32 s0, s0, 3
	s_load_dwordx2 s[8:9], s[4:5], s0 offset:0x0
	s_load_dwordx2 s[14:15], s[4:5], s0 offset:0x400
	s_load_dwordx2 s[6:7], s[4:5], s0 offset:0x200
	s_waitcnt lgkmcnt(0)
	s_add_u32 s33, s8, s12
	s_addc_u32 s44, s9, s13
	s_add_u32 s45, s6, s12
	s_addc_u32 s46, s7, s13
	s_and_b32 s0, s33, 63
	s_and_b32 s16, s14, 3
	;; [unrolled: 1-line block ×3, first 2 shown]
	s_or_b64 s[0:1], s[0:1], s[16:17]
	s_lshl_b64 s[2:3], s[2:3], 16
	s_or_b64 s[0:1], s[10:11], s[0:1]
	s_sub_u32 s14, s14, s2
	s_subb_u32 s15, s15, s3
	s_cmp_eq_u64 s[0:1], 0
	s_mov_b64 s[0:1], -1
	s_cbranch_scc0 .LBB296_157
; %bb.1:
	v_mov_b32_e32 v25, 0
	v_lshlrev_b32_e32 v24, 2, v0
	v_cmp_gt_i64_e32 vcc, s[14:15], v[24:25]
	s_and_saveexec_b64 s[16:17], vcc
	s_cbranch_execz .LBB296_156
; %bb.2:
	s_load_dword s0, s[4:5], 0xc5c
	s_mov_b32 s20, 0
	s_mov_b32 s22, 0x99fcef32
	;; [unrolled: 1-line block ×4, first 2 shown]
	s_waitcnt lgkmcnt(0)
	s_and_b32 s0, s0, 0xffff
	v_lshlrev_b32_e32 v26, 6, v0
	s_mov_b64 s[18:19], 0
	v_add_lshl_u32 v24, v0, s0, 2
	s_lshl_b32 s10, s0, 2
	s_lshl_b32 s47, s0, 6
	s_mov_b32 s21, 0x7ff00000
	s_mov_b32 s23, 0x7fda8279
	;; [unrolled: 1-line block ×3, first 2 shown]
	s_movk_i32 s48, 0x204
	s_brev_b32 s27, 8
	v_mov_b32_e32 v1, 0x260
	s_brev_b32 s49, -2
	s_mov_b64 s[28:29], 0xffff
	v_mov_b32_e32 v27, 0x7ff80000
	v_mov_b32_e32 v30, 0x7ff00000
	;; [unrolled: 1-line block ×3, first 2 shown]
	s_branch .LBB296_4
.LBB296_3:                              ;   in Loop: Header=BB296_4 Depth=1
	s_or_b64 exec, exec, s[0:1]
	v_mov_b32_e32 v3, s46
	v_add_co_u32_e32 v2, vcc, s45, v26
	v_addc_co_u32_e32 v3, vcc, 0, v3, vcc
	v_cmp_le_i64_e32 vcc, s[14:15], v[24:25]
	v_cmp_lt_u64_e64 s[0:1], s[28:29], v[24:25]
	s_or_b64 s[0:1], vcc, s[0:1]
	s_add_u32 s33, s33, s47
	s_addc_u32 s44, s44, 0
	s_add_u32 s45, s45, s47
	s_addc_u32 s46, s46, 0
	global_store_dwordx4 v[2:3], v[6:9], off
	global_store_dwordx4 v[2:3], v[14:17], off offset:16
	global_store_dwordx4 v[2:3], v[18:21], off offset:32
	;; [unrolled: 1-line block ×3, first 2 shown]
	v_mov_b32_e32 v2, s11
	s_and_b64 s[0:1], exec, s[0:1]
	v_add_co_u32_e32 v24, vcc, s10, v24
	s_or_b64 s[18:19], s[0:1], s[18:19]
	v_addc_co_u32_e32 v25, vcc, v25, v2, vcc
	s_andn2_b64 exec, exec, s[18:19]
	s_cbranch_execz .LBB296_156
.LBB296_4:                              ; =>This Inner Loop Header: Depth=1
	v_mov_b32_e32 v2, s44
	v_add_co_u32_e32 v6, vcc, s33, v26
	v_addc_co_u32_e32 v7, vcc, 0, v2, vcc
	global_load_dwordx4 v[20:23], v[6:7], off
	global_load_dwordx4 v[16:19], v[6:7], off offset:16
	global_load_dwordx4 v[2:5], v[6:7], off offset:48
	;; [unrolled: 1-line block ×3, first 2 shown]
	v_pk_mov_b32 v[14:15], 0, 0
	s_waitcnt vmcnt(3)
	v_cmp_neq_f64_e32 vcc, 0, v[20:21]
	v_cmp_neq_f64_e64 s[0:1], 0, v[22:23]
	s_or_b64 s[0:1], vcc, s[0:1]
	s_and_saveexec_b64 s[30:31], s[0:1]
	s_cbranch_execz .LBB296_33
; %bb.5:                                ;   in Loop: Header=BB296_4 Depth=1
	v_cmp_neq_f64_e64 s[0:1], |v[22:23]|, s[20:21]
	v_pk_mov_b32 v[14:15], s[20:21], s[20:21] op_sel:[0,1]
	s_and_saveexec_b64 s[34:35], s[0:1]
	s_cbranch_execz .LBB296_32
; %bb.6:                                ;   in Loop: Header=BB296_4 Depth=1
	v_cmp_o_f64_e32 vcc, v[20:21], v[20:21]
	s_and_saveexec_b64 s[0:1], vcc
	s_xor_b64 s[36:37], exec, s[0:1]
	s_cbranch_execz .LBB296_29
; %bb.7:                                ;   in Loop: Header=BB296_4 Depth=1
	v_cmp_neq_f64_e64 s[0:1], |v[20:21]|, s[20:21]
	s_and_saveexec_b64 s[2:3], s[0:1]
	s_xor_b64 s[38:39], exec, s[2:3]
	s_cbranch_execz .LBB296_23
; %bb.8:                                ;   in Loop: Header=BB296_4 Depth=1
	v_max_f64 v[6:7], |v[22:23]|, |v[22:23]|
	v_max_f64 v[8:9], |v[20:21]|, |v[20:21]|
	v_max_f64 v[6:7], v[8:9], v[6:7]
	v_cmp_nle_f64_e64 s[0:1], s[22:23], v[6:7]
                                        ; implicit-def: $sgpr40_sgpr41
	s_and_saveexec_b64 s[2:3], s[0:1]
	s_xor_b64 s[2:3], exec, s[2:3]
	s_cbranch_execz .LBB296_12
; %bb.9:                                ;   in Loop: Header=BB296_4 Depth=1
	v_cmp_le_f64_e64 s[40:41], |v[20:21]|, s[24:25]
	v_cmp_le_f64_e64 s[42:43], |v[22:23]|, s[24:25]
	s_and_b64 s[50:51], s[40:41], s[42:43]
	s_mov_b64 s[40:41], 0
	s_and_saveexec_b64 s[42:43], s[50:51]
; %bb.10:                               ;   in Loop: Header=BB296_4 Depth=1
	s_mov_b64 s[40:41], exec
	v_mul_f64 v[20:21], v[20:21], 4.0
	v_mul_f64 v[22:23], v[22:23], 4.0
; %bb.11:                               ;   in Loop: Header=BB296_4 Depth=1
	s_or_b64 exec, exec, s[42:43]
	s_and_b64 s[40:41], s[40:41], exec
.LBB296_12:                             ;   in Loop: Header=BB296_4 Depth=1
	s_andn2_saveexec_b64 s[2:3], s[2:3]
; %bb.13:                               ;   in Loop: Header=BB296_4 Depth=1
	v_ldexp_f64 v[20:21], v[20:21], -2
	v_ldexp_f64 v[22:23], v[22:23], -2
	s_andn2_b64 s[40:41], s[40:41], exec
; %bb.14:                               ;   in Loop: Header=BB296_4 Depth=1
	s_or_b64 exec, exec, s[2:3]
	v_max_f64 v[6:7], |v[22:23]|, |v[22:23]|
	v_max_f64 v[8:9], |v[20:21]|, |v[20:21]|
	v_max_f64 v[6:7], v[8:9], v[6:7]
	v_frexp_exp_i32_f64_e32 v32, v[6:7]
	v_sub_u32_e32 v8, 0, v32
	v_ldexp_f64 v[6:7], |v[20:21]|, v8
	v_ldexp_f64 v[8:9], |v[22:23]|, v8
	v_mul_f64 v[8:9], v[8:9], v[8:9]
	v_fmac_f64_e32 v[8:9], v[6:7], v[6:7]
	v_rsq_f64_e32 v[6:7], v[8:9]
	v_cmp_eq_f64_e64 s[2:3], 0, v[8:9]
	v_cmp_class_f64_e64 s[42:43], v[22:23], s48
	v_cmp_le_f64_e32 vcc, 0, v[20:21]
	v_mul_f64 v[14:15], v[8:9], v[6:7]
	v_mul_f64 v[6:7], v[6:7], 0.5
	v_fma_f64 v[28:29], -v[6:7], v[14:15], 0.5
	v_fmac_f64_e32 v[14:15], v[14:15], v[28:29]
	v_fmac_f64_e32 v[6:7], v[6:7], v[28:29]
	v_fma_f64 v[28:29], -v[14:15], v[14:15], v[8:9]
	v_fmac_f64_e32 v[14:15], v[28:29], v[6:7]
	v_cndmask_b32_e64 v7, v15, v9, s[2:3]
	v_cndmask_b32_e64 v6, v14, v8, s[2:3]
	v_ldexp_f64 v[6:7], v[6:7], v32
	v_cmp_o_f64_e64 s[2:3], v[22:23], v[22:23]
	v_cndmask_b32_e64 v6, 0, v6, s[2:3]
	v_cndmask_b32_e64 v7, v27, v7, s[2:3]
	v_cmp_class_f64_e64 s[2:3], v[20:21], s48
	s_or_b64 s[2:3], s[42:43], s[2:3]
	v_cndmask_b32_e64 v15, v7, v30, s[2:3]
	v_cndmask_b32_e64 v14, v6, 0, s[2:3]
                                        ; implicit-def: $vgpr6_vgpr7
                                        ; implicit-def: $vgpr8_vgpr9
	s_and_saveexec_b64 s[2:3], vcc
	s_xor_b64 s[2:3], exec, s[2:3]
	s_cbranch_execz .LBB296_16
; %bb.15:                               ;   in Loop: Header=BB296_4 Depth=1
	v_add_f64 v[6:7], v[20:21], v[14:15]
	v_mul_f64 v[6:7], v[6:7], 0.5
	v_cmp_gt_f64_e32 vcc, s[26:27], v[6:7]
	v_cndmask_b32_e64 v8, 0, 1, vcc
	v_lshlrev_b32_e32 v8, 8, v8
	v_ldexp_f64 v[6:7], v[6:7], v8
	v_rsq_f64_e32 v[8:9], v[6:7]
	v_mul_f64 v[14:15], v[6:7], v[8:9]
	v_mul_f64 v[8:9], v[8:9], 0.5
	v_fma_f64 v[20:21], -v[8:9], v[14:15], 0.5
	v_fmac_f64_e32 v[14:15], v[14:15], v[20:21]
	v_fmac_f64_e32 v[8:9], v[8:9], v[20:21]
	v_fma_f64 v[20:21], -v[14:15], v[14:15], v[6:7]
	v_fmac_f64_e32 v[14:15], v[20:21], v[8:9]
	v_fma_f64 v[20:21], -v[14:15], v[14:15], v[6:7]
	v_fmac_f64_e32 v[14:15], v[20:21], v[8:9]
	v_cndmask_b32_e32 v8, 0, v31, vcc
	v_ldexp_f64 v[8:9], v[14:15], v8
	v_cmp_class_f64_e32 vcc, v[6:7], v1
	v_cndmask_b32_e32 v9, v9, v7, vcc
	v_cndmask_b32_e32 v8, v8, v6, vcc
	v_add_f64 v[6:7], v[8:9], v[8:9]
	v_div_scale_f64 v[14:15], s[42:43], v[6:7], v[6:7], v[22:23]
	v_rcp_f64_e32 v[20:21], v[14:15]
	v_fma_f64 v[28:29], -v[14:15], v[20:21], 1.0
	v_fmac_f64_e32 v[20:21], v[20:21], v[28:29]
	v_fma_f64 v[28:29], -v[14:15], v[20:21], 1.0
	v_fmac_f64_e32 v[20:21], v[20:21], v[28:29]
	v_div_scale_f64 v[28:29], vcc, v[22:23], v[6:7], v[22:23]
	v_mul_f64 v[32:33], v[28:29], v[20:21]
	v_fma_f64 v[14:15], -v[14:15], v[32:33], v[28:29]
	s_nop 1
	v_div_fmas_f64 v[14:15], v[14:15], v[20:21], v[32:33]
	v_div_fixup_f64 v[6:7], v[14:15], v[6:7], v[22:23]
                                        ; implicit-def: $vgpr14_vgpr15
                                        ; implicit-def: $vgpr20_vgpr21
	s_andn2_saveexec_b64 s[2:3], s[2:3]
	s_cbranch_execz .LBB296_18
	s_branch .LBB296_17
.LBB296_16:                             ;   in Loop: Header=BB296_4 Depth=1
	s_andn2_saveexec_b64 s[2:3], s[2:3]
	s_cbranch_execz .LBB296_18
.LBB296_17:                             ;   in Loop: Header=BB296_4 Depth=1
	v_add_f64 v[6:7], v[14:15], -v[20:21]
	v_mul_f64 v[6:7], v[6:7], 0.5
	v_cmp_gt_f64_e32 vcc, s[26:27], v[6:7]
	v_cndmask_b32_e64 v8, 0, 1, vcc
	v_lshlrev_b32_e32 v8, 8, v8
	v_ldexp_f64 v[6:7], v[6:7], v8
	v_rsq_f64_e32 v[8:9], v[6:7]
	v_mul_f64 v[14:15], v[6:7], v[8:9]
	v_mul_f64 v[8:9], v[8:9], 0.5
	v_fma_f64 v[20:21], -v[8:9], v[14:15], 0.5
	v_fmac_f64_e32 v[14:15], v[14:15], v[20:21]
	v_fmac_f64_e32 v[8:9], v[8:9], v[20:21]
	v_fma_f64 v[20:21], -v[14:15], v[14:15], v[6:7]
	v_fmac_f64_e32 v[14:15], v[20:21], v[8:9]
	v_fma_f64 v[20:21], -v[14:15], v[14:15], v[6:7]
	v_fmac_f64_e32 v[14:15], v[20:21], v[8:9]
	v_cndmask_b32_e32 v8, 0, v31, vcc
	v_ldexp_f64 v[8:9], v[14:15], v8
	v_cmp_class_f64_e32 vcc, v[6:7], v1
	v_cndmask_b32_e32 v7, v9, v7, vcc
	v_cndmask_b32_e32 v6, v8, v6, vcc
	v_add_f64 v[8:9], v[6:7], v[6:7]
	v_and_b32_e32 v15, 0x7fffffff, v23
	v_mov_b32_e32 v14, v22
	v_div_scale_f64 v[20:21], s[42:43], v[8:9], v[8:9], v[14:15]
	v_rcp_f64_e32 v[28:29], v[20:21]
	v_div_scale_f64 v[14:15], vcc, v[14:15], v[8:9], v[14:15]
	v_bfi_b32 v7, s49, v7, v23
	v_fma_f64 v[32:33], -v[20:21], v[28:29], 1.0
	v_fmac_f64_e32 v[28:29], v[28:29], v[32:33]
	v_fma_f64 v[32:33], -v[20:21], v[28:29], 1.0
	v_fmac_f64_e32 v[28:29], v[28:29], v[32:33]
	v_mul_f64 v[32:33], v[14:15], v[28:29]
	v_fma_f64 v[14:15], -v[20:21], v[32:33], v[14:15]
	v_div_fmas_f64 v[14:15], v[14:15], v[28:29], v[32:33]
	v_div_fixup_f64 v[8:9], v[14:15], v[8:9], |v[22:23]|
.LBB296_18:                             ;   in Loop: Header=BB296_4 Depth=1
	s_or_b64 exec, exec, s[2:3]
                                        ; implicit-def: $vgpr22_vgpr23
	s_and_saveexec_b64 s[2:3], s[0:1]
	s_xor_b64 s[0:1], exec, s[2:3]
	s_cbranch_execz .LBB296_20
; %bb.19:                               ;   in Loop: Header=BB296_4 Depth=1
	v_mul_f64 v[14:15], v[8:9], 0.5
	v_mul_f64 v[22:23], v[6:7], 0.5
	v_cndmask_b32_e64 v21, v9, v15, s[40:41]
	v_cndmask_b32_e64 v20, v8, v14, s[40:41]
	;; [unrolled: 1-line block ×4, first 2 shown]
                                        ; implicit-def: $vgpr8_vgpr9
                                        ; implicit-def: $vgpr6_vgpr7
	s_andn2_saveexec_b64 s[0:1], s[0:1]
	s_cbranch_execnz .LBB296_21
	s_branch .LBB296_22
.LBB296_20:                             ;   in Loop: Header=BB296_4 Depth=1
	s_andn2_saveexec_b64 s[0:1], s[0:1]
.LBB296_21:                             ;   in Loop: Header=BB296_4 Depth=1
	v_add_f64 v[20:21], v[8:9], v[8:9]
	v_add_f64 v[22:23], v[6:7], v[6:7]
.LBB296_22:                             ;   in Loop: Header=BB296_4 Depth=1
	s_or_b64 exec, exec, s[0:1]
.LBB296_23:                             ;   in Loop: Header=BB296_4 Depth=1
	s_andn2_saveexec_b64 s[0:1], s[38:39]
	s_cbranch_execz .LBB296_53
; %bb.24:                               ;   in Loop: Header=BB296_4 Depth=1
	v_cmp_lt_i64_e32 vcc, -1, v[20:21]
	v_add_f64 v[6:7], v[22:23], -v[22:23]
	s_and_saveexec_b64 s[2:3], vcc
	s_xor_b64 s[2:3], exec, s[2:3]
; %bb.25:                               ;   in Loop: Header=BB296_4 Depth=1
	v_bfi_b32 v7, s49, v7, v23
	v_pk_mov_b32 v[22:23], v[6:7], v[6:7] op_sel:[0,1]
                                        ; implicit-def: $vgpr6_vgpr7
; %bb.26:                               ;   in Loop: Header=BB296_4 Depth=1
	s_andn2_saveexec_b64 s[2:3], s[2:3]
; %bb.27:                               ;   in Loop: Header=BB296_4 Depth=1
	v_and_b32_e32 v7, 0x7fffffff, v7
	v_bfi_b32 v21, s49, v21, v23
	v_pk_mov_b32 v[22:23], v[20:21], v[20:21] op_sel:[0,1]
	v_pk_mov_b32 v[20:21], v[6:7], v[6:7] op_sel:[0,1]
; %bb.28:                               ;   in Loop: Header=BB296_4 Depth=1
	s_or_b64 exec, exec, s[2:3]
	s_or_b64 exec, exec, s[0:1]
.LBB296_29:                             ;   in Loop: Header=BB296_4 Depth=1
	s_andn2_saveexec_b64 s[0:1], s[36:37]
.LBB296_30:                             ;   in Loop: Header=BB296_4 Depth=1
	v_add_f64 v[6:7], v[22:23], -v[22:23]
	v_div_scale_f64 v[8:9], vcc, v[6:7], v[6:7], v[6:7]
	v_rcp_f64_e32 v[14:15], v[8:9]
	v_fma_f64 v[22:23], -v[8:9], v[14:15], 1.0
	v_fmac_f64_e32 v[14:15], v[14:15], v[22:23]
	v_fma_f64 v[22:23], -v[8:9], v[14:15], 1.0
	v_fmac_f64_e32 v[14:15], v[14:15], v[22:23]
	v_mul_f64 v[22:23], v[8:9], v[14:15]
	v_fma_f64 v[8:9], -v[8:9], v[22:23], v[8:9]
	v_div_fmas_f64 v[8:9], v[8:9], v[14:15], v[22:23]
	v_div_fixup_f64 v[22:23], v[8:9], v[6:7], v[6:7]
.LBB296_31:                             ;   in Loop: Header=BB296_4 Depth=1
	s_or_b64 exec, exec, s[0:1]
	v_pk_mov_b32 v[14:15], v[20:21], v[20:21] op_sel:[0,1]
.LBB296_32:                             ;   in Loop: Header=BB296_4 Depth=1
	s_or_b64 exec, exec, s[34:35]
.LBB296_33:                             ;   in Loop: Header=BB296_4 Depth=1
	s_or_b64 exec, exec, s[30:31]
	v_xor_b32_e32 v6, 0x80000000, v15
	v_cmp_gt_f64_e32 vcc, 0, v[14:15]
	v_cndmask_b32_e32 v29, v15, v6, vcc
	v_cndmask_b32_e32 v28, v14, v14, vcc
	v_xor_b32_e32 v6, 0x80000000, v23
	v_cmp_gt_f64_e32 vcc, 0, v[22:23]
	v_cndmask_b32_e32 v21, v23, v6, vcc
	v_cndmask_b32_e32 v20, v22, v22, vcc
	v_cmp_ge_f64_e32 vcc, v[28:29], v[20:21]
                                        ; implicit-def: $vgpr8_vgpr9
	s_and_saveexec_b64 s[0:1], vcc
	s_xor_b64 s[2:3], exec, s[0:1]
	s_cbranch_execz .LBB296_39
; %bb.34:                               ;   in Loop: Header=BB296_4 Depth=1
	v_cmp_neq_f64_e32 vcc, 0, v[14:15]
	v_cmp_neq_f64_e64 s[0:1], 0, v[22:23]
	s_or_b64 s[0:1], vcc, s[0:1]
                                        ; implicit-def: $vgpr8_vgpr9
	s_and_saveexec_b64 s[30:31], s[0:1]
	s_xor_b64 s[0:1], exec, s[30:31]
	s_cbranch_execz .LBB296_36
; %bb.35:                               ;   in Loop: Header=BB296_4 Depth=1
	v_div_scale_f64 v[6:7], s[30:31], v[14:15], v[14:15], v[22:23]
	v_rcp_f64_e32 v[8:9], v[6:7]
	v_div_scale_f64 v[20:21], vcc, v[22:23], v[14:15], v[22:23]
	v_fma_f64 v[28:29], -v[6:7], v[8:9], 1.0
	v_fmac_f64_e32 v[8:9], v[8:9], v[28:29]
	v_fma_f64 v[28:29], -v[6:7], v[8:9], 1.0
	v_fmac_f64_e32 v[8:9], v[8:9], v[28:29]
	v_mul_f64 v[28:29], v[20:21], v[8:9]
	v_fma_f64 v[6:7], -v[6:7], v[28:29], v[20:21]
	v_div_fmas_f64 v[6:7], v[6:7], v[8:9], v[28:29]
	v_div_fixup_f64 v[8:9], v[6:7], v[14:15], v[22:23]
	v_fmac_f64_e32 v[14:15], v[22:23], v[8:9]
	v_div_scale_f64 v[6:7], s[30:31], v[14:15], v[14:15], 1.0
	v_rcp_f64_e32 v[20:21], v[6:7]
	v_fma_f64 v[22:23], -v[6:7], v[20:21], 1.0
	v_fmac_f64_e32 v[20:21], v[20:21], v[22:23]
	v_fma_f64 v[22:23], -v[6:7], v[20:21], 1.0
	v_fmac_f64_e32 v[20:21], v[20:21], v[22:23]
	v_div_scale_f64 v[22:23], vcc, 1.0, v[14:15], 1.0
	v_mul_f64 v[28:29], v[22:23], v[20:21]
	v_fma_f64 v[6:7], -v[6:7], v[28:29], v[22:23]
	s_nop 1
	v_div_fmas_f64 v[6:7], v[6:7], v[20:21], v[28:29]
	v_div_fixup_f64 v[14:15], v[6:7], v[14:15], 1.0
	v_fma_f64 v[6:7], v[8:9], 0, 1.0
	v_add_f64 v[8:9], -v[8:9], 0
	v_mul_f64 v[6:7], v[6:7], v[14:15]
	v_mul_f64 v[8:9], v[8:9], v[14:15]
                                        ; implicit-def: $vgpr28_vgpr29
                                        ; implicit-def: $vgpr20_vgpr21
.LBB296_36:                             ;   in Loop: Header=BB296_4 Depth=1
	s_andn2_saveexec_b64 s[0:1], s[0:1]
	s_cbranch_execz .LBB296_38
; %bb.37:                               ;   in Loop: Header=BB296_4 Depth=1
	v_div_scale_f64 v[6:7], s[30:31], v[28:29], v[28:29], 1.0
	v_rcp_f64_e32 v[8:9], v[6:7]
	v_div_scale_f64 v[14:15], vcc, 1.0, v[28:29], 1.0
	v_fma_f64 v[22:23], -v[6:7], v[8:9], 1.0
	v_fmac_f64_e32 v[8:9], v[8:9], v[22:23]
	v_fma_f64 v[22:23], -v[6:7], v[8:9], 1.0
	v_fmac_f64_e32 v[8:9], v[8:9], v[22:23]
	v_mul_f64 v[22:23], v[14:15], v[8:9]
	v_fma_f64 v[6:7], -v[6:7], v[22:23], v[14:15]
	v_div_scale_f64 v[14:15], s[30:31], v[20:21], v[20:21], 0
	v_rcp_f64_e32 v[32:33], v[14:15]
	v_div_fmas_f64 v[6:7], v[6:7], v[8:9], v[22:23]
	v_div_fixup_f64 v[6:7], v[6:7], v[28:29], 1.0
	v_fma_f64 v[8:9], -v[14:15], v[32:33], 1.0
	v_fmac_f64_e32 v[32:33], v[32:33], v[8:9]
	v_fma_f64 v[8:9], -v[14:15], v[32:33], 1.0
	v_fmac_f64_e32 v[32:33], v[32:33], v[8:9]
	v_div_scale_f64 v[8:9], vcc, 0, v[20:21], 0
	v_mul_f64 v[22:23], v[8:9], v[32:33]
	v_fma_f64 v[8:9], -v[14:15], v[22:23], v[8:9]
	s_nop 1
	v_div_fmas_f64 v[8:9], v[8:9], v[32:33], v[22:23]
	v_div_fixup_f64 v[8:9], v[8:9], v[20:21], 0
.LBB296_38:                             ;   in Loop: Header=BB296_4 Depth=1
	s_or_b64 exec, exec, s[0:1]
                                        ; implicit-def: $vgpr22_vgpr23
                                        ; implicit-def: $vgpr14_vgpr15
.LBB296_39:                             ;   in Loop: Header=BB296_4 Depth=1
	s_andn2_saveexec_b64 s[0:1], s[2:3]
	s_cbranch_execz .LBB296_41
; %bb.40:                               ;   in Loop: Header=BB296_4 Depth=1
	v_div_scale_f64 v[6:7], s[2:3], v[22:23], v[22:23], v[14:15]
	v_rcp_f64_e32 v[8:9], v[6:7]
	v_div_scale_f64 v[20:21], vcc, v[14:15], v[22:23], v[14:15]
	v_fma_f64 v[28:29], -v[6:7], v[8:9], 1.0
	v_fmac_f64_e32 v[8:9], v[8:9], v[28:29]
	v_fma_f64 v[28:29], -v[6:7], v[8:9], 1.0
	v_fmac_f64_e32 v[8:9], v[8:9], v[28:29]
	v_mul_f64 v[28:29], v[20:21], v[8:9]
	v_fma_f64 v[6:7], -v[6:7], v[28:29], v[20:21]
	v_div_fmas_f64 v[6:7], v[6:7], v[8:9], v[28:29]
	v_div_fixup_f64 v[8:9], v[6:7], v[22:23], v[14:15]
	v_fmac_f64_e32 v[22:23], v[14:15], v[8:9]
	v_div_scale_f64 v[6:7], s[2:3], v[22:23], v[22:23], 1.0
	v_rcp_f64_e32 v[14:15], v[6:7]
	v_fma_f64 v[20:21], -v[6:7], v[14:15], 1.0
	v_fmac_f64_e32 v[14:15], v[14:15], v[20:21]
	v_fma_f64 v[20:21], -v[6:7], v[14:15], 1.0
	v_fmac_f64_e32 v[14:15], v[14:15], v[20:21]
	v_div_scale_f64 v[20:21], vcc, 1.0, v[22:23], 1.0
	v_mul_f64 v[28:29], v[20:21], v[14:15]
	v_fma_f64 v[6:7], -v[6:7], v[28:29], v[20:21]
	s_nop 1
	v_div_fmas_f64 v[6:7], v[6:7], v[14:15], v[28:29]
	v_div_fixup_f64 v[14:15], v[6:7], v[22:23], 1.0
	v_add_f64 v[6:7], v[8:9], 0
	v_fma_f64 v[8:9], v[8:9], 0, -1.0
	v_mul_f64 v[6:7], v[6:7], v[14:15]
	v_mul_f64 v[8:9], v[8:9], v[14:15]
.LBB296_41:                             ;   in Loop: Header=BB296_4 Depth=1
	s_or_b64 exec, exec, s[0:1]
	s_waitcnt vmcnt(2)
	v_cmp_neq_f64_e32 vcc, 0, v[16:17]
	v_cmp_neq_f64_e64 s[0:1], 0, v[18:19]
	s_or_b64 s[0:1], vcc, s[0:1]
	v_pk_mov_b32 v[20:21], 0, 0
	s_and_saveexec_b64 s[30:31], s[0:1]
	s_cbranch_execz .LBB296_72
; %bb.42:                               ;   in Loop: Header=BB296_4 Depth=1
	v_cmp_neq_f64_e64 s[0:1], |v[18:19]|, s[20:21]
	v_pk_mov_b32 v[20:21], s[20:21], s[20:21] op_sel:[0,1]
	s_and_saveexec_b64 s[34:35], s[0:1]
	s_cbranch_execz .LBB296_71
; %bb.43:                               ;   in Loop: Header=BB296_4 Depth=1
	v_cmp_o_f64_e32 vcc, v[16:17], v[16:17]
	s_and_saveexec_b64 s[0:1], vcc
	s_xor_b64 s[36:37], exec, s[0:1]
	s_cbranch_execz .LBB296_68
; %bb.44:                               ;   in Loop: Header=BB296_4 Depth=1
	v_cmp_neq_f64_e64 s[0:1], |v[16:17]|, s[20:21]
	s_and_saveexec_b64 s[2:3], s[0:1]
	s_xor_b64 s[38:39], exec, s[2:3]
	s_cbranch_execz .LBB296_61
; %bb.45:                               ;   in Loop: Header=BB296_4 Depth=1
	v_max_f64 v[14:15], |v[18:19]|, |v[18:19]|
	v_max_f64 v[20:21], |v[16:17]|, |v[16:17]|
	v_max_f64 v[14:15], v[20:21], v[14:15]
	v_cmp_nle_f64_e64 s[0:1], s[22:23], v[14:15]
                                        ; implicit-def: $sgpr40_sgpr41
	s_and_saveexec_b64 s[2:3], s[0:1]
	s_xor_b64 s[2:3], exec, s[2:3]
	s_cbranch_execz .LBB296_49
; %bb.46:                               ;   in Loop: Header=BB296_4 Depth=1
	v_cmp_le_f64_e64 s[40:41], |v[16:17]|, s[24:25]
	v_cmp_le_f64_e64 s[42:43], |v[18:19]|, s[24:25]
	s_and_b64 s[50:51], s[40:41], s[42:43]
	s_mov_b64 s[40:41], 0
	s_and_saveexec_b64 s[42:43], s[50:51]
; %bb.47:                               ;   in Loop: Header=BB296_4 Depth=1
	s_mov_b64 s[40:41], exec
	v_mul_f64 v[16:17], v[16:17], 4.0
	v_mul_f64 v[18:19], v[18:19], 4.0
; %bb.48:                               ;   in Loop: Header=BB296_4 Depth=1
	s_or_b64 exec, exec, s[42:43]
	s_and_b64 s[40:41], s[40:41], exec
.LBB296_49:                             ;   in Loop: Header=BB296_4 Depth=1
	s_andn2_saveexec_b64 s[2:3], s[2:3]
; %bb.50:                               ;   in Loop: Header=BB296_4 Depth=1
	v_ldexp_f64 v[16:17], v[16:17], -2
	v_ldexp_f64 v[18:19], v[18:19], -2
	s_andn2_b64 s[40:41], s[40:41], exec
; %bb.51:                               ;   in Loop: Header=BB296_4 Depth=1
	s_or_b64 exec, exec, s[2:3]
	v_max_f64 v[14:15], |v[18:19]|, |v[18:19]|
	v_max_f64 v[20:21], |v[16:17]|, |v[16:17]|
	v_max_f64 v[14:15], v[20:21], v[14:15]
	v_frexp_exp_i32_f64_e32 v32, v[14:15]
	v_sub_u32_e32 v20, 0, v32
	v_ldexp_f64 v[14:15], |v[16:17]|, v20
	v_ldexp_f64 v[20:21], |v[18:19]|, v20
	v_mul_f64 v[20:21], v[20:21], v[20:21]
	v_fmac_f64_e32 v[20:21], v[14:15], v[14:15]
	v_rsq_f64_e32 v[14:15], v[20:21]
	v_cmp_eq_f64_e64 s[2:3], 0, v[20:21]
	v_cmp_class_f64_e64 s[42:43], v[18:19], s48
	v_cmp_le_f64_e32 vcc, 0, v[16:17]
	v_mul_f64 v[22:23], v[20:21], v[14:15]
	v_mul_f64 v[14:15], v[14:15], 0.5
	v_fma_f64 v[28:29], -v[14:15], v[22:23], 0.5
	v_fmac_f64_e32 v[22:23], v[22:23], v[28:29]
	v_fmac_f64_e32 v[14:15], v[14:15], v[28:29]
	v_fma_f64 v[28:29], -v[22:23], v[22:23], v[20:21]
	v_fmac_f64_e32 v[22:23], v[28:29], v[14:15]
	v_cndmask_b32_e64 v15, v23, v21, s[2:3]
	v_cndmask_b32_e64 v14, v22, v20, s[2:3]
	v_ldexp_f64 v[14:15], v[14:15], v32
	v_cmp_o_f64_e64 s[2:3], v[18:19], v[18:19]
	v_cndmask_b32_e64 v14, 0, v14, s[2:3]
	v_cndmask_b32_e64 v15, v27, v15, s[2:3]
	v_cmp_class_f64_e64 s[2:3], v[16:17], s48
	s_or_b64 s[2:3], s[42:43], s[2:3]
	v_cndmask_b32_e64 v23, v15, v30, s[2:3]
	v_cndmask_b32_e64 v22, v14, 0, s[2:3]
                                        ; implicit-def: $vgpr14_vgpr15
                                        ; implicit-def: $vgpr20_vgpr21
	s_and_saveexec_b64 s[2:3], vcc
	s_xor_b64 s[2:3], exec, s[2:3]
	s_cbranch_execz .LBB296_54
; %bb.52:                               ;   in Loop: Header=BB296_4 Depth=1
	v_add_f64 v[14:15], v[16:17], v[22:23]
	v_mul_f64 v[14:15], v[14:15], 0.5
	v_cmp_gt_f64_e32 vcc, s[26:27], v[14:15]
	v_cndmask_b32_e64 v16, 0, 1, vcc
	v_lshlrev_b32_e32 v16, 8, v16
	v_ldexp_f64 v[14:15], v[14:15], v16
	v_rsq_f64_e32 v[16:17], v[14:15]
	v_mul_f64 v[20:21], v[14:15], v[16:17]
	v_mul_f64 v[16:17], v[16:17], 0.5
	v_fma_f64 v[22:23], -v[16:17], v[20:21], 0.5
	v_fmac_f64_e32 v[20:21], v[20:21], v[22:23]
	v_fmac_f64_e32 v[16:17], v[16:17], v[22:23]
	v_fma_f64 v[22:23], -v[20:21], v[20:21], v[14:15]
	v_fmac_f64_e32 v[20:21], v[22:23], v[16:17]
	v_fma_f64 v[22:23], -v[20:21], v[20:21], v[14:15]
	v_fmac_f64_e32 v[20:21], v[22:23], v[16:17]
	v_cndmask_b32_e32 v16, 0, v31, vcc
	v_ldexp_f64 v[16:17], v[20:21], v16
	v_cmp_class_f64_e32 vcc, v[14:15], v1
	v_cndmask_b32_e32 v21, v17, v15, vcc
	v_cndmask_b32_e32 v20, v16, v14, vcc
	v_add_f64 v[14:15], v[20:21], v[20:21]
	v_div_scale_f64 v[16:17], s[42:43], v[14:15], v[14:15], v[18:19]
	v_rcp_f64_e32 v[22:23], v[16:17]
	v_fma_f64 v[28:29], -v[16:17], v[22:23], 1.0
	v_fmac_f64_e32 v[22:23], v[22:23], v[28:29]
	v_fma_f64 v[28:29], -v[16:17], v[22:23], 1.0
	v_fmac_f64_e32 v[22:23], v[22:23], v[28:29]
	v_div_scale_f64 v[28:29], vcc, v[18:19], v[14:15], v[18:19]
	v_mul_f64 v[32:33], v[28:29], v[22:23]
	v_fma_f64 v[16:17], -v[16:17], v[32:33], v[28:29]
	s_nop 1
	v_div_fmas_f64 v[16:17], v[16:17], v[22:23], v[32:33]
	v_div_fixup_f64 v[14:15], v[16:17], v[14:15], v[18:19]
                                        ; implicit-def: $vgpr22_vgpr23
                                        ; implicit-def: $vgpr16_vgpr17
	s_andn2_saveexec_b64 s[2:3], s[2:3]
	s_cbranch_execz .LBB296_56
	s_branch .LBB296_55
.LBB296_53:                             ;   in Loop: Header=BB296_4 Depth=1
	s_or_b64 exec, exec, s[0:1]
	s_andn2_saveexec_b64 s[0:1], s[36:37]
	s_cbranch_execnz .LBB296_30
	s_branch .LBB296_31
.LBB296_54:                             ;   in Loop: Header=BB296_4 Depth=1
	s_andn2_saveexec_b64 s[2:3], s[2:3]
	s_cbranch_execz .LBB296_56
.LBB296_55:                             ;   in Loop: Header=BB296_4 Depth=1
	v_add_f64 v[14:15], v[22:23], -v[16:17]
	v_mul_f64 v[14:15], v[14:15], 0.5
	v_cmp_gt_f64_e32 vcc, s[26:27], v[14:15]
	v_cndmask_b32_e64 v16, 0, 1, vcc
	v_lshlrev_b32_e32 v16, 8, v16
	v_ldexp_f64 v[14:15], v[14:15], v16
	v_rsq_f64_e32 v[16:17], v[14:15]
	v_mul_f64 v[20:21], v[14:15], v[16:17]
	v_mul_f64 v[16:17], v[16:17], 0.5
	v_fma_f64 v[22:23], -v[16:17], v[20:21], 0.5
	v_fmac_f64_e32 v[20:21], v[20:21], v[22:23]
	v_fmac_f64_e32 v[16:17], v[16:17], v[22:23]
	v_fma_f64 v[22:23], -v[20:21], v[20:21], v[14:15]
	v_fmac_f64_e32 v[20:21], v[22:23], v[16:17]
	v_fma_f64 v[22:23], -v[20:21], v[20:21], v[14:15]
	v_fmac_f64_e32 v[20:21], v[22:23], v[16:17]
	v_cndmask_b32_e32 v16, 0, v31, vcc
	v_ldexp_f64 v[16:17], v[20:21], v16
	v_cmp_class_f64_e32 vcc, v[14:15], v1
	v_cndmask_b32_e32 v15, v17, v15, vcc
	v_cndmask_b32_e32 v14, v16, v14, vcc
	v_add_f64 v[16:17], v[14:15], v[14:15]
	v_and_b32_e32 v21, 0x7fffffff, v19
	v_mov_b32_e32 v20, v18
	v_div_scale_f64 v[22:23], s[42:43], v[16:17], v[16:17], v[20:21]
	v_rcp_f64_e32 v[28:29], v[22:23]
	v_div_scale_f64 v[20:21], vcc, v[20:21], v[16:17], v[20:21]
	v_bfi_b32 v15, s49, v15, v19
	v_fma_f64 v[32:33], -v[22:23], v[28:29], 1.0
	v_fmac_f64_e32 v[28:29], v[28:29], v[32:33]
	v_fma_f64 v[32:33], -v[22:23], v[28:29], 1.0
	v_fmac_f64_e32 v[28:29], v[28:29], v[32:33]
	v_mul_f64 v[32:33], v[20:21], v[28:29]
	v_fma_f64 v[20:21], -v[22:23], v[32:33], v[20:21]
	v_div_fmas_f64 v[20:21], v[20:21], v[28:29], v[32:33]
	v_div_fixup_f64 v[20:21], v[20:21], v[16:17], |v[18:19]|
.LBB296_56:                             ;   in Loop: Header=BB296_4 Depth=1
	s_or_b64 exec, exec, s[2:3]
                                        ; implicit-def: $vgpr18_vgpr19
	s_and_saveexec_b64 s[2:3], s[0:1]
	s_xor_b64 s[0:1], exec, s[2:3]
	s_cbranch_execz .LBB296_58
; %bb.57:                               ;   in Loop: Header=BB296_4 Depth=1
	v_mul_f64 v[16:17], v[20:21], 0.5
	v_mul_f64 v[18:19], v[14:15], 0.5
	v_cndmask_b32_e64 v17, v21, v17, s[40:41]
	v_cndmask_b32_e64 v16, v20, v16, s[40:41]
	;; [unrolled: 1-line block ×4, first 2 shown]
                                        ; implicit-def: $vgpr20_vgpr21
                                        ; implicit-def: $vgpr14_vgpr15
	s_andn2_saveexec_b64 s[0:1], s[0:1]
	s_cbranch_execnz .LBB296_59
	s_branch .LBB296_60
.LBB296_58:                             ;   in Loop: Header=BB296_4 Depth=1
	s_andn2_saveexec_b64 s[0:1], s[0:1]
.LBB296_59:                             ;   in Loop: Header=BB296_4 Depth=1
	v_add_f64 v[16:17], v[20:21], v[20:21]
	v_add_f64 v[18:19], v[14:15], v[14:15]
.LBB296_60:                             ;   in Loop: Header=BB296_4 Depth=1
	s_or_b64 exec, exec, s[0:1]
.LBB296_61:                             ;   in Loop: Header=BB296_4 Depth=1
	s_andn2_saveexec_b64 s[0:1], s[38:39]
	s_cbranch_execz .LBB296_67
; %bb.62:                               ;   in Loop: Header=BB296_4 Depth=1
	v_cmp_lt_i64_e32 vcc, -1, v[16:17]
	v_add_f64 v[14:15], v[18:19], -v[18:19]
	s_and_saveexec_b64 s[2:3], vcc
	s_xor_b64 s[2:3], exec, s[2:3]
; %bb.63:                               ;   in Loop: Header=BB296_4 Depth=1
	v_bfi_b32 v15, s49, v15, v19
	v_pk_mov_b32 v[18:19], v[14:15], v[14:15] op_sel:[0,1]
                                        ; implicit-def: $vgpr14_vgpr15
; %bb.64:                               ;   in Loop: Header=BB296_4 Depth=1
	s_andn2_saveexec_b64 s[2:3], s[2:3]
; %bb.65:                               ;   in Loop: Header=BB296_4 Depth=1
	v_and_b32_e32 v15, 0x7fffffff, v15
	v_bfi_b32 v17, s49, v17, v19
	v_pk_mov_b32 v[18:19], v[16:17], v[16:17] op_sel:[0,1]
	v_pk_mov_b32 v[16:17], v[14:15], v[14:15] op_sel:[0,1]
; %bb.66:                               ;   in Loop: Header=BB296_4 Depth=1
	s_or_b64 exec, exec, s[2:3]
.LBB296_67:                             ;   in Loop: Header=BB296_4 Depth=1
	s_or_b64 exec, exec, s[0:1]
.LBB296_68:                             ;   in Loop: Header=BB296_4 Depth=1
	s_andn2_saveexec_b64 s[0:1], s[36:37]
; %bb.69:                               ;   in Loop: Header=BB296_4 Depth=1
	v_add_f64 v[14:15], v[18:19], -v[18:19]
	v_div_scale_f64 v[18:19], vcc, v[14:15], v[14:15], v[14:15]
	v_rcp_f64_e32 v[20:21], v[18:19]
	v_fma_f64 v[22:23], -v[18:19], v[20:21], 1.0
	v_fmac_f64_e32 v[20:21], v[20:21], v[22:23]
	v_fma_f64 v[22:23], -v[18:19], v[20:21], 1.0
	v_fmac_f64_e32 v[20:21], v[20:21], v[22:23]
	v_mul_f64 v[22:23], v[18:19], v[20:21]
	v_fma_f64 v[18:19], -v[18:19], v[22:23], v[18:19]
	v_div_fmas_f64 v[18:19], v[18:19], v[20:21], v[22:23]
	v_div_fixup_f64 v[18:19], v[18:19], v[14:15], v[14:15]
; %bb.70:                               ;   in Loop: Header=BB296_4 Depth=1
	s_or_b64 exec, exec, s[0:1]
	v_pk_mov_b32 v[20:21], v[16:17], v[16:17] op_sel:[0,1]
.LBB296_71:                             ;   in Loop: Header=BB296_4 Depth=1
	s_or_b64 exec, exec, s[34:35]
.LBB296_72:                             ;   in Loop: Header=BB296_4 Depth=1
	s_or_b64 exec, exec, s[30:31]
	v_xor_b32_e32 v14, 0x80000000, v21
	v_cmp_gt_f64_e32 vcc, 0, v[20:21]
	v_cndmask_b32_e32 v29, v21, v14, vcc
	v_cndmask_b32_e32 v28, v20, v20, vcc
	v_xor_b32_e32 v14, 0x80000000, v19
	v_cmp_gt_f64_e32 vcc, 0, v[18:19]
	v_cndmask_b32_e32 v23, v19, v14, vcc
	v_cndmask_b32_e32 v22, v18, v18, vcc
	v_cmp_ge_f64_e32 vcc, v[28:29], v[22:23]
                                        ; implicit-def: $vgpr16_vgpr17
	s_and_saveexec_b64 s[0:1], vcc
	s_xor_b64 s[2:3], exec, s[0:1]
	s_cbranch_execz .LBB296_78
; %bb.73:                               ;   in Loop: Header=BB296_4 Depth=1
	v_cmp_neq_f64_e32 vcc, 0, v[20:21]
	v_cmp_neq_f64_e64 s[0:1], 0, v[18:19]
	s_or_b64 s[0:1], vcc, s[0:1]
                                        ; implicit-def: $vgpr16_vgpr17
	s_and_saveexec_b64 s[30:31], s[0:1]
	s_xor_b64 s[0:1], exec, s[30:31]
	s_cbranch_execz .LBB296_75
; %bb.74:                               ;   in Loop: Header=BB296_4 Depth=1
	v_div_scale_f64 v[14:15], s[30:31], v[20:21], v[20:21], v[18:19]
	v_rcp_f64_e32 v[16:17], v[14:15]
	v_div_scale_f64 v[22:23], vcc, v[18:19], v[20:21], v[18:19]
	v_fma_f64 v[28:29], -v[14:15], v[16:17], 1.0
	v_fmac_f64_e32 v[16:17], v[16:17], v[28:29]
	v_fma_f64 v[28:29], -v[14:15], v[16:17], 1.0
	v_fmac_f64_e32 v[16:17], v[16:17], v[28:29]
	v_mul_f64 v[28:29], v[22:23], v[16:17]
	v_fma_f64 v[14:15], -v[14:15], v[28:29], v[22:23]
	v_div_fmas_f64 v[14:15], v[14:15], v[16:17], v[28:29]
	v_div_fixup_f64 v[16:17], v[14:15], v[20:21], v[18:19]
	v_fmac_f64_e32 v[20:21], v[18:19], v[16:17]
	v_div_scale_f64 v[14:15], s[30:31], v[20:21], v[20:21], 1.0
	v_rcp_f64_e32 v[18:19], v[14:15]
	v_fma_f64 v[22:23], -v[14:15], v[18:19], 1.0
	v_fmac_f64_e32 v[18:19], v[18:19], v[22:23]
	v_fma_f64 v[22:23], -v[14:15], v[18:19], 1.0
	v_fmac_f64_e32 v[18:19], v[18:19], v[22:23]
	v_div_scale_f64 v[22:23], vcc, 1.0, v[20:21], 1.0
	v_mul_f64 v[28:29], v[22:23], v[18:19]
	v_fma_f64 v[14:15], -v[14:15], v[28:29], v[22:23]
                                        ; implicit-def: $vgpr22_vgpr23
	s_nop 1
	v_div_fmas_f64 v[14:15], v[14:15], v[18:19], v[28:29]
	v_div_fixup_f64 v[18:19], v[14:15], v[20:21], 1.0
	v_fma_f64 v[14:15], v[16:17], 0, 1.0
	v_add_f64 v[16:17], -v[16:17], 0
	v_mul_f64 v[14:15], v[14:15], v[18:19]
	v_mul_f64 v[16:17], v[16:17], v[18:19]
                                        ; implicit-def: $vgpr28_vgpr29
.LBB296_75:                             ;   in Loop: Header=BB296_4 Depth=1
	s_andn2_saveexec_b64 s[0:1], s[0:1]
	s_cbranch_execz .LBB296_77
; %bb.76:                               ;   in Loop: Header=BB296_4 Depth=1
	v_div_scale_f64 v[14:15], s[30:31], v[28:29], v[28:29], 1.0
	v_rcp_f64_e32 v[16:17], v[14:15]
	v_div_scale_f64 v[18:19], vcc, 1.0, v[28:29], 1.0
	v_fma_f64 v[20:21], -v[14:15], v[16:17], 1.0
	v_fmac_f64_e32 v[16:17], v[16:17], v[20:21]
	v_fma_f64 v[20:21], -v[14:15], v[16:17], 1.0
	v_fmac_f64_e32 v[16:17], v[16:17], v[20:21]
	v_mul_f64 v[20:21], v[18:19], v[16:17]
	v_fma_f64 v[14:15], -v[14:15], v[20:21], v[18:19]
	v_div_scale_f64 v[18:19], s[30:31], v[22:23], v[22:23], 0
	v_rcp_f64_e32 v[32:33], v[18:19]
	v_div_fmas_f64 v[14:15], v[14:15], v[16:17], v[20:21]
	v_div_fixup_f64 v[14:15], v[14:15], v[28:29], 1.0
	v_fma_f64 v[16:17], -v[18:19], v[32:33], 1.0
	v_fmac_f64_e32 v[32:33], v[32:33], v[16:17]
	v_fma_f64 v[16:17], -v[18:19], v[32:33], 1.0
	v_fmac_f64_e32 v[32:33], v[32:33], v[16:17]
	v_div_scale_f64 v[16:17], vcc, 0, v[22:23], 0
	v_mul_f64 v[20:21], v[16:17], v[32:33]
	v_fma_f64 v[16:17], -v[18:19], v[20:21], v[16:17]
	s_nop 1
	v_div_fmas_f64 v[16:17], v[16:17], v[32:33], v[20:21]
	v_div_fixup_f64 v[16:17], v[16:17], v[22:23], 0
.LBB296_77:                             ;   in Loop: Header=BB296_4 Depth=1
	s_or_b64 exec, exec, s[0:1]
                                        ; implicit-def: $vgpr18_vgpr19
                                        ; implicit-def: $vgpr20_vgpr21
.LBB296_78:                             ;   in Loop: Header=BB296_4 Depth=1
	s_andn2_saveexec_b64 s[0:1], s[2:3]
	s_cbranch_execz .LBB296_80
; %bb.79:                               ;   in Loop: Header=BB296_4 Depth=1
	v_div_scale_f64 v[14:15], s[2:3], v[18:19], v[18:19], v[20:21]
	v_rcp_f64_e32 v[16:17], v[14:15]
	v_div_scale_f64 v[22:23], vcc, v[20:21], v[18:19], v[20:21]
	v_fma_f64 v[28:29], -v[14:15], v[16:17], 1.0
	v_fmac_f64_e32 v[16:17], v[16:17], v[28:29]
	v_fma_f64 v[28:29], -v[14:15], v[16:17], 1.0
	v_fmac_f64_e32 v[16:17], v[16:17], v[28:29]
	v_mul_f64 v[28:29], v[22:23], v[16:17]
	v_fma_f64 v[14:15], -v[14:15], v[28:29], v[22:23]
	v_div_fmas_f64 v[14:15], v[14:15], v[16:17], v[28:29]
	v_div_fixup_f64 v[16:17], v[14:15], v[18:19], v[20:21]
	v_fmac_f64_e32 v[18:19], v[20:21], v[16:17]
	v_div_scale_f64 v[14:15], s[2:3], v[18:19], v[18:19], 1.0
	v_rcp_f64_e32 v[20:21], v[14:15]
	v_fma_f64 v[22:23], -v[14:15], v[20:21], 1.0
	v_fmac_f64_e32 v[20:21], v[20:21], v[22:23]
	v_fma_f64 v[22:23], -v[14:15], v[20:21], 1.0
	v_fmac_f64_e32 v[20:21], v[20:21], v[22:23]
	v_div_scale_f64 v[22:23], vcc, 1.0, v[18:19], 1.0
	v_mul_f64 v[28:29], v[22:23], v[20:21]
	v_fma_f64 v[14:15], -v[14:15], v[28:29], v[22:23]
	s_nop 1
	v_div_fmas_f64 v[14:15], v[14:15], v[20:21], v[28:29]
	v_div_fixup_f64 v[18:19], v[14:15], v[18:19], 1.0
	v_add_f64 v[14:15], v[16:17], 0
	v_fma_f64 v[16:17], v[16:17], 0, -1.0
	v_mul_f64 v[14:15], v[14:15], v[18:19]
	v_mul_f64 v[16:17], v[16:17], v[18:19]
.LBB296_80:                             ;   in Loop: Header=BB296_4 Depth=1
	s_or_b64 exec, exec, s[0:1]
	s_waitcnt vmcnt(0)
	v_cmp_neq_f64_e32 vcc, 0, v[10:11]
	v_cmp_neq_f64_e64 s[0:1], 0, v[12:13]
	s_or_b64 s[0:1], vcc, s[0:1]
	v_pk_mov_b32 v[22:23], 0, 0
	s_and_saveexec_b64 s[30:31], s[0:1]
	s_cbranch_execz .LBB296_110
; %bb.81:                               ;   in Loop: Header=BB296_4 Depth=1
	v_cmp_neq_f64_e64 s[0:1], |v[12:13]|, s[20:21]
	v_pk_mov_b32 v[22:23], s[20:21], s[20:21] op_sel:[0,1]
	s_and_saveexec_b64 s[34:35], s[0:1]
	s_cbranch_execz .LBB296_109
; %bb.82:                               ;   in Loop: Header=BB296_4 Depth=1
	v_cmp_o_f64_e32 vcc, v[10:11], v[10:11]
	s_and_saveexec_b64 s[0:1], vcc
	s_xor_b64 s[36:37], exec, s[0:1]
	s_cbranch_execz .LBB296_106
; %bb.83:                               ;   in Loop: Header=BB296_4 Depth=1
	v_cmp_neq_f64_e64 s[0:1], |v[10:11]|, s[20:21]
	s_and_saveexec_b64 s[2:3], s[0:1]
	s_xor_b64 s[38:39], exec, s[2:3]
	s_cbranch_execz .LBB296_99
; %bb.84:                               ;   in Loop: Header=BB296_4 Depth=1
	v_max_f64 v[18:19], |v[12:13]|, |v[12:13]|
	v_max_f64 v[20:21], |v[10:11]|, |v[10:11]|
	v_max_f64 v[18:19], v[20:21], v[18:19]
	v_cmp_nle_f64_e64 s[0:1], s[22:23], v[18:19]
                                        ; implicit-def: $sgpr40_sgpr41
	s_and_saveexec_b64 s[2:3], s[0:1]
	s_xor_b64 s[2:3], exec, s[2:3]
	s_cbranch_execz .LBB296_88
; %bb.85:                               ;   in Loop: Header=BB296_4 Depth=1
	v_cmp_le_f64_e64 s[40:41], |v[10:11]|, s[24:25]
	v_cmp_le_f64_e64 s[42:43], |v[12:13]|, s[24:25]
	s_and_b64 s[50:51], s[40:41], s[42:43]
	s_mov_b64 s[40:41], 0
	s_and_saveexec_b64 s[42:43], s[50:51]
; %bb.86:                               ;   in Loop: Header=BB296_4 Depth=1
	s_mov_b64 s[40:41], exec
	v_mul_f64 v[10:11], v[10:11], 4.0
	v_mul_f64 v[12:13], v[12:13], 4.0
; %bb.87:                               ;   in Loop: Header=BB296_4 Depth=1
	s_or_b64 exec, exec, s[42:43]
	s_and_b64 s[40:41], s[40:41], exec
.LBB296_88:                             ;   in Loop: Header=BB296_4 Depth=1
	s_andn2_saveexec_b64 s[2:3], s[2:3]
; %bb.89:                               ;   in Loop: Header=BB296_4 Depth=1
	v_ldexp_f64 v[10:11], v[10:11], -2
	v_ldexp_f64 v[12:13], v[12:13], -2
	s_andn2_b64 s[40:41], s[40:41], exec
; %bb.90:                               ;   in Loop: Header=BB296_4 Depth=1
	s_or_b64 exec, exec, s[2:3]
	v_max_f64 v[18:19], |v[12:13]|, |v[12:13]|
	v_max_f64 v[20:21], |v[10:11]|, |v[10:11]|
	v_max_f64 v[18:19], v[20:21], v[18:19]
	v_frexp_exp_i32_f64_e32 v32, v[18:19]
	v_sub_u32_e32 v20, 0, v32
	v_ldexp_f64 v[18:19], |v[10:11]|, v20
	v_ldexp_f64 v[20:21], |v[12:13]|, v20
	v_mul_f64 v[20:21], v[20:21], v[20:21]
	v_fmac_f64_e32 v[20:21], v[18:19], v[18:19]
	v_rsq_f64_e32 v[18:19], v[20:21]
	v_cmp_eq_f64_e64 s[2:3], 0, v[20:21]
	v_cmp_class_f64_e64 s[42:43], v[12:13], s48
	v_cmp_le_f64_e32 vcc, 0, v[10:11]
	v_mul_f64 v[22:23], v[20:21], v[18:19]
	v_mul_f64 v[18:19], v[18:19], 0.5
	v_fma_f64 v[28:29], -v[18:19], v[22:23], 0.5
	v_fmac_f64_e32 v[22:23], v[22:23], v[28:29]
	v_fmac_f64_e32 v[18:19], v[18:19], v[28:29]
	v_fma_f64 v[28:29], -v[22:23], v[22:23], v[20:21]
	v_fmac_f64_e32 v[22:23], v[28:29], v[18:19]
	v_cndmask_b32_e64 v19, v23, v21, s[2:3]
	v_cndmask_b32_e64 v18, v22, v20, s[2:3]
	v_ldexp_f64 v[18:19], v[18:19], v32
	v_cmp_o_f64_e64 s[2:3], v[12:13], v[12:13]
	v_cndmask_b32_e64 v18, 0, v18, s[2:3]
	v_cndmask_b32_e64 v19, v27, v19, s[2:3]
	v_cmp_class_f64_e64 s[2:3], v[10:11], s48
	s_or_b64 s[2:3], s[42:43], s[2:3]
	v_cndmask_b32_e64 v23, v19, v30, s[2:3]
	v_cndmask_b32_e64 v22, v18, 0, s[2:3]
                                        ; implicit-def: $vgpr18_vgpr19
                                        ; implicit-def: $vgpr20_vgpr21
	s_and_saveexec_b64 s[2:3], vcc
	s_xor_b64 s[2:3], exec, s[2:3]
	s_cbranch_execz .LBB296_92
; %bb.91:                               ;   in Loop: Header=BB296_4 Depth=1
	v_add_f64 v[10:11], v[10:11], v[22:23]
	v_mul_f64 v[10:11], v[10:11], 0.5
	v_cmp_gt_f64_e32 vcc, s[26:27], v[10:11]
	v_cndmask_b32_e64 v18, 0, 1, vcc
	v_lshlrev_b32_e32 v18, 8, v18
	v_ldexp_f64 v[10:11], v[10:11], v18
	v_rsq_f64_e32 v[18:19], v[10:11]
	v_mul_f64 v[20:21], v[10:11], v[18:19]
	v_mul_f64 v[18:19], v[18:19], 0.5
	v_fma_f64 v[22:23], -v[18:19], v[20:21], 0.5
	v_fmac_f64_e32 v[20:21], v[20:21], v[22:23]
	v_fmac_f64_e32 v[18:19], v[18:19], v[22:23]
	v_fma_f64 v[22:23], -v[20:21], v[20:21], v[10:11]
	v_fmac_f64_e32 v[20:21], v[22:23], v[18:19]
	v_fma_f64 v[22:23], -v[20:21], v[20:21], v[10:11]
	v_fmac_f64_e32 v[20:21], v[22:23], v[18:19]
	v_cndmask_b32_e32 v18, 0, v31, vcc
	v_ldexp_f64 v[18:19], v[20:21], v18
	v_cmp_class_f64_e32 vcc, v[10:11], v1
	v_cndmask_b32_e32 v21, v19, v11, vcc
	v_cndmask_b32_e32 v20, v18, v10, vcc
	v_add_f64 v[10:11], v[20:21], v[20:21]
	v_div_scale_f64 v[18:19], s[42:43], v[10:11], v[10:11], v[12:13]
	v_rcp_f64_e32 v[22:23], v[18:19]
	v_fma_f64 v[28:29], -v[18:19], v[22:23], 1.0
	v_fmac_f64_e32 v[22:23], v[22:23], v[28:29]
	v_fma_f64 v[28:29], -v[18:19], v[22:23], 1.0
	v_fmac_f64_e32 v[22:23], v[22:23], v[28:29]
	v_div_scale_f64 v[28:29], vcc, v[12:13], v[10:11], v[12:13]
	v_mul_f64 v[32:33], v[28:29], v[22:23]
	v_fma_f64 v[18:19], -v[18:19], v[32:33], v[28:29]
	s_nop 1
	v_div_fmas_f64 v[18:19], v[18:19], v[22:23], v[32:33]
	v_div_fixup_f64 v[18:19], v[18:19], v[10:11], v[12:13]
                                        ; implicit-def: $vgpr22_vgpr23
                                        ; implicit-def: $vgpr10_vgpr11
	s_andn2_saveexec_b64 s[2:3], s[2:3]
	s_cbranch_execz .LBB296_94
	s_branch .LBB296_93
.LBB296_92:                             ;   in Loop: Header=BB296_4 Depth=1
	s_andn2_saveexec_b64 s[2:3], s[2:3]
	s_cbranch_execz .LBB296_94
.LBB296_93:                             ;   in Loop: Header=BB296_4 Depth=1
	v_add_f64 v[10:11], v[22:23], -v[10:11]
	v_mul_f64 v[10:11], v[10:11], 0.5
	v_cmp_gt_f64_e32 vcc, s[26:27], v[10:11]
	v_cndmask_b32_e64 v18, 0, 1, vcc
	v_lshlrev_b32_e32 v18, 8, v18
	v_ldexp_f64 v[10:11], v[10:11], v18
	v_rsq_f64_e32 v[18:19], v[10:11]
	v_mul_f64 v[20:21], v[10:11], v[18:19]
	v_mul_f64 v[18:19], v[18:19], 0.5
	v_fma_f64 v[22:23], -v[18:19], v[20:21], 0.5
	v_fmac_f64_e32 v[20:21], v[20:21], v[22:23]
	v_fmac_f64_e32 v[18:19], v[18:19], v[22:23]
	v_fma_f64 v[22:23], -v[20:21], v[20:21], v[10:11]
	v_fmac_f64_e32 v[20:21], v[22:23], v[18:19]
	v_fma_f64 v[22:23], -v[20:21], v[20:21], v[10:11]
	v_fmac_f64_e32 v[20:21], v[22:23], v[18:19]
	v_cndmask_b32_e32 v18, 0, v31, vcc
	v_ldexp_f64 v[18:19], v[20:21], v18
	v_cmp_class_f64_e32 vcc, v[10:11], v1
	v_cndmask_b32_e32 v19, v19, v11, vcc
	v_cndmask_b32_e32 v18, v18, v10, vcc
	v_add_f64 v[10:11], v[18:19], v[18:19]
	v_and_b32_e32 v21, 0x7fffffff, v13
	v_mov_b32_e32 v20, v12
	v_div_scale_f64 v[22:23], s[42:43], v[10:11], v[10:11], v[20:21]
	v_rcp_f64_e32 v[28:29], v[22:23]
	v_div_scale_f64 v[20:21], vcc, v[20:21], v[10:11], v[20:21]
	v_bfi_b32 v19, s49, v19, v13
	v_fma_f64 v[32:33], -v[22:23], v[28:29], 1.0
	v_fmac_f64_e32 v[28:29], v[28:29], v[32:33]
	v_fma_f64 v[32:33], -v[22:23], v[28:29], 1.0
	v_fmac_f64_e32 v[28:29], v[28:29], v[32:33]
	v_mul_f64 v[32:33], v[20:21], v[28:29]
	v_fma_f64 v[20:21], -v[22:23], v[32:33], v[20:21]
	v_div_fmas_f64 v[20:21], v[20:21], v[28:29], v[32:33]
	v_div_fixup_f64 v[20:21], v[20:21], v[10:11], |v[12:13]|
.LBB296_94:                             ;   in Loop: Header=BB296_4 Depth=1
	s_or_b64 exec, exec, s[2:3]
                                        ; implicit-def: $vgpr12_vgpr13
	s_and_saveexec_b64 s[2:3], s[0:1]
	s_xor_b64 s[0:1], exec, s[2:3]
	s_cbranch_execz .LBB296_96
; %bb.95:                               ;   in Loop: Header=BB296_4 Depth=1
	v_mul_f64 v[10:11], v[20:21], 0.5
	v_mul_f64 v[12:13], v[18:19], 0.5
	v_cndmask_b32_e64 v11, v21, v11, s[40:41]
	v_cndmask_b32_e64 v10, v20, v10, s[40:41]
	;; [unrolled: 1-line block ×4, first 2 shown]
                                        ; implicit-def: $vgpr20_vgpr21
                                        ; implicit-def: $vgpr18_vgpr19
	s_andn2_saveexec_b64 s[0:1], s[0:1]
	s_cbranch_execnz .LBB296_97
	s_branch .LBB296_98
.LBB296_96:                             ;   in Loop: Header=BB296_4 Depth=1
	s_andn2_saveexec_b64 s[0:1], s[0:1]
.LBB296_97:                             ;   in Loop: Header=BB296_4 Depth=1
	v_add_f64 v[10:11], v[20:21], v[20:21]
	v_add_f64 v[12:13], v[18:19], v[18:19]
.LBB296_98:                             ;   in Loop: Header=BB296_4 Depth=1
	s_or_b64 exec, exec, s[0:1]
.LBB296_99:                             ;   in Loop: Header=BB296_4 Depth=1
	s_andn2_saveexec_b64 s[0:1], s[38:39]
	s_cbranch_execz .LBB296_105
; %bb.100:                              ;   in Loop: Header=BB296_4 Depth=1
	v_cmp_lt_i64_e32 vcc, -1, v[10:11]
	v_add_f64 v[18:19], v[12:13], -v[12:13]
	s_and_saveexec_b64 s[2:3], vcc
	s_xor_b64 s[2:3], exec, s[2:3]
; %bb.101:                              ;   in Loop: Header=BB296_4 Depth=1
	v_bfi_b32 v19, s49, v19, v13
	v_pk_mov_b32 v[12:13], v[18:19], v[18:19] op_sel:[0,1]
                                        ; implicit-def: $vgpr18_vgpr19
; %bb.102:                              ;   in Loop: Header=BB296_4 Depth=1
	s_andn2_saveexec_b64 s[2:3], s[2:3]
; %bb.103:                              ;   in Loop: Header=BB296_4 Depth=1
	v_and_b32_e32 v19, 0x7fffffff, v19
	v_bfi_b32 v11, s49, v11, v13
	v_pk_mov_b32 v[12:13], v[10:11], v[10:11] op_sel:[0,1]
	v_pk_mov_b32 v[10:11], v[18:19], v[18:19] op_sel:[0,1]
; %bb.104:                              ;   in Loop: Header=BB296_4 Depth=1
	s_or_b64 exec, exec, s[2:3]
.LBB296_105:                            ;   in Loop: Header=BB296_4 Depth=1
	s_or_b64 exec, exec, s[0:1]
.LBB296_106:                            ;   in Loop: Header=BB296_4 Depth=1
	s_andn2_saveexec_b64 s[0:1], s[36:37]
; %bb.107:                              ;   in Loop: Header=BB296_4 Depth=1
	v_add_f64 v[12:13], v[12:13], -v[12:13]
	v_div_scale_f64 v[18:19], vcc, v[12:13], v[12:13], v[12:13]
	v_rcp_f64_e32 v[20:21], v[18:19]
	v_fma_f64 v[22:23], -v[18:19], v[20:21], 1.0
	v_fmac_f64_e32 v[20:21], v[20:21], v[22:23]
	v_fma_f64 v[22:23], -v[18:19], v[20:21], 1.0
	v_fmac_f64_e32 v[20:21], v[20:21], v[22:23]
	v_mul_f64 v[22:23], v[18:19], v[20:21]
	v_fma_f64 v[18:19], -v[18:19], v[22:23], v[18:19]
	v_div_fmas_f64 v[18:19], v[18:19], v[20:21], v[22:23]
	v_div_fixup_f64 v[12:13], v[18:19], v[12:13], v[12:13]
; %bb.108:                              ;   in Loop: Header=BB296_4 Depth=1
	s_or_b64 exec, exec, s[0:1]
	v_pk_mov_b32 v[22:23], v[10:11], v[10:11] op_sel:[0,1]
.LBB296_109:                            ;   in Loop: Header=BB296_4 Depth=1
	s_or_b64 exec, exec, s[34:35]
.LBB296_110:                            ;   in Loop: Header=BB296_4 Depth=1
	s_or_b64 exec, exec, s[30:31]
	v_xor_b32_e32 v10, 0x80000000, v23
	v_cmp_gt_f64_e32 vcc, 0, v[22:23]
	v_cndmask_b32_e32 v29, v23, v10, vcc
	v_cndmask_b32_e32 v28, v22, v22, vcc
	v_xor_b32_e32 v10, 0x80000000, v13
	v_cmp_gt_f64_e32 vcc, 0, v[12:13]
	v_cndmask_b32_e32 v11, v13, v10, vcc
	v_cndmask_b32_e32 v10, v12, v12, vcc
	v_cmp_ge_f64_e32 vcc, v[28:29], v[10:11]
                                        ; implicit-def: $vgpr20_vgpr21
	s_and_saveexec_b64 s[0:1], vcc
	s_xor_b64 s[2:3], exec, s[0:1]
	s_cbranch_execz .LBB296_116
; %bb.111:                              ;   in Loop: Header=BB296_4 Depth=1
	v_cmp_neq_f64_e32 vcc, 0, v[22:23]
	v_cmp_neq_f64_e64 s[0:1], 0, v[12:13]
	s_or_b64 s[0:1], vcc, s[0:1]
                                        ; implicit-def: $vgpr20_vgpr21
	s_and_saveexec_b64 s[30:31], s[0:1]
	s_xor_b64 s[0:1], exec, s[30:31]
	s_cbranch_execz .LBB296_113
; %bb.112:                              ;   in Loop: Header=BB296_4 Depth=1
	v_div_scale_f64 v[10:11], s[30:31], v[22:23], v[22:23], v[12:13]
	v_rcp_f64_e32 v[18:19], v[10:11]
	v_div_scale_f64 v[20:21], vcc, v[12:13], v[22:23], v[12:13]
	v_fma_f64 v[28:29], -v[10:11], v[18:19], 1.0
	v_fmac_f64_e32 v[18:19], v[18:19], v[28:29]
	v_fma_f64 v[28:29], -v[10:11], v[18:19], 1.0
	v_fmac_f64_e32 v[18:19], v[18:19], v[28:29]
	v_mul_f64 v[28:29], v[20:21], v[18:19]
	v_fma_f64 v[10:11], -v[10:11], v[28:29], v[20:21]
	v_div_fmas_f64 v[10:11], v[10:11], v[18:19], v[28:29]
	v_div_fixup_f64 v[10:11], v[10:11], v[22:23], v[12:13]
	v_fmac_f64_e32 v[22:23], v[12:13], v[10:11]
	v_div_scale_f64 v[12:13], s[30:31], v[22:23], v[22:23], 1.0
	v_rcp_f64_e32 v[18:19], v[12:13]
	v_fma_f64 v[20:21], -v[12:13], v[18:19], 1.0
	v_fmac_f64_e32 v[18:19], v[18:19], v[20:21]
	v_fma_f64 v[20:21], -v[12:13], v[18:19], 1.0
	v_fmac_f64_e32 v[18:19], v[18:19], v[20:21]
	v_div_scale_f64 v[20:21], vcc, 1.0, v[22:23], 1.0
	v_mul_f64 v[28:29], v[20:21], v[18:19]
	v_fma_f64 v[12:13], -v[12:13], v[28:29], v[20:21]
	s_nop 1
	v_div_fmas_f64 v[12:13], v[12:13], v[18:19], v[28:29]
	v_div_fixup_f64 v[12:13], v[12:13], v[22:23], 1.0
	v_fma_f64 v[18:19], v[10:11], 0, 1.0
	v_add_f64 v[10:11], -v[10:11], 0
	v_mul_f64 v[18:19], v[18:19], v[12:13]
	v_mul_f64 v[20:21], v[10:11], v[12:13]
                                        ; implicit-def: $vgpr28_vgpr29
                                        ; implicit-def: $vgpr10_vgpr11
.LBB296_113:                            ;   in Loop: Header=BB296_4 Depth=1
	s_andn2_saveexec_b64 s[0:1], s[0:1]
	s_cbranch_execz .LBB296_115
; %bb.114:                              ;   in Loop: Header=BB296_4 Depth=1
	v_div_scale_f64 v[12:13], s[30:31], v[28:29], v[28:29], 1.0
	v_rcp_f64_e32 v[18:19], v[12:13]
	v_div_scale_f64 v[20:21], vcc, 1.0, v[28:29], 1.0
	v_fma_f64 v[22:23], -v[12:13], v[18:19], 1.0
	v_fmac_f64_e32 v[18:19], v[18:19], v[22:23]
	v_fma_f64 v[22:23], -v[12:13], v[18:19], 1.0
	v_fmac_f64_e32 v[18:19], v[18:19], v[22:23]
	v_mul_f64 v[22:23], v[20:21], v[18:19]
	v_fma_f64 v[12:13], -v[12:13], v[22:23], v[20:21]
	v_div_scale_f64 v[20:21], s[30:31], v[10:11], v[10:11], 0
	v_rcp_f64_e32 v[32:33], v[20:21]
	v_div_fmas_f64 v[12:13], v[12:13], v[18:19], v[22:23]
	v_div_fixup_f64 v[18:19], v[12:13], v[28:29], 1.0
	v_fma_f64 v[12:13], -v[20:21], v[32:33], 1.0
	v_fmac_f64_e32 v[32:33], v[32:33], v[12:13]
	v_fma_f64 v[12:13], -v[20:21], v[32:33], 1.0
	v_fmac_f64_e32 v[32:33], v[32:33], v[12:13]
	v_div_scale_f64 v[12:13], vcc, 0, v[10:11], 0
	v_mul_f64 v[22:23], v[12:13], v[32:33]
	v_fma_f64 v[12:13], -v[20:21], v[22:23], v[12:13]
	s_nop 1
	v_div_fmas_f64 v[12:13], v[12:13], v[32:33], v[22:23]
	v_div_fixup_f64 v[20:21], v[12:13], v[10:11], 0
.LBB296_115:                            ;   in Loop: Header=BB296_4 Depth=1
	s_or_b64 exec, exec, s[0:1]
                                        ; implicit-def: $vgpr12_vgpr13
                                        ; implicit-def: $vgpr22_vgpr23
.LBB296_116:                            ;   in Loop: Header=BB296_4 Depth=1
	s_andn2_saveexec_b64 s[0:1], s[2:3]
	s_cbranch_execz .LBB296_118
; %bb.117:                              ;   in Loop: Header=BB296_4 Depth=1
	v_div_scale_f64 v[10:11], s[2:3], v[12:13], v[12:13], v[22:23]
	v_rcp_f64_e32 v[18:19], v[10:11]
	v_div_scale_f64 v[20:21], vcc, v[22:23], v[12:13], v[22:23]
	v_fma_f64 v[28:29], -v[10:11], v[18:19], 1.0
	v_fmac_f64_e32 v[18:19], v[18:19], v[28:29]
	v_fma_f64 v[28:29], -v[10:11], v[18:19], 1.0
	v_fmac_f64_e32 v[18:19], v[18:19], v[28:29]
	v_mul_f64 v[28:29], v[20:21], v[18:19]
	v_fma_f64 v[10:11], -v[10:11], v[28:29], v[20:21]
	v_div_fmas_f64 v[10:11], v[10:11], v[18:19], v[28:29]
	v_div_fixup_f64 v[10:11], v[10:11], v[12:13], v[22:23]
	v_fmac_f64_e32 v[12:13], v[22:23], v[10:11]
	v_div_scale_f64 v[18:19], s[2:3], v[12:13], v[12:13], 1.0
	v_rcp_f64_e32 v[20:21], v[18:19]
	v_fma_f64 v[22:23], -v[18:19], v[20:21], 1.0
	v_fmac_f64_e32 v[20:21], v[20:21], v[22:23]
	v_fma_f64 v[22:23], -v[18:19], v[20:21], 1.0
	v_fmac_f64_e32 v[20:21], v[20:21], v[22:23]
	v_div_scale_f64 v[22:23], vcc, 1.0, v[12:13], 1.0
	v_mul_f64 v[28:29], v[22:23], v[20:21]
	v_fma_f64 v[18:19], -v[18:19], v[28:29], v[22:23]
	s_nop 1
	v_div_fmas_f64 v[18:19], v[18:19], v[20:21], v[28:29]
	v_div_fixup_f64 v[12:13], v[18:19], v[12:13], 1.0
	v_add_f64 v[18:19], v[10:11], 0
	v_fma_f64 v[10:11], v[10:11], 0, -1.0
	v_mul_f64 v[18:19], v[18:19], v[12:13]
	v_mul_f64 v[20:21], v[10:11], v[12:13]
.LBB296_118:                            ;   in Loop: Header=BB296_4 Depth=1
	s_or_b64 exec, exec, s[0:1]
	v_cmp_neq_f64_e32 vcc, 0, v[2:3]
	v_cmp_neq_f64_e64 s[0:1], 0, v[4:5]
	s_or_b64 s[0:1], vcc, s[0:1]
	v_pk_mov_b32 v[22:23], 0, 0
	s_and_saveexec_b64 s[30:31], s[0:1]
	s_cbranch_execz .LBB296_148
; %bb.119:                              ;   in Loop: Header=BB296_4 Depth=1
	v_cmp_neq_f64_e64 s[0:1], |v[4:5]|, s[20:21]
	v_pk_mov_b32 v[22:23], s[20:21], s[20:21] op_sel:[0,1]
	s_and_saveexec_b64 s[34:35], s[0:1]
	s_cbranch_execz .LBB296_147
; %bb.120:                              ;   in Loop: Header=BB296_4 Depth=1
	v_cmp_o_f64_e32 vcc, v[2:3], v[2:3]
	s_and_saveexec_b64 s[0:1], vcc
	s_xor_b64 s[36:37], exec, s[0:1]
	s_cbranch_execz .LBB296_144
; %bb.121:                              ;   in Loop: Header=BB296_4 Depth=1
	v_cmp_neq_f64_e64 s[0:1], |v[2:3]|, s[20:21]
	s_and_saveexec_b64 s[2:3], s[0:1]
	s_xor_b64 s[38:39], exec, s[2:3]
	s_cbranch_execz .LBB296_137
; %bb.122:                              ;   in Loop: Header=BB296_4 Depth=1
	v_max_f64 v[10:11], |v[4:5]|, |v[4:5]|
	v_max_f64 v[12:13], |v[2:3]|, |v[2:3]|
	v_max_f64 v[10:11], v[12:13], v[10:11]
	v_cmp_nle_f64_e64 s[0:1], s[22:23], v[10:11]
                                        ; implicit-def: $sgpr40_sgpr41
	s_and_saveexec_b64 s[2:3], s[0:1]
	s_xor_b64 s[2:3], exec, s[2:3]
	s_cbranch_execz .LBB296_126
; %bb.123:                              ;   in Loop: Header=BB296_4 Depth=1
	v_cmp_le_f64_e64 s[40:41], |v[2:3]|, s[24:25]
	v_cmp_le_f64_e64 s[42:43], |v[4:5]|, s[24:25]
	s_and_b64 s[50:51], s[40:41], s[42:43]
	s_mov_b64 s[40:41], 0
	s_and_saveexec_b64 s[42:43], s[50:51]
; %bb.124:                              ;   in Loop: Header=BB296_4 Depth=1
	s_mov_b64 s[40:41], exec
	v_mul_f64 v[2:3], v[2:3], 4.0
	v_mul_f64 v[4:5], v[4:5], 4.0
; %bb.125:                              ;   in Loop: Header=BB296_4 Depth=1
	s_or_b64 exec, exec, s[42:43]
	s_and_b64 s[40:41], s[40:41], exec
.LBB296_126:                            ;   in Loop: Header=BB296_4 Depth=1
	s_andn2_saveexec_b64 s[2:3], s[2:3]
; %bb.127:                              ;   in Loop: Header=BB296_4 Depth=1
	v_ldexp_f64 v[2:3], v[2:3], -2
	v_ldexp_f64 v[4:5], v[4:5], -2
	s_andn2_b64 s[40:41], s[40:41], exec
; %bb.128:                              ;   in Loop: Header=BB296_4 Depth=1
	s_or_b64 exec, exec, s[2:3]
	v_max_f64 v[10:11], |v[4:5]|, |v[4:5]|
	v_max_f64 v[12:13], |v[2:3]|, |v[2:3]|
	v_max_f64 v[10:11], v[12:13], v[10:11]
	v_frexp_exp_i32_f64_e32 v32, v[10:11]
	v_sub_u32_e32 v12, 0, v32
	v_ldexp_f64 v[10:11], |v[2:3]|, v12
	v_ldexp_f64 v[12:13], |v[4:5]|, v12
	v_mul_f64 v[12:13], v[12:13], v[12:13]
	v_fmac_f64_e32 v[12:13], v[10:11], v[10:11]
	v_rsq_f64_e32 v[10:11], v[12:13]
	v_cmp_eq_f64_e64 s[2:3], 0, v[12:13]
	v_cmp_class_f64_e64 s[42:43], v[4:5], s48
	v_cmp_le_f64_e32 vcc, 0, v[2:3]
	v_mul_f64 v[22:23], v[12:13], v[10:11]
	v_mul_f64 v[10:11], v[10:11], 0.5
	v_fma_f64 v[28:29], -v[10:11], v[22:23], 0.5
	v_fmac_f64_e32 v[22:23], v[22:23], v[28:29]
	v_fmac_f64_e32 v[10:11], v[10:11], v[28:29]
	v_fma_f64 v[28:29], -v[22:23], v[22:23], v[12:13]
	v_fmac_f64_e32 v[22:23], v[28:29], v[10:11]
	v_cndmask_b32_e64 v11, v23, v13, s[2:3]
	v_cndmask_b32_e64 v10, v22, v12, s[2:3]
	v_ldexp_f64 v[10:11], v[10:11], v32
	v_cmp_o_f64_e64 s[2:3], v[4:5], v[4:5]
	v_cndmask_b32_e64 v10, 0, v10, s[2:3]
	v_cndmask_b32_e64 v11, v27, v11, s[2:3]
	v_cmp_class_f64_e64 s[2:3], v[2:3], s48
	s_or_b64 s[2:3], s[42:43], s[2:3]
	v_cndmask_b32_e64 v23, v11, v30, s[2:3]
	v_cndmask_b32_e64 v22, v10, 0, s[2:3]
                                        ; implicit-def: $vgpr10_vgpr11
                                        ; implicit-def: $vgpr12_vgpr13
	s_and_saveexec_b64 s[2:3], vcc
	s_xor_b64 s[2:3], exec, s[2:3]
	s_cbranch_execz .LBB296_130
; %bb.129:                              ;   in Loop: Header=BB296_4 Depth=1
	v_add_f64 v[2:3], v[2:3], v[22:23]
	v_mul_f64 v[2:3], v[2:3], 0.5
	v_cmp_gt_f64_e32 vcc, s[26:27], v[2:3]
	v_cndmask_b32_e64 v10, 0, 1, vcc
	v_lshlrev_b32_e32 v10, 8, v10
	v_ldexp_f64 v[2:3], v[2:3], v10
	v_rsq_f64_e32 v[10:11], v[2:3]
	v_mul_f64 v[12:13], v[2:3], v[10:11]
	v_mul_f64 v[10:11], v[10:11], 0.5
	v_fma_f64 v[22:23], -v[10:11], v[12:13], 0.5
	v_fmac_f64_e32 v[12:13], v[12:13], v[22:23]
	v_fmac_f64_e32 v[10:11], v[10:11], v[22:23]
	v_fma_f64 v[22:23], -v[12:13], v[12:13], v[2:3]
	v_fmac_f64_e32 v[12:13], v[22:23], v[10:11]
	v_fma_f64 v[22:23], -v[12:13], v[12:13], v[2:3]
	v_fmac_f64_e32 v[12:13], v[22:23], v[10:11]
	v_cndmask_b32_e32 v10, 0, v31, vcc
	v_ldexp_f64 v[10:11], v[12:13], v10
	v_cmp_class_f64_e32 vcc, v[2:3], v1
	v_cndmask_b32_e32 v13, v11, v3, vcc
	v_cndmask_b32_e32 v12, v10, v2, vcc
	v_add_f64 v[2:3], v[12:13], v[12:13]
	v_div_scale_f64 v[10:11], s[42:43], v[2:3], v[2:3], v[4:5]
	v_rcp_f64_e32 v[22:23], v[10:11]
	v_fma_f64 v[28:29], -v[10:11], v[22:23], 1.0
	v_fmac_f64_e32 v[22:23], v[22:23], v[28:29]
	v_fma_f64 v[28:29], -v[10:11], v[22:23], 1.0
	v_fmac_f64_e32 v[22:23], v[22:23], v[28:29]
	v_div_scale_f64 v[28:29], vcc, v[4:5], v[2:3], v[4:5]
	v_mul_f64 v[32:33], v[28:29], v[22:23]
	v_fma_f64 v[10:11], -v[10:11], v[32:33], v[28:29]
	s_nop 1
	v_div_fmas_f64 v[10:11], v[10:11], v[22:23], v[32:33]
	v_div_fixup_f64 v[10:11], v[10:11], v[2:3], v[4:5]
                                        ; implicit-def: $vgpr22_vgpr23
                                        ; implicit-def: $vgpr2_vgpr3
	s_andn2_saveexec_b64 s[2:3], s[2:3]
	s_cbranch_execz .LBB296_132
	s_branch .LBB296_131
.LBB296_130:                            ;   in Loop: Header=BB296_4 Depth=1
	s_andn2_saveexec_b64 s[2:3], s[2:3]
	s_cbranch_execz .LBB296_132
.LBB296_131:                            ;   in Loop: Header=BB296_4 Depth=1
	v_add_f64 v[2:3], v[22:23], -v[2:3]
	v_mul_f64 v[2:3], v[2:3], 0.5
	v_cmp_gt_f64_e32 vcc, s[26:27], v[2:3]
	v_cndmask_b32_e64 v10, 0, 1, vcc
	v_lshlrev_b32_e32 v10, 8, v10
	v_ldexp_f64 v[2:3], v[2:3], v10
	v_rsq_f64_e32 v[10:11], v[2:3]
	v_mul_f64 v[12:13], v[2:3], v[10:11]
	v_mul_f64 v[10:11], v[10:11], 0.5
	v_fma_f64 v[22:23], -v[10:11], v[12:13], 0.5
	v_fmac_f64_e32 v[12:13], v[12:13], v[22:23]
	v_fmac_f64_e32 v[10:11], v[10:11], v[22:23]
	v_fma_f64 v[22:23], -v[12:13], v[12:13], v[2:3]
	v_fmac_f64_e32 v[12:13], v[22:23], v[10:11]
	v_fma_f64 v[22:23], -v[12:13], v[12:13], v[2:3]
	v_fmac_f64_e32 v[12:13], v[22:23], v[10:11]
	v_cndmask_b32_e32 v10, 0, v31, vcc
	v_ldexp_f64 v[10:11], v[12:13], v10
	v_cmp_class_f64_e32 vcc, v[2:3], v1
	v_cndmask_b32_e32 v11, v11, v3, vcc
	v_cndmask_b32_e32 v10, v10, v2, vcc
	v_add_f64 v[2:3], v[10:11], v[10:11]
	v_and_b32_e32 v13, 0x7fffffff, v5
	v_mov_b32_e32 v12, v4
	v_div_scale_f64 v[22:23], s[42:43], v[2:3], v[2:3], v[12:13]
	v_rcp_f64_e32 v[28:29], v[22:23]
	v_div_scale_f64 v[12:13], vcc, v[12:13], v[2:3], v[12:13]
	v_bfi_b32 v11, s49, v11, v5
	v_fma_f64 v[32:33], -v[22:23], v[28:29], 1.0
	v_fmac_f64_e32 v[28:29], v[28:29], v[32:33]
	v_fma_f64 v[32:33], -v[22:23], v[28:29], 1.0
	v_fmac_f64_e32 v[28:29], v[28:29], v[32:33]
	v_mul_f64 v[32:33], v[12:13], v[28:29]
	v_fma_f64 v[12:13], -v[22:23], v[32:33], v[12:13]
	v_div_fmas_f64 v[12:13], v[12:13], v[28:29], v[32:33]
	v_div_fixup_f64 v[12:13], v[12:13], v[2:3], |v[4:5]|
.LBB296_132:                            ;   in Loop: Header=BB296_4 Depth=1
	s_or_b64 exec, exec, s[2:3]
                                        ; implicit-def: $vgpr4_vgpr5
	s_and_saveexec_b64 s[2:3], s[0:1]
	s_xor_b64 s[0:1], exec, s[2:3]
	s_cbranch_execz .LBB296_134
; %bb.133:                              ;   in Loop: Header=BB296_4 Depth=1
	v_mul_f64 v[2:3], v[12:13], 0.5
	v_mul_f64 v[4:5], v[10:11], 0.5
	v_cndmask_b32_e64 v3, v13, v3, s[40:41]
	v_cndmask_b32_e64 v2, v12, v2, s[40:41]
	;; [unrolled: 1-line block ×4, first 2 shown]
                                        ; implicit-def: $vgpr12_vgpr13
                                        ; implicit-def: $vgpr10_vgpr11
	s_andn2_saveexec_b64 s[0:1], s[0:1]
	s_cbranch_execnz .LBB296_135
	s_branch .LBB296_136
.LBB296_134:                            ;   in Loop: Header=BB296_4 Depth=1
	s_andn2_saveexec_b64 s[0:1], s[0:1]
.LBB296_135:                            ;   in Loop: Header=BB296_4 Depth=1
	v_add_f64 v[2:3], v[12:13], v[12:13]
	v_add_f64 v[4:5], v[10:11], v[10:11]
.LBB296_136:                            ;   in Loop: Header=BB296_4 Depth=1
	s_or_b64 exec, exec, s[0:1]
.LBB296_137:                            ;   in Loop: Header=BB296_4 Depth=1
	s_andn2_saveexec_b64 s[0:1], s[38:39]
	s_cbranch_execz .LBB296_143
; %bb.138:                              ;   in Loop: Header=BB296_4 Depth=1
	v_cmp_lt_i64_e32 vcc, -1, v[2:3]
	v_add_f64 v[10:11], v[4:5], -v[4:5]
	s_and_saveexec_b64 s[2:3], vcc
	s_xor_b64 s[2:3], exec, s[2:3]
; %bb.139:                              ;   in Loop: Header=BB296_4 Depth=1
	v_bfi_b32 v11, s49, v11, v5
	v_pk_mov_b32 v[4:5], v[10:11], v[10:11] op_sel:[0,1]
                                        ; implicit-def: $vgpr10_vgpr11
; %bb.140:                              ;   in Loop: Header=BB296_4 Depth=1
	s_andn2_saveexec_b64 s[2:3], s[2:3]
; %bb.141:                              ;   in Loop: Header=BB296_4 Depth=1
	v_and_b32_e32 v11, 0x7fffffff, v11
	v_bfi_b32 v3, s49, v3, v5
	v_pk_mov_b32 v[4:5], v[2:3], v[2:3] op_sel:[0,1]
	v_pk_mov_b32 v[2:3], v[10:11], v[10:11] op_sel:[0,1]
; %bb.142:                              ;   in Loop: Header=BB296_4 Depth=1
	s_or_b64 exec, exec, s[2:3]
.LBB296_143:                            ;   in Loop: Header=BB296_4 Depth=1
	s_or_b64 exec, exec, s[0:1]
.LBB296_144:                            ;   in Loop: Header=BB296_4 Depth=1
	s_andn2_saveexec_b64 s[0:1], s[36:37]
; %bb.145:                              ;   in Loop: Header=BB296_4 Depth=1
	v_add_f64 v[4:5], v[4:5], -v[4:5]
	v_div_scale_f64 v[10:11], vcc, v[4:5], v[4:5], v[4:5]
	v_rcp_f64_e32 v[12:13], v[10:11]
	v_fma_f64 v[22:23], -v[10:11], v[12:13], 1.0
	v_fmac_f64_e32 v[12:13], v[12:13], v[22:23]
	v_fma_f64 v[22:23], -v[10:11], v[12:13], 1.0
	v_fmac_f64_e32 v[12:13], v[12:13], v[22:23]
	v_mul_f64 v[22:23], v[10:11], v[12:13]
	v_fma_f64 v[10:11], -v[10:11], v[22:23], v[10:11]
	v_div_fmas_f64 v[10:11], v[10:11], v[12:13], v[22:23]
	v_div_fixup_f64 v[4:5], v[10:11], v[4:5], v[4:5]
; %bb.146:                              ;   in Loop: Header=BB296_4 Depth=1
	s_or_b64 exec, exec, s[0:1]
	v_pk_mov_b32 v[22:23], v[2:3], v[2:3] op_sel:[0,1]
.LBB296_147:                            ;   in Loop: Header=BB296_4 Depth=1
	s_or_b64 exec, exec, s[34:35]
.LBB296_148:                            ;   in Loop: Header=BB296_4 Depth=1
	s_or_b64 exec, exec, s[30:31]
	v_xor_b32_e32 v2, 0x80000000, v23
	v_cmp_gt_f64_e32 vcc, 0, v[22:23]
	v_cndmask_b32_e32 v29, v23, v2, vcc
	v_cndmask_b32_e32 v28, v22, v22, vcc
	v_xor_b32_e32 v2, 0x80000000, v5
	v_cmp_gt_f64_e32 vcc, 0, v[4:5]
	v_cndmask_b32_e32 v3, v5, v2, vcc
	v_cndmask_b32_e32 v2, v4, v4, vcc
	v_cmp_ge_f64_e32 vcc, v[28:29], v[2:3]
                                        ; implicit-def: $vgpr12_vgpr13
	s_and_saveexec_b64 s[0:1], vcc
	s_xor_b64 s[2:3], exec, s[0:1]
	s_cbranch_execz .LBB296_154
; %bb.149:                              ;   in Loop: Header=BB296_4 Depth=1
	v_cmp_neq_f64_e32 vcc, 0, v[22:23]
	v_cmp_neq_f64_e64 s[0:1], 0, v[4:5]
	s_or_b64 s[0:1], vcc, s[0:1]
                                        ; implicit-def: $vgpr12_vgpr13
	s_and_saveexec_b64 s[30:31], s[0:1]
	s_xor_b64 s[0:1], exec, s[30:31]
	s_cbranch_execz .LBB296_151
; %bb.150:                              ;   in Loop: Header=BB296_4 Depth=1
	v_div_scale_f64 v[2:3], s[30:31], v[22:23], v[22:23], v[4:5]
	v_rcp_f64_e32 v[10:11], v[2:3]
	v_div_scale_f64 v[12:13], vcc, v[4:5], v[22:23], v[4:5]
	v_fma_f64 v[28:29], -v[2:3], v[10:11], 1.0
	v_fmac_f64_e32 v[10:11], v[10:11], v[28:29]
	v_fma_f64 v[28:29], -v[2:3], v[10:11], 1.0
	v_fmac_f64_e32 v[10:11], v[10:11], v[28:29]
	v_mul_f64 v[28:29], v[12:13], v[10:11]
	v_fma_f64 v[2:3], -v[2:3], v[28:29], v[12:13]
	v_div_fmas_f64 v[2:3], v[2:3], v[10:11], v[28:29]
	v_div_fixup_f64 v[2:3], v[2:3], v[22:23], v[4:5]
	v_fmac_f64_e32 v[22:23], v[4:5], v[2:3]
	v_div_scale_f64 v[4:5], s[30:31], v[22:23], v[22:23], 1.0
	v_rcp_f64_e32 v[10:11], v[4:5]
	v_fma_f64 v[12:13], -v[4:5], v[10:11], 1.0
	v_fmac_f64_e32 v[10:11], v[10:11], v[12:13]
	v_fma_f64 v[12:13], -v[4:5], v[10:11], 1.0
	v_fmac_f64_e32 v[10:11], v[10:11], v[12:13]
	v_div_scale_f64 v[12:13], vcc, 1.0, v[22:23], 1.0
	v_mul_f64 v[28:29], v[12:13], v[10:11]
	v_fma_f64 v[4:5], -v[4:5], v[28:29], v[12:13]
	s_nop 1
	v_div_fmas_f64 v[4:5], v[4:5], v[10:11], v[28:29]
	v_div_fixup_f64 v[4:5], v[4:5], v[22:23], 1.0
	v_fma_f64 v[10:11], v[2:3], 0, 1.0
	v_add_f64 v[2:3], -v[2:3], 0
	v_mul_f64 v[10:11], v[10:11], v[4:5]
	v_mul_f64 v[12:13], v[2:3], v[4:5]
                                        ; implicit-def: $vgpr28_vgpr29
                                        ; implicit-def: $vgpr2_vgpr3
.LBB296_151:                            ;   in Loop: Header=BB296_4 Depth=1
	s_andn2_saveexec_b64 s[0:1], s[0:1]
	s_cbranch_execz .LBB296_153
; %bb.152:                              ;   in Loop: Header=BB296_4 Depth=1
	v_div_scale_f64 v[4:5], s[30:31], v[28:29], v[28:29], 1.0
	v_rcp_f64_e32 v[10:11], v[4:5]
	v_div_scale_f64 v[12:13], vcc, 1.0, v[28:29], 1.0
	v_fma_f64 v[22:23], -v[4:5], v[10:11], 1.0
	v_fmac_f64_e32 v[10:11], v[10:11], v[22:23]
	v_fma_f64 v[22:23], -v[4:5], v[10:11], 1.0
	v_fmac_f64_e32 v[10:11], v[10:11], v[22:23]
	v_mul_f64 v[22:23], v[12:13], v[10:11]
	v_fma_f64 v[4:5], -v[4:5], v[22:23], v[12:13]
	v_div_scale_f64 v[12:13], s[30:31], v[2:3], v[2:3], 0
	v_rcp_f64_e32 v[32:33], v[12:13]
	v_div_fmas_f64 v[4:5], v[4:5], v[10:11], v[22:23]
	v_div_fixup_f64 v[10:11], v[4:5], v[28:29], 1.0
	v_fma_f64 v[4:5], -v[12:13], v[32:33], 1.0
	v_fmac_f64_e32 v[32:33], v[32:33], v[4:5]
	v_fma_f64 v[4:5], -v[12:13], v[32:33], 1.0
	v_fmac_f64_e32 v[32:33], v[32:33], v[4:5]
	v_div_scale_f64 v[4:5], vcc, 0, v[2:3], 0
	v_mul_f64 v[22:23], v[4:5], v[32:33]
	v_fma_f64 v[4:5], -v[12:13], v[22:23], v[4:5]
	s_nop 1
	v_div_fmas_f64 v[4:5], v[4:5], v[32:33], v[22:23]
	v_div_fixup_f64 v[12:13], v[4:5], v[2:3], 0
.LBB296_153:                            ;   in Loop: Header=BB296_4 Depth=1
	s_or_b64 exec, exec, s[0:1]
                                        ; implicit-def: $vgpr4_vgpr5
                                        ; implicit-def: $vgpr22_vgpr23
.LBB296_154:                            ;   in Loop: Header=BB296_4 Depth=1
	s_andn2_saveexec_b64 s[0:1], s[2:3]
	s_cbranch_execz .LBB296_3
; %bb.155:                              ;   in Loop: Header=BB296_4 Depth=1
	v_div_scale_f64 v[2:3], s[2:3], v[4:5], v[4:5], v[22:23]
	v_rcp_f64_e32 v[10:11], v[2:3]
	v_div_scale_f64 v[12:13], vcc, v[22:23], v[4:5], v[22:23]
	v_fma_f64 v[28:29], -v[2:3], v[10:11], 1.0
	v_fmac_f64_e32 v[10:11], v[10:11], v[28:29]
	v_fma_f64 v[28:29], -v[2:3], v[10:11], 1.0
	v_fmac_f64_e32 v[10:11], v[10:11], v[28:29]
	v_mul_f64 v[28:29], v[12:13], v[10:11]
	v_fma_f64 v[2:3], -v[2:3], v[28:29], v[12:13]
	v_div_fmas_f64 v[2:3], v[2:3], v[10:11], v[28:29]
	v_div_fixup_f64 v[2:3], v[2:3], v[4:5], v[22:23]
	v_fmac_f64_e32 v[4:5], v[22:23], v[2:3]
	v_div_scale_f64 v[10:11], s[2:3], v[4:5], v[4:5], 1.0
	v_rcp_f64_e32 v[12:13], v[10:11]
	v_fma_f64 v[22:23], -v[10:11], v[12:13], 1.0
	v_fmac_f64_e32 v[12:13], v[12:13], v[22:23]
	v_fma_f64 v[22:23], -v[10:11], v[12:13], 1.0
	v_fmac_f64_e32 v[12:13], v[12:13], v[22:23]
	v_div_scale_f64 v[22:23], vcc, 1.0, v[4:5], 1.0
	v_mul_f64 v[28:29], v[22:23], v[12:13]
	v_fma_f64 v[10:11], -v[10:11], v[28:29], v[22:23]
	s_nop 1
	v_div_fmas_f64 v[10:11], v[10:11], v[12:13], v[28:29]
	v_div_fixup_f64 v[4:5], v[10:11], v[4:5], 1.0
	v_add_f64 v[10:11], v[2:3], 0
	v_fma_f64 v[2:3], v[2:3], 0, -1.0
	v_mul_f64 v[10:11], v[10:11], v[4:5]
	v_mul_f64 v[12:13], v[2:3], v[4:5]
	s_branch .LBB296_3
.LBB296_156:
	s_or_b64 exec, exec, s[16:17]
	s_mov_b64 s[0:1], 0
.LBB296_157:
	s_andn2_b64 vcc, exec, s[0:1]
	s_cbranch_vccnz .LBB296_329
; %bb.158:
	v_cmp_lt_i64_e64 s[0:1], s[14:15], 1
	s_and_b64 vcc, exec, s[0:1]
	s_cbranch_vccnz .LBB296_329
; %bb.159:
	s_load_dword s0, s[4:5], 0xc5c
	v_mov_b32_e32 v2, 0x10000
	v_mov_b32_e32 v3, 0
	v_cmp_lt_u64_e32 vcc, s[14:15], v[2:3]
	v_lshl_or_b32 v2, v0, 4, 8
	s_waitcnt lgkmcnt(0)
	s_and_b32 s44, s0, 0xffff
	s_and_b64 s[0:1], vcc, exec
	v_mov_b32_e32 v6, s9
	v_add_co_u32_e32 v24, vcc, s8, v2
	v_addc_co_u32_e32 v25, vcc, 0, v6, vcc
	v_mov_b32_e32 v7, s7
	v_add_co_u32_e32 v26, vcc, s6, v2
	v_mov_b32_e32 v1, 0
	v_addc_co_u32_e32 v27, vcc, 0, v7, vcc
	v_add_lshl_u32 v8, v0, s44, 4
	v_mov_b32_e32 v3, v1
	v_add_co_u32_e32 v28, vcc, s6, v8
	v_addc_co_u32_e32 v29, vcc, 0, v7, vcc
	v_mad_u64_u32 v[4:5], s[0:1], s44, 48, v[2:3]
	v_add_co_u32_e32 v30, vcc, s8, v4
	v_addc_co_u32_e32 v31, vcc, v6, v5, vcc
	v_add_co_u32_e32 v32, vcc, s8, v8
	v_addc_co_u32_e32 v33, vcc, 0, v6, vcc
	v_add_co_u32_e32 v34, vcc, s6, v4
	s_cselect_b32 s17, s15, 0
	s_cselect_b32 s16, s14, 0x10000
	v_addc_co_u32_e32 v35, vcc, v7, v5, vcc
	s_lshl_b32 s0, s44, 5
	v_add_co_u32_e32 v2, vcc, s0, v2
	v_addc_co_u32_e64 v3, s[0:1], 0, 0, vcc
	v_add_co_u32_e32 v36, vcc, s8, v2
	s_mov_b32 s33, 0
	v_addc_co_u32_e32 v37, vcc, v6, v3, vcc
	s_lshl_b32 s18, s44, 2
	s_mov_b32 s19, s33
	v_add_co_u32_e32 v38, vcc, s6, v2
	s_mov_b32 s20, 0
	s_mov_b32 s22, 0x99fcef32
	;; [unrolled: 1-line block ×4, first 2 shown]
	s_lshl_b32 s45, s44, 1
	s_mov_b32 s46, s33
	s_mul_i32 s47, s44, 3
	s_mov_b32 s48, s33
	s_lshl_b32 s49, s44, 6
	s_mov_b32 s50, s33
	v_addc_co_u32_e32 v39, vcc, v7, v3, vcc
	s_mov_b32 s21, 0x7ff00000
	s_mov_b32 s23, 0x7fda8279
	;; [unrolled: 1-line block ×3, first 2 shown]
	s_movk_i32 s51, 0x204
	s_brev_b32 s27, 8
	v_mov_b32_e32 v42, 0x260
	s_brev_b32 s52, -2
	v_mov_b32_e32 v43, 0x7ff80000
	v_mov_b32_e32 v44, 0x7ff00000
	;; [unrolled: 1-line block ×3, first 2 shown]
	s_mov_b64 s[28:29], s[18:19]
	s_branch .LBB296_161
.LBB296_160:                            ;   in Loop: Header=BB296_161 Depth=1
	s_or_b64 exec, exec, s[0:1]
	v_pk_mov_b32 v[2:3], s[14:15], s[14:15] op_sel:[0,1]
	v_cmp_ge_i64_e32 vcc, s[28:29], v[2:3]
	v_mov_b32_e32 v2, 0xffff
	v_mov_b32_e32 v3, 0
	v_cmp_gt_u64_e64 s[0:1], s[28:29], v[2:3]
	s_or_b64 s[0:1], vcc, s[0:1]
	v_mov_b32_e32 v2, s19
	v_add_co_u32_e32 v0, vcc, s18, v0
	v_addc_co_u32_e32 v1, vcc, v1, v2, vcc
	v_mov_b32_e32 v2, s50
	v_add_co_u32_e32 v24, vcc, s49, v24
	v_addc_co_u32_e32 v25, vcc, v25, v2, vcc
	v_add_co_u32_e32 v26, vcc, s49, v26
	v_addc_co_u32_e32 v27, vcc, v27, v2, vcc
	;; [unrolled: 2-line block ×7, first 2 shown]
	v_add_co_u32_e32 v38, vcc, s49, v38
	s_add_u32 s28, s28, s18
	v_addc_co_u32_e32 v39, vcc, v39, v2, vcc
	s_addc_u32 s29, s29, 0
	s_and_b64 vcc, exec, s[0:1]
	s_cbranch_vccnz .LBB296_329
.LBB296_161:                            ; =>This Inner Loop Header: Depth=1
	v_pk_mov_b32 v[18:19], 0, 0
	v_cmp_gt_u64_e64 s[0:1], s[16:17], v[0:1]
	v_pk_mov_b32 v[22:23], v[18:19], v[18:19] op_sel:[0,1]
	v_pk_mov_b32 v[20:21], v[18:19], v[18:19] op_sel:[0,1]
	s_and_saveexec_b64 s[2:3], s[0:1]
	s_cbranch_execz .LBB296_163
; %bb.162:                              ;   in Loop: Header=BB296_161 Depth=1
	v_mov_b32_e32 v3, s13
	v_add_co_u32_e32 v2, vcc, s12, v24
	v_addc_co_u32_e32 v3, vcc, v25, v3, vcc
	global_load_dwordx4 v[20:23], v[2:3], off offset:-8
.LBB296_163:                            ;   in Loop: Header=BB296_161 Depth=1
	s_or_b64 exec, exec, s[2:3]
	v_mov_b32_e32 v3, s33
	v_add_co_u32_e32 v2, vcc, s44, v0
	v_addc_co_u32_e32 v3, vcc, v3, v1, vcc
	v_cmp_gt_u64_e64 s[2:3], s[16:17], v[2:3]
	v_pk_mov_b32 v[16:17], v[18:19], v[18:19] op_sel:[0,1]
	s_and_saveexec_b64 s[4:5], s[2:3]
	s_cbranch_execz .LBB296_165
; %bb.164:                              ;   in Loop: Header=BB296_161 Depth=1
	v_mov_b32_e32 v3, s13
	v_add_co_u32_e32 v2, vcc, s12, v32
	v_addc_co_u32_e32 v3, vcc, v33, v3, vcc
	global_load_dwordx4 v[16:19], v[2:3], off
.LBB296_165:                            ;   in Loop: Header=BB296_161 Depth=1
	s_or_b64 exec, exec, s[4:5]
	v_mov_b32_e32 v3, s46
	v_add_co_u32_e32 v2, vcc, s45, v0
	v_addc_co_u32_e32 v3, vcc, v3, v1, vcc
	v_pk_mov_b32 v[4:5], 0, 0
	v_cmp_gt_u64_e64 s[4:5], s[16:17], v[2:3]
	v_pk_mov_b32 v[12:13], v[4:5], v[4:5] op_sel:[0,1]
	v_pk_mov_b32 v[10:11], v[4:5], v[4:5] op_sel:[0,1]
	s_and_saveexec_b64 s[6:7], s[4:5]
	s_cbranch_execz .LBB296_167
; %bb.166:                              ;   in Loop: Header=BB296_161 Depth=1
	v_mov_b32_e32 v3, s13
	v_add_co_u32_e32 v2, vcc, s12, v36
	v_addc_co_u32_e32 v3, vcc, v37, v3, vcc
	global_load_dwordx4 v[10:13], v[2:3], off offset:-8
.LBB296_167:                            ;   in Loop: Header=BB296_161 Depth=1
	s_or_b64 exec, exec, s[6:7]
	v_mov_b32_e32 v3, s48
	v_add_co_u32_e32 v2, vcc, s47, v0
	v_addc_co_u32_e32 v3, vcc, v3, v1, vcc
	v_cmp_gt_u64_e64 s[6:7], s[16:17], v[2:3]
	v_pk_mov_b32 v[2:3], v[4:5], v[4:5] op_sel:[0,1]
	s_and_saveexec_b64 s[8:9], s[6:7]
	s_cbranch_execz .LBB296_169
; %bb.168:                              ;   in Loop: Header=BB296_161 Depth=1
	v_mov_b32_e32 v3, s13
	v_add_co_u32_e32 v2, vcc, s12, v30
	v_addc_co_u32_e32 v3, vcc, v31, v3, vcc
	global_load_dwordx4 v[2:5], v[2:3], off offset:-8
.LBB296_169:                            ;   in Loop: Header=BB296_161 Depth=1
	s_or_b64 exec, exec, s[8:9]
	s_waitcnt vmcnt(0)
	v_cmp_neq_f64_e32 vcc, 0, v[20:21]
	v_cmp_neq_f64_e64 s[8:9], 0, v[22:23]
	s_or_b64 s[8:9], vcc, s[8:9]
	v_pk_mov_b32 v[14:15], 0, 0
	s_and_saveexec_b64 s[30:31], s[8:9]
	s_cbranch_execz .LBB296_198
; %bb.170:                              ;   in Loop: Header=BB296_161 Depth=1
	v_cmp_neq_f64_e64 s[8:9], |v[22:23]|, s[20:21]
	v_pk_mov_b32 v[14:15], s[20:21], s[20:21] op_sel:[0,1]
	s_and_saveexec_b64 s[34:35], s[8:9]
	s_cbranch_execz .LBB296_197
; %bb.171:                              ;   in Loop: Header=BB296_161 Depth=1
	v_cmp_o_f64_e32 vcc, v[20:21], v[20:21]
	s_and_saveexec_b64 s[8:9], vcc
	s_xor_b64 s[36:37], exec, s[8:9]
	s_cbranch_execz .LBB296_194
; %bb.172:                              ;   in Loop: Header=BB296_161 Depth=1
	v_cmp_neq_f64_e64 s[8:9], |v[20:21]|, s[20:21]
	s_and_saveexec_b64 s[10:11], s[8:9]
	s_xor_b64 s[38:39], exec, s[10:11]
	s_cbranch_execz .LBB296_188
; %bb.173:                              ;   in Loop: Header=BB296_161 Depth=1
	v_max_f64 v[6:7], |v[20:21]|, |v[20:21]|
	v_max_f64 v[8:9], |v[22:23]|, |v[22:23]|
	v_max_f64 v[6:7], v[8:9], v[6:7]
	v_cmp_nle_f64_e64 s[8:9], s[22:23], v[6:7]
                                        ; implicit-def: $sgpr40_sgpr41
	s_and_saveexec_b64 s[10:11], s[8:9]
	s_xor_b64 s[10:11], exec, s[10:11]
	s_cbranch_execz .LBB296_177
; %bb.174:                              ;   in Loop: Header=BB296_161 Depth=1
	v_cmp_le_f64_e64 s[40:41], |v[20:21]|, s[24:25]
	v_cmp_le_f64_e64 s[42:43], |v[22:23]|, s[24:25]
	s_and_b64 s[54:55], s[42:43], s[40:41]
	s_mov_b64 s[40:41], 0
	s_and_saveexec_b64 s[42:43], s[54:55]
; %bb.175:                              ;   in Loop: Header=BB296_161 Depth=1
	s_mov_b64 s[40:41], exec
	v_mul_f64 v[20:21], v[20:21], 4.0
	v_mul_f64 v[22:23], v[22:23], 4.0
; %bb.176:                              ;   in Loop: Header=BB296_161 Depth=1
	s_or_b64 exec, exec, s[42:43]
	s_and_b64 s[40:41], s[40:41], exec
.LBB296_177:                            ;   in Loop: Header=BB296_161 Depth=1
	s_andn2_saveexec_b64 s[10:11], s[10:11]
; %bb.178:                              ;   in Loop: Header=BB296_161 Depth=1
	v_ldexp_f64 v[20:21], v[20:21], -2
	v_ldexp_f64 v[22:23], v[22:23], -2
	s_andn2_b64 s[40:41], s[40:41], exec
; %bb.179:                              ;   in Loop: Header=BB296_161 Depth=1
	s_or_b64 exec, exec, s[10:11]
	v_max_f64 v[6:7], |v[22:23]|, |v[22:23]|
	v_max_f64 v[8:9], |v[20:21]|, |v[20:21]|
	v_max_f64 v[6:7], v[8:9], v[6:7]
	v_frexp_exp_i32_f64_e32 v46, v[6:7]
	v_sub_u32_e32 v8, 0, v46
	v_ldexp_f64 v[6:7], |v[20:21]|, v8
	v_ldexp_f64 v[8:9], |v[22:23]|, v8
	v_mul_f64 v[8:9], v[8:9], v[8:9]
	v_fmac_f64_e32 v[8:9], v[6:7], v[6:7]
	v_rsq_f64_e32 v[6:7], v[8:9]
	v_cmp_eq_f64_e64 s[10:11], 0, v[8:9]
	v_cmp_class_f64_e64 s[42:43], v[22:23], s51
	v_cmp_le_f64_e32 vcc, 0, v[20:21]
	v_mul_f64 v[14:15], v[8:9], v[6:7]
	v_mul_f64 v[6:7], v[6:7], 0.5
	v_fma_f64 v[40:41], -v[6:7], v[14:15], 0.5
	v_fmac_f64_e32 v[14:15], v[14:15], v[40:41]
	v_fmac_f64_e32 v[6:7], v[6:7], v[40:41]
	v_fma_f64 v[40:41], -v[14:15], v[14:15], v[8:9]
	v_fmac_f64_e32 v[14:15], v[40:41], v[6:7]
	v_cndmask_b32_e64 v7, v15, v9, s[10:11]
	v_cndmask_b32_e64 v6, v14, v8, s[10:11]
	v_ldexp_f64 v[6:7], v[6:7], v46
	v_cmp_o_f64_e64 s[10:11], v[22:23], v[22:23]
	v_cndmask_b32_e64 v6, 0, v6, s[10:11]
	v_cndmask_b32_e64 v7, v43, v7, s[10:11]
	v_cmp_class_f64_e64 s[10:11], v[20:21], s51
	s_or_b64 s[10:11], s[42:43], s[10:11]
	v_cndmask_b32_e64 v15, v7, v44, s[10:11]
	v_cndmask_b32_e64 v14, v6, 0, s[10:11]
                                        ; implicit-def: $vgpr6_vgpr7
                                        ; implicit-def: $vgpr8_vgpr9
	s_and_saveexec_b64 s[10:11], vcc
	s_xor_b64 s[10:11], exec, s[10:11]
	s_cbranch_execz .LBB296_181
; %bb.180:                              ;   in Loop: Header=BB296_161 Depth=1
	v_add_f64 v[6:7], v[20:21], v[14:15]
	v_mul_f64 v[6:7], v[6:7], 0.5
	v_cmp_gt_f64_e32 vcc, s[26:27], v[6:7]
	v_cndmask_b32_e64 v8, 0, 1, vcc
	v_lshlrev_b32_e32 v8, 8, v8
	v_ldexp_f64 v[6:7], v[6:7], v8
	v_rsq_f64_e32 v[8:9], v[6:7]
	v_mul_f64 v[14:15], v[6:7], v[8:9]
	v_mul_f64 v[8:9], v[8:9], 0.5
	v_fma_f64 v[20:21], -v[8:9], v[14:15], 0.5
	v_fmac_f64_e32 v[14:15], v[14:15], v[20:21]
	v_fmac_f64_e32 v[8:9], v[8:9], v[20:21]
	v_fma_f64 v[20:21], -v[14:15], v[14:15], v[6:7]
	v_fmac_f64_e32 v[14:15], v[20:21], v[8:9]
	v_fma_f64 v[20:21], -v[14:15], v[14:15], v[6:7]
	v_fmac_f64_e32 v[14:15], v[20:21], v[8:9]
	v_cndmask_b32_e32 v8, 0, v45, vcc
	v_ldexp_f64 v[8:9], v[14:15], v8
	v_cmp_class_f64_e32 vcc, v[6:7], v42
	v_cndmask_b32_e32 v9, v9, v7, vcc
	v_cndmask_b32_e32 v8, v8, v6, vcc
	v_add_f64 v[6:7], v[8:9], v[8:9]
	v_div_scale_f64 v[14:15], s[42:43], v[6:7], v[6:7], v[22:23]
	v_rcp_f64_e32 v[20:21], v[14:15]
	v_fma_f64 v[40:41], -v[14:15], v[20:21], 1.0
	v_fmac_f64_e32 v[20:21], v[20:21], v[40:41]
	v_fma_f64 v[40:41], -v[14:15], v[20:21], 1.0
	v_fmac_f64_e32 v[20:21], v[20:21], v[40:41]
	v_div_scale_f64 v[40:41], vcc, v[22:23], v[6:7], v[22:23]
	v_mul_f64 v[46:47], v[40:41], v[20:21]
	v_fma_f64 v[14:15], -v[14:15], v[46:47], v[40:41]
	s_nop 1
	v_div_fmas_f64 v[14:15], v[14:15], v[20:21], v[46:47]
	v_div_fixup_f64 v[6:7], v[14:15], v[6:7], v[22:23]
                                        ; implicit-def: $vgpr14_vgpr15
                                        ; implicit-def: $vgpr20_vgpr21
	s_andn2_saveexec_b64 s[10:11], s[10:11]
	s_cbranch_execz .LBB296_183
	s_branch .LBB296_182
.LBB296_181:                            ;   in Loop: Header=BB296_161 Depth=1
	s_andn2_saveexec_b64 s[10:11], s[10:11]
	s_cbranch_execz .LBB296_183
.LBB296_182:                            ;   in Loop: Header=BB296_161 Depth=1
	v_add_f64 v[6:7], v[14:15], -v[20:21]
	v_mul_f64 v[6:7], v[6:7], 0.5
	v_cmp_gt_f64_e32 vcc, s[26:27], v[6:7]
	v_cndmask_b32_e64 v8, 0, 1, vcc
	v_lshlrev_b32_e32 v8, 8, v8
	v_ldexp_f64 v[6:7], v[6:7], v8
	v_rsq_f64_e32 v[8:9], v[6:7]
	v_mul_f64 v[14:15], v[6:7], v[8:9]
	v_mul_f64 v[8:9], v[8:9], 0.5
	v_fma_f64 v[20:21], -v[8:9], v[14:15], 0.5
	v_fmac_f64_e32 v[14:15], v[14:15], v[20:21]
	v_fmac_f64_e32 v[8:9], v[8:9], v[20:21]
	v_fma_f64 v[20:21], -v[14:15], v[14:15], v[6:7]
	v_fmac_f64_e32 v[14:15], v[20:21], v[8:9]
	v_fma_f64 v[20:21], -v[14:15], v[14:15], v[6:7]
	v_fmac_f64_e32 v[14:15], v[20:21], v[8:9]
	v_cndmask_b32_e32 v8, 0, v45, vcc
	v_ldexp_f64 v[8:9], v[14:15], v8
	v_cmp_class_f64_e32 vcc, v[6:7], v42
	v_cndmask_b32_e32 v7, v9, v7, vcc
	v_cndmask_b32_e32 v6, v8, v6, vcc
	v_add_f64 v[8:9], v[6:7], v[6:7]
	v_and_b32_e32 v15, 0x7fffffff, v23
	v_mov_b32_e32 v14, v22
	v_div_scale_f64 v[20:21], s[42:43], v[8:9], v[8:9], v[14:15]
	v_rcp_f64_e32 v[40:41], v[20:21]
	v_div_scale_f64 v[14:15], vcc, v[14:15], v[8:9], v[14:15]
	v_bfi_b32 v7, s52, v7, v23
	v_fma_f64 v[46:47], -v[20:21], v[40:41], 1.0
	v_fmac_f64_e32 v[40:41], v[40:41], v[46:47]
	v_fma_f64 v[46:47], -v[20:21], v[40:41], 1.0
	v_fmac_f64_e32 v[40:41], v[40:41], v[46:47]
	v_mul_f64 v[46:47], v[14:15], v[40:41]
	v_fma_f64 v[14:15], -v[20:21], v[46:47], v[14:15]
	v_div_fmas_f64 v[14:15], v[14:15], v[40:41], v[46:47]
	v_div_fixup_f64 v[8:9], v[14:15], v[8:9], |v[22:23]|
.LBB296_183:                            ;   in Loop: Header=BB296_161 Depth=1
	s_or_b64 exec, exec, s[10:11]
                                        ; implicit-def: $vgpr22_vgpr23
	s_and_saveexec_b64 s[10:11], s[8:9]
	s_xor_b64 s[8:9], exec, s[10:11]
	s_cbranch_execz .LBB296_185
; %bb.184:                              ;   in Loop: Header=BB296_161 Depth=1
	v_mul_f64 v[14:15], v[8:9], 0.5
	v_mul_f64 v[22:23], v[6:7], 0.5
	v_cndmask_b32_e64 v21, v9, v15, s[40:41]
	v_cndmask_b32_e64 v20, v8, v14, s[40:41]
	;; [unrolled: 1-line block ×4, first 2 shown]
                                        ; implicit-def: $vgpr8_vgpr9
                                        ; implicit-def: $vgpr6_vgpr7
	s_andn2_saveexec_b64 s[8:9], s[8:9]
	s_cbranch_execnz .LBB296_186
	s_branch .LBB296_187
.LBB296_185:                            ;   in Loop: Header=BB296_161 Depth=1
	s_andn2_saveexec_b64 s[8:9], s[8:9]
.LBB296_186:                            ;   in Loop: Header=BB296_161 Depth=1
	v_add_f64 v[20:21], v[8:9], v[8:9]
	v_add_f64 v[22:23], v[6:7], v[6:7]
.LBB296_187:                            ;   in Loop: Header=BB296_161 Depth=1
	s_or_b64 exec, exec, s[8:9]
.LBB296_188:                            ;   in Loop: Header=BB296_161 Depth=1
	s_andn2_saveexec_b64 s[8:9], s[38:39]
	s_cbranch_execz .LBB296_218
; %bb.189:                              ;   in Loop: Header=BB296_161 Depth=1
	v_cmp_lt_i64_e32 vcc, -1, v[20:21]
	v_add_f64 v[6:7], v[22:23], -v[22:23]
	s_and_saveexec_b64 s[10:11], vcc
	s_xor_b64 s[10:11], exec, s[10:11]
; %bb.190:                              ;   in Loop: Header=BB296_161 Depth=1
	v_bfi_b32 v7, s52, v7, v23
	v_pk_mov_b32 v[22:23], v[6:7], v[6:7] op_sel:[0,1]
                                        ; implicit-def: $vgpr6_vgpr7
; %bb.191:                              ;   in Loop: Header=BB296_161 Depth=1
	s_andn2_saveexec_b64 s[10:11], s[10:11]
; %bb.192:                              ;   in Loop: Header=BB296_161 Depth=1
	v_and_b32_e32 v7, 0x7fffffff, v7
	v_bfi_b32 v21, s52, v21, v23
	v_pk_mov_b32 v[22:23], v[20:21], v[20:21] op_sel:[0,1]
	v_pk_mov_b32 v[20:21], v[6:7], v[6:7] op_sel:[0,1]
; %bb.193:                              ;   in Loop: Header=BB296_161 Depth=1
	s_or_b64 exec, exec, s[10:11]
	s_or_b64 exec, exec, s[8:9]
.LBB296_194:                            ;   in Loop: Header=BB296_161 Depth=1
	s_andn2_saveexec_b64 s[8:9], s[36:37]
.LBB296_195:                            ;   in Loop: Header=BB296_161 Depth=1
	v_add_f64 v[6:7], v[22:23], -v[22:23]
	v_div_scale_f64 v[8:9], vcc, v[6:7], v[6:7], v[6:7]
	v_rcp_f64_e32 v[14:15], v[8:9]
	v_fma_f64 v[22:23], -v[8:9], v[14:15], 1.0
	v_fmac_f64_e32 v[14:15], v[14:15], v[22:23]
	v_fma_f64 v[22:23], -v[8:9], v[14:15], 1.0
	v_fmac_f64_e32 v[14:15], v[14:15], v[22:23]
	v_mul_f64 v[22:23], v[8:9], v[14:15]
	v_fma_f64 v[8:9], -v[8:9], v[22:23], v[8:9]
	v_div_fmas_f64 v[8:9], v[8:9], v[14:15], v[22:23]
	v_div_fixup_f64 v[22:23], v[8:9], v[6:7], v[6:7]
.LBB296_196:                            ;   in Loop: Header=BB296_161 Depth=1
	s_or_b64 exec, exec, s[8:9]
	v_pk_mov_b32 v[14:15], v[20:21], v[20:21] op_sel:[0,1]
.LBB296_197:                            ;   in Loop: Header=BB296_161 Depth=1
	s_or_b64 exec, exec, s[34:35]
.LBB296_198:                            ;   in Loop: Header=BB296_161 Depth=1
	s_or_b64 exec, exec, s[30:31]
	v_xor_b32_e32 v6, 0x80000000, v15
	v_cmp_gt_f64_e32 vcc, 0, v[14:15]
	v_cndmask_b32_e32 v41, v15, v6, vcc
	v_cndmask_b32_e32 v40, v14, v14, vcc
	v_xor_b32_e32 v6, 0x80000000, v23
	v_cmp_gt_f64_e32 vcc, 0, v[22:23]
	v_cndmask_b32_e32 v21, v23, v6, vcc
	v_cndmask_b32_e32 v20, v22, v22, vcc
	v_cmp_ge_f64_e32 vcc, v[40:41], v[20:21]
                                        ; implicit-def: $vgpr8_vgpr9
	s_and_saveexec_b64 s[8:9], vcc
	s_xor_b64 s[10:11], exec, s[8:9]
	s_cbranch_execz .LBB296_204
; %bb.199:                              ;   in Loop: Header=BB296_161 Depth=1
	v_cmp_neq_f64_e32 vcc, 0, v[14:15]
	v_cmp_neq_f64_e64 s[8:9], 0, v[22:23]
	s_or_b64 s[8:9], vcc, s[8:9]
                                        ; implicit-def: $vgpr8_vgpr9
	s_and_saveexec_b64 s[30:31], s[8:9]
	s_xor_b64 s[8:9], exec, s[30:31]
	s_cbranch_execz .LBB296_201
; %bb.200:                              ;   in Loop: Header=BB296_161 Depth=1
	v_div_scale_f64 v[6:7], s[30:31], v[14:15], v[14:15], v[22:23]
	v_rcp_f64_e32 v[8:9], v[6:7]
	v_div_scale_f64 v[20:21], vcc, v[22:23], v[14:15], v[22:23]
	v_fma_f64 v[40:41], -v[6:7], v[8:9], 1.0
	v_fmac_f64_e32 v[8:9], v[8:9], v[40:41]
	v_fma_f64 v[40:41], -v[6:7], v[8:9], 1.0
	v_fmac_f64_e32 v[8:9], v[8:9], v[40:41]
	v_mul_f64 v[40:41], v[20:21], v[8:9]
	v_fma_f64 v[6:7], -v[6:7], v[40:41], v[20:21]
	v_div_fmas_f64 v[6:7], v[6:7], v[8:9], v[40:41]
	v_div_fixup_f64 v[8:9], v[6:7], v[14:15], v[22:23]
	v_fmac_f64_e32 v[14:15], v[22:23], v[8:9]
	v_div_scale_f64 v[6:7], s[30:31], v[14:15], v[14:15], 1.0
	v_rcp_f64_e32 v[20:21], v[6:7]
	v_fma_f64 v[22:23], -v[6:7], v[20:21], 1.0
	v_fmac_f64_e32 v[20:21], v[20:21], v[22:23]
	v_fma_f64 v[22:23], -v[6:7], v[20:21], 1.0
	v_fmac_f64_e32 v[20:21], v[20:21], v[22:23]
	v_div_scale_f64 v[22:23], vcc, 1.0, v[14:15], 1.0
	v_mul_f64 v[40:41], v[22:23], v[20:21]
	v_fma_f64 v[6:7], -v[6:7], v[40:41], v[22:23]
	s_nop 1
	v_div_fmas_f64 v[6:7], v[6:7], v[20:21], v[40:41]
	v_div_fixup_f64 v[14:15], v[6:7], v[14:15], 1.0
	v_fma_f64 v[6:7], v[8:9], 0, 1.0
	v_add_f64 v[8:9], -v[8:9], 0
	v_mul_f64 v[6:7], v[6:7], v[14:15]
	v_mul_f64 v[8:9], v[8:9], v[14:15]
                                        ; implicit-def: $vgpr40_vgpr41
                                        ; implicit-def: $vgpr20_vgpr21
.LBB296_201:                            ;   in Loop: Header=BB296_161 Depth=1
	s_andn2_saveexec_b64 s[8:9], s[8:9]
	s_cbranch_execz .LBB296_203
; %bb.202:                              ;   in Loop: Header=BB296_161 Depth=1
	v_div_scale_f64 v[6:7], s[30:31], v[40:41], v[40:41], 1.0
	v_rcp_f64_e32 v[8:9], v[6:7]
	v_div_scale_f64 v[14:15], vcc, 1.0, v[40:41], 1.0
	v_fma_f64 v[22:23], -v[6:7], v[8:9], 1.0
	v_fmac_f64_e32 v[8:9], v[8:9], v[22:23]
	v_fma_f64 v[22:23], -v[6:7], v[8:9], 1.0
	v_fmac_f64_e32 v[8:9], v[8:9], v[22:23]
	v_mul_f64 v[22:23], v[14:15], v[8:9]
	v_fma_f64 v[6:7], -v[6:7], v[22:23], v[14:15]
	v_div_scale_f64 v[14:15], s[30:31], v[20:21], v[20:21], 0
	v_rcp_f64_e32 v[46:47], v[14:15]
	v_div_fmas_f64 v[6:7], v[6:7], v[8:9], v[22:23]
	v_div_fixup_f64 v[6:7], v[6:7], v[40:41], 1.0
	v_fma_f64 v[8:9], -v[14:15], v[46:47], 1.0
	v_fmac_f64_e32 v[46:47], v[46:47], v[8:9]
	v_fma_f64 v[8:9], -v[14:15], v[46:47], 1.0
	v_fmac_f64_e32 v[46:47], v[46:47], v[8:9]
	v_div_scale_f64 v[8:9], vcc, 0, v[20:21], 0
	v_mul_f64 v[22:23], v[8:9], v[46:47]
	v_fma_f64 v[8:9], -v[14:15], v[22:23], v[8:9]
	s_nop 1
	v_div_fmas_f64 v[8:9], v[8:9], v[46:47], v[22:23]
	v_div_fixup_f64 v[8:9], v[8:9], v[20:21], 0
.LBB296_203:                            ;   in Loop: Header=BB296_161 Depth=1
	s_or_b64 exec, exec, s[8:9]
                                        ; implicit-def: $vgpr22_vgpr23
                                        ; implicit-def: $vgpr14_vgpr15
.LBB296_204:                            ;   in Loop: Header=BB296_161 Depth=1
	s_andn2_saveexec_b64 s[8:9], s[10:11]
	s_cbranch_execz .LBB296_206
; %bb.205:                              ;   in Loop: Header=BB296_161 Depth=1
	v_div_scale_f64 v[6:7], s[10:11], v[22:23], v[22:23], v[14:15]
	v_rcp_f64_e32 v[8:9], v[6:7]
	v_div_scale_f64 v[20:21], vcc, v[14:15], v[22:23], v[14:15]
	v_fma_f64 v[40:41], -v[6:7], v[8:9], 1.0
	v_fmac_f64_e32 v[8:9], v[8:9], v[40:41]
	v_fma_f64 v[40:41], -v[6:7], v[8:9], 1.0
	v_fmac_f64_e32 v[8:9], v[8:9], v[40:41]
	v_mul_f64 v[40:41], v[20:21], v[8:9]
	v_fma_f64 v[6:7], -v[6:7], v[40:41], v[20:21]
	v_div_fmas_f64 v[6:7], v[6:7], v[8:9], v[40:41]
	v_div_fixup_f64 v[8:9], v[6:7], v[22:23], v[14:15]
	v_fmac_f64_e32 v[22:23], v[14:15], v[8:9]
	v_div_scale_f64 v[6:7], s[10:11], v[22:23], v[22:23], 1.0
	v_rcp_f64_e32 v[14:15], v[6:7]
	v_fma_f64 v[20:21], -v[6:7], v[14:15], 1.0
	v_fmac_f64_e32 v[14:15], v[14:15], v[20:21]
	v_fma_f64 v[20:21], -v[6:7], v[14:15], 1.0
	v_fmac_f64_e32 v[14:15], v[14:15], v[20:21]
	v_div_scale_f64 v[20:21], vcc, 1.0, v[22:23], 1.0
	v_mul_f64 v[40:41], v[20:21], v[14:15]
	v_fma_f64 v[6:7], -v[6:7], v[40:41], v[20:21]
	s_nop 1
	v_div_fmas_f64 v[6:7], v[6:7], v[14:15], v[40:41]
	v_div_fixup_f64 v[14:15], v[6:7], v[22:23], 1.0
	v_add_f64 v[6:7], v[8:9], 0
	v_fma_f64 v[8:9], v[8:9], 0, -1.0
	v_mul_f64 v[6:7], v[6:7], v[14:15]
	v_mul_f64 v[8:9], v[8:9], v[14:15]
.LBB296_206:                            ;   in Loop: Header=BB296_161 Depth=1
	s_or_b64 exec, exec, s[8:9]
	v_cmp_neq_f64_e32 vcc, 0, v[16:17]
	v_cmp_neq_f64_e64 s[8:9], 0, v[18:19]
	s_or_b64 s[8:9], vcc, s[8:9]
	v_pk_mov_b32 v[20:21], 0, 0
	s_and_saveexec_b64 s[30:31], s[8:9]
	s_cbranch_execz .LBB296_237
; %bb.207:                              ;   in Loop: Header=BB296_161 Depth=1
	v_cmp_neq_f64_e64 s[8:9], |v[18:19]|, s[20:21]
	v_pk_mov_b32 v[20:21], s[20:21], s[20:21] op_sel:[0,1]
	s_and_saveexec_b64 s[34:35], s[8:9]
	s_cbranch_execz .LBB296_236
; %bb.208:                              ;   in Loop: Header=BB296_161 Depth=1
	v_cmp_o_f64_e32 vcc, v[16:17], v[16:17]
	s_and_saveexec_b64 s[8:9], vcc
	s_xor_b64 s[36:37], exec, s[8:9]
	s_cbranch_execz .LBB296_233
; %bb.209:                              ;   in Loop: Header=BB296_161 Depth=1
	v_cmp_neq_f64_e64 s[8:9], |v[16:17]|, s[20:21]
	s_and_saveexec_b64 s[10:11], s[8:9]
	s_xor_b64 s[38:39], exec, s[10:11]
	s_cbranch_execz .LBB296_226
; %bb.210:                              ;   in Loop: Header=BB296_161 Depth=1
	v_max_f64 v[14:15], |v[16:17]|, |v[16:17]|
	v_max_f64 v[20:21], |v[18:19]|, |v[18:19]|
	v_max_f64 v[14:15], v[20:21], v[14:15]
	v_cmp_nle_f64_e64 s[8:9], s[22:23], v[14:15]
                                        ; implicit-def: $sgpr40_sgpr41
	s_and_saveexec_b64 s[10:11], s[8:9]
	s_xor_b64 s[10:11], exec, s[10:11]
	s_cbranch_execz .LBB296_214
; %bb.211:                              ;   in Loop: Header=BB296_161 Depth=1
	v_cmp_le_f64_e64 s[40:41], |v[16:17]|, s[24:25]
	v_cmp_le_f64_e64 s[42:43], |v[18:19]|, s[24:25]
	s_and_b64 s[54:55], s[42:43], s[40:41]
	s_mov_b64 s[40:41], 0
	s_and_saveexec_b64 s[42:43], s[54:55]
; %bb.212:                              ;   in Loop: Header=BB296_161 Depth=1
	s_mov_b64 s[40:41], exec
	v_mul_f64 v[16:17], v[16:17], 4.0
	v_mul_f64 v[18:19], v[18:19], 4.0
; %bb.213:                              ;   in Loop: Header=BB296_161 Depth=1
	s_or_b64 exec, exec, s[42:43]
	s_and_b64 s[40:41], s[40:41], exec
.LBB296_214:                            ;   in Loop: Header=BB296_161 Depth=1
	s_andn2_saveexec_b64 s[10:11], s[10:11]
; %bb.215:                              ;   in Loop: Header=BB296_161 Depth=1
	v_ldexp_f64 v[16:17], v[16:17], -2
	v_ldexp_f64 v[18:19], v[18:19], -2
	s_andn2_b64 s[40:41], s[40:41], exec
; %bb.216:                              ;   in Loop: Header=BB296_161 Depth=1
	s_or_b64 exec, exec, s[10:11]
	v_max_f64 v[14:15], |v[18:19]|, |v[18:19]|
	v_max_f64 v[20:21], |v[16:17]|, |v[16:17]|
	v_max_f64 v[14:15], v[20:21], v[14:15]
	v_frexp_exp_i32_f64_e32 v46, v[14:15]
	v_sub_u32_e32 v20, 0, v46
	v_ldexp_f64 v[14:15], |v[16:17]|, v20
	v_ldexp_f64 v[20:21], |v[18:19]|, v20
	v_mul_f64 v[20:21], v[20:21], v[20:21]
	v_fmac_f64_e32 v[20:21], v[14:15], v[14:15]
	v_rsq_f64_e32 v[14:15], v[20:21]
	v_cmp_eq_f64_e64 s[10:11], 0, v[20:21]
	v_cmp_class_f64_e64 s[42:43], v[18:19], s51
	v_cmp_le_f64_e32 vcc, 0, v[16:17]
	v_mul_f64 v[22:23], v[20:21], v[14:15]
	v_mul_f64 v[14:15], v[14:15], 0.5
	v_fma_f64 v[40:41], -v[14:15], v[22:23], 0.5
	v_fmac_f64_e32 v[22:23], v[22:23], v[40:41]
	v_fmac_f64_e32 v[14:15], v[14:15], v[40:41]
	v_fma_f64 v[40:41], -v[22:23], v[22:23], v[20:21]
	v_fmac_f64_e32 v[22:23], v[40:41], v[14:15]
	v_cndmask_b32_e64 v15, v23, v21, s[10:11]
	v_cndmask_b32_e64 v14, v22, v20, s[10:11]
	v_ldexp_f64 v[14:15], v[14:15], v46
	v_cmp_o_f64_e64 s[10:11], v[18:19], v[18:19]
	v_cndmask_b32_e64 v14, 0, v14, s[10:11]
	v_cndmask_b32_e64 v15, v43, v15, s[10:11]
	v_cmp_class_f64_e64 s[10:11], v[16:17], s51
	s_or_b64 s[10:11], s[42:43], s[10:11]
	v_cndmask_b32_e64 v23, v15, v44, s[10:11]
	v_cndmask_b32_e64 v22, v14, 0, s[10:11]
                                        ; implicit-def: $vgpr14_vgpr15
                                        ; implicit-def: $vgpr20_vgpr21
	s_and_saveexec_b64 s[10:11], vcc
	s_xor_b64 s[10:11], exec, s[10:11]
	s_cbranch_execz .LBB296_219
; %bb.217:                              ;   in Loop: Header=BB296_161 Depth=1
	v_add_f64 v[14:15], v[16:17], v[22:23]
	v_mul_f64 v[14:15], v[14:15], 0.5
	v_cmp_gt_f64_e32 vcc, s[26:27], v[14:15]
	v_cndmask_b32_e64 v16, 0, 1, vcc
	v_lshlrev_b32_e32 v16, 8, v16
	v_ldexp_f64 v[14:15], v[14:15], v16
	v_rsq_f64_e32 v[16:17], v[14:15]
	v_mul_f64 v[20:21], v[14:15], v[16:17]
	v_mul_f64 v[16:17], v[16:17], 0.5
	v_fma_f64 v[22:23], -v[16:17], v[20:21], 0.5
	v_fmac_f64_e32 v[20:21], v[20:21], v[22:23]
	v_fmac_f64_e32 v[16:17], v[16:17], v[22:23]
	v_fma_f64 v[22:23], -v[20:21], v[20:21], v[14:15]
	v_fmac_f64_e32 v[20:21], v[22:23], v[16:17]
	v_fma_f64 v[22:23], -v[20:21], v[20:21], v[14:15]
	v_fmac_f64_e32 v[20:21], v[22:23], v[16:17]
	v_cndmask_b32_e32 v16, 0, v45, vcc
	v_ldexp_f64 v[16:17], v[20:21], v16
	v_cmp_class_f64_e32 vcc, v[14:15], v42
	v_cndmask_b32_e32 v21, v17, v15, vcc
	v_cndmask_b32_e32 v20, v16, v14, vcc
	v_add_f64 v[14:15], v[20:21], v[20:21]
	v_div_scale_f64 v[16:17], s[42:43], v[14:15], v[14:15], v[18:19]
	v_rcp_f64_e32 v[22:23], v[16:17]
	v_fma_f64 v[40:41], -v[16:17], v[22:23], 1.0
	v_fmac_f64_e32 v[22:23], v[22:23], v[40:41]
	v_fma_f64 v[40:41], -v[16:17], v[22:23], 1.0
	v_fmac_f64_e32 v[22:23], v[22:23], v[40:41]
	v_div_scale_f64 v[40:41], vcc, v[18:19], v[14:15], v[18:19]
	v_mul_f64 v[46:47], v[40:41], v[22:23]
	v_fma_f64 v[16:17], -v[16:17], v[46:47], v[40:41]
	s_nop 1
	v_div_fmas_f64 v[16:17], v[16:17], v[22:23], v[46:47]
	v_div_fixup_f64 v[14:15], v[16:17], v[14:15], v[18:19]
                                        ; implicit-def: $vgpr22_vgpr23
                                        ; implicit-def: $vgpr16_vgpr17
	s_andn2_saveexec_b64 s[10:11], s[10:11]
	s_cbranch_execz .LBB296_221
	s_branch .LBB296_220
.LBB296_218:                            ;   in Loop: Header=BB296_161 Depth=1
	s_or_b64 exec, exec, s[8:9]
	s_andn2_saveexec_b64 s[8:9], s[36:37]
	s_cbranch_execnz .LBB296_195
	s_branch .LBB296_196
.LBB296_219:                            ;   in Loop: Header=BB296_161 Depth=1
	s_andn2_saveexec_b64 s[10:11], s[10:11]
	s_cbranch_execz .LBB296_221
.LBB296_220:                            ;   in Loop: Header=BB296_161 Depth=1
	v_add_f64 v[14:15], v[22:23], -v[16:17]
	v_mul_f64 v[14:15], v[14:15], 0.5
	v_cmp_gt_f64_e32 vcc, s[26:27], v[14:15]
	v_cndmask_b32_e64 v16, 0, 1, vcc
	v_lshlrev_b32_e32 v16, 8, v16
	v_ldexp_f64 v[14:15], v[14:15], v16
	v_rsq_f64_e32 v[16:17], v[14:15]
	v_mul_f64 v[20:21], v[14:15], v[16:17]
	v_mul_f64 v[16:17], v[16:17], 0.5
	v_fma_f64 v[22:23], -v[16:17], v[20:21], 0.5
	v_fmac_f64_e32 v[20:21], v[20:21], v[22:23]
	v_fmac_f64_e32 v[16:17], v[16:17], v[22:23]
	v_fma_f64 v[22:23], -v[20:21], v[20:21], v[14:15]
	v_fmac_f64_e32 v[20:21], v[22:23], v[16:17]
	v_fma_f64 v[22:23], -v[20:21], v[20:21], v[14:15]
	v_fmac_f64_e32 v[20:21], v[22:23], v[16:17]
	v_cndmask_b32_e32 v16, 0, v45, vcc
	v_ldexp_f64 v[16:17], v[20:21], v16
	v_cmp_class_f64_e32 vcc, v[14:15], v42
	v_cndmask_b32_e32 v15, v17, v15, vcc
	v_cndmask_b32_e32 v14, v16, v14, vcc
	v_add_f64 v[16:17], v[14:15], v[14:15]
	v_and_b32_e32 v21, 0x7fffffff, v19
	v_mov_b32_e32 v20, v18
	v_div_scale_f64 v[22:23], s[42:43], v[16:17], v[16:17], v[20:21]
	v_rcp_f64_e32 v[40:41], v[22:23]
	v_div_scale_f64 v[20:21], vcc, v[20:21], v[16:17], v[20:21]
	v_bfi_b32 v15, s52, v15, v19
	v_fma_f64 v[46:47], -v[22:23], v[40:41], 1.0
	v_fmac_f64_e32 v[40:41], v[40:41], v[46:47]
	v_fma_f64 v[46:47], -v[22:23], v[40:41], 1.0
	v_fmac_f64_e32 v[40:41], v[40:41], v[46:47]
	v_mul_f64 v[46:47], v[20:21], v[40:41]
	v_fma_f64 v[20:21], -v[22:23], v[46:47], v[20:21]
	v_div_fmas_f64 v[20:21], v[20:21], v[40:41], v[46:47]
	v_div_fixup_f64 v[20:21], v[20:21], v[16:17], |v[18:19]|
.LBB296_221:                            ;   in Loop: Header=BB296_161 Depth=1
	s_or_b64 exec, exec, s[10:11]
                                        ; implicit-def: $vgpr18_vgpr19
	s_and_saveexec_b64 s[10:11], s[8:9]
	s_xor_b64 s[8:9], exec, s[10:11]
	s_cbranch_execz .LBB296_223
; %bb.222:                              ;   in Loop: Header=BB296_161 Depth=1
	v_mul_f64 v[16:17], v[20:21], 0.5
	v_mul_f64 v[18:19], v[14:15], 0.5
	v_cndmask_b32_e64 v17, v21, v17, s[40:41]
	v_cndmask_b32_e64 v16, v20, v16, s[40:41]
	;; [unrolled: 1-line block ×4, first 2 shown]
                                        ; implicit-def: $vgpr20_vgpr21
                                        ; implicit-def: $vgpr14_vgpr15
	s_andn2_saveexec_b64 s[8:9], s[8:9]
	s_cbranch_execnz .LBB296_224
	s_branch .LBB296_225
.LBB296_223:                            ;   in Loop: Header=BB296_161 Depth=1
	s_andn2_saveexec_b64 s[8:9], s[8:9]
.LBB296_224:                            ;   in Loop: Header=BB296_161 Depth=1
	v_add_f64 v[16:17], v[20:21], v[20:21]
	v_add_f64 v[18:19], v[14:15], v[14:15]
.LBB296_225:                            ;   in Loop: Header=BB296_161 Depth=1
	s_or_b64 exec, exec, s[8:9]
.LBB296_226:                            ;   in Loop: Header=BB296_161 Depth=1
	s_andn2_saveexec_b64 s[8:9], s[38:39]
	s_cbranch_execz .LBB296_232
; %bb.227:                              ;   in Loop: Header=BB296_161 Depth=1
	v_cmp_lt_i64_e32 vcc, -1, v[16:17]
	v_add_f64 v[14:15], v[18:19], -v[18:19]
	s_and_saveexec_b64 s[10:11], vcc
	s_xor_b64 s[10:11], exec, s[10:11]
; %bb.228:                              ;   in Loop: Header=BB296_161 Depth=1
	v_bfi_b32 v15, s52, v15, v19
	v_pk_mov_b32 v[18:19], v[14:15], v[14:15] op_sel:[0,1]
                                        ; implicit-def: $vgpr14_vgpr15
; %bb.229:                              ;   in Loop: Header=BB296_161 Depth=1
	s_andn2_saveexec_b64 s[10:11], s[10:11]
; %bb.230:                              ;   in Loop: Header=BB296_161 Depth=1
	v_and_b32_e32 v15, 0x7fffffff, v15
	v_bfi_b32 v17, s52, v17, v19
	v_pk_mov_b32 v[18:19], v[16:17], v[16:17] op_sel:[0,1]
	v_pk_mov_b32 v[16:17], v[14:15], v[14:15] op_sel:[0,1]
; %bb.231:                              ;   in Loop: Header=BB296_161 Depth=1
	s_or_b64 exec, exec, s[10:11]
.LBB296_232:                            ;   in Loop: Header=BB296_161 Depth=1
	s_or_b64 exec, exec, s[8:9]
.LBB296_233:                            ;   in Loop: Header=BB296_161 Depth=1
	s_andn2_saveexec_b64 s[8:9], s[36:37]
; %bb.234:                              ;   in Loop: Header=BB296_161 Depth=1
	v_add_f64 v[14:15], v[18:19], -v[18:19]
	v_div_scale_f64 v[18:19], vcc, v[14:15], v[14:15], v[14:15]
	v_rcp_f64_e32 v[20:21], v[18:19]
	v_fma_f64 v[22:23], -v[18:19], v[20:21], 1.0
	v_fmac_f64_e32 v[20:21], v[20:21], v[22:23]
	v_fma_f64 v[22:23], -v[18:19], v[20:21], 1.0
	v_fmac_f64_e32 v[20:21], v[20:21], v[22:23]
	v_mul_f64 v[22:23], v[18:19], v[20:21]
	v_fma_f64 v[18:19], -v[18:19], v[22:23], v[18:19]
	v_div_fmas_f64 v[18:19], v[18:19], v[20:21], v[22:23]
	v_div_fixup_f64 v[18:19], v[18:19], v[14:15], v[14:15]
; %bb.235:                              ;   in Loop: Header=BB296_161 Depth=1
	s_or_b64 exec, exec, s[8:9]
	v_pk_mov_b32 v[20:21], v[16:17], v[16:17] op_sel:[0,1]
.LBB296_236:                            ;   in Loop: Header=BB296_161 Depth=1
	s_or_b64 exec, exec, s[34:35]
.LBB296_237:                            ;   in Loop: Header=BB296_161 Depth=1
	s_or_b64 exec, exec, s[30:31]
	v_xor_b32_e32 v14, 0x80000000, v21
	v_cmp_gt_f64_e32 vcc, 0, v[20:21]
	v_cndmask_b32_e32 v41, v21, v14, vcc
	v_cndmask_b32_e32 v40, v20, v20, vcc
	v_xor_b32_e32 v14, 0x80000000, v19
	v_cmp_gt_f64_e32 vcc, 0, v[18:19]
	v_cndmask_b32_e32 v23, v19, v14, vcc
	v_cndmask_b32_e32 v22, v18, v18, vcc
	v_cmp_ge_f64_e32 vcc, v[40:41], v[22:23]
                                        ; implicit-def: $vgpr16_vgpr17
	s_and_saveexec_b64 s[8:9], vcc
	s_xor_b64 s[10:11], exec, s[8:9]
	s_cbranch_execz .LBB296_243
; %bb.238:                              ;   in Loop: Header=BB296_161 Depth=1
	v_cmp_neq_f64_e32 vcc, 0, v[20:21]
	v_cmp_neq_f64_e64 s[8:9], 0, v[18:19]
	s_or_b64 s[8:9], vcc, s[8:9]
                                        ; implicit-def: $vgpr16_vgpr17
	s_and_saveexec_b64 s[30:31], s[8:9]
	s_xor_b64 s[8:9], exec, s[30:31]
	s_cbranch_execz .LBB296_240
; %bb.239:                              ;   in Loop: Header=BB296_161 Depth=1
	v_div_scale_f64 v[14:15], s[30:31], v[20:21], v[20:21], v[18:19]
	v_rcp_f64_e32 v[16:17], v[14:15]
	v_div_scale_f64 v[22:23], vcc, v[18:19], v[20:21], v[18:19]
	v_fma_f64 v[40:41], -v[14:15], v[16:17], 1.0
	v_fmac_f64_e32 v[16:17], v[16:17], v[40:41]
	v_fma_f64 v[40:41], -v[14:15], v[16:17], 1.0
	v_fmac_f64_e32 v[16:17], v[16:17], v[40:41]
	v_mul_f64 v[40:41], v[22:23], v[16:17]
	v_fma_f64 v[14:15], -v[14:15], v[40:41], v[22:23]
	v_div_fmas_f64 v[14:15], v[14:15], v[16:17], v[40:41]
	v_div_fixup_f64 v[16:17], v[14:15], v[20:21], v[18:19]
	v_fmac_f64_e32 v[20:21], v[18:19], v[16:17]
	v_div_scale_f64 v[14:15], s[30:31], v[20:21], v[20:21], 1.0
	v_rcp_f64_e32 v[18:19], v[14:15]
	v_fma_f64 v[22:23], -v[14:15], v[18:19], 1.0
	v_fmac_f64_e32 v[18:19], v[18:19], v[22:23]
	v_fma_f64 v[22:23], -v[14:15], v[18:19], 1.0
	v_fmac_f64_e32 v[18:19], v[18:19], v[22:23]
	v_div_scale_f64 v[22:23], vcc, 1.0, v[20:21], 1.0
	v_mul_f64 v[40:41], v[22:23], v[18:19]
	v_fma_f64 v[14:15], -v[14:15], v[40:41], v[22:23]
                                        ; implicit-def: $vgpr22_vgpr23
	s_nop 1
	v_div_fmas_f64 v[14:15], v[14:15], v[18:19], v[40:41]
	v_div_fixup_f64 v[18:19], v[14:15], v[20:21], 1.0
	v_fma_f64 v[14:15], v[16:17], 0, 1.0
	v_add_f64 v[16:17], -v[16:17], 0
	v_mul_f64 v[14:15], v[14:15], v[18:19]
	v_mul_f64 v[16:17], v[16:17], v[18:19]
                                        ; implicit-def: $vgpr40_vgpr41
.LBB296_240:                            ;   in Loop: Header=BB296_161 Depth=1
	s_andn2_saveexec_b64 s[8:9], s[8:9]
	s_cbranch_execz .LBB296_242
; %bb.241:                              ;   in Loop: Header=BB296_161 Depth=1
	v_div_scale_f64 v[14:15], s[30:31], v[40:41], v[40:41], 1.0
	v_rcp_f64_e32 v[16:17], v[14:15]
	v_div_scale_f64 v[18:19], vcc, 1.0, v[40:41], 1.0
	v_fma_f64 v[20:21], -v[14:15], v[16:17], 1.0
	v_fmac_f64_e32 v[16:17], v[16:17], v[20:21]
	v_fma_f64 v[20:21], -v[14:15], v[16:17], 1.0
	v_fmac_f64_e32 v[16:17], v[16:17], v[20:21]
	v_mul_f64 v[20:21], v[18:19], v[16:17]
	v_fma_f64 v[14:15], -v[14:15], v[20:21], v[18:19]
	v_div_scale_f64 v[18:19], s[30:31], v[22:23], v[22:23], 0
	v_rcp_f64_e32 v[46:47], v[18:19]
	v_div_fmas_f64 v[14:15], v[14:15], v[16:17], v[20:21]
	v_div_fixup_f64 v[14:15], v[14:15], v[40:41], 1.0
	v_fma_f64 v[16:17], -v[18:19], v[46:47], 1.0
	v_fmac_f64_e32 v[46:47], v[46:47], v[16:17]
	v_fma_f64 v[16:17], -v[18:19], v[46:47], 1.0
	v_fmac_f64_e32 v[46:47], v[46:47], v[16:17]
	v_div_scale_f64 v[16:17], vcc, 0, v[22:23], 0
	v_mul_f64 v[20:21], v[16:17], v[46:47]
	v_fma_f64 v[16:17], -v[18:19], v[20:21], v[16:17]
	s_nop 1
	v_div_fmas_f64 v[16:17], v[16:17], v[46:47], v[20:21]
	v_div_fixup_f64 v[16:17], v[16:17], v[22:23], 0
.LBB296_242:                            ;   in Loop: Header=BB296_161 Depth=1
	s_or_b64 exec, exec, s[8:9]
                                        ; implicit-def: $vgpr18_vgpr19
                                        ; implicit-def: $vgpr20_vgpr21
.LBB296_243:                            ;   in Loop: Header=BB296_161 Depth=1
	s_andn2_saveexec_b64 s[8:9], s[10:11]
	s_cbranch_execz .LBB296_245
; %bb.244:                              ;   in Loop: Header=BB296_161 Depth=1
	v_div_scale_f64 v[14:15], s[10:11], v[18:19], v[18:19], v[20:21]
	v_rcp_f64_e32 v[16:17], v[14:15]
	v_div_scale_f64 v[22:23], vcc, v[20:21], v[18:19], v[20:21]
	v_fma_f64 v[40:41], -v[14:15], v[16:17], 1.0
	v_fmac_f64_e32 v[16:17], v[16:17], v[40:41]
	v_fma_f64 v[40:41], -v[14:15], v[16:17], 1.0
	v_fmac_f64_e32 v[16:17], v[16:17], v[40:41]
	v_mul_f64 v[40:41], v[22:23], v[16:17]
	v_fma_f64 v[14:15], -v[14:15], v[40:41], v[22:23]
	v_div_fmas_f64 v[14:15], v[14:15], v[16:17], v[40:41]
	v_div_fixup_f64 v[16:17], v[14:15], v[18:19], v[20:21]
	v_fmac_f64_e32 v[18:19], v[20:21], v[16:17]
	v_div_scale_f64 v[14:15], s[10:11], v[18:19], v[18:19], 1.0
	v_rcp_f64_e32 v[20:21], v[14:15]
	v_fma_f64 v[22:23], -v[14:15], v[20:21], 1.0
	v_fmac_f64_e32 v[20:21], v[20:21], v[22:23]
	v_fma_f64 v[22:23], -v[14:15], v[20:21], 1.0
	v_fmac_f64_e32 v[20:21], v[20:21], v[22:23]
	v_div_scale_f64 v[22:23], vcc, 1.0, v[18:19], 1.0
	v_mul_f64 v[40:41], v[22:23], v[20:21]
	v_fma_f64 v[14:15], -v[14:15], v[40:41], v[22:23]
	s_nop 1
	v_div_fmas_f64 v[14:15], v[14:15], v[20:21], v[40:41]
	v_div_fixup_f64 v[18:19], v[14:15], v[18:19], 1.0
	v_add_f64 v[14:15], v[16:17], 0
	v_fma_f64 v[16:17], v[16:17], 0, -1.0
	v_mul_f64 v[14:15], v[14:15], v[18:19]
	v_mul_f64 v[16:17], v[16:17], v[18:19]
.LBB296_245:                            ;   in Loop: Header=BB296_161 Depth=1
	s_or_b64 exec, exec, s[8:9]
	v_cmp_neq_f64_e32 vcc, 0, v[10:11]
	v_cmp_neq_f64_e64 s[8:9], 0, v[12:13]
	s_or_b64 s[8:9], vcc, s[8:9]
	v_pk_mov_b32 v[22:23], 0, 0
	s_and_saveexec_b64 s[30:31], s[8:9]
	s_cbranch_execz .LBB296_275
; %bb.246:                              ;   in Loop: Header=BB296_161 Depth=1
	v_cmp_neq_f64_e64 s[8:9], |v[12:13]|, s[20:21]
	v_pk_mov_b32 v[22:23], s[20:21], s[20:21] op_sel:[0,1]
	s_and_saveexec_b64 s[34:35], s[8:9]
	s_cbranch_execz .LBB296_274
; %bb.247:                              ;   in Loop: Header=BB296_161 Depth=1
	v_cmp_o_f64_e32 vcc, v[10:11], v[10:11]
	s_and_saveexec_b64 s[8:9], vcc
	s_xor_b64 s[36:37], exec, s[8:9]
	s_cbranch_execz .LBB296_271
; %bb.248:                              ;   in Loop: Header=BB296_161 Depth=1
	v_cmp_neq_f64_e64 s[8:9], |v[10:11]|, s[20:21]
	s_and_saveexec_b64 s[10:11], s[8:9]
	s_xor_b64 s[38:39], exec, s[10:11]
	s_cbranch_execz .LBB296_264
; %bb.249:                              ;   in Loop: Header=BB296_161 Depth=1
	v_max_f64 v[18:19], |v[10:11]|, |v[10:11]|
	v_max_f64 v[20:21], |v[12:13]|, |v[12:13]|
	v_max_f64 v[18:19], v[20:21], v[18:19]
	v_cmp_nle_f64_e64 s[8:9], s[22:23], v[18:19]
                                        ; implicit-def: $sgpr40_sgpr41
	s_and_saveexec_b64 s[10:11], s[8:9]
	s_xor_b64 s[10:11], exec, s[10:11]
	s_cbranch_execz .LBB296_253
; %bb.250:                              ;   in Loop: Header=BB296_161 Depth=1
	v_cmp_le_f64_e64 s[40:41], |v[10:11]|, s[24:25]
	v_cmp_le_f64_e64 s[42:43], |v[12:13]|, s[24:25]
	s_and_b64 s[54:55], s[42:43], s[40:41]
	s_mov_b64 s[40:41], 0
	s_and_saveexec_b64 s[42:43], s[54:55]
; %bb.251:                              ;   in Loop: Header=BB296_161 Depth=1
	s_mov_b64 s[40:41], exec
	v_mul_f64 v[10:11], v[10:11], 4.0
	v_mul_f64 v[12:13], v[12:13], 4.0
; %bb.252:                              ;   in Loop: Header=BB296_161 Depth=1
	s_or_b64 exec, exec, s[42:43]
	s_and_b64 s[40:41], s[40:41], exec
.LBB296_253:                            ;   in Loop: Header=BB296_161 Depth=1
	s_andn2_saveexec_b64 s[10:11], s[10:11]
; %bb.254:                              ;   in Loop: Header=BB296_161 Depth=1
	v_ldexp_f64 v[10:11], v[10:11], -2
	v_ldexp_f64 v[12:13], v[12:13], -2
	s_andn2_b64 s[40:41], s[40:41], exec
; %bb.255:                              ;   in Loop: Header=BB296_161 Depth=1
	s_or_b64 exec, exec, s[10:11]
	v_max_f64 v[18:19], |v[12:13]|, |v[12:13]|
	v_max_f64 v[20:21], |v[10:11]|, |v[10:11]|
	v_max_f64 v[18:19], v[20:21], v[18:19]
	v_frexp_exp_i32_f64_e32 v46, v[18:19]
	v_sub_u32_e32 v20, 0, v46
	v_ldexp_f64 v[18:19], |v[10:11]|, v20
	v_ldexp_f64 v[20:21], |v[12:13]|, v20
	v_mul_f64 v[20:21], v[20:21], v[20:21]
	v_fmac_f64_e32 v[20:21], v[18:19], v[18:19]
	v_rsq_f64_e32 v[18:19], v[20:21]
	v_cmp_eq_f64_e64 s[10:11], 0, v[20:21]
	v_cmp_class_f64_e64 s[42:43], v[12:13], s51
	v_cmp_le_f64_e32 vcc, 0, v[10:11]
	v_mul_f64 v[22:23], v[20:21], v[18:19]
	v_mul_f64 v[18:19], v[18:19], 0.5
	v_fma_f64 v[40:41], -v[18:19], v[22:23], 0.5
	v_fmac_f64_e32 v[22:23], v[22:23], v[40:41]
	v_fmac_f64_e32 v[18:19], v[18:19], v[40:41]
	v_fma_f64 v[40:41], -v[22:23], v[22:23], v[20:21]
	v_fmac_f64_e32 v[22:23], v[40:41], v[18:19]
	v_cndmask_b32_e64 v19, v23, v21, s[10:11]
	v_cndmask_b32_e64 v18, v22, v20, s[10:11]
	v_ldexp_f64 v[18:19], v[18:19], v46
	v_cmp_o_f64_e64 s[10:11], v[12:13], v[12:13]
	v_cndmask_b32_e64 v18, 0, v18, s[10:11]
	v_cndmask_b32_e64 v19, v43, v19, s[10:11]
	v_cmp_class_f64_e64 s[10:11], v[10:11], s51
	s_or_b64 s[10:11], s[42:43], s[10:11]
	v_cndmask_b32_e64 v23, v19, v44, s[10:11]
	v_cndmask_b32_e64 v22, v18, 0, s[10:11]
                                        ; implicit-def: $vgpr18_vgpr19
                                        ; implicit-def: $vgpr20_vgpr21
	s_and_saveexec_b64 s[10:11], vcc
	s_xor_b64 s[10:11], exec, s[10:11]
	s_cbranch_execz .LBB296_257
; %bb.256:                              ;   in Loop: Header=BB296_161 Depth=1
	v_add_f64 v[10:11], v[10:11], v[22:23]
	v_mul_f64 v[10:11], v[10:11], 0.5
	v_cmp_gt_f64_e32 vcc, s[26:27], v[10:11]
	v_cndmask_b32_e64 v18, 0, 1, vcc
	v_lshlrev_b32_e32 v18, 8, v18
	v_ldexp_f64 v[10:11], v[10:11], v18
	v_rsq_f64_e32 v[18:19], v[10:11]
	v_mul_f64 v[20:21], v[10:11], v[18:19]
	v_mul_f64 v[18:19], v[18:19], 0.5
	v_fma_f64 v[22:23], -v[18:19], v[20:21], 0.5
	v_fmac_f64_e32 v[20:21], v[20:21], v[22:23]
	v_fmac_f64_e32 v[18:19], v[18:19], v[22:23]
	v_fma_f64 v[22:23], -v[20:21], v[20:21], v[10:11]
	v_fmac_f64_e32 v[20:21], v[22:23], v[18:19]
	v_fma_f64 v[22:23], -v[20:21], v[20:21], v[10:11]
	v_fmac_f64_e32 v[20:21], v[22:23], v[18:19]
	v_cndmask_b32_e32 v18, 0, v45, vcc
	v_ldexp_f64 v[18:19], v[20:21], v18
	v_cmp_class_f64_e32 vcc, v[10:11], v42
	v_cndmask_b32_e32 v21, v19, v11, vcc
	v_cndmask_b32_e32 v20, v18, v10, vcc
	v_add_f64 v[10:11], v[20:21], v[20:21]
	v_div_scale_f64 v[18:19], s[42:43], v[10:11], v[10:11], v[12:13]
	v_rcp_f64_e32 v[22:23], v[18:19]
	v_fma_f64 v[40:41], -v[18:19], v[22:23], 1.0
	v_fmac_f64_e32 v[22:23], v[22:23], v[40:41]
	v_fma_f64 v[40:41], -v[18:19], v[22:23], 1.0
	v_fmac_f64_e32 v[22:23], v[22:23], v[40:41]
	v_div_scale_f64 v[40:41], vcc, v[12:13], v[10:11], v[12:13]
	v_mul_f64 v[46:47], v[40:41], v[22:23]
	v_fma_f64 v[18:19], -v[18:19], v[46:47], v[40:41]
	s_nop 1
	v_div_fmas_f64 v[18:19], v[18:19], v[22:23], v[46:47]
	v_div_fixup_f64 v[18:19], v[18:19], v[10:11], v[12:13]
                                        ; implicit-def: $vgpr22_vgpr23
                                        ; implicit-def: $vgpr10_vgpr11
	s_andn2_saveexec_b64 s[10:11], s[10:11]
	s_cbranch_execz .LBB296_259
	s_branch .LBB296_258
.LBB296_257:                            ;   in Loop: Header=BB296_161 Depth=1
	s_andn2_saveexec_b64 s[10:11], s[10:11]
	s_cbranch_execz .LBB296_259
.LBB296_258:                            ;   in Loop: Header=BB296_161 Depth=1
	v_add_f64 v[10:11], v[22:23], -v[10:11]
	v_mul_f64 v[10:11], v[10:11], 0.5
	v_cmp_gt_f64_e32 vcc, s[26:27], v[10:11]
	v_cndmask_b32_e64 v18, 0, 1, vcc
	v_lshlrev_b32_e32 v18, 8, v18
	v_ldexp_f64 v[10:11], v[10:11], v18
	v_rsq_f64_e32 v[18:19], v[10:11]
	v_mul_f64 v[20:21], v[10:11], v[18:19]
	v_mul_f64 v[18:19], v[18:19], 0.5
	v_fma_f64 v[22:23], -v[18:19], v[20:21], 0.5
	v_fmac_f64_e32 v[20:21], v[20:21], v[22:23]
	v_fmac_f64_e32 v[18:19], v[18:19], v[22:23]
	v_fma_f64 v[22:23], -v[20:21], v[20:21], v[10:11]
	v_fmac_f64_e32 v[20:21], v[22:23], v[18:19]
	v_fma_f64 v[22:23], -v[20:21], v[20:21], v[10:11]
	v_fmac_f64_e32 v[20:21], v[22:23], v[18:19]
	v_cndmask_b32_e32 v18, 0, v45, vcc
	v_ldexp_f64 v[18:19], v[20:21], v18
	v_cmp_class_f64_e32 vcc, v[10:11], v42
	v_cndmask_b32_e32 v19, v19, v11, vcc
	v_cndmask_b32_e32 v18, v18, v10, vcc
	v_add_f64 v[10:11], v[18:19], v[18:19]
	v_and_b32_e32 v21, 0x7fffffff, v13
	v_mov_b32_e32 v20, v12
	v_div_scale_f64 v[22:23], s[42:43], v[10:11], v[10:11], v[20:21]
	v_rcp_f64_e32 v[40:41], v[22:23]
	v_div_scale_f64 v[20:21], vcc, v[20:21], v[10:11], v[20:21]
	v_bfi_b32 v19, s52, v19, v13
	v_fma_f64 v[46:47], -v[22:23], v[40:41], 1.0
	v_fmac_f64_e32 v[40:41], v[40:41], v[46:47]
	v_fma_f64 v[46:47], -v[22:23], v[40:41], 1.0
	v_fmac_f64_e32 v[40:41], v[40:41], v[46:47]
	v_mul_f64 v[46:47], v[20:21], v[40:41]
	v_fma_f64 v[20:21], -v[22:23], v[46:47], v[20:21]
	v_div_fmas_f64 v[20:21], v[20:21], v[40:41], v[46:47]
	v_div_fixup_f64 v[20:21], v[20:21], v[10:11], |v[12:13]|
.LBB296_259:                            ;   in Loop: Header=BB296_161 Depth=1
	s_or_b64 exec, exec, s[10:11]
                                        ; implicit-def: $vgpr12_vgpr13
	s_and_saveexec_b64 s[10:11], s[8:9]
	s_xor_b64 s[8:9], exec, s[10:11]
	s_cbranch_execz .LBB296_261
; %bb.260:                              ;   in Loop: Header=BB296_161 Depth=1
	v_mul_f64 v[10:11], v[20:21], 0.5
	v_mul_f64 v[12:13], v[18:19], 0.5
	v_cndmask_b32_e64 v11, v21, v11, s[40:41]
	v_cndmask_b32_e64 v10, v20, v10, s[40:41]
	;; [unrolled: 1-line block ×4, first 2 shown]
                                        ; implicit-def: $vgpr20_vgpr21
                                        ; implicit-def: $vgpr18_vgpr19
	s_andn2_saveexec_b64 s[8:9], s[8:9]
	s_cbranch_execnz .LBB296_262
	s_branch .LBB296_263
.LBB296_261:                            ;   in Loop: Header=BB296_161 Depth=1
	s_andn2_saveexec_b64 s[8:9], s[8:9]
.LBB296_262:                            ;   in Loop: Header=BB296_161 Depth=1
	v_add_f64 v[10:11], v[20:21], v[20:21]
	v_add_f64 v[12:13], v[18:19], v[18:19]
.LBB296_263:                            ;   in Loop: Header=BB296_161 Depth=1
	s_or_b64 exec, exec, s[8:9]
.LBB296_264:                            ;   in Loop: Header=BB296_161 Depth=1
	s_andn2_saveexec_b64 s[8:9], s[38:39]
	s_cbranch_execz .LBB296_270
; %bb.265:                              ;   in Loop: Header=BB296_161 Depth=1
	v_cmp_lt_i64_e32 vcc, -1, v[10:11]
	v_add_f64 v[18:19], v[12:13], -v[12:13]
	s_and_saveexec_b64 s[10:11], vcc
	s_xor_b64 s[10:11], exec, s[10:11]
; %bb.266:                              ;   in Loop: Header=BB296_161 Depth=1
	v_bfi_b32 v19, s52, v19, v13
	v_pk_mov_b32 v[12:13], v[18:19], v[18:19] op_sel:[0,1]
                                        ; implicit-def: $vgpr18_vgpr19
; %bb.267:                              ;   in Loop: Header=BB296_161 Depth=1
	s_andn2_saveexec_b64 s[10:11], s[10:11]
; %bb.268:                              ;   in Loop: Header=BB296_161 Depth=1
	v_and_b32_e32 v19, 0x7fffffff, v19
	v_bfi_b32 v11, s52, v11, v13
	v_pk_mov_b32 v[12:13], v[10:11], v[10:11] op_sel:[0,1]
	v_pk_mov_b32 v[10:11], v[18:19], v[18:19] op_sel:[0,1]
; %bb.269:                              ;   in Loop: Header=BB296_161 Depth=1
	s_or_b64 exec, exec, s[10:11]
.LBB296_270:                            ;   in Loop: Header=BB296_161 Depth=1
	s_or_b64 exec, exec, s[8:9]
.LBB296_271:                            ;   in Loop: Header=BB296_161 Depth=1
	s_andn2_saveexec_b64 s[8:9], s[36:37]
; %bb.272:                              ;   in Loop: Header=BB296_161 Depth=1
	v_add_f64 v[12:13], v[12:13], -v[12:13]
	v_div_scale_f64 v[18:19], vcc, v[12:13], v[12:13], v[12:13]
	v_rcp_f64_e32 v[20:21], v[18:19]
	v_fma_f64 v[22:23], -v[18:19], v[20:21], 1.0
	v_fmac_f64_e32 v[20:21], v[20:21], v[22:23]
	v_fma_f64 v[22:23], -v[18:19], v[20:21], 1.0
	v_fmac_f64_e32 v[20:21], v[20:21], v[22:23]
	v_mul_f64 v[22:23], v[18:19], v[20:21]
	v_fma_f64 v[18:19], -v[18:19], v[22:23], v[18:19]
	v_div_fmas_f64 v[18:19], v[18:19], v[20:21], v[22:23]
	v_div_fixup_f64 v[12:13], v[18:19], v[12:13], v[12:13]
; %bb.273:                              ;   in Loop: Header=BB296_161 Depth=1
	s_or_b64 exec, exec, s[8:9]
	v_pk_mov_b32 v[22:23], v[10:11], v[10:11] op_sel:[0,1]
.LBB296_274:                            ;   in Loop: Header=BB296_161 Depth=1
	s_or_b64 exec, exec, s[34:35]
.LBB296_275:                            ;   in Loop: Header=BB296_161 Depth=1
	s_or_b64 exec, exec, s[30:31]
	v_xor_b32_e32 v10, 0x80000000, v23
	v_cmp_gt_f64_e32 vcc, 0, v[22:23]
	v_cndmask_b32_e32 v41, v23, v10, vcc
	v_cndmask_b32_e32 v40, v22, v22, vcc
	v_xor_b32_e32 v10, 0x80000000, v13
	v_cmp_gt_f64_e32 vcc, 0, v[12:13]
	v_cndmask_b32_e32 v11, v13, v10, vcc
	v_cndmask_b32_e32 v10, v12, v12, vcc
	v_cmp_ge_f64_e32 vcc, v[40:41], v[10:11]
                                        ; implicit-def: $vgpr20_vgpr21
	s_and_saveexec_b64 s[8:9], vcc
	s_xor_b64 s[10:11], exec, s[8:9]
	s_cbranch_execz .LBB296_281
; %bb.276:                              ;   in Loop: Header=BB296_161 Depth=1
	v_cmp_neq_f64_e32 vcc, 0, v[22:23]
	v_cmp_neq_f64_e64 s[8:9], 0, v[12:13]
	s_or_b64 s[8:9], vcc, s[8:9]
                                        ; implicit-def: $vgpr20_vgpr21
	s_and_saveexec_b64 s[30:31], s[8:9]
	s_xor_b64 s[8:9], exec, s[30:31]
	s_cbranch_execz .LBB296_278
; %bb.277:                              ;   in Loop: Header=BB296_161 Depth=1
	v_div_scale_f64 v[10:11], s[30:31], v[22:23], v[22:23], v[12:13]
	v_rcp_f64_e32 v[18:19], v[10:11]
	v_div_scale_f64 v[20:21], vcc, v[12:13], v[22:23], v[12:13]
	v_fma_f64 v[40:41], -v[10:11], v[18:19], 1.0
	v_fmac_f64_e32 v[18:19], v[18:19], v[40:41]
	v_fma_f64 v[40:41], -v[10:11], v[18:19], 1.0
	v_fmac_f64_e32 v[18:19], v[18:19], v[40:41]
	v_mul_f64 v[40:41], v[20:21], v[18:19]
	v_fma_f64 v[10:11], -v[10:11], v[40:41], v[20:21]
	v_div_fmas_f64 v[10:11], v[10:11], v[18:19], v[40:41]
	v_div_fixup_f64 v[10:11], v[10:11], v[22:23], v[12:13]
	v_fmac_f64_e32 v[22:23], v[12:13], v[10:11]
	v_div_scale_f64 v[12:13], s[30:31], v[22:23], v[22:23], 1.0
	v_rcp_f64_e32 v[18:19], v[12:13]
	v_fma_f64 v[20:21], -v[12:13], v[18:19], 1.0
	v_fmac_f64_e32 v[18:19], v[18:19], v[20:21]
	v_fma_f64 v[20:21], -v[12:13], v[18:19], 1.0
	v_fmac_f64_e32 v[18:19], v[18:19], v[20:21]
	v_div_scale_f64 v[20:21], vcc, 1.0, v[22:23], 1.0
	v_mul_f64 v[40:41], v[20:21], v[18:19]
	v_fma_f64 v[12:13], -v[12:13], v[40:41], v[20:21]
	s_nop 1
	v_div_fmas_f64 v[12:13], v[12:13], v[18:19], v[40:41]
	v_div_fixup_f64 v[12:13], v[12:13], v[22:23], 1.0
	v_fma_f64 v[18:19], v[10:11], 0, 1.0
	v_add_f64 v[10:11], -v[10:11], 0
	v_mul_f64 v[18:19], v[18:19], v[12:13]
	v_mul_f64 v[20:21], v[10:11], v[12:13]
                                        ; implicit-def: $vgpr40_vgpr41
                                        ; implicit-def: $vgpr10_vgpr11
.LBB296_278:                            ;   in Loop: Header=BB296_161 Depth=1
	s_andn2_saveexec_b64 s[8:9], s[8:9]
	s_cbranch_execz .LBB296_280
; %bb.279:                              ;   in Loop: Header=BB296_161 Depth=1
	v_div_scale_f64 v[12:13], s[30:31], v[40:41], v[40:41], 1.0
	v_rcp_f64_e32 v[18:19], v[12:13]
	v_div_scale_f64 v[20:21], vcc, 1.0, v[40:41], 1.0
	v_fma_f64 v[22:23], -v[12:13], v[18:19], 1.0
	v_fmac_f64_e32 v[18:19], v[18:19], v[22:23]
	v_fma_f64 v[22:23], -v[12:13], v[18:19], 1.0
	v_fmac_f64_e32 v[18:19], v[18:19], v[22:23]
	v_mul_f64 v[22:23], v[20:21], v[18:19]
	v_fma_f64 v[12:13], -v[12:13], v[22:23], v[20:21]
	v_div_scale_f64 v[20:21], s[30:31], v[10:11], v[10:11], 0
	v_rcp_f64_e32 v[46:47], v[20:21]
	v_div_fmas_f64 v[12:13], v[12:13], v[18:19], v[22:23]
	v_div_fixup_f64 v[18:19], v[12:13], v[40:41], 1.0
	v_fma_f64 v[12:13], -v[20:21], v[46:47], 1.0
	v_fmac_f64_e32 v[46:47], v[46:47], v[12:13]
	v_fma_f64 v[12:13], -v[20:21], v[46:47], 1.0
	v_fmac_f64_e32 v[46:47], v[46:47], v[12:13]
	v_div_scale_f64 v[12:13], vcc, 0, v[10:11], 0
	v_mul_f64 v[22:23], v[12:13], v[46:47]
	v_fma_f64 v[12:13], -v[20:21], v[22:23], v[12:13]
	s_nop 1
	v_div_fmas_f64 v[12:13], v[12:13], v[46:47], v[22:23]
	v_div_fixup_f64 v[20:21], v[12:13], v[10:11], 0
.LBB296_280:                            ;   in Loop: Header=BB296_161 Depth=1
	s_or_b64 exec, exec, s[8:9]
                                        ; implicit-def: $vgpr12_vgpr13
                                        ; implicit-def: $vgpr22_vgpr23
.LBB296_281:                            ;   in Loop: Header=BB296_161 Depth=1
	s_andn2_saveexec_b64 s[8:9], s[10:11]
	s_cbranch_execz .LBB296_283
; %bb.282:                              ;   in Loop: Header=BB296_161 Depth=1
	v_div_scale_f64 v[10:11], s[10:11], v[12:13], v[12:13], v[22:23]
	v_rcp_f64_e32 v[18:19], v[10:11]
	v_div_scale_f64 v[20:21], vcc, v[22:23], v[12:13], v[22:23]
	v_fma_f64 v[40:41], -v[10:11], v[18:19], 1.0
	v_fmac_f64_e32 v[18:19], v[18:19], v[40:41]
	v_fma_f64 v[40:41], -v[10:11], v[18:19], 1.0
	v_fmac_f64_e32 v[18:19], v[18:19], v[40:41]
	v_mul_f64 v[40:41], v[20:21], v[18:19]
	v_fma_f64 v[10:11], -v[10:11], v[40:41], v[20:21]
	v_div_fmas_f64 v[10:11], v[10:11], v[18:19], v[40:41]
	v_div_fixup_f64 v[10:11], v[10:11], v[12:13], v[22:23]
	v_fmac_f64_e32 v[12:13], v[22:23], v[10:11]
	v_div_scale_f64 v[18:19], s[10:11], v[12:13], v[12:13], 1.0
	v_rcp_f64_e32 v[20:21], v[18:19]
	v_fma_f64 v[22:23], -v[18:19], v[20:21], 1.0
	v_fmac_f64_e32 v[20:21], v[20:21], v[22:23]
	v_fma_f64 v[22:23], -v[18:19], v[20:21], 1.0
	v_fmac_f64_e32 v[20:21], v[20:21], v[22:23]
	v_div_scale_f64 v[22:23], vcc, 1.0, v[12:13], 1.0
	v_mul_f64 v[40:41], v[22:23], v[20:21]
	v_fma_f64 v[18:19], -v[18:19], v[40:41], v[22:23]
	s_nop 1
	v_div_fmas_f64 v[18:19], v[18:19], v[20:21], v[40:41]
	v_div_fixup_f64 v[12:13], v[18:19], v[12:13], 1.0
	v_add_f64 v[18:19], v[10:11], 0
	v_fma_f64 v[10:11], v[10:11], 0, -1.0
	v_mul_f64 v[18:19], v[18:19], v[12:13]
	v_mul_f64 v[20:21], v[10:11], v[12:13]
.LBB296_283:                            ;   in Loop: Header=BB296_161 Depth=1
	s_or_b64 exec, exec, s[8:9]
	v_cmp_neq_f64_e32 vcc, 0, v[2:3]
	v_cmp_neq_f64_e64 s[8:9], 0, v[4:5]
	s_or_b64 s[8:9], vcc, s[8:9]
	v_pk_mov_b32 v[22:23], 0, 0
	s_and_saveexec_b64 s[30:31], s[8:9]
	s_cbranch_execz .LBB296_313
; %bb.284:                              ;   in Loop: Header=BB296_161 Depth=1
	v_cmp_neq_f64_e64 s[8:9], |v[4:5]|, s[20:21]
	v_pk_mov_b32 v[22:23], s[20:21], s[20:21] op_sel:[0,1]
	s_and_saveexec_b64 s[34:35], s[8:9]
	s_cbranch_execz .LBB296_312
; %bb.285:                              ;   in Loop: Header=BB296_161 Depth=1
	v_cmp_o_f64_e32 vcc, v[2:3], v[2:3]
	s_and_saveexec_b64 s[8:9], vcc
	s_xor_b64 s[36:37], exec, s[8:9]
	s_cbranch_execz .LBB296_309
; %bb.286:                              ;   in Loop: Header=BB296_161 Depth=1
	v_cmp_neq_f64_e64 s[8:9], |v[2:3]|, s[20:21]
	s_and_saveexec_b64 s[10:11], s[8:9]
	s_xor_b64 s[38:39], exec, s[10:11]
	s_cbranch_execz .LBB296_302
; %bb.287:                              ;   in Loop: Header=BB296_161 Depth=1
	v_max_f64 v[10:11], |v[2:3]|, |v[2:3]|
	v_max_f64 v[12:13], |v[4:5]|, |v[4:5]|
	v_max_f64 v[10:11], v[12:13], v[10:11]
	v_cmp_nle_f64_e64 s[8:9], s[22:23], v[10:11]
                                        ; implicit-def: $sgpr40_sgpr41
	s_and_saveexec_b64 s[10:11], s[8:9]
	s_xor_b64 s[10:11], exec, s[10:11]
	s_cbranch_execz .LBB296_291
; %bb.288:                              ;   in Loop: Header=BB296_161 Depth=1
	v_cmp_le_f64_e64 s[40:41], |v[2:3]|, s[24:25]
	v_cmp_le_f64_e64 s[42:43], |v[4:5]|, s[24:25]
	s_and_b64 s[54:55], s[42:43], s[40:41]
	s_mov_b64 s[40:41], 0
	s_and_saveexec_b64 s[42:43], s[54:55]
; %bb.289:                              ;   in Loop: Header=BB296_161 Depth=1
	s_mov_b64 s[40:41], exec
	v_mul_f64 v[2:3], v[2:3], 4.0
	v_mul_f64 v[4:5], v[4:5], 4.0
; %bb.290:                              ;   in Loop: Header=BB296_161 Depth=1
	s_or_b64 exec, exec, s[42:43]
	s_and_b64 s[40:41], s[40:41], exec
.LBB296_291:                            ;   in Loop: Header=BB296_161 Depth=1
	s_andn2_saveexec_b64 s[10:11], s[10:11]
; %bb.292:                              ;   in Loop: Header=BB296_161 Depth=1
	v_ldexp_f64 v[2:3], v[2:3], -2
	v_ldexp_f64 v[4:5], v[4:5], -2
	s_andn2_b64 s[40:41], s[40:41], exec
; %bb.293:                              ;   in Loop: Header=BB296_161 Depth=1
	s_or_b64 exec, exec, s[10:11]
	v_max_f64 v[10:11], |v[4:5]|, |v[4:5]|
	v_max_f64 v[12:13], |v[2:3]|, |v[2:3]|
	v_max_f64 v[10:11], v[12:13], v[10:11]
	v_frexp_exp_i32_f64_e32 v46, v[10:11]
	v_sub_u32_e32 v12, 0, v46
	v_ldexp_f64 v[10:11], |v[2:3]|, v12
	v_ldexp_f64 v[12:13], |v[4:5]|, v12
	v_mul_f64 v[12:13], v[12:13], v[12:13]
	v_fmac_f64_e32 v[12:13], v[10:11], v[10:11]
	v_rsq_f64_e32 v[10:11], v[12:13]
	v_cmp_eq_f64_e64 s[10:11], 0, v[12:13]
	v_cmp_class_f64_e64 s[42:43], v[4:5], s51
	v_cmp_le_f64_e32 vcc, 0, v[2:3]
	v_mul_f64 v[22:23], v[12:13], v[10:11]
	v_mul_f64 v[10:11], v[10:11], 0.5
	v_fma_f64 v[40:41], -v[10:11], v[22:23], 0.5
	v_fmac_f64_e32 v[22:23], v[22:23], v[40:41]
	v_fmac_f64_e32 v[10:11], v[10:11], v[40:41]
	v_fma_f64 v[40:41], -v[22:23], v[22:23], v[12:13]
	v_fmac_f64_e32 v[22:23], v[40:41], v[10:11]
	v_cndmask_b32_e64 v11, v23, v13, s[10:11]
	v_cndmask_b32_e64 v10, v22, v12, s[10:11]
	v_ldexp_f64 v[10:11], v[10:11], v46
	v_cmp_o_f64_e64 s[10:11], v[4:5], v[4:5]
	v_cndmask_b32_e64 v10, 0, v10, s[10:11]
	v_cndmask_b32_e64 v11, v43, v11, s[10:11]
	v_cmp_class_f64_e64 s[10:11], v[2:3], s51
	s_or_b64 s[10:11], s[42:43], s[10:11]
	v_cndmask_b32_e64 v23, v11, v44, s[10:11]
	v_cndmask_b32_e64 v22, v10, 0, s[10:11]
                                        ; implicit-def: $vgpr10_vgpr11
                                        ; implicit-def: $vgpr12_vgpr13
	s_and_saveexec_b64 s[10:11], vcc
	s_xor_b64 s[10:11], exec, s[10:11]
	s_cbranch_execz .LBB296_295
; %bb.294:                              ;   in Loop: Header=BB296_161 Depth=1
	v_add_f64 v[2:3], v[2:3], v[22:23]
	v_mul_f64 v[2:3], v[2:3], 0.5
	v_cmp_gt_f64_e32 vcc, s[26:27], v[2:3]
	v_cndmask_b32_e64 v10, 0, 1, vcc
	v_lshlrev_b32_e32 v10, 8, v10
	v_ldexp_f64 v[2:3], v[2:3], v10
	v_rsq_f64_e32 v[10:11], v[2:3]
	v_mul_f64 v[12:13], v[2:3], v[10:11]
	v_mul_f64 v[10:11], v[10:11], 0.5
	v_fma_f64 v[22:23], -v[10:11], v[12:13], 0.5
	v_fmac_f64_e32 v[12:13], v[12:13], v[22:23]
	v_fmac_f64_e32 v[10:11], v[10:11], v[22:23]
	v_fma_f64 v[22:23], -v[12:13], v[12:13], v[2:3]
	v_fmac_f64_e32 v[12:13], v[22:23], v[10:11]
	v_fma_f64 v[22:23], -v[12:13], v[12:13], v[2:3]
	v_fmac_f64_e32 v[12:13], v[22:23], v[10:11]
	v_cndmask_b32_e32 v10, 0, v45, vcc
	v_ldexp_f64 v[10:11], v[12:13], v10
	v_cmp_class_f64_e32 vcc, v[2:3], v42
	v_cndmask_b32_e32 v13, v11, v3, vcc
	v_cndmask_b32_e32 v12, v10, v2, vcc
	v_add_f64 v[2:3], v[12:13], v[12:13]
	v_div_scale_f64 v[10:11], s[42:43], v[2:3], v[2:3], v[4:5]
	v_rcp_f64_e32 v[22:23], v[10:11]
	v_fma_f64 v[40:41], -v[10:11], v[22:23], 1.0
	v_fmac_f64_e32 v[22:23], v[22:23], v[40:41]
	v_fma_f64 v[40:41], -v[10:11], v[22:23], 1.0
	v_fmac_f64_e32 v[22:23], v[22:23], v[40:41]
	v_div_scale_f64 v[40:41], vcc, v[4:5], v[2:3], v[4:5]
	v_mul_f64 v[46:47], v[40:41], v[22:23]
	v_fma_f64 v[10:11], -v[10:11], v[46:47], v[40:41]
	s_nop 1
	v_div_fmas_f64 v[10:11], v[10:11], v[22:23], v[46:47]
	v_div_fixup_f64 v[10:11], v[10:11], v[2:3], v[4:5]
                                        ; implicit-def: $vgpr22_vgpr23
                                        ; implicit-def: $vgpr2_vgpr3
	s_andn2_saveexec_b64 s[10:11], s[10:11]
	s_cbranch_execz .LBB296_297
	s_branch .LBB296_296
.LBB296_295:                            ;   in Loop: Header=BB296_161 Depth=1
	s_andn2_saveexec_b64 s[10:11], s[10:11]
	s_cbranch_execz .LBB296_297
.LBB296_296:                            ;   in Loop: Header=BB296_161 Depth=1
	v_add_f64 v[2:3], v[22:23], -v[2:3]
	v_mul_f64 v[2:3], v[2:3], 0.5
	v_cmp_gt_f64_e32 vcc, s[26:27], v[2:3]
	v_cndmask_b32_e64 v10, 0, 1, vcc
	v_lshlrev_b32_e32 v10, 8, v10
	v_ldexp_f64 v[2:3], v[2:3], v10
	v_rsq_f64_e32 v[10:11], v[2:3]
	v_mul_f64 v[12:13], v[2:3], v[10:11]
	v_mul_f64 v[10:11], v[10:11], 0.5
	v_fma_f64 v[22:23], -v[10:11], v[12:13], 0.5
	v_fmac_f64_e32 v[12:13], v[12:13], v[22:23]
	v_fmac_f64_e32 v[10:11], v[10:11], v[22:23]
	v_fma_f64 v[22:23], -v[12:13], v[12:13], v[2:3]
	v_fmac_f64_e32 v[12:13], v[22:23], v[10:11]
	v_fma_f64 v[22:23], -v[12:13], v[12:13], v[2:3]
	v_fmac_f64_e32 v[12:13], v[22:23], v[10:11]
	v_cndmask_b32_e32 v10, 0, v45, vcc
	v_ldexp_f64 v[10:11], v[12:13], v10
	v_cmp_class_f64_e32 vcc, v[2:3], v42
	v_cndmask_b32_e32 v11, v11, v3, vcc
	v_cndmask_b32_e32 v10, v10, v2, vcc
	v_add_f64 v[2:3], v[10:11], v[10:11]
	v_and_b32_e32 v13, 0x7fffffff, v5
	v_mov_b32_e32 v12, v4
	v_div_scale_f64 v[22:23], s[42:43], v[2:3], v[2:3], v[12:13]
	v_rcp_f64_e32 v[40:41], v[22:23]
	v_div_scale_f64 v[12:13], vcc, v[12:13], v[2:3], v[12:13]
	v_bfi_b32 v11, s52, v11, v5
	v_fma_f64 v[46:47], -v[22:23], v[40:41], 1.0
	v_fmac_f64_e32 v[40:41], v[40:41], v[46:47]
	v_fma_f64 v[46:47], -v[22:23], v[40:41], 1.0
	v_fmac_f64_e32 v[40:41], v[40:41], v[46:47]
	v_mul_f64 v[46:47], v[12:13], v[40:41]
	v_fma_f64 v[12:13], -v[22:23], v[46:47], v[12:13]
	v_div_fmas_f64 v[12:13], v[12:13], v[40:41], v[46:47]
	v_div_fixup_f64 v[12:13], v[12:13], v[2:3], |v[4:5]|
.LBB296_297:                            ;   in Loop: Header=BB296_161 Depth=1
	s_or_b64 exec, exec, s[10:11]
                                        ; implicit-def: $vgpr4_vgpr5
	s_and_saveexec_b64 s[10:11], s[8:9]
	s_xor_b64 s[8:9], exec, s[10:11]
	s_cbranch_execz .LBB296_299
; %bb.298:                              ;   in Loop: Header=BB296_161 Depth=1
	v_mul_f64 v[2:3], v[12:13], 0.5
	v_mul_f64 v[4:5], v[10:11], 0.5
	v_cndmask_b32_e64 v3, v13, v3, s[40:41]
	v_cndmask_b32_e64 v2, v12, v2, s[40:41]
	;; [unrolled: 1-line block ×4, first 2 shown]
                                        ; implicit-def: $vgpr12_vgpr13
                                        ; implicit-def: $vgpr10_vgpr11
	s_andn2_saveexec_b64 s[8:9], s[8:9]
	s_cbranch_execnz .LBB296_300
	s_branch .LBB296_301
.LBB296_299:                            ;   in Loop: Header=BB296_161 Depth=1
	s_andn2_saveexec_b64 s[8:9], s[8:9]
.LBB296_300:                            ;   in Loop: Header=BB296_161 Depth=1
	v_add_f64 v[2:3], v[12:13], v[12:13]
	v_add_f64 v[4:5], v[10:11], v[10:11]
.LBB296_301:                            ;   in Loop: Header=BB296_161 Depth=1
	s_or_b64 exec, exec, s[8:9]
.LBB296_302:                            ;   in Loop: Header=BB296_161 Depth=1
	s_andn2_saveexec_b64 s[8:9], s[38:39]
	s_cbranch_execz .LBB296_308
; %bb.303:                              ;   in Loop: Header=BB296_161 Depth=1
	v_cmp_lt_i64_e32 vcc, -1, v[2:3]
	v_add_f64 v[10:11], v[4:5], -v[4:5]
	s_and_saveexec_b64 s[10:11], vcc
	s_xor_b64 s[10:11], exec, s[10:11]
; %bb.304:                              ;   in Loop: Header=BB296_161 Depth=1
	v_bfi_b32 v11, s52, v11, v5
	v_pk_mov_b32 v[4:5], v[10:11], v[10:11] op_sel:[0,1]
                                        ; implicit-def: $vgpr10_vgpr11
; %bb.305:                              ;   in Loop: Header=BB296_161 Depth=1
	s_andn2_saveexec_b64 s[10:11], s[10:11]
; %bb.306:                              ;   in Loop: Header=BB296_161 Depth=1
	v_and_b32_e32 v11, 0x7fffffff, v11
	v_bfi_b32 v3, s52, v3, v5
	v_pk_mov_b32 v[4:5], v[2:3], v[2:3] op_sel:[0,1]
	v_pk_mov_b32 v[2:3], v[10:11], v[10:11] op_sel:[0,1]
; %bb.307:                              ;   in Loop: Header=BB296_161 Depth=1
	s_or_b64 exec, exec, s[10:11]
.LBB296_308:                            ;   in Loop: Header=BB296_161 Depth=1
	s_or_b64 exec, exec, s[8:9]
.LBB296_309:                            ;   in Loop: Header=BB296_161 Depth=1
	s_andn2_saveexec_b64 s[8:9], s[36:37]
; %bb.310:                              ;   in Loop: Header=BB296_161 Depth=1
	v_add_f64 v[4:5], v[4:5], -v[4:5]
	v_div_scale_f64 v[10:11], vcc, v[4:5], v[4:5], v[4:5]
	v_rcp_f64_e32 v[12:13], v[10:11]
	v_fma_f64 v[22:23], -v[10:11], v[12:13], 1.0
	v_fmac_f64_e32 v[12:13], v[12:13], v[22:23]
	v_fma_f64 v[22:23], -v[10:11], v[12:13], 1.0
	v_fmac_f64_e32 v[12:13], v[12:13], v[22:23]
	v_mul_f64 v[22:23], v[10:11], v[12:13]
	v_fma_f64 v[10:11], -v[10:11], v[22:23], v[10:11]
	v_div_fmas_f64 v[10:11], v[10:11], v[12:13], v[22:23]
	v_div_fixup_f64 v[4:5], v[10:11], v[4:5], v[4:5]
; %bb.311:                              ;   in Loop: Header=BB296_161 Depth=1
	s_or_b64 exec, exec, s[8:9]
	v_pk_mov_b32 v[22:23], v[2:3], v[2:3] op_sel:[0,1]
.LBB296_312:                            ;   in Loop: Header=BB296_161 Depth=1
	s_or_b64 exec, exec, s[34:35]
.LBB296_313:                            ;   in Loop: Header=BB296_161 Depth=1
	s_or_b64 exec, exec, s[30:31]
	v_xor_b32_e32 v2, 0x80000000, v23
	v_cmp_gt_f64_e32 vcc, 0, v[22:23]
	v_cndmask_b32_e32 v41, v23, v2, vcc
	v_cndmask_b32_e32 v40, v22, v22, vcc
	v_xor_b32_e32 v2, 0x80000000, v5
	v_cmp_gt_f64_e32 vcc, 0, v[4:5]
	v_cndmask_b32_e32 v3, v5, v2, vcc
	v_cndmask_b32_e32 v2, v4, v4, vcc
	v_cmp_ge_f64_e32 vcc, v[40:41], v[2:3]
                                        ; implicit-def: $vgpr12_vgpr13
	s_and_saveexec_b64 s[8:9], vcc
	s_xor_b64 s[10:11], exec, s[8:9]
	s_cbranch_execz .LBB296_323
; %bb.314:                              ;   in Loop: Header=BB296_161 Depth=1
	v_cmp_neq_f64_e32 vcc, 0, v[22:23]
	v_cmp_neq_f64_e64 s[8:9], 0, v[4:5]
	s_or_b64 s[8:9], vcc, s[8:9]
                                        ; implicit-def: $vgpr12_vgpr13
	s_and_saveexec_b64 s[30:31], s[8:9]
	s_xor_b64 s[8:9], exec, s[30:31]
	s_cbranch_execz .LBB296_316
; %bb.315:                              ;   in Loop: Header=BB296_161 Depth=1
	v_div_scale_f64 v[2:3], s[30:31], v[22:23], v[22:23], v[4:5]
	v_rcp_f64_e32 v[10:11], v[2:3]
	v_div_scale_f64 v[12:13], vcc, v[4:5], v[22:23], v[4:5]
	v_fma_f64 v[40:41], -v[2:3], v[10:11], 1.0
	v_fmac_f64_e32 v[10:11], v[10:11], v[40:41]
	v_fma_f64 v[40:41], -v[2:3], v[10:11], 1.0
	v_fmac_f64_e32 v[10:11], v[10:11], v[40:41]
	v_mul_f64 v[40:41], v[12:13], v[10:11]
	v_fma_f64 v[2:3], -v[2:3], v[40:41], v[12:13]
	v_div_fmas_f64 v[2:3], v[2:3], v[10:11], v[40:41]
	v_div_fixup_f64 v[2:3], v[2:3], v[22:23], v[4:5]
	v_fmac_f64_e32 v[22:23], v[4:5], v[2:3]
	v_div_scale_f64 v[4:5], s[30:31], v[22:23], v[22:23], 1.0
	v_rcp_f64_e32 v[10:11], v[4:5]
	v_fma_f64 v[12:13], -v[4:5], v[10:11], 1.0
	v_fmac_f64_e32 v[10:11], v[10:11], v[12:13]
	v_fma_f64 v[12:13], -v[4:5], v[10:11], 1.0
	v_fmac_f64_e32 v[10:11], v[10:11], v[12:13]
	v_div_scale_f64 v[12:13], vcc, 1.0, v[22:23], 1.0
	v_mul_f64 v[40:41], v[12:13], v[10:11]
	v_fma_f64 v[4:5], -v[4:5], v[40:41], v[12:13]
	s_nop 1
	v_div_fmas_f64 v[4:5], v[4:5], v[10:11], v[40:41]
	v_div_fixup_f64 v[4:5], v[4:5], v[22:23], 1.0
	v_fma_f64 v[10:11], v[2:3], 0, 1.0
	v_add_f64 v[2:3], -v[2:3], 0
	v_mul_f64 v[10:11], v[10:11], v[4:5]
	v_mul_f64 v[12:13], v[2:3], v[4:5]
                                        ; implicit-def: $vgpr40_vgpr41
                                        ; implicit-def: $vgpr2_vgpr3
.LBB296_316:                            ;   in Loop: Header=BB296_161 Depth=1
	s_andn2_saveexec_b64 s[8:9], s[8:9]
	s_cbranch_execz .LBB296_318
; %bb.317:                              ;   in Loop: Header=BB296_161 Depth=1
	v_div_scale_f64 v[4:5], s[30:31], v[40:41], v[40:41], 1.0
	v_rcp_f64_e32 v[10:11], v[4:5]
	v_div_scale_f64 v[12:13], vcc, 1.0, v[40:41], 1.0
	v_fma_f64 v[22:23], -v[4:5], v[10:11], 1.0
	v_fmac_f64_e32 v[10:11], v[10:11], v[22:23]
	v_fma_f64 v[22:23], -v[4:5], v[10:11], 1.0
	v_fmac_f64_e32 v[10:11], v[10:11], v[22:23]
	v_mul_f64 v[22:23], v[12:13], v[10:11]
	v_fma_f64 v[4:5], -v[4:5], v[22:23], v[12:13]
	v_div_scale_f64 v[12:13], s[30:31], v[2:3], v[2:3], 0
	v_rcp_f64_e32 v[46:47], v[12:13]
	v_div_fmas_f64 v[4:5], v[4:5], v[10:11], v[22:23]
	v_div_fixup_f64 v[10:11], v[4:5], v[40:41], 1.0
	v_fma_f64 v[4:5], -v[12:13], v[46:47], 1.0
	v_fmac_f64_e32 v[46:47], v[46:47], v[4:5]
	v_fma_f64 v[4:5], -v[12:13], v[46:47], 1.0
	v_fmac_f64_e32 v[46:47], v[46:47], v[4:5]
	v_div_scale_f64 v[4:5], vcc, 0, v[2:3], 0
	v_mul_f64 v[22:23], v[4:5], v[46:47]
	v_fma_f64 v[4:5], -v[12:13], v[22:23], v[4:5]
	s_nop 1
	v_div_fmas_f64 v[4:5], v[4:5], v[46:47], v[22:23]
	v_div_fixup_f64 v[12:13], v[4:5], v[2:3], 0
.LBB296_318:                            ;   in Loop: Header=BB296_161 Depth=1
	s_or_b64 exec, exec, s[8:9]
                                        ; implicit-def: $vgpr4_vgpr5
                                        ; implicit-def: $vgpr22_vgpr23
	s_andn2_saveexec_b64 s[8:9], s[10:11]
	s_cbranch_execnz .LBB296_324
.LBB296_319:                            ;   in Loop: Header=BB296_161 Depth=1
	s_or_b64 exec, exec, s[8:9]
	s_and_saveexec_b64 s[8:9], s[0:1]
	s_xor_b64 s[0:1], exec, s[8:9]
	s_cbranch_execz .LBB296_325
.LBB296_320:                            ;   in Loop: Header=BB296_161 Depth=1
	v_mov_b32_e32 v3, s13
	v_add_co_u32_e32 v2, vcc, s12, v26
	v_addc_co_u32_e32 v3, vcc, v27, v3, vcc
	global_store_dwordx4 v[2:3], v[6:9], off offset:-8
	s_or_b64 exec, exec, s[0:1]
	s_and_saveexec_b64 s[0:1], s[2:3]
	s_cbranch_execnz .LBB296_326
.LBB296_321:                            ;   in Loop: Header=BB296_161 Depth=1
	s_or_b64 exec, exec, s[0:1]
	s_and_saveexec_b64 s[0:1], s[4:5]
	s_cbranch_execz .LBB296_327
.LBB296_322:                            ;   in Loop: Header=BB296_161 Depth=1
	v_mov_b32_e32 v3, s13
	v_add_co_u32_e32 v2, vcc, s12, v38
	v_addc_co_u32_e32 v3, vcc, v39, v3, vcc
	global_store_dwordx4 v[2:3], v[18:21], off offset:-8
	s_or_b64 exec, exec, s[0:1]
	s_and_saveexec_b64 s[0:1], s[6:7]
	s_cbranch_execz .LBB296_160
	s_branch .LBB296_328
.LBB296_323:                            ;   in Loop: Header=BB296_161 Depth=1
	s_andn2_saveexec_b64 s[8:9], s[10:11]
	s_cbranch_execz .LBB296_319
.LBB296_324:                            ;   in Loop: Header=BB296_161 Depth=1
	v_div_scale_f64 v[2:3], s[10:11], v[4:5], v[4:5], v[22:23]
	v_rcp_f64_e32 v[10:11], v[2:3]
	v_div_scale_f64 v[12:13], vcc, v[22:23], v[4:5], v[22:23]
	v_fma_f64 v[40:41], -v[2:3], v[10:11], 1.0
	v_fmac_f64_e32 v[10:11], v[10:11], v[40:41]
	v_fma_f64 v[40:41], -v[2:3], v[10:11], 1.0
	v_fmac_f64_e32 v[10:11], v[10:11], v[40:41]
	v_mul_f64 v[40:41], v[12:13], v[10:11]
	v_fma_f64 v[2:3], -v[2:3], v[40:41], v[12:13]
	v_div_fmas_f64 v[2:3], v[2:3], v[10:11], v[40:41]
	v_div_fixup_f64 v[2:3], v[2:3], v[4:5], v[22:23]
	v_fmac_f64_e32 v[4:5], v[22:23], v[2:3]
	v_div_scale_f64 v[10:11], s[10:11], v[4:5], v[4:5], 1.0
	v_rcp_f64_e32 v[12:13], v[10:11]
	v_fma_f64 v[22:23], -v[10:11], v[12:13], 1.0
	v_fmac_f64_e32 v[12:13], v[12:13], v[22:23]
	v_fma_f64 v[22:23], -v[10:11], v[12:13], 1.0
	v_fmac_f64_e32 v[12:13], v[12:13], v[22:23]
	v_div_scale_f64 v[22:23], vcc, 1.0, v[4:5], 1.0
	v_mul_f64 v[40:41], v[22:23], v[12:13]
	v_fma_f64 v[10:11], -v[10:11], v[40:41], v[22:23]
	s_nop 1
	v_div_fmas_f64 v[10:11], v[10:11], v[12:13], v[40:41]
	v_div_fixup_f64 v[4:5], v[10:11], v[4:5], 1.0
	v_add_f64 v[10:11], v[2:3], 0
	v_fma_f64 v[2:3], v[2:3], 0, -1.0
	v_mul_f64 v[10:11], v[10:11], v[4:5]
	v_mul_f64 v[12:13], v[2:3], v[4:5]
	s_or_b64 exec, exec, s[8:9]
	s_and_saveexec_b64 s[8:9], s[0:1]
	s_xor_b64 s[0:1], exec, s[8:9]
	s_cbranch_execnz .LBB296_320
.LBB296_325:                            ;   in Loop: Header=BB296_161 Depth=1
	s_or_b64 exec, exec, s[0:1]
	s_and_saveexec_b64 s[0:1], s[2:3]
	s_cbranch_execz .LBB296_321
.LBB296_326:                            ;   in Loop: Header=BB296_161 Depth=1
	v_mov_b32_e32 v3, s13
	v_add_co_u32_e32 v2, vcc, s12, v28
	v_addc_co_u32_e32 v3, vcc, v29, v3, vcc
	global_store_dwordx4 v[2:3], v[14:17], off
	s_or_b64 exec, exec, s[0:1]
	s_and_saveexec_b64 s[0:1], s[4:5]
	s_cbranch_execnz .LBB296_322
.LBB296_327:                            ;   in Loop: Header=BB296_161 Depth=1
	s_or_b64 exec, exec, s[0:1]
	s_and_saveexec_b64 s[0:1], s[6:7]
	s_cbranch_execz .LBB296_160
.LBB296_328:                            ;   in Loop: Header=BB296_161 Depth=1
	v_mov_b32_e32 v3, s13
	v_add_co_u32_e32 v2, vcc, s12, v34
	v_addc_co_u32_e32 v3, vcc, v35, v3, vcc
	global_store_dwordx4 v[2:3], v[10:13], off offset:-8
	s_branch .LBB296_160
.LBB296_329:
	s_endpgm
	.section	.rodata,"a",@progbits
	.p2align	6, 0x0
	.amdhsa_kernel _ZN2at6native12_GLOBAL__N_125multi_tensor_apply_kernelINS1_18TensorListMetadataILi2EEENS1_14UnaryOpFunctorIN3c107complexIdEELi2ELi1ELi1EEEJNS0_5RsqrtIS8_EEEEEvT_T0_DpT1_
		.amdhsa_group_segment_fixed_size 0
		.amdhsa_private_segment_fixed_size 0
		.amdhsa_kernarg_size 3408
		.amdhsa_user_sgpr_count 6
		.amdhsa_user_sgpr_private_segment_buffer 1
		.amdhsa_user_sgpr_dispatch_ptr 0
		.amdhsa_user_sgpr_queue_ptr 0
		.amdhsa_user_sgpr_kernarg_segment_ptr 1
		.amdhsa_user_sgpr_dispatch_id 0
		.amdhsa_user_sgpr_flat_scratch_init 0
		.amdhsa_user_sgpr_kernarg_preload_length 0
		.amdhsa_user_sgpr_kernarg_preload_offset 0
		.amdhsa_user_sgpr_private_segment_size 0
		.amdhsa_uses_dynamic_stack 0
		.amdhsa_system_sgpr_private_segment_wavefront_offset 0
		.amdhsa_system_sgpr_workgroup_id_x 1
		.amdhsa_system_sgpr_workgroup_id_y 0
		.amdhsa_system_sgpr_workgroup_id_z 0
		.amdhsa_system_sgpr_workgroup_info 0
		.amdhsa_system_vgpr_workitem_id 0
		.amdhsa_next_free_vgpr 48
		.amdhsa_next_free_sgpr 56
		.amdhsa_accum_offset 48
		.amdhsa_reserve_vcc 1
		.amdhsa_reserve_flat_scratch 0
		.amdhsa_float_round_mode_32 0
		.amdhsa_float_round_mode_16_64 0
		.amdhsa_float_denorm_mode_32 3
		.amdhsa_float_denorm_mode_16_64 3
		.amdhsa_dx10_clamp 1
		.amdhsa_ieee_mode 1
		.amdhsa_fp16_overflow 0
		.amdhsa_tg_split 0
		.amdhsa_exception_fp_ieee_invalid_op 0
		.amdhsa_exception_fp_denorm_src 0
		.amdhsa_exception_fp_ieee_div_zero 0
		.amdhsa_exception_fp_ieee_overflow 0
		.amdhsa_exception_fp_ieee_underflow 0
		.amdhsa_exception_fp_ieee_inexact 0
		.amdhsa_exception_int_div_zero 0
	.end_amdhsa_kernel
	.section	.text._ZN2at6native12_GLOBAL__N_125multi_tensor_apply_kernelINS1_18TensorListMetadataILi2EEENS1_14UnaryOpFunctorIN3c107complexIdEELi2ELi1ELi1EEEJNS0_5RsqrtIS8_EEEEEvT_T0_DpT1_,"axG",@progbits,_ZN2at6native12_GLOBAL__N_125multi_tensor_apply_kernelINS1_18TensorListMetadataILi2EEENS1_14UnaryOpFunctorIN3c107complexIdEELi2ELi1ELi1EEEJNS0_5RsqrtIS8_EEEEEvT_T0_DpT1_,comdat
.Lfunc_end296:
	.size	_ZN2at6native12_GLOBAL__N_125multi_tensor_apply_kernelINS1_18TensorListMetadataILi2EEENS1_14UnaryOpFunctorIN3c107complexIdEELi2ELi1ELi1EEEJNS0_5RsqrtIS8_EEEEEvT_T0_DpT1_, .Lfunc_end296-_ZN2at6native12_GLOBAL__N_125multi_tensor_apply_kernelINS1_18TensorListMetadataILi2EEENS1_14UnaryOpFunctorIN3c107complexIdEELi2ELi1ELi1EEEJNS0_5RsqrtIS8_EEEEEvT_T0_DpT1_
                                        ; -- End function
	.section	.AMDGPU.csdata,"",@progbits
; Kernel info:
; codeLenInByte = 16120
; NumSgprs: 60
; NumVgprs: 48
; NumAgprs: 0
; TotalNumVgprs: 48
; ScratchSize: 0
; MemoryBound: 1
; FloatMode: 240
; IeeeMode: 1
; LDSByteSize: 0 bytes/workgroup (compile time only)
; SGPRBlocks: 7
; VGPRBlocks: 5
; NumSGPRsForWavesPerEU: 60
; NumVGPRsForWavesPerEU: 48
; AccumOffset: 48
; Occupancy: 8
; WaveLimiterHint : 0
; COMPUTE_PGM_RSRC2:SCRATCH_EN: 0
; COMPUTE_PGM_RSRC2:USER_SGPR: 6
; COMPUTE_PGM_RSRC2:TRAP_HANDLER: 0
; COMPUTE_PGM_RSRC2:TGID_X_EN: 1
; COMPUTE_PGM_RSRC2:TGID_Y_EN: 0
; COMPUTE_PGM_RSRC2:TGID_Z_EN: 0
; COMPUTE_PGM_RSRC2:TIDIG_COMP_CNT: 0
; COMPUTE_PGM_RSRC3_GFX90A:ACCUM_OFFSET: 11
; COMPUTE_PGM_RSRC3_GFX90A:TG_SPLIT: 0
	.section	.text._ZN2at6native12_GLOBAL__N_125multi_tensor_apply_kernelINS1_18TensorListMetadataILi2EEENS1_14UnaryOpFunctorIN3c107complexIfEELi2ELi1ELi1EEEJNS0_5RsqrtIS8_EEEEEvT_T0_DpT1_,"axG",@progbits,_ZN2at6native12_GLOBAL__N_125multi_tensor_apply_kernelINS1_18TensorListMetadataILi2EEENS1_14UnaryOpFunctorIN3c107complexIfEELi2ELi1ELi1EEEJNS0_5RsqrtIS8_EEEEEvT_T0_DpT1_,comdat
	.globl	_ZN2at6native12_GLOBAL__N_125multi_tensor_apply_kernelINS1_18TensorListMetadataILi2EEENS1_14UnaryOpFunctorIN3c107complexIfEELi2ELi1ELi1EEEJNS0_5RsqrtIS8_EEEEEvT_T0_DpT1_ ; -- Begin function _ZN2at6native12_GLOBAL__N_125multi_tensor_apply_kernelINS1_18TensorListMetadataILi2EEENS1_14UnaryOpFunctorIN3c107complexIfEELi2ELi1ELi1EEEJNS0_5RsqrtIS8_EEEEEvT_T0_DpT1_
	.p2align	8
	.type	_ZN2at6native12_GLOBAL__N_125multi_tensor_apply_kernelINS1_18TensorListMetadataILi2EEENS1_14UnaryOpFunctorIN3c107complexIfEELi2ELi1ELi1EEEJNS0_5RsqrtIS8_EEEEEvT_T0_DpT1_,@function
_ZN2at6native12_GLOBAL__N_125multi_tensor_apply_kernelINS1_18TensorListMetadataILi2EEENS1_14UnaryOpFunctorIN3c107complexIfEELi2ELi1ELi1EEEJNS0_5RsqrtIS8_EEEEEvT_T0_DpT1_: ; @_ZN2at6native12_GLOBAL__N_125multi_tensor_apply_kernelINS1_18TensorListMetadataILi2EEENS1_14UnaryOpFunctorIN3c107complexIfEELi2ELi1ELi1EEEJNS0_5RsqrtIS8_EEEEEvT_T0_DpT1_
; %bb.0:
	v_mov_b32_e32 v1, s6
	global_load_ubyte v1, v1, s[4:5] offset:1536
	s_add_u32 s0, s4, s6
	s_mul_hi_u32 s3, s6, 3
	s_mul_i32 s6, s6, 3
	s_addc_u32 s7, s5, 0
	s_add_u32 s2, s0, s6
	s_addc_u32 s3, s7, s3
	s_load_dword s2, s[2:3], 0x740
	s_mov_b32 s11, 0
	s_mov_b32 s1, s11
	;; [unrolled: 1-line block ×3, first 2 shown]
	s_waitcnt lgkmcnt(0)
	s_ashr_i32 s3, s2, 31
	s_lshl_b64 s[12:13], s[2:3], 19
	s_waitcnt vmcnt(0)
	v_readfirstlane_b32 s0, v1
	s_lshl_b32 s0, s0, 3
	s_load_dwordx2 s[8:9], s[4:5], s0 offset:0x0
	s_load_dwordx2 s[14:15], s[4:5], s0 offset:0x400
	;; [unrolled: 1-line block ×3, first 2 shown]
	s_waitcnt lgkmcnt(0)
	s_add_u32 s21, s8, s12
	s_addc_u32 s23, s9, s13
	s_add_u32 s33, s6, s12
	s_addc_u32 s42, s7, s13
	s_and_b32 s0, s21, 31
	s_and_b32 s16, s14, 3
	;; [unrolled: 1-line block ×3, first 2 shown]
	s_or_b64 s[0:1], s[0:1], s[16:17]
	s_lshl_b64 s[2:3], s[2:3], 16
	s_or_b64 s[0:1], s[10:11], s[0:1]
	s_sub_u32 s14, s14, s2
	s_subb_u32 s15, s15, s3
	s_cmp_eq_u64 s[0:1], 0
	s_mov_b64 s[0:1], -1
	s_cbranch_scc0 .LBB297_149
; %bb.1:
	v_mov_b32_e32 v15, 0
	v_lshlrev_b32_e32 v14, 2, v0
	v_cmp_gt_i64_e32 vcc, s[14:15], v[14:15]
	s_and_saveexec_b64 s[16:17], vcc
	s_cbranch_execz .LBB297_148
; %bb.2:
	s_load_dword s0, s[4:5], 0xc5c
	v_lshlrev_b32_e32 v16, 5, v0
	s_mov_b64 s[18:19], 0
	s_mov_b32 s44, 0x7f800000
	s_mov_b32 s45, 0x7ed413cb
	s_waitcnt lgkmcnt(0)
	s_and_b32 s0, s0, 0xffff
	v_add_lshl_u32 v14, v0, s0, 2
	s_lshl_b32 s10, s0, 2
	s_lshl_b32 s43, s0, 5
	s_mov_b32 s46, 0x1000000
	s_mov_b32 s20, 0x3e800000
	;; [unrolled: 1-line block ×3, first 2 shown]
	v_mov_b32_e32 v1, 0x260
	s_mov_b32 s22, 1.0
	s_brev_b32 s48, -2
	s_mov_b32 s25, -1.0
	s_mov_b64 s[26:27], 0xffff
	v_mov_b32_e32 v17, 0x7f800000
	s_branch .LBB297_4
.LBB297_3:                              ;   in Loop: Header=BB297_4 Depth=1
	s_or_b64 exec, exec, s[0:1]
	v_mov_b32_e32 v3, s42
	v_add_co_u32_e32 v2, vcc, s33, v16
	v_addc_co_u32_e32 v3, vcc, 0, v3, vcc
	v_cmp_le_i64_e32 vcc, s[14:15], v[14:15]
	v_cmp_lt_u64_e64 s[0:1], s[26:27], v[14:15]
	s_or_b64 s[0:1], vcc, s[0:1]
	s_add_u32 s21, s21, s43
	s_addc_u32 s23, s23, 0
	s_add_u32 s33, s33, s43
	s_addc_u32 s42, s42, 0
	global_store_dwordx4 v[2:3], v[6:9], off
	global_store_dwordx4 v[2:3], v[10:13], off offset:16
	v_mov_b32_e32 v2, s11
	s_and_b64 s[0:1], exec, s[0:1]
	v_add_co_u32_e32 v14, vcc, s10, v14
	s_or_b64 s[18:19], s[0:1], s[18:19]
	v_addc_co_u32_e32 v15, vcc, v15, v2, vcc
	s_andn2_b64 exec, exec, s[18:19]
	s_cbranch_execz .LBB297_148
.LBB297_4:                              ; =>This Inner Loop Header: Depth=1
	v_mov_b32_e32 v2, s23
	v_add_co_u32_e32 v6, vcc, s21, v16
	v_addc_co_u32_e32 v7, vcc, 0, v2, vcc
	global_load_dwordx4 v[8:11], v[6:7], off
	global_load_dwordx4 v[2:5], v[6:7], off offset:16
	v_mov_b32_e32 v12, 0
	s_waitcnt vmcnt(1)
	v_cmp_neq_f32_e32 vcc, 0, v8
	v_cmp_neq_f32_e64 s[0:1], 0, v9
	s_or_b64 s[0:1], vcc, s[0:1]
	s_and_saveexec_b64 s[28:29], s[0:1]
	s_cbranch_execz .LBB297_31
; %bb.5:                                ;   in Loop: Header=BB297_4 Depth=1
	v_cmp_neq_f32_e64 s[0:1], |v9|, s44
	v_mov_b32_e32 v12, 0x7f800000
	s_and_saveexec_b64 s[30:31], s[0:1]
	s_cbranch_execz .LBB297_30
; %bb.6:                                ;   in Loop: Header=BB297_4 Depth=1
	v_cmp_o_f32_e32 vcc, v8, v8
                                        ; implicit-def: $vgpr13
	s_and_saveexec_b64 s[0:1], vcc
	s_xor_b64 s[34:35], exec, s[0:1]
	s_cbranch_execz .LBB297_27
; %bb.7:                                ;   in Loop: Header=BB297_4 Depth=1
	v_cmp_neq_f32_e64 s[0:1], |v8|, s44
                                        ; implicit-def: $vgpr13
	s_and_saveexec_b64 s[2:3], s[0:1]
	s_xor_b64 s[36:37], exec, s[2:3]
	s_cbranch_execz .LBB297_21
; %bb.8:                                ;   in Loop: Header=BB297_4 Depth=1
	v_max_f32_e64 v6, |v9|, |v9|
	v_max_f32_e64 v7, |v8|, |v8|
	v_max_f32_e32 v6, v7, v6
	v_cmp_nle_f32_e64 s[0:1], s45, v6
                                        ; implicit-def: $sgpr38_sgpr39
                                        ; implicit-def: $vgpr6_vgpr7
	s_and_saveexec_b64 s[2:3], s[0:1]
	s_xor_b64 s[2:3], exec, s[2:3]
; %bb.9:                                ;   in Loop: Header=BB297_4 Depth=1
	v_cmp_nle_f32_e64 s[38:39], |v8|, s46
	v_cmp_nle_f32_e64 s[40:41], |v9|, s46
	s_or_b64 vcc, s[38:39], s[40:41]
	v_pk_mul_f32 v[6:7], v[8:9], 4.0 op_sel_hi:[1,0]
	s_xor_b64 s[38:39], vcc, -1
	v_cndmask_b32_e32 v7, v7, v9, vcc
	v_cndmask_b32_e32 v6, v6, v8, vcc
	s_and_b64 s[38:39], s[38:39], exec
; %bb.10:                               ;   in Loop: Header=BB297_4 Depth=1
	s_andn2_saveexec_b64 s[2:3], s[2:3]
; %bb.11:                               ;   in Loop: Header=BB297_4 Depth=1
	v_pk_mul_f32 v[6:7], v[8:9], s[20:21] op_sel_hi:[1,0]
	s_andn2_b64 s[38:39], s[38:39], exec
; %bb.12:                               ;   in Loop: Header=BB297_4 Depth=1
	s_or_b64 exec, exec, s[2:3]
	v_max_f32_e64 v12, |v7|, |v7|
	v_max_f32_e64 v13, |v6|, |v6|
	v_max_f32_e32 v18, v13, v12
	v_cvt_f64_f32_e32 v[12:13], v18
	v_frexp_exp_i32_f64_e32 v12, v[12:13]
	v_sub_u32_e32 v13, 0, v12
	v_ldexp_f32 v19, |v6|, v13
	v_ldexp_f32 v13, |v7|, v13
	v_mul_f32_e32 v13, v13, v13
	v_fmac_f32_e32 v13, v19, v19
	v_sqrt_f32_e32 v13, v13
	v_cmp_neq_f32_e64 s[2:3], s44, v18
	v_cmp_le_f32_e32 vcc, 0, v6
                                        ; implicit-def: $vgpr18_vgpr19
	v_ldexp_f32 v12, v13, v12
	v_cndmask_b32_e64 v12, v17, v12, s[2:3]
	s_and_saveexec_b64 s[2:3], vcc
	s_xor_b64 s[40:41], exec, s[2:3]
	s_cbranch_execz .LBB297_14
; %bb.13:                               ;   in Loop: Header=BB297_4 Depth=1
	v_add_f32_e32 v6, v6, v12
	v_mul_f32_e32 v6, 0.5, v6
	v_mul_f32_e32 v12, 0x4f800000, v6
	v_cmp_gt_f32_e32 vcc, s47, v6
	v_cndmask_b32_e32 v6, v6, v12, vcc
	v_sqrt_f32_e32 v12, v6
	v_add_u32_e32 v13, -1, v12
	v_fma_f32 v19, -v13, v12, v6
	v_add_u32_e32 v18, 1, v12
	v_cmp_ge_f32_e64 s[2:3], 0, v19
	v_cndmask_b32_e64 v13, v12, v13, s[2:3]
	v_fma_f32 v12, -v18, v12, v6
	v_cmp_lt_f32_e64 s[2:3], 0, v12
	v_cndmask_b32_e64 v12, v13, v18, s[2:3]
	v_mul_f32_e32 v13, 0x37800000, v12
	v_cndmask_b32_e32 v12, v12, v13, vcc
	v_cmp_class_f32_e32 vcc, v6, v1
	v_cndmask_b32_e32 v18, v12, v6, vcc
	v_add_f32_e32 v6, v18, v18
	v_div_scale_f32 v12, s[2:3], v6, v6, v7
	v_rcp_f32_e32 v13, v12
	v_fma_f32 v19, -v12, v13, 1.0
	v_fmac_f32_e32 v13, v19, v13
	v_div_scale_f32 v19, vcc, v7, v6, v7
	v_mul_f32_e32 v20, v19, v13
	v_fma_f32 v21, -v12, v20, v19
	v_fmac_f32_e32 v20, v21, v13
	v_fma_f32 v12, -v12, v20, v19
	v_div_fmas_f32 v12, v12, v13, v20
	v_div_fixup_f32 v19, v12, v6, v7
                                        ; implicit-def: $vgpr12
                                        ; implicit-def: $vgpr6_vgpr7
	s_andn2_saveexec_b64 s[40:41], s[40:41]
	s_cbranch_execz .LBB297_16
	s_branch .LBB297_15
.LBB297_14:                             ;   in Loop: Header=BB297_4 Depth=1
	s_andn2_saveexec_b64 s[40:41], s[40:41]
	s_cbranch_execz .LBB297_16
.LBB297_15:                             ;   in Loop: Header=BB297_4 Depth=1
	v_sub_f32_e32 v6, v12, v6
	v_mul_f32_e32 v6, 0.5, v6
	v_mul_f32_e32 v12, 0x4f800000, v6
	v_cmp_gt_f32_e32 vcc, s47, v6
	v_cndmask_b32_e32 v6, v6, v12, vcc
	v_sqrt_f32_e32 v12, v6
	v_add_u32_e32 v13, -1, v12
	v_fma_f32 v19, -v13, v12, v6
	v_add_u32_e32 v18, 1, v12
	v_cmp_ge_f32_e64 s[2:3], 0, v19
	v_cndmask_b32_e64 v13, v12, v13, s[2:3]
	v_fma_f32 v12, -v18, v12, v6
	v_cmp_lt_f32_e64 s[2:3], 0, v12
	v_cndmask_b32_e64 v12, v13, v18, s[2:3]
	v_mul_f32_e32 v13, 0x37800000, v12
	v_cndmask_b32_e32 v12, v12, v13, vcc
	v_cmp_class_f32_e32 vcc, v6, v1
	v_cndmask_b32_e32 v6, v12, v6, vcc
	v_add_f32_e32 v12, v6, v6
	v_and_b32_e32 v13, 0x7fffffff, v7
	v_div_scale_f32 v18, s[2:3], v12, v12, v13
	v_rcp_f32_e32 v19, v18
	v_div_scale_f32 v13, vcc, v13, v12, v13
	v_fma_f32 v20, -v18, v19, 1.0
	v_fmac_f32_e32 v19, v20, v19
	v_mul_f32_e32 v20, v13, v19
	v_fma_f32 v21, -v18, v20, v13
	v_fmac_f32_e32 v20, v21, v19
	v_fma_f32 v13, -v18, v20, v13
	v_div_fmas_f32 v13, v13, v19, v20
	v_div_fixup_f32 v18, v13, v12, |v7|
	v_bfi_b32 v19, s48, v6, v7
.LBB297_16:                             ;   in Loop: Header=BB297_4 Depth=1
	s_or_b64 exec, exec, s[40:41]
                                        ; implicit-def: $vgpr13
	s_and_saveexec_b64 s[2:3], s[0:1]
	s_xor_b64 s[0:1], exec, s[2:3]
	s_cbranch_execz .LBB297_18
; %bb.17:                               ;   in Loop: Header=BB297_4 Depth=1
	v_pk_mul_f32 v[6:7], v[18:19], 0.5 op_sel_hi:[1,0]
	v_cndmask_b32_e64 v12, v18, v6, s[38:39]
	v_cndmask_b32_e64 v13, v19, v7, s[38:39]
                                        ; implicit-def: $vgpr18_vgpr19
	s_andn2_saveexec_b64 s[0:1], s[0:1]
	s_cbranch_execnz .LBB297_19
	s_branch .LBB297_20
.LBB297_18:                             ;   in Loop: Header=BB297_4 Depth=1
	s_andn2_saveexec_b64 s[0:1], s[0:1]
.LBB297_19:                             ;   in Loop: Header=BB297_4 Depth=1
	v_pk_add_f32 v[12:13], v[18:19], v[18:19]
.LBB297_20:                             ;   in Loop: Header=BB297_4 Depth=1
	s_or_b64 exec, exec, s[0:1]
.LBB297_21:                             ;   in Loop: Header=BB297_4 Depth=1
	s_andn2_saveexec_b64 s[0:1], s[36:37]
	s_cbranch_execz .LBB297_49
; %bb.22:                               ;   in Loop: Header=BB297_4 Depth=1
	v_cmp_lt_i32_e32 vcc, -1, v8
	v_sub_f32_e32 v6, v9, v9
                                        ; implicit-def: $vgpr13
	s_and_saveexec_b64 s[2:3], vcc
	s_xor_b64 s[2:3], exec, s[2:3]
; %bb.23:                               ;   in Loop: Header=BB297_4 Depth=1
	v_bfi_b32 v13, s48, v6, v9
	v_mov_b32_e32 v12, v8
                                        ; implicit-def: $vgpr6
; %bb.24:                               ;   in Loop: Header=BB297_4 Depth=1
	s_andn2_saveexec_b64 s[2:3], s[2:3]
; %bb.25:                               ;   in Loop: Header=BB297_4 Depth=1
	v_and_b32_e32 v12, 0x7fffffff, v6
	v_bfi_b32 v13, s48, v8, v9
; %bb.26:                               ;   in Loop: Header=BB297_4 Depth=1
	s_or_b64 exec, exec, s[2:3]
	s_or_b64 exec, exec, s[0:1]
.LBB297_27:                             ;   in Loop: Header=BB297_4 Depth=1
	s_andn2_saveexec_b64 s[0:1], s[34:35]
	s_cbranch_execz .LBB297_29
.LBB297_28:                             ;   in Loop: Header=BB297_4 Depth=1
	v_sub_f32_e32 v6, v9, v9
	v_div_scale_f32 v7, vcc, v6, v6, v6
	v_rcp_f32_e32 v9, v7
	v_fma_f32 v12, -v7, v9, 1.0
	v_fmac_f32_e32 v9, v12, v9
	v_mul_f32_e32 v12, v7, v9
	v_fma_f32 v13, -v7, v12, v7
	v_fmac_f32_e32 v12, v13, v9
	v_fma_f32 v7, -v7, v12, v7
	v_div_fmas_f32 v7, v7, v9, v12
	v_div_fixup_f32 v13, v7, v6, v6
	v_mov_b32_e32 v12, v8
.LBB297_29:                             ;   in Loop: Header=BB297_4 Depth=1
	s_or_b64 exec, exec, s[0:1]
	v_mov_b32_e32 v9, v13
.LBB297_30:                             ;   in Loop: Header=BB297_4 Depth=1
	s_or_b64 exec, exec, s[30:31]
.LBB297_31:                             ;   in Loop: Header=BB297_4 Depth=1
	s_or_b64 exec, exec, s[28:29]
	v_cmp_gt_f32_e32 vcc, 0, v9
	v_cndmask_b32_e64 v13, v9, -v9, vcc
	v_cmp_gt_f32_e32 vcc, 0, v12
	v_cndmask_b32_e64 v8, v12, -v12, vcc
	v_cmp_ge_f32_e32 vcc, v8, v13
                                        ; implicit-def: $vgpr6_vgpr7
	s_and_saveexec_b64 s[0:1], vcc
	s_xor_b64 s[2:3], exec, s[0:1]
	s_cbranch_execz .LBB297_37
; %bb.32:                               ;   in Loop: Header=BB297_4 Depth=1
	v_cmp_neq_f32_e32 vcc, 0, v12
	v_cmp_neq_f32_e64 s[0:1], 0, v9
	s_or_b64 s[0:1], vcc, s[0:1]
                                        ; implicit-def: $vgpr6_vgpr7
	s_and_saveexec_b64 s[28:29], s[0:1]
	s_xor_b64 s[0:1], exec, s[28:29]
	s_cbranch_execz .LBB297_34
; %bb.33:                               ;   in Loop: Header=BB297_4 Depth=1
	v_div_scale_f32 v6, s[28:29], v12, v12, v9
	v_rcp_f32_e32 v7, v6
	v_div_scale_f32 v8, vcc, v9, v12, v9
	v_fma_f32 v13, -v6, v7, 1.0
	v_fmac_f32_e32 v7, v13, v7
	v_mul_f32_e32 v13, v8, v7
	v_fma_f32 v18, -v6, v13, v8
	v_fmac_f32_e32 v13, v18, v7
	v_fma_f32 v6, -v6, v13, v8
	v_div_fmas_f32 v6, v6, v7, v13
	v_div_fixup_f32 v7, v6, v12, v9
	v_fmac_f32_e32 v12, v9, v7
	v_div_scale_f32 v6, s[28:29], v12, v12, 1.0
	v_rcp_f32_e32 v8, v6
	v_fma_f32 v13, -v6, v8, 1.0
	v_fmac_f32_e32 v8, v13, v8
	v_div_scale_f32 v13, vcc, 1.0, v12, 1.0
	v_mul_f32_e32 v18, v13, v8
	v_fma_f32 v19, -v6, v18, v13
	v_fmac_f32_e32 v18, v19, v8
	v_fma_f32 v6, -v6, v18, v13
	v_div_fmas_f32 v6, v6, v8, v18
	v_div_fixup_f32 v8, v6, v12, 1.0
	v_mul_f32_e32 v6, 0, v7
	v_pk_add_f32 v[12:13], v[6:7], s[22:23]
	v_pk_add_f32 v[6:7], v[6:7], s[10:11] neg_lo:[1,0] neg_hi:[1,0]
	v_mov_b32_e32 v13, v7
	v_pk_mul_f32 v[6:7], v[12:13], v[8:9] op_sel_hi:[1,0]
                                        ; implicit-def: $vgpr13
                                        ; implicit-def: $vgpr8
.LBB297_34:                             ;   in Loop: Header=BB297_4 Depth=1
	s_andn2_saveexec_b64 s[0:1], s[0:1]
	s_cbranch_execz .LBB297_36
; %bb.35:                               ;   in Loop: Header=BB297_4 Depth=1
	v_div_scale_f32 v6, s[28:29], v13, v13, 0
	v_rcp_f32_e32 v7, v6
	v_div_scale_f32 v12, vcc, 0, v13, 0
	v_fma_f32 v18, -v6, v7, 1.0
	v_fmac_f32_e32 v7, v18, v7
	v_mul_f32_e32 v18, v12, v7
	v_fma_f32 v19, -v6, v18, v12
	v_fmac_f32_e32 v18, v19, v7
	v_fma_f32 v6, -v6, v18, v12
	v_div_scale_f32 v12, s[28:29], v8, v8, 1.0
	v_rcp_f32_e32 v19, v12
	v_div_fmas_f32 v6, v6, v7, v18
	v_div_fixup_f32 v7, v6, v13, 0
	v_fma_f32 v6, -v12, v19, 1.0
	v_fmac_f32_e32 v19, v6, v19
	v_div_scale_f32 v6, vcc, 1.0, v8, 1.0
	v_mul_f32_e32 v13, v6, v19
	v_fma_f32 v18, -v12, v13, v6
	v_fmac_f32_e32 v13, v18, v19
	v_fma_f32 v6, -v12, v13, v6
	v_div_fmas_f32 v6, v6, v19, v13
	v_div_fixup_f32 v6, v6, v8, 1.0
.LBB297_36:                             ;   in Loop: Header=BB297_4 Depth=1
	s_or_b64 exec, exec, s[0:1]
                                        ; implicit-def: $vgpr12
.LBB297_37:                             ;   in Loop: Header=BB297_4 Depth=1
	s_andn2_saveexec_b64 s[0:1], s[2:3]
	s_cbranch_execz .LBB297_39
; %bb.38:                               ;   in Loop: Header=BB297_4 Depth=1
	v_div_scale_f32 v6, s[2:3], v9, v9, v12
	v_rcp_f32_e32 v7, v6
	v_div_scale_f32 v8, vcc, v12, v9, v12
	s_mov_b32 s24, s11
	v_fma_f32 v13, -v6, v7, 1.0
	v_fmac_f32_e32 v7, v13, v7
	v_mul_f32_e32 v13, v8, v7
	v_fma_f32 v18, -v6, v13, v8
	v_fmac_f32_e32 v13, v18, v7
	v_fma_f32 v6, -v6, v13, v8
	v_div_fmas_f32 v6, v6, v7, v13
	v_div_fixup_f32 v6, v6, v9, v12
	v_fmac_f32_e32 v9, v12, v6
	v_div_scale_f32 v7, s[2:3], v9, v9, 1.0
	v_rcp_f32_e32 v8, v7
	v_fma_f32 v12, -v7, v8, 1.0
	v_fmac_f32_e32 v8, v12, v8
	v_div_scale_f32 v12, vcc, 1.0, v9, 1.0
	v_mul_f32_e32 v13, v12, v8
	v_fma_f32 v18, -v7, v13, v12
	v_fmac_f32_e32 v13, v18, v8
	v_fma_f32 v7, -v7, v13, v12
	v_div_fmas_f32 v7, v7, v8, v13
	v_div_fixup_f32 v8, v7, v9, 1.0
	v_mul_f32_e32 v7, 0, v6
	v_pk_add_f32 v[6:7], v[6:7], s[24:25]
	v_pk_mul_f32 v[6:7], v[6:7], v[8:9] op_sel_hi:[1,0]
.LBB297_39:                             ;   in Loop: Header=BB297_4 Depth=1
	s_or_b64 exec, exec, s[0:1]
	v_cmp_neq_f32_e32 vcc, 0, v10
	v_cmp_neq_f32_e64 s[0:1], 0, v11
	s_or_b64 s[0:1], vcc, s[0:1]
	v_mov_b32_e32 v18, 0
	s_and_saveexec_b64 s[28:29], s[0:1]
	s_cbranch_execz .LBB297_68
; %bb.40:                               ;   in Loop: Header=BB297_4 Depth=1
	v_cmp_neq_f32_e64 s[0:1], |v11|, s44
	v_mov_b32_e32 v18, 0x7f800000
	s_and_saveexec_b64 s[30:31], s[0:1]
	s_cbranch_execz .LBB297_67
; %bb.41:                               ;   in Loop: Header=BB297_4 Depth=1
	v_cmp_o_f32_e32 vcc, v10, v10
                                        ; implicit-def: $vgpr18
	s_and_saveexec_b64 s[0:1], vcc
	s_xor_b64 s[34:35], exec, s[0:1]
	s_cbranch_execz .LBB297_64
; %bb.42:                               ;   in Loop: Header=BB297_4 Depth=1
	v_cmp_neq_f32_e64 s[0:1], |v10|, s44
                                        ; implicit-def: $vgpr18
	s_and_saveexec_b64 s[2:3], s[0:1]
	s_xor_b64 s[36:37], exec, s[2:3]
	s_cbranch_execz .LBB297_57
; %bb.43:                               ;   in Loop: Header=BB297_4 Depth=1
	v_max_f32_e64 v8, |v11|, |v11|
	v_max_f32_e64 v9, |v10|, |v10|
	v_max_f32_e32 v8, v9, v8
	v_cmp_nle_f32_e64 s[0:1], s45, v8
                                        ; implicit-def: $sgpr38_sgpr39
                                        ; implicit-def: $vgpr8_vgpr9
	s_and_saveexec_b64 s[2:3], s[0:1]
	s_xor_b64 s[2:3], exec, s[2:3]
; %bb.44:                               ;   in Loop: Header=BB297_4 Depth=1
	v_cmp_nle_f32_e64 s[38:39], |v10|, s46
	v_cmp_nle_f32_e64 s[40:41], |v11|, s46
	s_or_b64 vcc, s[38:39], s[40:41]
	v_pk_mul_f32 v[8:9], v[10:11], 4.0 op_sel_hi:[1,0]
	s_xor_b64 s[38:39], vcc, -1
	v_cndmask_b32_e32 v9, v9, v11, vcc
	v_cndmask_b32_e32 v8, v8, v10, vcc
	s_and_b64 s[38:39], s[38:39], exec
                                        ; implicit-def: $vgpr10_vgpr11
; %bb.45:                               ;   in Loop: Header=BB297_4 Depth=1
	s_andn2_saveexec_b64 s[2:3], s[2:3]
; %bb.46:                               ;   in Loop: Header=BB297_4 Depth=1
	v_pk_mul_f32 v[8:9], v[10:11], s[20:21] op_sel_hi:[1,0]
	s_andn2_b64 s[38:39], s[38:39], exec
; %bb.47:                               ;   in Loop: Header=BB297_4 Depth=1
	s_or_b64 exec, exec, s[2:3]
	v_max_f32_e64 v10, |v9|, |v9|
	v_max_f32_e64 v11, |v8|, |v8|
	v_max_f32_e32 v12, v11, v10
	v_cvt_f64_f32_e32 v[10:11], v12
	v_frexp_exp_i32_f64_e32 v10, v[10:11]
	v_sub_u32_e32 v11, 0, v10
	v_ldexp_f32 v13, |v8|, v11
	v_ldexp_f32 v11, |v9|, v11
	v_mul_f32_e32 v11, v11, v11
	v_fmac_f32_e32 v11, v13, v13
	v_sqrt_f32_e32 v11, v11
	v_cmp_neq_f32_e64 s[2:3], s44, v12
	v_cmp_le_f32_e32 vcc, 0, v8
                                        ; implicit-def: $vgpr12_vgpr13
	v_ldexp_f32 v10, v11, v10
	v_cndmask_b32_e64 v10, v17, v10, s[2:3]
	s_and_saveexec_b64 s[2:3], vcc
	s_xor_b64 s[40:41], exec, s[2:3]
	s_cbranch_execz .LBB297_50
; %bb.48:                               ;   in Loop: Header=BB297_4 Depth=1
	v_add_f32_e32 v8, v8, v10
	v_mul_f32_e32 v8, 0.5, v8
	v_mul_f32_e32 v10, 0x4f800000, v8
	v_cmp_gt_f32_e32 vcc, s47, v8
	v_cndmask_b32_e32 v8, v8, v10, vcc
	v_sqrt_f32_e32 v10, v8
	v_add_u32_e32 v11, -1, v10
	v_fma_f32 v13, -v11, v10, v8
	v_add_u32_e32 v12, 1, v10
	v_cmp_ge_f32_e64 s[2:3], 0, v13
	v_cndmask_b32_e64 v11, v10, v11, s[2:3]
	v_fma_f32 v10, -v12, v10, v8
	v_cmp_lt_f32_e64 s[2:3], 0, v10
	v_cndmask_b32_e64 v10, v11, v12, s[2:3]
	v_mul_f32_e32 v11, 0x37800000, v10
	v_cndmask_b32_e32 v10, v10, v11, vcc
	v_cmp_class_f32_e32 vcc, v8, v1
	v_cndmask_b32_e32 v12, v10, v8, vcc
	v_add_f32_e32 v8, v12, v12
	v_div_scale_f32 v10, s[2:3], v8, v8, v9
	v_rcp_f32_e32 v11, v10
	v_fma_f32 v13, -v10, v11, 1.0
	v_fmac_f32_e32 v11, v13, v11
	v_div_scale_f32 v13, vcc, v9, v8, v9
	v_mul_f32_e32 v18, v13, v11
	v_fma_f32 v19, -v10, v18, v13
	v_fmac_f32_e32 v18, v19, v11
	v_fma_f32 v10, -v10, v18, v13
	v_div_fmas_f32 v10, v10, v11, v18
	v_div_fixup_f32 v13, v10, v8, v9
                                        ; implicit-def: $vgpr10
                                        ; implicit-def: $vgpr8_vgpr9
	s_andn2_saveexec_b64 s[40:41], s[40:41]
	s_cbranch_execz .LBB297_52
	s_branch .LBB297_51
.LBB297_49:                             ;   in Loop: Header=BB297_4 Depth=1
	s_or_b64 exec, exec, s[0:1]
	s_andn2_saveexec_b64 s[0:1], s[34:35]
	s_cbranch_execnz .LBB297_28
	s_branch .LBB297_29
.LBB297_50:                             ;   in Loop: Header=BB297_4 Depth=1
	s_andn2_saveexec_b64 s[40:41], s[40:41]
	s_cbranch_execz .LBB297_52
.LBB297_51:                             ;   in Loop: Header=BB297_4 Depth=1
	v_sub_f32_e32 v8, v10, v8
	v_mul_f32_e32 v8, 0.5, v8
	v_mul_f32_e32 v10, 0x4f800000, v8
	v_cmp_gt_f32_e32 vcc, s47, v8
	v_cndmask_b32_e32 v8, v8, v10, vcc
	v_sqrt_f32_e32 v10, v8
	v_add_u32_e32 v11, -1, v10
	v_fma_f32 v13, -v11, v10, v8
	v_add_u32_e32 v12, 1, v10
	v_cmp_ge_f32_e64 s[2:3], 0, v13
	v_cndmask_b32_e64 v11, v10, v11, s[2:3]
	v_fma_f32 v10, -v12, v10, v8
	v_cmp_lt_f32_e64 s[2:3], 0, v10
	v_cndmask_b32_e64 v10, v11, v12, s[2:3]
	v_mul_f32_e32 v11, 0x37800000, v10
	v_cndmask_b32_e32 v10, v10, v11, vcc
	v_cmp_class_f32_e32 vcc, v8, v1
	v_cndmask_b32_e32 v8, v10, v8, vcc
	v_add_f32_e32 v10, v8, v8
	v_and_b32_e32 v11, 0x7fffffff, v9
	v_div_scale_f32 v12, s[2:3], v10, v10, v11
	v_rcp_f32_e32 v13, v12
	v_div_scale_f32 v11, vcc, v11, v10, v11
	v_fma_f32 v18, -v12, v13, 1.0
	v_fmac_f32_e32 v13, v18, v13
	v_mul_f32_e32 v18, v11, v13
	v_fma_f32 v19, -v12, v18, v11
	v_fmac_f32_e32 v18, v19, v13
	v_fma_f32 v11, -v12, v18, v11
	v_div_fmas_f32 v11, v11, v13, v18
	v_div_fixup_f32 v12, v11, v10, |v9|
	v_bfi_b32 v13, s48, v8, v9
.LBB297_52:                             ;   in Loop: Header=BB297_4 Depth=1
	s_or_b64 exec, exec, s[40:41]
                                        ; implicit-def: $vgpr11
                                        ; implicit-def: $vgpr18
	s_and_saveexec_b64 s[2:3], s[0:1]
	s_xor_b64 s[0:1], exec, s[2:3]
	s_cbranch_execz .LBB297_54
; %bb.53:                               ;   in Loop: Header=BB297_4 Depth=1
	v_pk_mul_f32 v[8:9], v[12:13], 0.5 op_sel_hi:[1,0]
	v_cndmask_b32_e64 v18, v12, v8, s[38:39]
	v_cndmask_b32_e64 v11, v13, v9, s[38:39]
                                        ; implicit-def: $vgpr12_vgpr13
	s_andn2_saveexec_b64 s[0:1], s[0:1]
	s_cbranch_execnz .LBB297_55
	s_branch .LBB297_56
.LBB297_54:                             ;   in Loop: Header=BB297_4 Depth=1
	s_andn2_saveexec_b64 s[0:1], s[0:1]
.LBB297_55:                             ;   in Loop: Header=BB297_4 Depth=1
	v_pk_add_f32 v[10:11], v[12:13], v[12:13]
	v_mov_b32_e32 v18, v10
.LBB297_56:                             ;   in Loop: Header=BB297_4 Depth=1
	s_or_b64 exec, exec, s[0:1]
.LBB297_57:                             ;   in Loop: Header=BB297_4 Depth=1
	s_andn2_saveexec_b64 s[0:1], s[36:37]
	s_cbranch_execz .LBB297_63
; %bb.58:                               ;   in Loop: Header=BB297_4 Depth=1
	v_cmp_lt_i32_e32 vcc, -1, v10
	v_sub_f32_e32 v8, v11, v11
                                        ; implicit-def: $vgpr18
	s_and_saveexec_b64 s[2:3], vcc
	s_xor_b64 s[2:3], exec, s[2:3]
; %bb.59:                               ;   in Loop: Header=BB297_4 Depth=1
	v_bfi_b32 v11, s48, v8, v11
	v_mov_b32_e32 v18, v10
                                        ; implicit-def: $vgpr8
; %bb.60:                               ;   in Loop: Header=BB297_4 Depth=1
	s_andn2_saveexec_b64 s[2:3], s[2:3]
; %bb.61:                               ;   in Loop: Header=BB297_4 Depth=1
	v_and_b32_e32 v18, 0x7fffffff, v8
	v_bfi_b32 v11, s48, v10, v11
; %bb.62:                               ;   in Loop: Header=BB297_4 Depth=1
	s_or_b64 exec, exec, s[2:3]
.LBB297_63:                             ;   in Loop: Header=BB297_4 Depth=1
	s_or_b64 exec, exec, s[0:1]
.LBB297_64:                             ;   in Loop: Header=BB297_4 Depth=1
	s_andn2_saveexec_b64 s[0:1], s[34:35]
	s_cbranch_execz .LBB297_66
; %bb.65:                               ;   in Loop: Header=BB297_4 Depth=1
	v_sub_f32_e32 v8, v11, v11
	v_div_scale_f32 v9, vcc, v8, v8, v8
	v_rcp_f32_e32 v11, v9
	v_mov_b32_e32 v18, v10
	v_fma_f32 v12, -v9, v11, 1.0
	v_fmac_f32_e32 v11, v12, v11
	v_mul_f32_e32 v12, v9, v11
	v_fma_f32 v13, -v9, v12, v9
	v_fmac_f32_e32 v12, v13, v11
	v_fma_f32 v9, -v9, v12, v9
	v_div_fmas_f32 v9, v9, v11, v12
	v_div_fixup_f32 v11, v9, v8, v8
.LBB297_66:                             ;   in Loop: Header=BB297_4 Depth=1
	s_or_b64 exec, exec, s[0:1]
.LBB297_67:                             ;   in Loop: Header=BB297_4 Depth=1
	s_or_b64 exec, exec, s[30:31]
.LBB297_68:                             ;   in Loop: Header=BB297_4 Depth=1
	s_or_b64 exec, exec, s[28:29]
	v_cmp_gt_f32_e32 vcc, 0, v11
	v_cndmask_b32_e64 v12, v11, -v11, vcc
	v_cmp_gt_f32_e32 vcc, 0, v18
	v_cndmask_b32_e64 v10, v18, -v18, vcc
	v_cmp_ge_f32_e32 vcc, v10, v12
	s_and_saveexec_b64 s[0:1], vcc
	s_xor_b64 s[2:3], exec, s[0:1]
	s_cbranch_execz .LBB297_74
; %bb.69:                               ;   in Loop: Header=BB297_4 Depth=1
	v_cmp_neq_f32_e32 vcc, 0, v18
	v_cmp_neq_f32_e64 s[0:1], 0, v11
	s_or_b64 s[0:1], vcc, s[0:1]
	s_and_saveexec_b64 s[28:29], s[0:1]
	s_xor_b64 s[0:1], exec, s[28:29]
	s_cbranch_execz .LBB297_71
; %bb.70:                               ;   in Loop: Header=BB297_4 Depth=1
	v_div_scale_f32 v8, s[28:29], v18, v18, v11
	v_rcp_f32_e32 v9, v8
	v_div_scale_f32 v10, vcc, v11, v18, v11
	v_fma_f32 v12, -v8, v9, 1.0
	v_fmac_f32_e32 v9, v12, v9
	v_mul_f32_e32 v12, v10, v9
	v_fma_f32 v13, -v8, v12, v10
	v_fmac_f32_e32 v12, v13, v9
	v_fma_f32 v8, -v8, v12, v10
	v_div_fmas_f32 v8, v8, v9, v12
	v_div_fixup_f32 v9, v8, v18, v11
	v_fmac_f32_e32 v18, v11, v9
	v_div_scale_f32 v8, s[28:29], v18, v18, 1.0
	v_rcp_f32_e32 v10, v8
	v_fma_f32 v11, -v8, v10, 1.0
	v_fmac_f32_e32 v10, v11, v10
	v_div_scale_f32 v11, vcc, 1.0, v18, 1.0
	v_mul_f32_e32 v12, v11, v10
	v_fma_f32 v13, -v8, v12, v11
	v_fmac_f32_e32 v12, v13, v10
	v_fma_f32 v8, -v8, v12, v11
	v_div_fmas_f32 v8, v8, v10, v12
	v_div_fixup_f32 v10, v8, v18, 1.0
	v_mul_f32_e32 v8, 0, v9
	v_pk_add_f32 v[12:13], v[8:9], s[22:23]
	v_pk_add_f32 v[8:9], v[8:9], s[10:11] neg_lo:[1,0] neg_hi:[1,0]
	v_mov_b32_e32 v13, v9
	v_pk_mul_f32 v[8:9], v[12:13], v[10:11] op_sel_hi:[1,0]
                                        ; implicit-def: $vgpr12
                                        ; implicit-def: $vgpr10
.LBB297_71:                             ;   in Loop: Header=BB297_4 Depth=1
	s_andn2_saveexec_b64 s[0:1], s[0:1]
	s_cbranch_execz .LBB297_73
; %bb.72:                               ;   in Loop: Header=BB297_4 Depth=1
	v_div_scale_f32 v8, s[28:29], v12, v12, 0
	v_rcp_f32_e32 v9, v8
	v_div_scale_f32 v11, vcc, 0, v12, 0
	v_fma_f32 v13, -v8, v9, 1.0
	v_fmac_f32_e32 v9, v13, v9
	v_mul_f32_e32 v13, v11, v9
	v_fma_f32 v18, -v8, v13, v11
	v_fmac_f32_e32 v13, v18, v9
	v_fma_f32 v8, -v8, v13, v11
	v_div_scale_f32 v11, s[28:29], v10, v10, 1.0
	v_rcp_f32_e32 v18, v11
	v_div_fmas_f32 v8, v8, v9, v13
	v_div_fixup_f32 v9, v8, v12, 0
	v_fma_f32 v8, -v11, v18, 1.0
	v_fmac_f32_e32 v18, v8, v18
	v_div_scale_f32 v8, vcc, 1.0, v10, 1.0
	v_mul_f32_e32 v12, v8, v18
	v_fma_f32 v13, -v11, v12, v8
	v_fmac_f32_e32 v12, v13, v18
	v_fma_f32 v8, -v11, v12, v8
	v_div_fmas_f32 v8, v8, v18, v12
	v_div_fixup_f32 v8, v8, v10, 1.0
.LBB297_73:                             ;   in Loop: Header=BB297_4 Depth=1
	s_or_b64 exec, exec, s[0:1]
                                        ; implicit-def: $vgpr11
                                        ; implicit-def: $vgpr18
.LBB297_74:                             ;   in Loop: Header=BB297_4 Depth=1
	s_andn2_saveexec_b64 s[0:1], s[2:3]
	s_cbranch_execz .LBB297_76
; %bb.75:                               ;   in Loop: Header=BB297_4 Depth=1
	v_div_scale_f32 v8, s[2:3], v11, v11, v18
	v_rcp_f32_e32 v9, v8
	v_div_scale_f32 v10, vcc, v18, v11, v18
	s_mov_b32 s24, s11
	v_fma_f32 v12, -v8, v9, 1.0
	v_fmac_f32_e32 v9, v12, v9
	v_mul_f32_e32 v12, v10, v9
	v_fma_f32 v13, -v8, v12, v10
	v_fmac_f32_e32 v12, v13, v9
	v_fma_f32 v8, -v8, v12, v10
	v_div_fmas_f32 v8, v8, v9, v12
	v_div_fixup_f32 v8, v8, v11, v18
	v_fmac_f32_e32 v11, v18, v8
	v_div_scale_f32 v9, s[2:3], v11, v11, 1.0
	v_rcp_f32_e32 v10, v9
	v_fma_f32 v12, -v9, v10, 1.0
	v_fmac_f32_e32 v10, v12, v10
	v_div_scale_f32 v12, vcc, 1.0, v11, 1.0
	v_mul_f32_e32 v13, v12, v10
	v_fma_f32 v18, -v9, v13, v12
	v_fmac_f32_e32 v13, v18, v10
	v_fma_f32 v9, -v9, v13, v12
	v_div_fmas_f32 v9, v9, v10, v13
	v_div_fixup_f32 v10, v9, v11, 1.0
	v_mul_f32_e32 v9, 0, v8
	v_pk_add_f32 v[8:9], v[8:9], s[24:25]
	v_pk_mul_f32 v[8:9], v[8:9], v[10:11] op_sel_hi:[1,0]
.LBB297_76:                             ;   in Loop: Header=BB297_4 Depth=1
	s_or_b64 exec, exec, s[0:1]
	s_waitcnt vmcnt(0)
	v_cmp_neq_f32_e32 vcc, 0, v2
	v_cmp_neq_f32_e64 s[0:1], 0, v3
	s_or_b64 s[0:1], vcc, s[0:1]
	v_mov_b32_e32 v12, 0
	s_and_saveexec_b64 s[28:29], s[0:1]
	s_cbranch_execz .LBB297_104
; %bb.77:                               ;   in Loop: Header=BB297_4 Depth=1
	v_cmp_neq_f32_e64 s[0:1], |v3|, s44
	v_mov_b32_e32 v12, 0x7f800000
	s_and_saveexec_b64 s[30:31], s[0:1]
	s_cbranch_execz .LBB297_103
; %bb.78:                               ;   in Loop: Header=BB297_4 Depth=1
	v_cmp_o_f32_e32 vcc, v2, v2
                                        ; implicit-def: $vgpr13
	s_and_saveexec_b64 s[0:1], vcc
	s_xor_b64 s[34:35], exec, s[0:1]
	s_cbranch_execz .LBB297_100
; %bb.79:                               ;   in Loop: Header=BB297_4 Depth=1
	v_cmp_neq_f32_e64 s[0:1], |v2|, s44
                                        ; implicit-def: $vgpr13
	s_and_saveexec_b64 s[2:3], s[0:1]
	s_xor_b64 s[36:37], exec, s[2:3]
	s_cbranch_execz .LBB297_93
; %bb.80:                               ;   in Loop: Header=BB297_4 Depth=1
	v_max_f32_e64 v10, |v3|, |v3|
	v_max_f32_e64 v11, |v2|, |v2|
	v_max_f32_e32 v10, v11, v10
	v_cmp_nle_f32_e64 s[0:1], s45, v10
                                        ; implicit-def: $sgpr38_sgpr39
                                        ; implicit-def: $vgpr10_vgpr11
	s_and_saveexec_b64 s[2:3], s[0:1]
	s_xor_b64 s[2:3], exec, s[2:3]
; %bb.81:                               ;   in Loop: Header=BB297_4 Depth=1
	v_cmp_nle_f32_e64 s[38:39], |v2|, s46
	v_cmp_nle_f32_e64 s[40:41], |v3|, s46
	s_or_b64 vcc, s[38:39], s[40:41]
	v_pk_mul_f32 v[10:11], v[2:3], 4.0 op_sel_hi:[1,0]
	s_xor_b64 s[38:39], vcc, -1
	v_cndmask_b32_e32 v11, v11, v3, vcc
	v_cndmask_b32_e32 v10, v10, v2, vcc
	s_and_b64 s[38:39], s[38:39], exec
; %bb.82:                               ;   in Loop: Header=BB297_4 Depth=1
	s_andn2_saveexec_b64 s[2:3], s[2:3]
; %bb.83:                               ;   in Loop: Header=BB297_4 Depth=1
	v_pk_mul_f32 v[10:11], v[2:3], s[20:21] op_sel_hi:[1,0]
	s_andn2_b64 s[38:39], s[38:39], exec
; %bb.84:                               ;   in Loop: Header=BB297_4 Depth=1
	s_or_b64 exec, exec, s[2:3]
	v_max_f32_e64 v12, |v11|, |v11|
	v_max_f32_e64 v13, |v10|, |v10|
	v_max_f32_e32 v18, v13, v12
	v_cvt_f64_f32_e32 v[12:13], v18
	v_frexp_exp_i32_f64_e32 v12, v[12:13]
	v_sub_u32_e32 v13, 0, v12
	v_ldexp_f32 v19, |v10|, v13
	v_ldexp_f32 v13, |v11|, v13
	v_mul_f32_e32 v13, v13, v13
	v_fmac_f32_e32 v13, v19, v19
	v_sqrt_f32_e32 v13, v13
	v_cmp_neq_f32_e64 s[2:3], s44, v18
	v_cmp_le_f32_e32 vcc, 0, v10
                                        ; implicit-def: $vgpr18_vgpr19
	v_ldexp_f32 v12, v13, v12
	v_cndmask_b32_e64 v12, v17, v12, s[2:3]
	s_and_saveexec_b64 s[2:3], vcc
	s_xor_b64 s[40:41], exec, s[2:3]
	s_cbranch_execz .LBB297_86
; %bb.85:                               ;   in Loop: Header=BB297_4 Depth=1
	v_add_f32_e32 v10, v10, v12
	v_mul_f32_e32 v10, 0.5, v10
	v_mul_f32_e32 v12, 0x4f800000, v10
	v_cmp_gt_f32_e32 vcc, s47, v10
	v_cndmask_b32_e32 v10, v10, v12, vcc
	v_sqrt_f32_e32 v12, v10
	v_add_u32_e32 v13, -1, v12
	v_fma_f32 v19, -v13, v12, v10
	v_add_u32_e32 v18, 1, v12
	v_cmp_ge_f32_e64 s[2:3], 0, v19
	v_cndmask_b32_e64 v13, v12, v13, s[2:3]
	v_fma_f32 v12, -v18, v12, v10
	v_cmp_lt_f32_e64 s[2:3], 0, v12
	v_cndmask_b32_e64 v12, v13, v18, s[2:3]
	v_mul_f32_e32 v13, 0x37800000, v12
	v_cndmask_b32_e32 v12, v12, v13, vcc
	v_cmp_class_f32_e32 vcc, v10, v1
	v_cndmask_b32_e32 v18, v12, v10, vcc
	v_add_f32_e32 v10, v18, v18
	v_div_scale_f32 v12, s[2:3], v10, v10, v11
	v_rcp_f32_e32 v13, v12
	v_fma_f32 v19, -v12, v13, 1.0
	v_fmac_f32_e32 v13, v19, v13
	v_div_scale_f32 v19, vcc, v11, v10, v11
	v_mul_f32_e32 v20, v19, v13
	v_fma_f32 v21, -v12, v20, v19
	v_fmac_f32_e32 v20, v21, v13
	v_fma_f32 v12, -v12, v20, v19
	v_div_fmas_f32 v12, v12, v13, v20
	v_div_fixup_f32 v19, v12, v10, v11
                                        ; implicit-def: $vgpr12
                                        ; implicit-def: $vgpr10_vgpr11
	s_andn2_saveexec_b64 s[40:41], s[40:41]
	s_cbranch_execz .LBB297_88
	s_branch .LBB297_87
.LBB297_86:                             ;   in Loop: Header=BB297_4 Depth=1
	s_andn2_saveexec_b64 s[40:41], s[40:41]
	s_cbranch_execz .LBB297_88
.LBB297_87:                             ;   in Loop: Header=BB297_4 Depth=1
	v_sub_f32_e32 v10, v12, v10
	v_mul_f32_e32 v10, 0.5, v10
	v_mul_f32_e32 v12, 0x4f800000, v10
	v_cmp_gt_f32_e32 vcc, s47, v10
	v_cndmask_b32_e32 v10, v10, v12, vcc
	v_sqrt_f32_e32 v12, v10
	v_add_u32_e32 v13, -1, v12
	v_fma_f32 v19, -v13, v12, v10
	v_add_u32_e32 v18, 1, v12
	v_cmp_ge_f32_e64 s[2:3], 0, v19
	v_cndmask_b32_e64 v13, v12, v13, s[2:3]
	v_fma_f32 v12, -v18, v12, v10
	v_cmp_lt_f32_e64 s[2:3], 0, v12
	v_cndmask_b32_e64 v12, v13, v18, s[2:3]
	v_mul_f32_e32 v13, 0x37800000, v12
	v_cndmask_b32_e32 v12, v12, v13, vcc
	v_cmp_class_f32_e32 vcc, v10, v1
	v_cndmask_b32_e32 v10, v12, v10, vcc
	v_add_f32_e32 v12, v10, v10
	v_and_b32_e32 v13, 0x7fffffff, v11
	v_div_scale_f32 v18, s[2:3], v12, v12, v13
	v_rcp_f32_e32 v19, v18
	v_div_scale_f32 v13, vcc, v13, v12, v13
	v_fma_f32 v20, -v18, v19, 1.0
	v_fmac_f32_e32 v19, v20, v19
	v_mul_f32_e32 v20, v13, v19
	v_fma_f32 v21, -v18, v20, v13
	v_fmac_f32_e32 v20, v21, v19
	v_fma_f32 v13, -v18, v20, v13
	v_div_fmas_f32 v13, v13, v19, v20
	v_div_fixup_f32 v18, v13, v12, |v11|
	v_bfi_b32 v19, s48, v10, v11
.LBB297_88:                             ;   in Loop: Header=BB297_4 Depth=1
	s_or_b64 exec, exec, s[40:41]
                                        ; implicit-def: $vgpr13
	s_and_saveexec_b64 s[2:3], s[0:1]
	s_xor_b64 s[0:1], exec, s[2:3]
	s_cbranch_execz .LBB297_90
; %bb.89:                               ;   in Loop: Header=BB297_4 Depth=1
	v_pk_mul_f32 v[10:11], v[18:19], 0.5 op_sel_hi:[1,0]
	v_cndmask_b32_e64 v12, v18, v10, s[38:39]
	v_cndmask_b32_e64 v13, v19, v11, s[38:39]
                                        ; implicit-def: $vgpr18_vgpr19
	s_andn2_saveexec_b64 s[0:1], s[0:1]
	s_cbranch_execnz .LBB297_91
	s_branch .LBB297_92
.LBB297_90:                             ;   in Loop: Header=BB297_4 Depth=1
	s_andn2_saveexec_b64 s[0:1], s[0:1]
.LBB297_91:                             ;   in Loop: Header=BB297_4 Depth=1
	v_pk_add_f32 v[12:13], v[18:19], v[18:19]
.LBB297_92:                             ;   in Loop: Header=BB297_4 Depth=1
	s_or_b64 exec, exec, s[0:1]
.LBB297_93:                             ;   in Loop: Header=BB297_4 Depth=1
	s_andn2_saveexec_b64 s[0:1], s[36:37]
	s_cbranch_execz .LBB297_99
; %bb.94:                               ;   in Loop: Header=BB297_4 Depth=1
	v_cmp_lt_i32_e32 vcc, -1, v2
	v_sub_f32_e32 v10, v3, v3
                                        ; implicit-def: $vgpr13
	s_and_saveexec_b64 s[2:3], vcc
	s_xor_b64 s[2:3], exec, s[2:3]
; %bb.95:                               ;   in Loop: Header=BB297_4 Depth=1
	v_bfi_b32 v13, s48, v10, v3
	v_mov_b32_e32 v12, v2
                                        ; implicit-def: $vgpr10
; %bb.96:                               ;   in Loop: Header=BB297_4 Depth=1
	s_andn2_saveexec_b64 s[2:3], s[2:3]
; %bb.97:                               ;   in Loop: Header=BB297_4 Depth=1
	v_and_b32_e32 v12, 0x7fffffff, v10
	v_bfi_b32 v13, s48, v2, v3
; %bb.98:                               ;   in Loop: Header=BB297_4 Depth=1
	s_or_b64 exec, exec, s[2:3]
.LBB297_99:                             ;   in Loop: Header=BB297_4 Depth=1
	s_or_b64 exec, exec, s[0:1]
.LBB297_100:                            ;   in Loop: Header=BB297_4 Depth=1
	s_andn2_saveexec_b64 s[0:1], s[34:35]
	s_cbranch_execz .LBB297_102
; %bb.101:                              ;   in Loop: Header=BB297_4 Depth=1
	v_sub_f32_e32 v3, v3, v3
	v_div_scale_f32 v10, vcc, v3, v3, v3
	v_rcp_f32_e32 v11, v10
	v_fma_f32 v12, -v10, v11, 1.0
	v_fmac_f32_e32 v11, v12, v11
	v_mul_f32_e32 v12, v10, v11
	v_fma_f32 v13, -v10, v12, v10
	v_fmac_f32_e32 v12, v13, v11
	v_fma_f32 v10, -v10, v12, v10
	v_div_fmas_f32 v10, v10, v11, v12
	v_div_fixup_f32 v13, v10, v3, v3
	v_mov_b32_e32 v12, v2
.LBB297_102:                            ;   in Loop: Header=BB297_4 Depth=1
	s_or_b64 exec, exec, s[0:1]
	v_mov_b32_e32 v3, v13
.LBB297_103:                            ;   in Loop: Header=BB297_4 Depth=1
	s_or_b64 exec, exec, s[30:31]
.LBB297_104:                            ;   in Loop: Header=BB297_4 Depth=1
	s_or_b64 exec, exec, s[28:29]
	v_cmp_gt_f32_e32 vcc, 0, v3
	v_cndmask_b32_e64 v13, v3, -v3, vcc
	v_cmp_gt_f32_e32 vcc, 0, v12
	v_cndmask_b32_e64 v2, v12, -v12, vcc
	v_cmp_ge_f32_e32 vcc, v2, v13
                                        ; implicit-def: $vgpr10_vgpr11
	s_and_saveexec_b64 s[0:1], vcc
	s_xor_b64 s[2:3], exec, s[0:1]
	s_cbranch_execz .LBB297_110
; %bb.105:                              ;   in Loop: Header=BB297_4 Depth=1
	v_cmp_neq_f32_e32 vcc, 0, v12
	v_cmp_neq_f32_e64 s[0:1], 0, v3
	s_or_b64 s[0:1], vcc, s[0:1]
                                        ; implicit-def: $vgpr10_vgpr11
	s_and_saveexec_b64 s[28:29], s[0:1]
	s_xor_b64 s[0:1], exec, s[28:29]
	s_cbranch_execz .LBB297_107
; %bb.106:                              ;   in Loop: Header=BB297_4 Depth=1
	v_div_scale_f32 v2, s[28:29], v12, v12, v3
	v_rcp_f32_e32 v10, v2
	v_div_scale_f32 v11, vcc, v3, v12, v3
	v_fma_f32 v13, -v2, v10, 1.0
	v_fmac_f32_e32 v10, v13, v10
	v_mul_f32_e32 v13, v11, v10
	v_fma_f32 v18, -v2, v13, v11
	v_fmac_f32_e32 v13, v18, v10
	v_fma_f32 v2, -v2, v13, v11
	v_div_fmas_f32 v2, v2, v10, v13
	v_div_fixup_f32 v11, v2, v12, v3
	v_fmac_f32_e32 v12, v3, v11
	v_div_scale_f32 v2, s[28:29], v12, v12, 1.0
	v_rcp_f32_e32 v10, v2
	v_fma_f32 v13, -v2, v10, 1.0
	v_fmac_f32_e32 v10, v13, v10
	v_div_scale_f32 v13, vcc, 1.0, v12, 1.0
	v_mul_f32_e32 v18, v13, v10
	v_fma_f32 v19, -v2, v18, v13
	v_fmac_f32_e32 v18, v19, v10
	v_fma_f32 v2, -v2, v18, v13
	v_div_fmas_f32 v2, v2, v10, v18
	v_mul_f32_e32 v10, 0, v11
	v_div_fixup_f32 v2, v2, v12, 1.0
	v_pk_add_f32 v[12:13], v[10:11], s[22:23]
	v_pk_add_f32 v[10:11], v[10:11], s[10:11] neg_lo:[1,0] neg_hi:[1,0]
	v_mov_b32_e32 v13, v11
	v_pk_mul_f32 v[10:11], v[12:13], v[2:3] op_sel_hi:[1,0]
                                        ; implicit-def: $vgpr13
                                        ; implicit-def: $vgpr2
.LBB297_107:                            ;   in Loop: Header=BB297_4 Depth=1
	s_andn2_saveexec_b64 s[0:1], s[0:1]
	s_cbranch_execz .LBB297_109
; %bb.108:                              ;   in Loop: Header=BB297_4 Depth=1
	v_div_scale_f32 v10, s[28:29], v13, v13, 0
	v_rcp_f32_e32 v11, v10
	v_div_scale_f32 v12, vcc, 0, v13, 0
	v_fma_f32 v18, -v10, v11, 1.0
	v_fmac_f32_e32 v11, v18, v11
	v_mul_f32_e32 v18, v12, v11
	v_fma_f32 v19, -v10, v18, v12
	v_fmac_f32_e32 v18, v19, v11
	v_fma_f32 v10, -v10, v18, v12
	v_div_scale_f32 v12, s[28:29], v2, v2, 1.0
	v_rcp_f32_e32 v19, v12
	v_div_fmas_f32 v10, v10, v11, v18
	v_div_fixup_f32 v11, v10, v13, 0
	v_fma_f32 v10, -v12, v19, 1.0
	v_fmac_f32_e32 v19, v10, v19
	v_div_scale_f32 v10, vcc, 1.0, v2, 1.0
	v_mul_f32_e32 v13, v10, v19
	v_fma_f32 v18, -v12, v13, v10
	v_fmac_f32_e32 v13, v18, v19
	v_fma_f32 v10, -v12, v13, v10
	v_div_fmas_f32 v10, v10, v19, v13
	v_div_fixup_f32 v10, v10, v2, 1.0
.LBB297_109:                            ;   in Loop: Header=BB297_4 Depth=1
	s_or_b64 exec, exec, s[0:1]
                                        ; implicit-def: $vgpr12
.LBB297_110:                            ;   in Loop: Header=BB297_4 Depth=1
	s_andn2_saveexec_b64 s[0:1], s[2:3]
	s_cbranch_execz .LBB297_112
; %bb.111:                              ;   in Loop: Header=BB297_4 Depth=1
	v_div_scale_f32 v2, s[2:3], v3, v3, v12
	v_rcp_f32_e32 v10, v2
	v_div_scale_f32 v11, vcc, v12, v3, v12
	s_mov_b32 s24, s11
	v_fma_f32 v13, -v2, v10, 1.0
	v_fmac_f32_e32 v10, v13, v10
	v_mul_f32_e32 v13, v11, v10
	v_fma_f32 v18, -v2, v13, v11
	v_fmac_f32_e32 v13, v18, v10
	v_fma_f32 v2, -v2, v13, v11
	v_div_fmas_f32 v2, v2, v10, v13
	v_div_fixup_f32 v2, v2, v3, v12
	v_fmac_f32_e32 v3, v12, v2
	v_div_scale_f32 v10, s[2:3], v3, v3, 1.0
	v_rcp_f32_e32 v11, v10
	v_fma_f32 v12, -v10, v11, 1.0
	v_fmac_f32_e32 v11, v12, v11
	v_div_scale_f32 v12, vcc, 1.0, v3, 1.0
	v_mul_f32_e32 v13, v12, v11
	v_fma_f32 v18, -v10, v13, v12
	v_fmac_f32_e32 v13, v18, v11
	v_fma_f32 v10, -v10, v13, v12
	v_div_fmas_f32 v10, v10, v11, v13
	v_div_fixup_f32 v10, v10, v3, 1.0
	v_mul_f32_e32 v3, 0, v2
	v_pk_add_f32 v[2:3], v[2:3], s[24:25]
	v_pk_mul_f32 v[10:11], v[2:3], v[10:11] op_sel_hi:[1,0]
.LBB297_112:                            ;   in Loop: Header=BB297_4 Depth=1
	s_or_b64 exec, exec, s[0:1]
	v_cmp_neq_f32_e32 vcc, 0, v4
	v_cmp_neq_f32_e64 s[0:1], 0, v5
	s_or_b64 s[0:1], vcc, s[0:1]
	v_mov_b32_e32 v2, 0
	s_and_saveexec_b64 s[28:29], s[0:1]
	s_cbranch_execz .LBB297_140
; %bb.113:                              ;   in Loop: Header=BB297_4 Depth=1
	v_cmp_neq_f32_e64 s[0:1], |v5|, s44
	v_mov_b32_e32 v2, 0x7f800000
	s_and_saveexec_b64 s[30:31], s[0:1]
	s_cbranch_execz .LBB297_139
; %bb.114:                              ;   in Loop: Header=BB297_4 Depth=1
	v_cmp_o_f32_e32 vcc, v4, v4
                                        ; implicit-def: $vgpr2
	s_and_saveexec_b64 s[0:1], vcc
	s_xor_b64 s[34:35], exec, s[0:1]
	s_cbranch_execz .LBB297_136
; %bb.115:                              ;   in Loop: Header=BB297_4 Depth=1
	v_cmp_neq_f32_e64 s[0:1], |v4|, s44
                                        ; implicit-def: $vgpr2
	s_and_saveexec_b64 s[2:3], s[0:1]
	s_xor_b64 s[36:37], exec, s[2:3]
	s_cbranch_execz .LBB297_129
; %bb.116:                              ;   in Loop: Header=BB297_4 Depth=1
	v_max_f32_e64 v2, |v5|, |v5|
	v_max_f32_e64 v3, |v4|, |v4|
	v_max_f32_e32 v2, v3, v2
	v_cmp_nle_f32_e64 s[0:1], s45, v2
                                        ; implicit-def: $sgpr38_sgpr39
                                        ; implicit-def: $vgpr2_vgpr3
	s_and_saveexec_b64 s[2:3], s[0:1]
	s_xor_b64 s[2:3], exec, s[2:3]
; %bb.117:                              ;   in Loop: Header=BB297_4 Depth=1
	v_cmp_nle_f32_e64 s[38:39], |v4|, s46
	v_cmp_nle_f32_e64 s[40:41], |v5|, s46
	s_or_b64 vcc, s[38:39], s[40:41]
	v_pk_mul_f32 v[2:3], v[4:5], 4.0 op_sel_hi:[1,0]
	s_xor_b64 s[38:39], vcc, -1
	v_cndmask_b32_e32 v3, v3, v5, vcc
	v_cndmask_b32_e32 v2, v2, v4, vcc
	s_and_b64 s[38:39], s[38:39], exec
                                        ; implicit-def: $vgpr4_vgpr5
; %bb.118:                              ;   in Loop: Header=BB297_4 Depth=1
	s_andn2_saveexec_b64 s[2:3], s[2:3]
; %bb.119:                              ;   in Loop: Header=BB297_4 Depth=1
	v_pk_mul_f32 v[2:3], v[4:5], s[20:21] op_sel_hi:[1,0]
	s_andn2_b64 s[38:39], s[38:39], exec
; %bb.120:                              ;   in Loop: Header=BB297_4 Depth=1
	s_or_b64 exec, exec, s[2:3]
	v_max_f32_e64 v4, |v3|, |v3|
	v_max_f32_e64 v5, |v2|, |v2|
	v_max_f32_e32 v12, v5, v4
	v_cvt_f64_f32_e32 v[4:5], v12
	v_frexp_exp_i32_f64_e32 v4, v[4:5]
	v_sub_u32_e32 v5, 0, v4
	v_ldexp_f32 v13, |v2|, v5
	v_ldexp_f32 v5, |v3|, v5
	v_mul_f32_e32 v5, v5, v5
	v_fmac_f32_e32 v5, v13, v13
	v_sqrt_f32_e32 v5, v5
	v_cmp_neq_f32_e64 s[2:3], s44, v12
	v_cmp_le_f32_e32 vcc, 0, v2
                                        ; implicit-def: $vgpr12_vgpr13
	v_ldexp_f32 v4, v5, v4
	v_cndmask_b32_e64 v4, v17, v4, s[2:3]
	s_and_saveexec_b64 s[2:3], vcc
	s_xor_b64 s[40:41], exec, s[2:3]
	s_cbranch_execz .LBB297_122
; %bb.121:                              ;   in Loop: Header=BB297_4 Depth=1
	v_add_f32_e32 v2, v2, v4
	v_mul_f32_e32 v2, 0.5, v2
	v_mul_f32_e32 v4, 0x4f800000, v2
	v_cmp_gt_f32_e32 vcc, s47, v2
	v_cndmask_b32_e32 v2, v2, v4, vcc
	v_sqrt_f32_e32 v4, v2
	v_add_u32_e32 v5, -1, v4
	v_fma_f32 v13, -v5, v4, v2
	v_add_u32_e32 v12, 1, v4
	v_cmp_ge_f32_e64 s[2:3], 0, v13
	v_cndmask_b32_e64 v5, v4, v5, s[2:3]
	v_fma_f32 v4, -v12, v4, v2
	v_cmp_lt_f32_e64 s[2:3], 0, v4
	v_cndmask_b32_e64 v4, v5, v12, s[2:3]
	v_mul_f32_e32 v5, 0x37800000, v4
	v_cndmask_b32_e32 v4, v4, v5, vcc
	v_cmp_class_f32_e32 vcc, v2, v1
	v_cndmask_b32_e32 v12, v4, v2, vcc
	v_add_f32_e32 v2, v12, v12
	v_div_scale_f32 v4, s[2:3], v2, v2, v3
	v_rcp_f32_e32 v5, v4
	v_fma_f32 v13, -v4, v5, 1.0
	v_fmac_f32_e32 v5, v13, v5
	v_div_scale_f32 v13, vcc, v3, v2, v3
	v_mul_f32_e32 v18, v13, v5
	v_fma_f32 v19, -v4, v18, v13
	v_fmac_f32_e32 v18, v19, v5
	v_fma_f32 v4, -v4, v18, v13
	v_div_fmas_f32 v4, v4, v5, v18
	v_div_fixup_f32 v13, v4, v2, v3
                                        ; implicit-def: $vgpr4
                                        ; implicit-def: $vgpr2_vgpr3
	s_andn2_saveexec_b64 s[40:41], s[40:41]
	s_cbranch_execz .LBB297_124
	s_branch .LBB297_123
.LBB297_122:                            ;   in Loop: Header=BB297_4 Depth=1
	s_andn2_saveexec_b64 s[40:41], s[40:41]
	s_cbranch_execz .LBB297_124
.LBB297_123:                            ;   in Loop: Header=BB297_4 Depth=1
	v_sub_f32_e32 v2, v4, v2
	v_mul_f32_e32 v2, 0.5, v2
	v_mul_f32_e32 v4, 0x4f800000, v2
	v_cmp_gt_f32_e32 vcc, s47, v2
	v_cndmask_b32_e32 v2, v2, v4, vcc
	v_sqrt_f32_e32 v4, v2
	v_add_u32_e32 v5, -1, v4
	v_fma_f32 v13, -v5, v4, v2
	v_add_u32_e32 v12, 1, v4
	v_cmp_ge_f32_e64 s[2:3], 0, v13
	v_cndmask_b32_e64 v5, v4, v5, s[2:3]
	v_fma_f32 v4, -v12, v4, v2
	v_cmp_lt_f32_e64 s[2:3], 0, v4
	v_cndmask_b32_e64 v4, v5, v12, s[2:3]
	v_mul_f32_e32 v5, 0x37800000, v4
	v_cndmask_b32_e32 v4, v4, v5, vcc
	v_cmp_class_f32_e32 vcc, v2, v1
	v_cndmask_b32_e32 v2, v4, v2, vcc
	v_add_f32_e32 v4, v2, v2
	v_and_b32_e32 v5, 0x7fffffff, v3
	v_div_scale_f32 v12, s[2:3], v4, v4, v5
	v_rcp_f32_e32 v13, v12
	v_div_scale_f32 v5, vcc, v5, v4, v5
	v_fma_f32 v18, -v12, v13, 1.0
	v_fmac_f32_e32 v13, v18, v13
	v_mul_f32_e32 v18, v5, v13
	v_fma_f32 v19, -v12, v18, v5
	v_fmac_f32_e32 v18, v19, v13
	v_fma_f32 v5, -v12, v18, v5
	v_div_fmas_f32 v5, v5, v13, v18
	v_div_fixup_f32 v12, v5, v4, |v3|
	v_bfi_b32 v13, s48, v2, v3
.LBB297_124:                            ;   in Loop: Header=BB297_4 Depth=1
	s_or_b64 exec, exec, s[40:41]
                                        ; implicit-def: $vgpr5
                                        ; implicit-def: $vgpr2
	s_and_saveexec_b64 s[2:3], s[0:1]
	s_xor_b64 s[0:1], exec, s[2:3]
	s_cbranch_execz .LBB297_126
; %bb.125:                              ;   in Loop: Header=BB297_4 Depth=1
	v_pk_mul_f32 v[2:3], v[12:13], 0.5 op_sel_hi:[1,0]
	v_cndmask_b32_e64 v2, v12, v2, s[38:39]
	v_cndmask_b32_e64 v5, v13, v3, s[38:39]
                                        ; implicit-def: $vgpr12_vgpr13
	s_andn2_saveexec_b64 s[0:1], s[0:1]
	s_cbranch_execnz .LBB297_127
	s_branch .LBB297_128
.LBB297_126:                            ;   in Loop: Header=BB297_4 Depth=1
	s_andn2_saveexec_b64 s[0:1], s[0:1]
.LBB297_127:                            ;   in Loop: Header=BB297_4 Depth=1
	v_pk_add_f32 v[4:5], v[12:13], v[12:13]
	v_mov_b32_e32 v2, v4
.LBB297_128:                            ;   in Loop: Header=BB297_4 Depth=1
	s_or_b64 exec, exec, s[0:1]
.LBB297_129:                            ;   in Loop: Header=BB297_4 Depth=1
	s_andn2_saveexec_b64 s[0:1], s[36:37]
	s_cbranch_execz .LBB297_135
; %bb.130:                              ;   in Loop: Header=BB297_4 Depth=1
	v_cmp_lt_i32_e32 vcc, -1, v4
	v_sub_f32_e32 v3, v5, v5
                                        ; implicit-def: $vgpr2
	s_and_saveexec_b64 s[2:3], vcc
	s_xor_b64 s[2:3], exec, s[2:3]
; %bb.131:                              ;   in Loop: Header=BB297_4 Depth=1
	v_bfi_b32 v5, s48, v3, v5
	v_mov_b32_e32 v2, v4
                                        ; implicit-def: $vgpr3
; %bb.132:                              ;   in Loop: Header=BB297_4 Depth=1
	s_andn2_saveexec_b64 s[2:3], s[2:3]
; %bb.133:                              ;   in Loop: Header=BB297_4 Depth=1
	v_and_b32_e32 v2, 0x7fffffff, v3
	v_bfi_b32 v5, s48, v4, v5
; %bb.134:                              ;   in Loop: Header=BB297_4 Depth=1
	s_or_b64 exec, exec, s[2:3]
.LBB297_135:                            ;   in Loop: Header=BB297_4 Depth=1
	s_or_b64 exec, exec, s[0:1]
.LBB297_136:                            ;   in Loop: Header=BB297_4 Depth=1
	s_andn2_saveexec_b64 s[0:1], s[34:35]
	s_cbranch_execz .LBB297_138
; %bb.137:                              ;   in Loop: Header=BB297_4 Depth=1
	v_sub_f32_e32 v2, v5, v5
	v_div_scale_f32 v3, vcc, v2, v2, v2
	v_rcp_f32_e32 v5, v3
	v_fma_f32 v12, -v3, v5, 1.0
	v_fmac_f32_e32 v5, v12, v5
	v_mul_f32_e32 v12, v3, v5
	v_fma_f32 v13, -v3, v12, v3
	v_fmac_f32_e32 v12, v13, v5
	v_fma_f32 v3, -v3, v12, v3
	v_div_fmas_f32 v3, v3, v5, v12
	v_div_fixup_f32 v5, v3, v2, v2
	v_mov_b32_e32 v2, v4
.LBB297_138:                            ;   in Loop: Header=BB297_4 Depth=1
	s_or_b64 exec, exec, s[0:1]
.LBB297_139:                            ;   in Loop: Header=BB297_4 Depth=1
	s_or_b64 exec, exec, s[30:31]
.LBB297_140:                            ;   in Loop: Header=BB297_4 Depth=1
	s_or_b64 exec, exec, s[28:29]
	v_cmp_gt_f32_e32 vcc, 0, v5
	v_cndmask_b32_e64 v4, v5, -v5, vcc
	v_cmp_gt_f32_e32 vcc, 0, v2
	v_cndmask_b32_e64 v3, v2, -v2, vcc
	v_cmp_ge_f32_e32 vcc, v3, v4
	s_and_saveexec_b64 s[0:1], vcc
	s_xor_b64 s[2:3], exec, s[0:1]
	s_cbranch_execz .LBB297_146
; %bb.141:                              ;   in Loop: Header=BB297_4 Depth=1
	v_cmp_neq_f32_e32 vcc, 0, v2
	v_cmp_neq_f32_e64 s[0:1], 0, v5
	s_or_b64 s[0:1], vcc, s[0:1]
	s_and_saveexec_b64 s[28:29], s[0:1]
	s_xor_b64 s[0:1], exec, s[28:29]
	s_cbranch_execz .LBB297_143
; %bb.142:                              ;   in Loop: Header=BB297_4 Depth=1
	v_div_scale_f32 v3, s[28:29], v2, v2, v5
	v_rcp_f32_e32 v4, v3
	v_div_scale_f32 v12, vcc, v5, v2, v5
	v_fma_f32 v13, -v3, v4, 1.0
	v_fmac_f32_e32 v4, v13, v4
	v_mul_f32_e32 v13, v12, v4
	v_fma_f32 v18, -v3, v13, v12
	v_fmac_f32_e32 v13, v18, v4
	v_fma_f32 v3, -v3, v13, v12
	v_div_fmas_f32 v3, v3, v4, v13
	v_div_fixup_f32 v3, v3, v2, v5
	v_fmac_f32_e32 v2, v5, v3
	v_div_scale_f32 v4, s[28:29], v2, v2, 1.0
	v_rcp_f32_e32 v5, v4
	v_fma_f32 v12, -v4, v5, 1.0
	v_fmac_f32_e32 v5, v12, v5
	v_div_scale_f32 v12, vcc, 1.0, v2, 1.0
	v_mul_f32_e32 v13, v12, v5
	v_fma_f32 v18, -v4, v13, v12
	v_fmac_f32_e32 v13, v18, v5
	v_fma_f32 v4, -v4, v13, v12
	v_div_fmas_f32 v4, v4, v5, v13
	v_div_fixup_f32 v4, v4, v2, 1.0
	v_mul_f32_e32 v2, 0, v3
	v_pk_add_f32 v[12:13], v[2:3], s[22:23]
	v_pk_add_f32 v[2:3], v[2:3], s[10:11] neg_lo:[1,0] neg_hi:[1,0]
	v_mov_b32_e32 v13, v3
	v_pk_mul_f32 v[12:13], v[12:13], v[4:5] op_sel_hi:[1,0]
                                        ; implicit-def: $vgpr4
                                        ; implicit-def: $vgpr3
.LBB297_143:                            ;   in Loop: Header=BB297_4 Depth=1
	s_andn2_saveexec_b64 s[0:1], s[0:1]
	s_cbranch_execz .LBB297_145
; %bb.144:                              ;   in Loop: Header=BB297_4 Depth=1
	v_div_scale_f32 v2, s[28:29], v4, v4, 0
	v_rcp_f32_e32 v5, v2
	v_div_scale_f32 v12, vcc, 0, v4, 0
	v_fma_f32 v13, -v2, v5, 1.0
	v_fmac_f32_e32 v5, v13, v5
	v_mul_f32_e32 v13, v12, v5
	v_fma_f32 v18, -v2, v13, v12
	v_fmac_f32_e32 v13, v18, v5
	v_fma_f32 v2, -v2, v13, v12
	v_div_scale_f32 v12, s[28:29], v3, v3, 1.0
	v_rcp_f32_e32 v18, v12
	v_div_fmas_f32 v2, v2, v5, v13
	v_div_fixup_f32 v13, v2, v4, 0
	v_fma_f32 v2, -v12, v18, 1.0
	v_fmac_f32_e32 v18, v2, v18
	v_div_scale_f32 v2, vcc, 1.0, v3, 1.0
	v_mul_f32_e32 v4, v2, v18
	v_fma_f32 v5, -v12, v4, v2
	v_fmac_f32_e32 v4, v5, v18
	v_fma_f32 v2, -v12, v4, v2
	v_div_fmas_f32 v2, v2, v18, v4
	v_div_fixup_f32 v12, v2, v3, 1.0
.LBB297_145:                            ;   in Loop: Header=BB297_4 Depth=1
	s_or_b64 exec, exec, s[0:1]
                                        ; implicit-def: $vgpr5
                                        ; implicit-def: $vgpr2
.LBB297_146:                            ;   in Loop: Header=BB297_4 Depth=1
	s_andn2_saveexec_b64 s[0:1], s[2:3]
	s_cbranch_execz .LBB297_3
; %bb.147:                              ;   in Loop: Header=BB297_4 Depth=1
	v_div_scale_f32 v3, s[2:3], v5, v5, v2
	v_rcp_f32_e32 v4, v3
	v_div_scale_f32 v12, vcc, v2, v5, v2
	s_mov_b32 s24, s11
	v_fma_f32 v13, -v3, v4, 1.0
	v_fmac_f32_e32 v4, v13, v4
	v_mul_f32_e32 v13, v12, v4
	v_fma_f32 v18, -v3, v13, v12
	v_fmac_f32_e32 v13, v18, v4
	v_fma_f32 v3, -v3, v13, v12
	v_div_fmas_f32 v3, v3, v4, v13
	v_div_fixup_f32 v4, v3, v5, v2
	v_fmac_f32_e32 v5, v2, v4
	v_div_scale_f32 v2, s[2:3], v5, v5, 1.0
	v_rcp_f32_e32 v3, v2
	v_fma_f32 v12, -v2, v3, 1.0
	v_fmac_f32_e32 v3, v12, v3
	v_div_scale_f32 v12, vcc, 1.0, v5, 1.0
	v_mul_f32_e32 v13, v12, v3
	v_fma_f32 v18, -v2, v13, v12
	v_fmac_f32_e32 v13, v18, v3
	v_fma_f32 v2, -v2, v13, v12
	v_div_fmas_f32 v2, v2, v3, v13
	v_div_fixup_f32 v2, v2, v5, 1.0
	v_mul_f32_e32 v5, 0, v4
	v_pk_add_f32 v[4:5], v[4:5], s[24:25]
	v_pk_mul_f32 v[12:13], v[4:5], v[2:3] op_sel_hi:[1,0]
	s_branch .LBB297_3
.LBB297_148:
	s_or_b64 exec, exec, s[16:17]
	s_mov_b64 s[0:1], 0
.LBB297_149:
	s_andn2_b64 vcc, exec, s[0:1]
	s_cbranch_vccnz .LBB297_313
; %bb.150:
	v_cmp_lt_i64_e64 s[0:1], s[14:15], 1
	s_and_b64 vcc, exec, s[0:1]
	s_cbranch_vccnz .LBB297_313
; %bb.151:
	s_load_dword s0, s[4:5], 0xc5c
	v_mov_b32_e32 v2, 0x10000
	v_mov_b32_e32 v3, 0
	v_cmp_lt_u64_e32 vcc, s[14:15], v[2:3]
	v_lshlrev_b32_e32 v10, 3, v0
	s_waitcnt lgkmcnt(0)
	s_and_b32 s2, s0, 0xffff
	s_and_b64 s[0:1], vcc, exec
	v_mov_b32_e32 v13, s9
	v_add_co_u32_e32 v2, vcc, s8, v10
	v_addc_co_u32_e32 v1, vcc, 0, v13, vcc
	v_mov_b32_e32 v11, 0
	v_mov_b32_e32 v15, s7
	v_add_co_u32_e32 v4, vcc, s6, v10
	v_addc_co_u32_e32 v3, vcc, 0, v15, vcc
	v_mad_u64_u32 v[8:9], s[0:1], s2, 24, v[10:11]
	v_add_co_u32_e32 v6, vcc, s8, v8
	v_addc_co_u32_e32 v5, vcc, v13, v9, vcc
	v_add_co_u32_e32 v8, vcc, s6, v8
	s_mul_i32 s4, s2, 3
	v_addc_co_u32_e32 v7, vcc, v15, v9, vcc
	v_add_co_u32_e32 v17, vcc, s4, v0
	v_addc_co_u32_e64 v30, s[0:1], 0, 0, vcc
	s_cselect_b32 s19, s15, 0
	s_cselect_b32 s18, s14, 0x10000
	s_lshl_b32 s0, s2, 4
	v_add_co_u32_e32 v11, vcc, s0, v10
	v_addc_co_u32_e64 v14, s[0:1], 0, 0, vcc
	v_add_co_u32_e32 v10, vcc, s8, v11
	v_addc_co_u32_e32 v9, vcc, v13, v14, vcc
	v_add_co_u32_e32 v12, vcc, s6, v11
	s_lshl_b32 s3, s2, 1
	v_addc_co_u32_e32 v11, vcc, v15, v14, vcc
	v_add_co_u32_e32 v31, vcc, s3, v0
	v_addc_co_u32_e64 v32, s[0:1], 0, 0, vcc
	v_add_co_u32_e32 v33, vcc, s2, v0
	v_lshlrev_b32_e32 v16, 3, v33
	v_addc_co_u32_e64 v34, s[0:1], 0, 0, vcc
	v_add_co_u32_e32 v14, vcc, s8, v16
	v_addc_co_u32_e32 v13, vcc, 0, v13, vcc
	v_add_co_u32_e32 v16, vcc, s6, v16
	s_mov_b32 s17, 0
	s_lshl_b32 s23, s2, 2
	s_lshl_b32 s16, s2, 5
	v_addc_co_u32_e32 v15, vcc, 0, v15, vcc
	s_mov_b64 s[20:21], 0
	s_mov_b32 s25, 0x7f800000
	s_mov_b32 s33, 0x7ed413cb
	;; [unrolled: 1-line block ×5, first 2 shown]
	v_mov_b32_e32 v35, 0x260
	s_mov_b32 s24, 1.0
	s_brev_b32 s44, -2
	s_mov_b32 s27, -1.0
	v_mov_b32_e32 v36, 0x7f800000
	s_branch .LBB297_153
.LBB297_152:                            ;   in Loop: Header=BB297_153 Depth=1
	s_or_b64 exec, exec, s[0:1]
	s_add_u32 s20, s20, s23
	s_addc_u32 s21, s21, 0
	v_pk_mov_b32 v[18:19], s[14:15], s[14:15] op_sel:[0,1]
	v_cmp_ge_i64_e32 vcc, s[20:21], v[18:19]
	v_mov_b32_e32 v18, 0xffff
	v_mov_b32_e32 v19, 0
	v_cmp_gt_u64_e64 s[0:1], s[20:21], v[18:19]
	s_or_b64 s[0:1], vcc, s[0:1]
	v_mov_b32_e32 v18, s17
	v_add_co_u32_e32 v2, vcc, s16, v2
	v_addc_co_u32_e32 v1, vcc, v1, v18, vcc
	v_add_co_u32_e32 v4, vcc, s16, v4
	v_addc_co_u32_e32 v3, vcc, v3, v18, vcc
	;; [unrolled: 2-line block ×8, first 2 shown]
	s_and_b64 vcc, exec, s[0:1]
	s_cbranch_vccnz .LBB297_313
.LBB297_153:                            ; =>This Inner Loop Header: Depth=1
	v_mov_b32_e32 v19, s21
	v_add_co_u32_e32 v18, vcc, s20, v0
	v_addc_co_u32_e32 v19, vcc, 0, v19, vcc
	v_cmp_gt_u64_e64 s[0:1], s[18:19], v[18:19]
	v_mov_b32_e32 v24, 0
	v_mov_b32_e32 v25, 0
	s_and_saveexec_b64 s[2:3], s[0:1]
	s_cbranch_execz .LBB297_155
; %bb.154:                              ;   in Loop: Header=BB297_153 Depth=1
	v_mov_b32_e32 v19, s13
	v_add_co_u32_e32 v18, vcc, s12, v2
	v_addc_co_u32_e32 v19, vcc, v1, v19, vcc
	global_load_dwordx2 v[24:25], v[18:19], off
.LBB297_155:                            ;   in Loop: Header=BB297_153 Depth=1
	s_or_b64 exec, exec, s[2:3]
	v_mov_b32_e32 v19, s21
	v_add_co_u32_e32 v18, vcc, s20, v33
	v_addc_co_u32_e32 v19, vcc, v34, v19, vcc
	v_cmp_gt_u64_e64 s[2:3], s[18:19], v[18:19]
	v_mov_b32_e32 v22, 0
	v_mov_b32_e32 v26, 0
	;; [unrolled: 1-line block ×3, first 2 shown]
	s_and_saveexec_b64 s[4:5], s[2:3]
	s_cbranch_execz .LBB297_157
; %bb.156:                              ;   in Loop: Header=BB297_153 Depth=1
	v_mov_b32_e32 v19, s13
	v_add_co_u32_e32 v18, vcc, s12, v14
	v_addc_co_u32_e32 v19, vcc, v13, v19, vcc
	global_load_dwordx2 v[26:27], v[18:19], off
.LBB297_157:                            ;   in Loop: Header=BB297_153 Depth=1
	s_or_b64 exec, exec, s[4:5]
	v_mov_b32_e32 v19, s21
	v_add_co_u32_e32 v18, vcc, s20, v31
	v_addc_co_u32_e32 v19, vcc, v32, v19, vcc
	v_cmp_gt_u64_e64 s[4:5], s[18:19], v[18:19]
	v_mov_b32_e32 v23, 0
	s_and_saveexec_b64 s[6:7], s[4:5]
	s_cbranch_execz .LBB297_159
; %bb.158:                              ;   in Loop: Header=BB297_153 Depth=1
	v_mov_b32_e32 v19, s13
	v_add_co_u32_e32 v18, vcc, s12, v10
	v_addc_co_u32_e32 v19, vcc, v9, v19, vcc
	global_load_dwordx2 v[22:23], v[18:19], off
.LBB297_159:                            ;   in Loop: Header=BB297_153 Depth=1
	s_or_b64 exec, exec, s[6:7]
	v_mov_b32_e32 v19, s21
	v_add_co_u32_e32 v18, vcc, s20, v17
	v_addc_co_u32_e32 v19, vcc, v30, v19, vcc
	v_cmp_gt_u64_e64 s[6:7], s[18:19], v[18:19]
	v_mov_b32_e32 v28, 0
	v_mov_b32_e32 v18, 0
	;; [unrolled: 1-line block ×3, first 2 shown]
	s_and_saveexec_b64 s[8:9], s[6:7]
	s_cbranch_execz .LBB297_161
; %bb.160:                              ;   in Loop: Header=BB297_153 Depth=1
	v_mov_b32_e32 v19, s13
	v_add_co_u32_e32 v18, vcc, s12, v6
	v_addc_co_u32_e32 v19, vcc, v5, v19, vcc
	global_load_dwordx2 v[18:19], v[18:19], off
.LBB297_161:                            ;   in Loop: Header=BB297_153 Depth=1
	s_or_b64 exec, exec, s[8:9]
	s_waitcnt vmcnt(0)
	v_cmp_neq_f32_e32 vcc, 0, v24
	v_cmp_neq_f32_e64 s[8:9], 0, v25
	s_or_b64 s[8:9], vcc, s[8:9]
	s_and_saveexec_b64 s[28:29], s[8:9]
	s_cbranch_execz .LBB297_188
; %bb.162:                              ;   in Loop: Header=BB297_153 Depth=1
	v_cmp_neq_f32_e64 s[8:9], |v25|, s25
	v_mov_b32_e32 v28, 0x7f800000
	s_and_saveexec_b64 s[30:31], s[8:9]
	s_cbranch_execz .LBB297_187
; %bb.163:                              ;   in Loop: Header=BB297_153 Depth=1
	v_cmp_o_f32_e32 vcc, v24, v24
	s_and_saveexec_b64 s[8:9], vcc
	s_xor_b64 s[34:35], exec, s[8:9]
	s_cbranch_execz .LBB297_184
; %bb.164:                              ;   in Loop: Header=BB297_153 Depth=1
	v_cmp_neq_f32_e64 s[8:9], |v24|, s25
	s_and_saveexec_b64 s[10:11], s[8:9]
	s_xor_b64 s[36:37], exec, s[10:11]
	s_cbranch_execz .LBB297_178
; %bb.165:                              ;   in Loop: Header=BB297_153 Depth=1
	v_max_f32_e64 v20, |v24|, |v24|
	v_max_f32_e64 v21, |v25|, |v25|
	v_max_f32_e32 v20, v21, v20
	v_cmp_nle_f32_e64 s[8:9], s33, v20
                                        ; implicit-def: $sgpr38_sgpr39
                                        ; implicit-def: $vgpr20_vgpr21
	s_and_saveexec_b64 s[10:11], s[8:9]
	s_xor_b64 s[10:11], exec, s[10:11]
; %bb.166:                              ;   in Loop: Header=BB297_153 Depth=1
	v_cmp_nle_f32_e64 s[38:39], |v24|, s42
	v_cmp_nle_f32_e64 s[40:41], |v25|, s42
	s_or_b64 vcc, s[40:41], s[38:39]
	v_pk_mul_f32 v[20:21], v[24:25], 4.0 op_sel_hi:[1,0]
	s_xor_b64 s[38:39], vcc, -1
	v_cndmask_b32_e32 v21, v21, v25, vcc
	v_cndmask_b32_e32 v20, v20, v24, vcc
	s_and_b64 s[38:39], s[38:39], exec
                                        ; implicit-def: $vgpr24_vgpr25
; %bb.167:                              ;   in Loop: Header=BB297_153 Depth=1
	s_andn2_saveexec_b64 s[10:11], s[10:11]
; %bb.168:                              ;   in Loop: Header=BB297_153 Depth=1
	v_pk_mul_f32 v[20:21], v[24:25], s[22:23] op_sel_hi:[1,0]
	s_andn2_b64 s[38:39], s[38:39], exec
; %bb.169:                              ;   in Loop: Header=BB297_153 Depth=1
	s_or_b64 exec, exec, s[10:11]
	v_max_f32_e64 v24, |v21|, |v21|
	v_max_f32_e64 v25, |v20|, |v20|
	v_max_f32_e32 v28, v25, v24
	v_cvt_f64_f32_e32 v[24:25], v28
	v_frexp_exp_i32_f64_e32 v24, v[24:25]
	v_sub_u32_e32 v25, 0, v24
	v_ldexp_f32 v29, |v20|, v25
	v_ldexp_f32 v25, |v21|, v25
	v_mul_f32_e32 v25, v25, v25
	v_fmac_f32_e32 v25, v29, v29
	v_sqrt_f32_e32 v25, v25
	v_cmp_neq_f32_e64 s[10:11], s25, v28
	v_cmp_le_f32_e32 vcc, 0, v20
                                        ; implicit-def: $vgpr28_vgpr29
	v_ldexp_f32 v24, v25, v24
	v_cndmask_b32_e64 v24, v36, v24, s[10:11]
	s_and_saveexec_b64 s[10:11], vcc
	s_xor_b64 s[40:41], exec, s[10:11]
	s_cbranch_execz .LBB297_171
; %bb.170:                              ;   in Loop: Header=BB297_153 Depth=1
	v_add_f32_e32 v20, v20, v24
	v_mul_f32_e32 v20, 0.5, v20
	v_mul_f32_e32 v24, 0x4f800000, v20
	v_cmp_gt_f32_e32 vcc, s43, v20
	v_cndmask_b32_e32 v20, v20, v24, vcc
	v_sqrt_f32_e32 v24, v20
	v_add_u32_e32 v25, -1, v24
	v_fma_f32 v29, -v25, v24, v20
	v_add_u32_e32 v28, 1, v24
	v_cmp_ge_f32_e64 s[10:11], 0, v29
	v_cndmask_b32_e64 v25, v24, v25, s[10:11]
	v_fma_f32 v24, -v28, v24, v20
	v_cmp_lt_f32_e64 s[10:11], 0, v24
	v_cndmask_b32_e64 v24, v25, v28, s[10:11]
	v_mul_f32_e32 v25, 0x37800000, v24
	v_cndmask_b32_e32 v24, v24, v25, vcc
	v_cmp_class_f32_e32 vcc, v20, v35
	v_cndmask_b32_e32 v28, v24, v20, vcc
	v_add_f32_e32 v20, v28, v28
	v_div_scale_f32 v24, s[10:11], v20, v20, v21
	v_rcp_f32_e32 v25, v24
	v_fma_f32 v29, -v24, v25, 1.0
	v_fmac_f32_e32 v25, v29, v25
	v_div_scale_f32 v29, vcc, v21, v20, v21
	v_mul_f32_e32 v37, v29, v25
	v_fma_f32 v38, -v24, v37, v29
	v_fmac_f32_e32 v37, v38, v25
	v_fma_f32 v24, -v24, v37, v29
	v_div_fmas_f32 v24, v24, v25, v37
	v_div_fixup_f32 v29, v24, v20, v21
                                        ; implicit-def: $vgpr24
                                        ; implicit-def: $vgpr20_vgpr21
	s_andn2_saveexec_b64 s[40:41], s[40:41]
	s_cbranch_execz .LBB297_173
	s_branch .LBB297_172
.LBB297_171:                            ;   in Loop: Header=BB297_153 Depth=1
	s_andn2_saveexec_b64 s[40:41], s[40:41]
	s_cbranch_execz .LBB297_173
.LBB297_172:                            ;   in Loop: Header=BB297_153 Depth=1
	v_sub_f32_e32 v20, v24, v20
	v_mul_f32_e32 v20, 0.5, v20
	v_mul_f32_e32 v24, 0x4f800000, v20
	v_cmp_gt_f32_e32 vcc, s43, v20
	v_cndmask_b32_e32 v20, v20, v24, vcc
	v_sqrt_f32_e32 v24, v20
	v_add_u32_e32 v25, -1, v24
	v_fma_f32 v29, -v25, v24, v20
	v_add_u32_e32 v28, 1, v24
	v_cmp_ge_f32_e64 s[10:11], 0, v29
	v_cndmask_b32_e64 v25, v24, v25, s[10:11]
	v_fma_f32 v24, -v28, v24, v20
	v_cmp_lt_f32_e64 s[10:11], 0, v24
	v_cndmask_b32_e64 v24, v25, v28, s[10:11]
	v_mul_f32_e32 v25, 0x37800000, v24
	v_cndmask_b32_e32 v24, v24, v25, vcc
	v_cmp_class_f32_e32 vcc, v20, v35
	v_cndmask_b32_e32 v20, v24, v20, vcc
	v_add_f32_e32 v24, v20, v20
	v_and_b32_e32 v25, 0x7fffffff, v21
	v_div_scale_f32 v28, s[10:11], v24, v24, v25
	v_rcp_f32_e32 v29, v28
	v_div_scale_f32 v25, vcc, v25, v24, v25
	v_fma_f32 v37, -v28, v29, 1.0
	v_fmac_f32_e32 v29, v37, v29
	v_mul_f32_e32 v37, v25, v29
	v_fma_f32 v38, -v28, v37, v25
	v_fmac_f32_e32 v37, v38, v29
	v_fma_f32 v25, -v28, v37, v25
	v_div_fmas_f32 v25, v25, v29, v37
	v_div_fixup_f32 v28, v25, v24, |v21|
	v_bfi_b32 v29, s44, v20, v21
.LBB297_173:                            ;   in Loop: Header=BB297_153 Depth=1
	s_or_b64 exec, exec, s[40:41]
                                        ; implicit-def: $vgpr25
	s_and_saveexec_b64 s[10:11], s[8:9]
	s_xor_b64 s[8:9], exec, s[10:11]
	s_cbranch_execz .LBB297_175
; %bb.174:                              ;   in Loop: Header=BB297_153 Depth=1
	v_pk_mul_f32 v[20:21], v[28:29], 0.5 op_sel_hi:[1,0]
	v_cndmask_b32_e64 v24, v28, v20, s[38:39]
	v_cndmask_b32_e64 v25, v29, v21, s[38:39]
                                        ; implicit-def: $vgpr28_vgpr29
	s_andn2_saveexec_b64 s[8:9], s[8:9]
	s_cbranch_execnz .LBB297_176
	s_branch .LBB297_177
.LBB297_175:                            ;   in Loop: Header=BB297_153 Depth=1
	s_andn2_saveexec_b64 s[8:9], s[8:9]
.LBB297_176:                            ;   in Loop: Header=BB297_153 Depth=1
	v_pk_add_f32 v[24:25], v[28:29], v[28:29]
.LBB297_177:                            ;   in Loop: Header=BB297_153 Depth=1
	s_or_b64 exec, exec, s[8:9]
.LBB297_178:                            ;   in Loop: Header=BB297_153 Depth=1
	s_andn2_saveexec_b64 s[8:9], s[36:37]
	s_cbranch_execz .LBB297_206
; %bb.179:                              ;   in Loop: Header=BB297_153 Depth=1
	v_cmp_lt_i32_e32 vcc, -1, v24
	v_sub_f32_e32 v20, v25, v25
	s_and_saveexec_b64 s[10:11], vcc
	s_xor_b64 s[10:11], exec, s[10:11]
; %bb.180:                              ;   in Loop: Header=BB297_153 Depth=1
	v_bfi_b32 v25, s44, v20, v25
                                        ; implicit-def: $vgpr20
; %bb.181:                              ;   in Loop: Header=BB297_153 Depth=1
	s_andn2_saveexec_b64 s[10:11], s[10:11]
; %bb.182:                              ;   in Loop: Header=BB297_153 Depth=1
	v_and_b32_e32 v20, 0x7fffffff, v20
	v_bfi_b32 v25, s44, v24, v25
	v_mov_b32_e32 v24, v20
; %bb.183:                              ;   in Loop: Header=BB297_153 Depth=1
	s_or_b64 exec, exec, s[10:11]
	s_or_b64 exec, exec, s[8:9]
.LBB297_184:                            ;   in Loop: Header=BB297_153 Depth=1
	s_andn2_saveexec_b64 s[8:9], s[34:35]
.LBB297_185:                            ;   in Loop: Header=BB297_153 Depth=1
	v_sub_f32_e32 v20, v25, v25
	v_div_scale_f32 v21, vcc, v20, v20, v20
	v_rcp_f32_e32 v25, v21
	v_fma_f32 v28, -v21, v25, 1.0
	v_fmac_f32_e32 v25, v28, v25
	v_mul_f32_e32 v28, v21, v25
	v_fma_f32 v29, -v21, v28, v21
	v_fmac_f32_e32 v28, v29, v25
	v_fma_f32 v21, -v21, v28, v21
	v_div_fmas_f32 v21, v21, v25, v28
	v_div_fixup_f32 v25, v21, v20, v20
.LBB297_186:                            ;   in Loop: Header=BB297_153 Depth=1
	s_or_b64 exec, exec, s[8:9]
	v_mov_b32_e32 v28, v24
.LBB297_187:                            ;   in Loop: Header=BB297_153 Depth=1
	s_or_b64 exec, exec, s[30:31]
.LBB297_188:                            ;   in Loop: Header=BB297_153 Depth=1
	s_or_b64 exec, exec, s[28:29]
	v_cmp_gt_f32_e32 vcc, 0, v25
	v_cndmask_b32_e64 v29, v25, -v25, vcc
	v_cmp_gt_f32_e32 vcc, 0, v28
	v_cndmask_b32_e64 v24, v28, -v28, vcc
	v_cmp_ge_f32_e32 vcc, v24, v29
                                        ; implicit-def: $vgpr20_vgpr21
	s_and_saveexec_b64 s[8:9], vcc
	s_xor_b64 s[10:11], exec, s[8:9]
	s_cbranch_execz .LBB297_194
; %bb.189:                              ;   in Loop: Header=BB297_153 Depth=1
	v_cmp_neq_f32_e32 vcc, 0, v28
	v_cmp_neq_f32_e64 s[8:9], 0, v25
	s_or_b64 s[8:9], vcc, s[8:9]
                                        ; implicit-def: $vgpr20_vgpr21
	s_and_saveexec_b64 s[28:29], s[8:9]
	s_xor_b64 s[8:9], exec, s[28:29]
	s_cbranch_execz .LBB297_191
; %bb.190:                              ;   in Loop: Header=BB297_153 Depth=1
	v_div_scale_f32 v20, s[28:29], v28, v28, v25
	v_rcp_f32_e32 v21, v20
	v_div_scale_f32 v24, vcc, v25, v28, v25
	v_fma_f32 v29, -v20, v21, 1.0
	v_fmac_f32_e32 v21, v29, v21
	v_mul_f32_e32 v29, v24, v21
	v_fma_f32 v37, -v20, v29, v24
	v_fmac_f32_e32 v29, v37, v21
	v_fma_f32 v20, -v20, v29, v24
	v_div_fmas_f32 v20, v20, v21, v29
	v_div_fixup_f32 v21, v20, v28, v25
	v_fmac_f32_e32 v28, v25, v21
	v_div_scale_f32 v20, s[28:29], v28, v28, 1.0
	v_rcp_f32_e32 v24, v20
	v_fma_f32 v25, -v20, v24, 1.0
	v_fmac_f32_e32 v24, v25, v24
	v_div_scale_f32 v25, vcc, 1.0, v28, 1.0
	v_mul_f32_e32 v29, v25, v24
	v_fma_f32 v37, -v20, v29, v25
	v_fmac_f32_e32 v29, v37, v24
	v_fma_f32 v20, -v20, v29, v25
	v_div_fmas_f32 v20, v20, v24, v29
	v_div_fixup_f32 v24, v20, v28, 1.0
	v_mul_f32_e32 v20, 0, v21
	v_pk_add_f32 v[28:29], v[20:21], s[24:25]
	v_pk_add_f32 v[20:21], v[20:21], s[16:17] neg_lo:[1,0] neg_hi:[1,0]
	v_mov_b32_e32 v29, v21
	v_pk_mul_f32 v[20:21], v[28:29], v[24:25] op_sel_hi:[1,0]
                                        ; implicit-def: $vgpr29
                                        ; implicit-def: $vgpr24
.LBB297_191:                            ;   in Loop: Header=BB297_153 Depth=1
	s_andn2_saveexec_b64 s[8:9], s[8:9]
	s_cbranch_execz .LBB297_193
; %bb.192:                              ;   in Loop: Header=BB297_153 Depth=1
	v_div_scale_f32 v20, s[28:29], v29, v29, 0
	v_rcp_f32_e32 v21, v20
	v_div_scale_f32 v25, vcc, 0, v29, 0
	v_fma_f32 v28, -v20, v21, 1.0
	v_fmac_f32_e32 v21, v28, v21
	v_mul_f32_e32 v28, v25, v21
	v_fma_f32 v37, -v20, v28, v25
	v_fmac_f32_e32 v28, v37, v21
	v_fma_f32 v20, -v20, v28, v25
	v_div_scale_f32 v25, s[28:29], v24, v24, 1.0
	v_rcp_f32_e32 v37, v25
	v_div_fmas_f32 v20, v20, v21, v28
	v_div_fixup_f32 v21, v20, v29, 0
	v_fma_f32 v20, -v25, v37, 1.0
	v_fmac_f32_e32 v37, v20, v37
	v_div_scale_f32 v20, vcc, 1.0, v24, 1.0
	v_mul_f32_e32 v28, v20, v37
	v_fma_f32 v29, -v25, v28, v20
	v_fmac_f32_e32 v28, v29, v37
	v_fma_f32 v20, -v25, v28, v20
	v_div_fmas_f32 v20, v20, v37, v28
	v_div_fixup_f32 v20, v20, v24, 1.0
.LBB297_193:                            ;   in Loop: Header=BB297_153 Depth=1
	s_or_b64 exec, exec, s[8:9]
                                        ; implicit-def: $vgpr25
                                        ; implicit-def: $vgpr28
.LBB297_194:                            ;   in Loop: Header=BB297_153 Depth=1
	s_andn2_saveexec_b64 s[8:9], s[10:11]
	s_cbranch_execz .LBB297_196
; %bb.195:                              ;   in Loop: Header=BB297_153 Depth=1
	v_div_scale_f32 v20, s[10:11], v25, v25, v28
	v_rcp_f32_e32 v21, v20
	v_div_scale_f32 v24, vcc, v28, v25, v28
	s_mov_b32 s26, s17
	v_fma_f32 v29, -v20, v21, 1.0
	v_fmac_f32_e32 v21, v29, v21
	v_mul_f32_e32 v29, v24, v21
	v_fma_f32 v37, -v20, v29, v24
	v_fmac_f32_e32 v29, v37, v21
	v_fma_f32 v20, -v20, v29, v24
	v_div_fmas_f32 v20, v20, v21, v29
	v_div_fixup_f32 v20, v20, v25, v28
	v_fmac_f32_e32 v25, v28, v20
	v_div_scale_f32 v21, s[10:11], v25, v25, 1.0
	v_rcp_f32_e32 v24, v21
	v_fma_f32 v28, -v21, v24, 1.0
	v_fmac_f32_e32 v24, v28, v24
	v_div_scale_f32 v28, vcc, 1.0, v25, 1.0
	v_mul_f32_e32 v29, v28, v24
	v_fma_f32 v37, -v21, v29, v28
	v_fmac_f32_e32 v29, v37, v24
	v_fma_f32 v21, -v21, v29, v28
	v_div_fmas_f32 v21, v21, v24, v29
	v_div_fixup_f32 v24, v21, v25, 1.0
	v_mul_f32_e32 v21, 0, v20
	v_pk_add_f32 v[20:21], v[20:21], s[26:27]
	v_pk_mul_f32 v[20:21], v[20:21], v[24:25] op_sel_hi:[1,0]
.LBB297_196:                            ;   in Loop: Header=BB297_153 Depth=1
	s_or_b64 exec, exec, s[8:9]
	v_cmp_neq_f32_e32 vcc, 0, v26
	v_cmp_neq_f32_e64 s[8:9], 0, v27
	s_or_b64 s[8:9], vcc, s[8:9]
	v_mov_b32_e32 v28, 0
	s_and_saveexec_b64 s[28:29], s[8:9]
	s_cbranch_execz .LBB297_225
; %bb.197:                              ;   in Loop: Header=BB297_153 Depth=1
	v_cmp_neq_f32_e64 s[8:9], |v27|, s25
	v_mov_b32_e32 v28, 0x7f800000
	s_and_saveexec_b64 s[30:31], s[8:9]
	s_cbranch_execz .LBB297_224
; %bb.198:                              ;   in Loop: Header=BB297_153 Depth=1
	v_cmp_o_f32_e32 vcc, v26, v26
	s_and_saveexec_b64 s[8:9], vcc
	s_xor_b64 s[34:35], exec, s[8:9]
	s_cbranch_execz .LBB297_221
; %bb.199:                              ;   in Loop: Header=BB297_153 Depth=1
	v_cmp_neq_f32_e64 s[8:9], |v26|, s25
	s_and_saveexec_b64 s[10:11], s[8:9]
	s_xor_b64 s[36:37], exec, s[10:11]
	s_cbranch_execz .LBB297_214
; %bb.200:                              ;   in Loop: Header=BB297_153 Depth=1
	v_max_f32_e64 v24, |v26|, |v26|
	v_max_f32_e64 v25, |v27|, |v27|
	v_max_f32_e32 v24, v25, v24
	v_cmp_nle_f32_e64 s[8:9], s33, v24
                                        ; implicit-def: $sgpr38_sgpr39
                                        ; implicit-def: $vgpr24_vgpr25
	s_and_saveexec_b64 s[10:11], s[8:9]
	s_xor_b64 s[10:11], exec, s[10:11]
; %bb.201:                              ;   in Loop: Header=BB297_153 Depth=1
	v_cmp_nle_f32_e64 s[38:39], |v26|, s42
	v_cmp_nle_f32_e64 s[40:41], |v27|, s42
	s_or_b64 vcc, s[40:41], s[38:39]
	v_pk_mul_f32 v[24:25], v[26:27], 4.0 op_sel_hi:[1,0]
	s_xor_b64 s[38:39], vcc, -1
	v_cndmask_b32_e32 v25, v25, v27, vcc
	v_cndmask_b32_e32 v24, v24, v26, vcc
	s_and_b64 s[38:39], s[38:39], exec
                                        ; implicit-def: $vgpr26_vgpr27
; %bb.202:                              ;   in Loop: Header=BB297_153 Depth=1
	s_andn2_saveexec_b64 s[10:11], s[10:11]
; %bb.203:                              ;   in Loop: Header=BB297_153 Depth=1
	v_pk_mul_f32 v[24:25], v[26:27], s[22:23] op_sel_hi:[1,0]
	s_andn2_b64 s[38:39], s[38:39], exec
; %bb.204:                              ;   in Loop: Header=BB297_153 Depth=1
	s_or_b64 exec, exec, s[10:11]
	v_max_f32_e64 v26, |v25|, |v25|
	v_max_f32_e64 v27, |v24|, |v24|
	v_max_f32_e32 v28, v27, v26
	v_cvt_f64_f32_e32 v[26:27], v28
	v_frexp_exp_i32_f64_e32 v26, v[26:27]
	v_sub_u32_e32 v27, 0, v26
	v_ldexp_f32 v29, |v24|, v27
	v_ldexp_f32 v27, |v25|, v27
	v_mul_f32_e32 v27, v27, v27
	v_fmac_f32_e32 v27, v29, v29
	v_sqrt_f32_e32 v27, v27
	v_cmp_neq_f32_e64 s[10:11], s25, v28
	v_cmp_le_f32_e32 vcc, 0, v24
                                        ; implicit-def: $vgpr28_vgpr29
	v_ldexp_f32 v26, v27, v26
	v_cndmask_b32_e64 v26, v36, v26, s[10:11]
	s_and_saveexec_b64 s[10:11], vcc
	s_xor_b64 s[40:41], exec, s[10:11]
	s_cbranch_execz .LBB297_207
; %bb.205:                              ;   in Loop: Header=BB297_153 Depth=1
	v_add_f32_e32 v24, v24, v26
	v_mul_f32_e32 v24, 0.5, v24
	v_mul_f32_e32 v26, 0x4f800000, v24
	v_cmp_gt_f32_e32 vcc, s43, v24
	v_cndmask_b32_e32 v24, v24, v26, vcc
	v_sqrt_f32_e32 v26, v24
	v_add_u32_e32 v27, -1, v26
	v_fma_f32 v29, -v27, v26, v24
	v_add_u32_e32 v28, 1, v26
	v_cmp_ge_f32_e64 s[10:11], 0, v29
	v_cndmask_b32_e64 v27, v26, v27, s[10:11]
	v_fma_f32 v26, -v28, v26, v24
	v_cmp_lt_f32_e64 s[10:11], 0, v26
	v_cndmask_b32_e64 v26, v27, v28, s[10:11]
	v_mul_f32_e32 v27, 0x37800000, v26
	v_cndmask_b32_e32 v26, v26, v27, vcc
	v_cmp_class_f32_e32 vcc, v24, v35
	v_cndmask_b32_e32 v28, v26, v24, vcc
	v_add_f32_e32 v24, v28, v28
	v_div_scale_f32 v26, s[10:11], v24, v24, v25
	v_rcp_f32_e32 v27, v26
	v_fma_f32 v29, -v26, v27, 1.0
	v_fmac_f32_e32 v27, v29, v27
	v_div_scale_f32 v29, vcc, v25, v24, v25
	v_mul_f32_e32 v37, v29, v27
	v_fma_f32 v38, -v26, v37, v29
	v_fmac_f32_e32 v37, v38, v27
	v_fma_f32 v26, -v26, v37, v29
	v_div_fmas_f32 v26, v26, v27, v37
	v_div_fixup_f32 v29, v26, v24, v25
                                        ; implicit-def: $vgpr26
                                        ; implicit-def: $vgpr24_vgpr25
	s_andn2_saveexec_b64 s[40:41], s[40:41]
	s_cbranch_execz .LBB297_209
	s_branch .LBB297_208
.LBB297_206:                            ;   in Loop: Header=BB297_153 Depth=1
	s_or_b64 exec, exec, s[8:9]
	s_andn2_saveexec_b64 s[8:9], s[34:35]
	s_cbranch_execnz .LBB297_185
	s_branch .LBB297_186
.LBB297_207:                            ;   in Loop: Header=BB297_153 Depth=1
	s_andn2_saveexec_b64 s[40:41], s[40:41]
	s_cbranch_execz .LBB297_209
.LBB297_208:                            ;   in Loop: Header=BB297_153 Depth=1
	v_sub_f32_e32 v24, v26, v24
	v_mul_f32_e32 v24, 0.5, v24
	v_mul_f32_e32 v26, 0x4f800000, v24
	v_cmp_gt_f32_e32 vcc, s43, v24
	v_cndmask_b32_e32 v24, v24, v26, vcc
	v_sqrt_f32_e32 v26, v24
	v_add_u32_e32 v27, -1, v26
	v_fma_f32 v29, -v27, v26, v24
	v_add_u32_e32 v28, 1, v26
	v_cmp_ge_f32_e64 s[10:11], 0, v29
	v_cndmask_b32_e64 v27, v26, v27, s[10:11]
	v_fma_f32 v26, -v28, v26, v24
	v_cmp_lt_f32_e64 s[10:11], 0, v26
	v_cndmask_b32_e64 v26, v27, v28, s[10:11]
	v_mul_f32_e32 v27, 0x37800000, v26
	v_cndmask_b32_e32 v26, v26, v27, vcc
	v_cmp_class_f32_e32 vcc, v24, v35
	v_cndmask_b32_e32 v24, v26, v24, vcc
	v_add_f32_e32 v26, v24, v24
	v_and_b32_e32 v27, 0x7fffffff, v25
	v_div_scale_f32 v28, s[10:11], v26, v26, v27
	v_rcp_f32_e32 v29, v28
	v_div_scale_f32 v27, vcc, v27, v26, v27
	v_fma_f32 v37, -v28, v29, 1.0
	v_fmac_f32_e32 v29, v37, v29
	v_mul_f32_e32 v37, v27, v29
	v_fma_f32 v38, -v28, v37, v27
	v_fmac_f32_e32 v37, v38, v29
	v_fma_f32 v27, -v28, v37, v27
	v_div_fmas_f32 v27, v27, v29, v37
	v_div_fixup_f32 v28, v27, v26, |v25|
	v_bfi_b32 v29, s44, v24, v25
.LBB297_209:                            ;   in Loop: Header=BB297_153 Depth=1
	s_or_b64 exec, exec, s[40:41]
                                        ; implicit-def: $vgpr27
	s_and_saveexec_b64 s[10:11], s[8:9]
	s_xor_b64 s[8:9], exec, s[10:11]
	s_cbranch_execz .LBB297_211
; %bb.210:                              ;   in Loop: Header=BB297_153 Depth=1
	v_pk_mul_f32 v[24:25], v[28:29], 0.5 op_sel_hi:[1,0]
	v_cndmask_b32_e64 v26, v28, v24, s[38:39]
	v_cndmask_b32_e64 v27, v29, v25, s[38:39]
                                        ; implicit-def: $vgpr28_vgpr29
	s_andn2_saveexec_b64 s[8:9], s[8:9]
	s_cbranch_execnz .LBB297_212
	s_branch .LBB297_213
.LBB297_211:                            ;   in Loop: Header=BB297_153 Depth=1
	s_andn2_saveexec_b64 s[8:9], s[8:9]
.LBB297_212:                            ;   in Loop: Header=BB297_153 Depth=1
	v_pk_add_f32 v[26:27], v[28:29], v[28:29]
.LBB297_213:                            ;   in Loop: Header=BB297_153 Depth=1
	s_or_b64 exec, exec, s[8:9]
.LBB297_214:                            ;   in Loop: Header=BB297_153 Depth=1
	s_andn2_saveexec_b64 s[8:9], s[36:37]
	s_cbranch_execz .LBB297_220
; %bb.215:                              ;   in Loop: Header=BB297_153 Depth=1
	v_cmp_lt_i32_e32 vcc, -1, v26
	v_sub_f32_e32 v24, v27, v27
	s_and_saveexec_b64 s[10:11], vcc
	s_xor_b64 s[10:11], exec, s[10:11]
; %bb.216:                              ;   in Loop: Header=BB297_153 Depth=1
	v_bfi_b32 v27, s44, v24, v27
                                        ; implicit-def: $vgpr24
; %bb.217:                              ;   in Loop: Header=BB297_153 Depth=1
	s_andn2_saveexec_b64 s[10:11], s[10:11]
; %bb.218:                              ;   in Loop: Header=BB297_153 Depth=1
	v_and_b32_e32 v24, 0x7fffffff, v24
	v_bfi_b32 v27, s44, v26, v27
	v_mov_b32_e32 v26, v24
; %bb.219:                              ;   in Loop: Header=BB297_153 Depth=1
	s_or_b64 exec, exec, s[10:11]
.LBB297_220:                            ;   in Loop: Header=BB297_153 Depth=1
	s_or_b64 exec, exec, s[8:9]
.LBB297_221:                            ;   in Loop: Header=BB297_153 Depth=1
	s_andn2_saveexec_b64 s[8:9], s[34:35]
; %bb.222:                              ;   in Loop: Header=BB297_153 Depth=1
	v_sub_f32_e32 v24, v27, v27
	v_div_scale_f32 v25, vcc, v24, v24, v24
	v_rcp_f32_e32 v27, v25
	v_fma_f32 v28, -v25, v27, 1.0
	v_fmac_f32_e32 v27, v28, v27
	v_mul_f32_e32 v28, v25, v27
	v_fma_f32 v29, -v25, v28, v25
	v_fmac_f32_e32 v28, v29, v27
	v_fma_f32 v25, -v25, v28, v25
	v_div_fmas_f32 v25, v25, v27, v28
	v_div_fixup_f32 v27, v25, v24, v24
; %bb.223:                              ;   in Loop: Header=BB297_153 Depth=1
	s_or_b64 exec, exec, s[8:9]
	v_mov_b32_e32 v28, v26
.LBB297_224:                            ;   in Loop: Header=BB297_153 Depth=1
	s_or_b64 exec, exec, s[30:31]
.LBB297_225:                            ;   in Loop: Header=BB297_153 Depth=1
	s_or_b64 exec, exec, s[28:29]
	v_cmp_gt_f32_e32 vcc, 0, v27
	v_cndmask_b32_e64 v29, v27, -v27, vcc
	v_cmp_gt_f32_e32 vcc, 0, v28
	v_cndmask_b32_e64 v26, v28, -v28, vcc
	v_cmp_ge_f32_e32 vcc, v26, v29
                                        ; implicit-def: $vgpr24_vgpr25
	s_and_saveexec_b64 s[8:9], vcc
	s_xor_b64 s[10:11], exec, s[8:9]
	s_cbranch_execz .LBB297_231
; %bb.226:                              ;   in Loop: Header=BB297_153 Depth=1
	v_cmp_neq_f32_e32 vcc, 0, v28
	v_cmp_neq_f32_e64 s[8:9], 0, v27
	s_or_b64 s[8:9], vcc, s[8:9]
                                        ; implicit-def: $vgpr24_vgpr25
	s_and_saveexec_b64 s[28:29], s[8:9]
	s_xor_b64 s[8:9], exec, s[28:29]
	s_cbranch_execz .LBB297_228
; %bb.227:                              ;   in Loop: Header=BB297_153 Depth=1
	v_div_scale_f32 v24, s[28:29], v28, v28, v27
	v_rcp_f32_e32 v25, v24
	v_div_scale_f32 v26, vcc, v27, v28, v27
	v_fma_f32 v29, -v24, v25, 1.0
	v_fmac_f32_e32 v25, v29, v25
	v_mul_f32_e32 v29, v26, v25
	v_fma_f32 v37, -v24, v29, v26
	v_fmac_f32_e32 v29, v37, v25
	v_fma_f32 v24, -v24, v29, v26
	v_div_fmas_f32 v24, v24, v25, v29
	v_div_fixup_f32 v25, v24, v28, v27
	v_fmac_f32_e32 v28, v27, v25
	v_div_scale_f32 v24, s[28:29], v28, v28, 1.0
	v_rcp_f32_e32 v26, v24
	v_fma_f32 v27, -v24, v26, 1.0
	v_fmac_f32_e32 v26, v27, v26
	v_div_scale_f32 v27, vcc, 1.0, v28, 1.0
	v_mul_f32_e32 v29, v27, v26
	v_fma_f32 v37, -v24, v29, v27
	v_fmac_f32_e32 v29, v37, v26
	v_fma_f32 v24, -v24, v29, v27
	v_div_fmas_f32 v24, v24, v26, v29
	v_div_fixup_f32 v26, v24, v28, 1.0
	v_mul_f32_e32 v24, 0, v25
	v_pk_add_f32 v[28:29], v[24:25], s[24:25]
	v_pk_add_f32 v[24:25], v[24:25], s[16:17] neg_lo:[1,0] neg_hi:[1,0]
	v_mov_b32_e32 v29, v25
	v_pk_mul_f32 v[24:25], v[28:29], v[26:27] op_sel_hi:[1,0]
                                        ; implicit-def: $vgpr29
                                        ; implicit-def: $vgpr26
.LBB297_228:                            ;   in Loop: Header=BB297_153 Depth=1
	s_andn2_saveexec_b64 s[8:9], s[8:9]
	s_cbranch_execz .LBB297_230
; %bb.229:                              ;   in Loop: Header=BB297_153 Depth=1
	v_div_scale_f32 v24, s[28:29], v29, v29, 0
	v_rcp_f32_e32 v25, v24
	v_div_scale_f32 v27, vcc, 0, v29, 0
	v_fma_f32 v28, -v24, v25, 1.0
	v_fmac_f32_e32 v25, v28, v25
	v_mul_f32_e32 v28, v27, v25
	v_fma_f32 v37, -v24, v28, v27
	v_fmac_f32_e32 v28, v37, v25
	v_fma_f32 v24, -v24, v28, v27
	v_div_scale_f32 v27, s[28:29], v26, v26, 1.0
	v_rcp_f32_e32 v37, v27
	v_div_fmas_f32 v24, v24, v25, v28
	v_div_fixup_f32 v25, v24, v29, 0
	v_fma_f32 v24, -v27, v37, 1.0
	v_fmac_f32_e32 v37, v24, v37
	v_div_scale_f32 v24, vcc, 1.0, v26, 1.0
	v_mul_f32_e32 v28, v24, v37
	v_fma_f32 v29, -v27, v28, v24
	v_fmac_f32_e32 v28, v29, v37
	v_fma_f32 v24, -v27, v28, v24
	v_div_fmas_f32 v24, v24, v37, v28
	v_div_fixup_f32 v24, v24, v26, 1.0
.LBB297_230:                            ;   in Loop: Header=BB297_153 Depth=1
	s_or_b64 exec, exec, s[8:9]
                                        ; implicit-def: $vgpr27
                                        ; implicit-def: $vgpr28
.LBB297_231:                            ;   in Loop: Header=BB297_153 Depth=1
	s_andn2_saveexec_b64 s[8:9], s[10:11]
	s_cbranch_execz .LBB297_233
; %bb.232:                              ;   in Loop: Header=BB297_153 Depth=1
	v_div_scale_f32 v24, s[10:11], v27, v27, v28
	v_rcp_f32_e32 v25, v24
	v_div_scale_f32 v26, vcc, v28, v27, v28
	s_mov_b32 s26, s17
	v_fma_f32 v29, -v24, v25, 1.0
	v_fmac_f32_e32 v25, v29, v25
	v_mul_f32_e32 v29, v26, v25
	v_fma_f32 v37, -v24, v29, v26
	v_fmac_f32_e32 v29, v37, v25
	v_fma_f32 v24, -v24, v29, v26
	v_div_fmas_f32 v24, v24, v25, v29
	v_div_fixup_f32 v24, v24, v27, v28
	v_fmac_f32_e32 v27, v28, v24
	v_div_scale_f32 v25, s[10:11], v27, v27, 1.0
	v_rcp_f32_e32 v26, v25
	v_fma_f32 v28, -v25, v26, 1.0
	v_fmac_f32_e32 v26, v28, v26
	v_div_scale_f32 v28, vcc, 1.0, v27, 1.0
	v_mul_f32_e32 v29, v28, v26
	v_fma_f32 v37, -v25, v29, v28
	v_fmac_f32_e32 v29, v37, v26
	v_fma_f32 v25, -v25, v29, v28
	v_div_fmas_f32 v25, v25, v26, v29
	v_div_fixup_f32 v26, v25, v27, 1.0
	v_mul_f32_e32 v25, 0, v24
	v_pk_add_f32 v[24:25], v[24:25], s[26:27]
	v_pk_mul_f32 v[24:25], v[24:25], v[26:27] op_sel_hi:[1,0]
.LBB297_233:                            ;   in Loop: Header=BB297_153 Depth=1
	s_or_b64 exec, exec, s[8:9]
	v_cmp_neq_f32_e32 vcc, 0, v22
	v_cmp_neq_f32_e64 s[8:9], 0, v23
	s_or_b64 s[8:9], vcc, s[8:9]
	v_mov_b32_e32 v28, 0
	s_and_saveexec_b64 s[28:29], s[8:9]
	s_cbranch_execz .LBB297_261
; %bb.234:                              ;   in Loop: Header=BB297_153 Depth=1
	v_cmp_neq_f32_e64 s[8:9], |v23|, s25
	v_mov_b32_e32 v28, 0x7f800000
	s_and_saveexec_b64 s[30:31], s[8:9]
	s_cbranch_execz .LBB297_260
; %bb.235:                              ;   in Loop: Header=BB297_153 Depth=1
	v_cmp_o_f32_e32 vcc, v22, v22
	s_and_saveexec_b64 s[8:9], vcc
	s_xor_b64 s[34:35], exec, s[8:9]
	s_cbranch_execz .LBB297_257
; %bb.236:                              ;   in Loop: Header=BB297_153 Depth=1
	v_cmp_neq_f32_e64 s[8:9], |v22|, s25
	s_and_saveexec_b64 s[10:11], s[8:9]
	s_xor_b64 s[36:37], exec, s[10:11]
	s_cbranch_execz .LBB297_250
; %bb.237:                              ;   in Loop: Header=BB297_153 Depth=1
	v_max_f32_e64 v26, |v22|, |v22|
	v_max_f32_e64 v27, |v23|, |v23|
	v_max_f32_e32 v26, v27, v26
	v_cmp_nle_f32_e64 s[8:9], s33, v26
                                        ; implicit-def: $sgpr38_sgpr39
                                        ; implicit-def: $vgpr26_vgpr27
	s_and_saveexec_b64 s[10:11], s[8:9]
	s_xor_b64 s[10:11], exec, s[10:11]
; %bb.238:                              ;   in Loop: Header=BB297_153 Depth=1
	v_cmp_nle_f32_e64 s[38:39], |v22|, s42
	v_cmp_nle_f32_e64 s[40:41], |v23|, s42
	s_or_b64 vcc, s[40:41], s[38:39]
	v_pk_mul_f32 v[26:27], v[22:23], 4.0 op_sel_hi:[1,0]
	s_xor_b64 s[38:39], vcc, -1
	v_cndmask_b32_e32 v27, v27, v23, vcc
	v_cndmask_b32_e32 v26, v26, v22, vcc
	s_and_b64 s[38:39], s[38:39], exec
                                        ; implicit-def: $vgpr22_vgpr23
; %bb.239:                              ;   in Loop: Header=BB297_153 Depth=1
	s_andn2_saveexec_b64 s[10:11], s[10:11]
; %bb.240:                              ;   in Loop: Header=BB297_153 Depth=1
	v_pk_mul_f32 v[26:27], v[22:23], s[22:23] op_sel_hi:[1,0]
	s_andn2_b64 s[38:39], s[38:39], exec
; %bb.241:                              ;   in Loop: Header=BB297_153 Depth=1
	s_or_b64 exec, exec, s[10:11]
	v_max_f32_e64 v22, |v27|, |v27|
	v_max_f32_e64 v23, |v26|, |v26|
	v_max_f32_e32 v28, v23, v22
	v_cvt_f64_f32_e32 v[22:23], v28
	v_frexp_exp_i32_f64_e32 v22, v[22:23]
	v_sub_u32_e32 v23, 0, v22
	v_ldexp_f32 v29, |v26|, v23
	v_ldexp_f32 v23, |v27|, v23
	v_mul_f32_e32 v23, v23, v23
	v_fmac_f32_e32 v23, v29, v29
	v_sqrt_f32_e32 v23, v23
	v_cmp_neq_f32_e64 s[10:11], s25, v28
	v_cmp_le_f32_e32 vcc, 0, v26
                                        ; implicit-def: $vgpr28_vgpr29
	v_ldexp_f32 v22, v23, v22
	v_cndmask_b32_e64 v22, v36, v22, s[10:11]
	s_and_saveexec_b64 s[10:11], vcc
	s_xor_b64 s[40:41], exec, s[10:11]
	s_cbranch_execz .LBB297_243
; %bb.242:                              ;   in Loop: Header=BB297_153 Depth=1
	v_add_f32_e32 v22, v26, v22
	v_mul_f32_e32 v22, 0.5, v22
	v_mul_f32_e32 v23, 0x4f800000, v22
	v_cmp_gt_f32_e32 vcc, s43, v22
	v_cndmask_b32_e32 v22, v22, v23, vcc
	v_sqrt_f32_e32 v23, v22
	v_add_u32_e32 v26, -1, v23
	v_fma_f32 v29, -v26, v23, v22
	v_add_u32_e32 v28, 1, v23
	v_cmp_ge_f32_e64 s[10:11], 0, v29
	v_cndmask_b32_e64 v26, v23, v26, s[10:11]
	v_fma_f32 v23, -v28, v23, v22
	v_cmp_lt_f32_e64 s[10:11], 0, v23
	v_cndmask_b32_e64 v23, v26, v28, s[10:11]
	v_mul_f32_e32 v26, 0x37800000, v23
	v_cndmask_b32_e32 v23, v23, v26, vcc
	v_cmp_class_f32_e32 vcc, v22, v35
	v_cndmask_b32_e32 v28, v23, v22, vcc
	v_add_f32_e32 v22, v28, v28
	v_div_scale_f32 v23, s[10:11], v22, v22, v27
	v_rcp_f32_e32 v26, v23
	v_fma_f32 v29, -v23, v26, 1.0
	v_fmac_f32_e32 v26, v29, v26
	v_div_scale_f32 v29, vcc, v27, v22, v27
	v_mul_f32_e32 v37, v29, v26
	v_fma_f32 v38, -v23, v37, v29
	v_fmac_f32_e32 v37, v38, v26
	v_fma_f32 v23, -v23, v37, v29
	v_div_fmas_f32 v23, v23, v26, v37
	v_div_fixup_f32 v29, v23, v22, v27
                                        ; implicit-def: $vgpr22
                                        ; implicit-def: $vgpr26_vgpr27
	s_andn2_saveexec_b64 s[40:41], s[40:41]
	s_cbranch_execz .LBB297_245
	s_branch .LBB297_244
.LBB297_243:                            ;   in Loop: Header=BB297_153 Depth=1
	s_andn2_saveexec_b64 s[40:41], s[40:41]
	s_cbranch_execz .LBB297_245
.LBB297_244:                            ;   in Loop: Header=BB297_153 Depth=1
	v_sub_f32_e32 v22, v22, v26
	v_mul_f32_e32 v22, 0.5, v22
	v_mul_f32_e32 v23, 0x4f800000, v22
	v_cmp_gt_f32_e32 vcc, s43, v22
	v_cndmask_b32_e32 v22, v22, v23, vcc
	v_sqrt_f32_e32 v23, v22
	v_add_u32_e32 v26, -1, v23
	v_fma_f32 v29, -v26, v23, v22
	v_add_u32_e32 v28, 1, v23
	v_cmp_ge_f32_e64 s[10:11], 0, v29
	v_cndmask_b32_e64 v26, v23, v26, s[10:11]
	v_fma_f32 v23, -v28, v23, v22
	v_cmp_lt_f32_e64 s[10:11], 0, v23
	v_cndmask_b32_e64 v23, v26, v28, s[10:11]
	v_mul_f32_e32 v26, 0x37800000, v23
	v_cndmask_b32_e32 v23, v23, v26, vcc
	v_cmp_class_f32_e32 vcc, v22, v35
	v_cndmask_b32_e32 v22, v23, v22, vcc
	v_add_f32_e32 v23, v22, v22
	v_and_b32_e32 v26, 0x7fffffff, v27
	v_div_scale_f32 v28, s[10:11], v23, v23, v26
	v_rcp_f32_e32 v29, v28
	v_div_scale_f32 v26, vcc, v26, v23, v26
	v_fma_f32 v37, -v28, v29, 1.0
	v_fmac_f32_e32 v29, v37, v29
	v_mul_f32_e32 v37, v26, v29
	v_fma_f32 v38, -v28, v37, v26
	v_fmac_f32_e32 v37, v38, v29
	v_fma_f32 v26, -v28, v37, v26
	v_div_fmas_f32 v26, v26, v29, v37
	v_div_fixup_f32 v28, v26, v23, |v27|
	v_bfi_b32 v29, s44, v22, v27
.LBB297_245:                            ;   in Loop: Header=BB297_153 Depth=1
	s_or_b64 exec, exec, s[40:41]
                                        ; implicit-def: $vgpr23
	s_and_saveexec_b64 s[10:11], s[8:9]
	s_xor_b64 s[8:9], exec, s[10:11]
	s_cbranch_execz .LBB297_247
; %bb.246:                              ;   in Loop: Header=BB297_153 Depth=1
	v_pk_mul_f32 v[22:23], v[28:29], 0.5 op_sel_hi:[1,0]
	v_cndmask_b32_e64 v22, v28, v22, s[38:39]
	v_cndmask_b32_e64 v23, v29, v23, s[38:39]
                                        ; implicit-def: $vgpr28_vgpr29
	s_andn2_saveexec_b64 s[8:9], s[8:9]
	s_cbranch_execnz .LBB297_248
	s_branch .LBB297_249
.LBB297_247:                            ;   in Loop: Header=BB297_153 Depth=1
	s_andn2_saveexec_b64 s[8:9], s[8:9]
.LBB297_248:                            ;   in Loop: Header=BB297_153 Depth=1
	v_pk_add_f32 v[22:23], v[28:29], v[28:29]
.LBB297_249:                            ;   in Loop: Header=BB297_153 Depth=1
	s_or_b64 exec, exec, s[8:9]
.LBB297_250:                            ;   in Loop: Header=BB297_153 Depth=1
	s_andn2_saveexec_b64 s[8:9], s[36:37]
	s_cbranch_execz .LBB297_256
; %bb.251:                              ;   in Loop: Header=BB297_153 Depth=1
	v_cmp_lt_i32_e32 vcc, -1, v22
	v_sub_f32_e32 v26, v23, v23
	s_and_saveexec_b64 s[10:11], vcc
	s_xor_b64 s[10:11], exec, s[10:11]
; %bb.252:                              ;   in Loop: Header=BB297_153 Depth=1
	v_bfi_b32 v23, s44, v26, v23
                                        ; implicit-def: $vgpr26
; %bb.253:                              ;   in Loop: Header=BB297_153 Depth=1
	s_andn2_saveexec_b64 s[10:11], s[10:11]
; %bb.254:                              ;   in Loop: Header=BB297_153 Depth=1
	v_and_b32_e32 v26, 0x7fffffff, v26
	v_bfi_b32 v23, s44, v22, v23
	v_mov_b32_e32 v22, v26
; %bb.255:                              ;   in Loop: Header=BB297_153 Depth=1
	s_or_b64 exec, exec, s[10:11]
.LBB297_256:                            ;   in Loop: Header=BB297_153 Depth=1
	s_or_b64 exec, exec, s[8:9]
.LBB297_257:                            ;   in Loop: Header=BB297_153 Depth=1
	s_andn2_saveexec_b64 s[8:9], s[34:35]
; %bb.258:                              ;   in Loop: Header=BB297_153 Depth=1
	v_sub_f32_e32 v23, v23, v23
	v_div_scale_f32 v26, vcc, v23, v23, v23
	v_rcp_f32_e32 v27, v26
	v_fma_f32 v28, -v26, v27, 1.0
	v_fmac_f32_e32 v27, v28, v27
	v_mul_f32_e32 v28, v26, v27
	v_fma_f32 v29, -v26, v28, v26
	v_fmac_f32_e32 v28, v29, v27
	v_fma_f32 v26, -v26, v28, v26
	v_div_fmas_f32 v26, v26, v27, v28
	v_div_fixup_f32 v23, v26, v23, v23
; %bb.259:                              ;   in Loop: Header=BB297_153 Depth=1
	s_or_b64 exec, exec, s[8:9]
	v_mov_b32_e32 v28, v22
.LBB297_260:                            ;   in Loop: Header=BB297_153 Depth=1
	s_or_b64 exec, exec, s[30:31]
.LBB297_261:                            ;   in Loop: Header=BB297_153 Depth=1
	s_or_b64 exec, exec, s[28:29]
	v_cmp_gt_f32_e32 vcc, 0, v23
	v_cndmask_b32_e64 v29, v23, -v23, vcc
	v_cmp_gt_f32_e32 vcc, 0, v28
	v_cndmask_b32_e64 v22, v28, -v28, vcc
	v_cmp_ge_f32_e32 vcc, v22, v29
                                        ; implicit-def: $vgpr26_vgpr27
	s_and_saveexec_b64 s[8:9], vcc
	s_xor_b64 s[10:11], exec, s[8:9]
	s_cbranch_execz .LBB297_267
; %bb.262:                              ;   in Loop: Header=BB297_153 Depth=1
	v_cmp_neq_f32_e32 vcc, 0, v28
	v_cmp_neq_f32_e64 s[8:9], 0, v23
	s_or_b64 s[8:9], vcc, s[8:9]
                                        ; implicit-def: $vgpr26_vgpr27
	s_and_saveexec_b64 s[28:29], s[8:9]
	s_xor_b64 s[8:9], exec, s[28:29]
	s_cbranch_execz .LBB297_264
; %bb.263:                              ;   in Loop: Header=BB297_153 Depth=1
	v_div_scale_f32 v22, s[28:29], v28, v28, v23
	v_rcp_f32_e32 v26, v22
	v_div_scale_f32 v27, vcc, v23, v28, v23
	v_fma_f32 v29, -v22, v26, 1.0
	v_fmac_f32_e32 v26, v29, v26
	v_mul_f32_e32 v29, v27, v26
	v_fma_f32 v37, -v22, v29, v27
	v_fmac_f32_e32 v29, v37, v26
	v_fma_f32 v22, -v22, v29, v27
	v_div_fmas_f32 v22, v22, v26, v29
	v_div_fixup_f32 v27, v22, v28, v23
	v_fmac_f32_e32 v28, v23, v27
	v_div_scale_f32 v22, s[28:29], v28, v28, 1.0
	v_rcp_f32_e32 v23, v22
	v_fma_f32 v26, -v22, v23, 1.0
	v_fmac_f32_e32 v23, v26, v23
	v_div_scale_f32 v26, vcc, 1.0, v28, 1.0
	v_mul_f32_e32 v29, v26, v23
	v_fma_f32 v37, -v22, v29, v26
	v_fmac_f32_e32 v29, v37, v23
	v_fma_f32 v22, -v22, v29, v26
	v_div_fmas_f32 v22, v22, v23, v29
	v_mul_f32_e32 v26, 0, v27
	v_div_fixup_f32 v22, v22, v28, 1.0
	v_pk_add_f32 v[28:29], v[26:27], s[24:25]
	v_pk_add_f32 v[26:27], v[26:27], s[16:17] neg_lo:[1,0] neg_hi:[1,0]
	v_mov_b32_e32 v29, v27
	v_pk_mul_f32 v[26:27], v[28:29], v[22:23] op_sel_hi:[1,0]
                                        ; implicit-def: $vgpr29
                                        ; implicit-def: $vgpr22
.LBB297_264:                            ;   in Loop: Header=BB297_153 Depth=1
	s_andn2_saveexec_b64 s[8:9], s[8:9]
	s_cbranch_execz .LBB297_266
; %bb.265:                              ;   in Loop: Header=BB297_153 Depth=1
	v_div_scale_f32 v23, s[28:29], v29, v29, 0
	v_rcp_f32_e32 v26, v23
	v_div_scale_f32 v27, vcc, 0, v29, 0
	v_fma_f32 v28, -v23, v26, 1.0
	v_fmac_f32_e32 v26, v28, v26
	v_mul_f32_e32 v28, v27, v26
	v_fma_f32 v37, -v23, v28, v27
	v_fmac_f32_e32 v28, v37, v26
	v_div_scale_f32 v37, s[28:29], v22, v22, 1.0
	v_rcp_f32_e32 v38, v37
	v_fma_f32 v23, -v23, v28, v27
	v_div_fmas_f32 v23, v23, v26, v28
	v_div_fixup_f32 v27, v23, v29, 0
	v_fma_f32 v23, -v37, v38, 1.0
	v_fmac_f32_e32 v38, v23, v38
	v_div_scale_f32 v23, vcc, 1.0, v22, 1.0
	v_mul_f32_e32 v26, v23, v38
	v_fma_f32 v28, -v37, v26, v23
	v_fmac_f32_e32 v26, v28, v38
	v_fma_f32 v23, -v37, v26, v23
	v_div_fmas_f32 v23, v23, v38, v26
	v_div_fixup_f32 v26, v23, v22, 1.0
.LBB297_266:                            ;   in Loop: Header=BB297_153 Depth=1
	s_or_b64 exec, exec, s[8:9]
                                        ; implicit-def: $vgpr23
                                        ; implicit-def: $vgpr28
.LBB297_267:                            ;   in Loop: Header=BB297_153 Depth=1
	s_andn2_saveexec_b64 s[8:9], s[10:11]
	s_cbranch_execz .LBB297_269
; %bb.268:                              ;   in Loop: Header=BB297_153 Depth=1
	v_div_scale_f32 v22, s[10:11], v23, v23, v28
	v_rcp_f32_e32 v26, v22
	v_div_scale_f32 v27, vcc, v28, v23, v28
	s_mov_b32 s26, s17
	v_fma_f32 v29, -v22, v26, 1.0
	v_fmac_f32_e32 v26, v29, v26
	v_mul_f32_e32 v29, v27, v26
	v_fma_f32 v37, -v22, v29, v27
	v_fmac_f32_e32 v29, v37, v26
	v_fma_f32 v22, -v22, v29, v27
	v_div_fmas_f32 v22, v22, v26, v29
	v_div_fixup_f32 v22, v22, v23, v28
	v_fmac_f32_e32 v23, v28, v22
	v_div_scale_f32 v26, s[10:11], v23, v23, 1.0
	v_rcp_f32_e32 v27, v26
	v_fma_f32 v28, -v26, v27, 1.0
	v_fmac_f32_e32 v27, v28, v27
	v_div_scale_f32 v28, vcc, 1.0, v23, 1.0
	v_mul_f32_e32 v29, v28, v27
	v_fma_f32 v37, -v26, v29, v28
	v_fmac_f32_e32 v29, v37, v27
	v_fma_f32 v26, -v26, v29, v28
	v_div_fmas_f32 v26, v26, v27, v29
	v_div_fixup_f32 v26, v26, v23, 1.0
	v_mul_f32_e32 v23, 0, v22
	v_pk_add_f32 v[22:23], v[22:23], s[26:27]
	v_pk_mul_f32 v[26:27], v[22:23], v[26:27] op_sel_hi:[1,0]
.LBB297_269:                            ;   in Loop: Header=BB297_153 Depth=1
	s_or_b64 exec, exec, s[8:9]
	v_cmp_neq_f32_e32 vcc, 0, v18
	v_cmp_neq_f32_e64 s[8:9], 0, v19
	s_or_b64 s[8:9], vcc, s[8:9]
	v_mov_b32_e32 v28, 0
	s_and_saveexec_b64 s[28:29], s[8:9]
	s_cbranch_execz .LBB297_297
; %bb.270:                              ;   in Loop: Header=BB297_153 Depth=1
	v_cmp_neq_f32_e64 s[8:9], |v19|, s25
	v_mov_b32_e32 v28, 0x7f800000
	s_and_saveexec_b64 s[30:31], s[8:9]
	s_cbranch_execz .LBB297_296
; %bb.271:                              ;   in Loop: Header=BB297_153 Depth=1
	v_cmp_o_f32_e32 vcc, v18, v18
	s_and_saveexec_b64 s[8:9], vcc
	s_xor_b64 s[34:35], exec, s[8:9]
	s_cbranch_execz .LBB297_293
; %bb.272:                              ;   in Loop: Header=BB297_153 Depth=1
	v_cmp_neq_f32_e64 s[8:9], |v18|, s25
	s_and_saveexec_b64 s[10:11], s[8:9]
	s_xor_b64 s[36:37], exec, s[10:11]
	s_cbranch_execz .LBB297_286
; %bb.273:                              ;   in Loop: Header=BB297_153 Depth=1
	v_max_f32_e64 v22, |v18|, |v18|
	v_max_f32_e64 v23, |v19|, |v19|
	v_max_f32_e32 v22, v23, v22
	v_cmp_nle_f32_e64 s[8:9], s33, v22
                                        ; implicit-def: $sgpr38_sgpr39
                                        ; implicit-def: $vgpr22_vgpr23
	s_and_saveexec_b64 s[10:11], s[8:9]
	s_xor_b64 s[10:11], exec, s[10:11]
; %bb.274:                              ;   in Loop: Header=BB297_153 Depth=1
	v_cmp_nle_f32_e64 s[38:39], |v18|, s42
	v_cmp_nle_f32_e64 s[40:41], |v19|, s42
	s_or_b64 vcc, s[40:41], s[38:39]
	v_pk_mul_f32 v[22:23], v[18:19], 4.0 op_sel_hi:[1,0]
	s_xor_b64 s[38:39], vcc, -1
	v_cndmask_b32_e32 v23, v23, v19, vcc
	v_cndmask_b32_e32 v22, v22, v18, vcc
	s_and_b64 s[38:39], s[38:39], exec
                                        ; implicit-def: $vgpr18_vgpr19
; %bb.275:                              ;   in Loop: Header=BB297_153 Depth=1
	s_andn2_saveexec_b64 s[10:11], s[10:11]
; %bb.276:                              ;   in Loop: Header=BB297_153 Depth=1
	v_pk_mul_f32 v[22:23], v[18:19], s[22:23] op_sel_hi:[1,0]
	s_andn2_b64 s[38:39], s[38:39], exec
; %bb.277:                              ;   in Loop: Header=BB297_153 Depth=1
	s_or_b64 exec, exec, s[10:11]
	v_max_f32_e64 v18, |v23|, |v23|
	v_max_f32_e64 v19, |v22|, |v22|
	v_max_f32_e32 v28, v19, v18
	v_cvt_f64_f32_e32 v[18:19], v28
	v_frexp_exp_i32_f64_e32 v18, v[18:19]
	v_sub_u32_e32 v19, 0, v18
	v_ldexp_f32 v29, |v22|, v19
	v_ldexp_f32 v19, |v23|, v19
	v_mul_f32_e32 v19, v19, v19
	v_fmac_f32_e32 v19, v29, v29
	v_sqrt_f32_e32 v19, v19
	v_cmp_neq_f32_e64 s[10:11], s25, v28
	v_cmp_le_f32_e32 vcc, 0, v22
                                        ; implicit-def: $vgpr28_vgpr29
	v_ldexp_f32 v18, v19, v18
	v_cndmask_b32_e64 v18, v36, v18, s[10:11]
	s_and_saveexec_b64 s[10:11], vcc
	s_xor_b64 s[40:41], exec, s[10:11]
	s_cbranch_execz .LBB297_279
; %bb.278:                              ;   in Loop: Header=BB297_153 Depth=1
	v_add_f32_e32 v18, v22, v18
	v_mul_f32_e32 v18, 0.5, v18
	v_mul_f32_e32 v19, 0x4f800000, v18
	v_cmp_gt_f32_e32 vcc, s43, v18
	v_cndmask_b32_e32 v18, v18, v19, vcc
	v_sqrt_f32_e32 v19, v18
	v_add_u32_e32 v22, -1, v19
	v_fma_f32 v29, -v22, v19, v18
	v_add_u32_e32 v28, 1, v19
	v_cmp_ge_f32_e64 s[10:11], 0, v29
	v_cndmask_b32_e64 v22, v19, v22, s[10:11]
	v_fma_f32 v19, -v28, v19, v18
	v_cmp_lt_f32_e64 s[10:11], 0, v19
	v_cndmask_b32_e64 v19, v22, v28, s[10:11]
	v_mul_f32_e32 v22, 0x37800000, v19
	v_cndmask_b32_e32 v19, v19, v22, vcc
	v_cmp_class_f32_e32 vcc, v18, v35
	v_cndmask_b32_e32 v28, v19, v18, vcc
	v_add_f32_e32 v18, v28, v28
	v_div_scale_f32 v19, s[10:11], v18, v18, v23
	v_rcp_f32_e32 v22, v19
	v_fma_f32 v29, -v19, v22, 1.0
	v_fmac_f32_e32 v22, v29, v22
	v_div_scale_f32 v29, vcc, v23, v18, v23
	v_mul_f32_e32 v37, v29, v22
	v_fma_f32 v38, -v19, v37, v29
	v_fmac_f32_e32 v37, v38, v22
	v_fma_f32 v19, -v19, v37, v29
	v_div_fmas_f32 v19, v19, v22, v37
	v_div_fixup_f32 v29, v19, v18, v23
                                        ; implicit-def: $vgpr18
                                        ; implicit-def: $vgpr22_vgpr23
	s_andn2_saveexec_b64 s[40:41], s[40:41]
	s_cbranch_execz .LBB297_281
	s_branch .LBB297_280
.LBB297_279:                            ;   in Loop: Header=BB297_153 Depth=1
	s_andn2_saveexec_b64 s[40:41], s[40:41]
	s_cbranch_execz .LBB297_281
.LBB297_280:                            ;   in Loop: Header=BB297_153 Depth=1
	v_sub_f32_e32 v18, v18, v22
	v_mul_f32_e32 v18, 0.5, v18
	v_mul_f32_e32 v19, 0x4f800000, v18
	v_cmp_gt_f32_e32 vcc, s43, v18
	v_cndmask_b32_e32 v18, v18, v19, vcc
	v_sqrt_f32_e32 v19, v18
	v_add_u32_e32 v22, -1, v19
	v_fma_f32 v29, -v22, v19, v18
	v_add_u32_e32 v28, 1, v19
	v_cmp_ge_f32_e64 s[10:11], 0, v29
	v_cndmask_b32_e64 v22, v19, v22, s[10:11]
	v_fma_f32 v19, -v28, v19, v18
	v_cmp_lt_f32_e64 s[10:11], 0, v19
	v_cndmask_b32_e64 v19, v22, v28, s[10:11]
	v_mul_f32_e32 v22, 0x37800000, v19
	v_cndmask_b32_e32 v19, v19, v22, vcc
	v_cmp_class_f32_e32 vcc, v18, v35
	v_cndmask_b32_e32 v18, v19, v18, vcc
	v_add_f32_e32 v19, v18, v18
	v_and_b32_e32 v22, 0x7fffffff, v23
	v_div_scale_f32 v28, s[10:11], v19, v19, v22
	v_rcp_f32_e32 v29, v28
	v_div_scale_f32 v22, vcc, v22, v19, v22
	v_fma_f32 v37, -v28, v29, 1.0
	v_fmac_f32_e32 v29, v37, v29
	v_mul_f32_e32 v37, v22, v29
	v_fma_f32 v38, -v28, v37, v22
	v_fmac_f32_e32 v37, v38, v29
	v_fma_f32 v22, -v28, v37, v22
	v_div_fmas_f32 v22, v22, v29, v37
	v_div_fixup_f32 v28, v22, v19, |v23|
	v_bfi_b32 v29, s44, v18, v23
.LBB297_281:                            ;   in Loop: Header=BB297_153 Depth=1
	s_or_b64 exec, exec, s[40:41]
                                        ; implicit-def: $vgpr19
	s_and_saveexec_b64 s[10:11], s[8:9]
	s_xor_b64 s[8:9], exec, s[10:11]
	s_cbranch_execz .LBB297_283
; %bb.282:                              ;   in Loop: Header=BB297_153 Depth=1
	v_pk_mul_f32 v[18:19], v[28:29], 0.5 op_sel_hi:[1,0]
	v_cndmask_b32_e64 v18, v28, v18, s[38:39]
	v_cndmask_b32_e64 v19, v29, v19, s[38:39]
                                        ; implicit-def: $vgpr28_vgpr29
	s_andn2_saveexec_b64 s[8:9], s[8:9]
	s_cbranch_execnz .LBB297_284
	s_branch .LBB297_285
.LBB297_283:                            ;   in Loop: Header=BB297_153 Depth=1
	s_andn2_saveexec_b64 s[8:9], s[8:9]
.LBB297_284:                            ;   in Loop: Header=BB297_153 Depth=1
	v_pk_add_f32 v[18:19], v[28:29], v[28:29]
.LBB297_285:                            ;   in Loop: Header=BB297_153 Depth=1
	s_or_b64 exec, exec, s[8:9]
.LBB297_286:                            ;   in Loop: Header=BB297_153 Depth=1
	s_andn2_saveexec_b64 s[8:9], s[36:37]
	s_cbranch_execz .LBB297_292
; %bb.287:                              ;   in Loop: Header=BB297_153 Depth=1
	v_cmp_lt_i32_e32 vcc, -1, v18
	v_sub_f32_e32 v22, v19, v19
	s_and_saveexec_b64 s[10:11], vcc
	s_xor_b64 s[10:11], exec, s[10:11]
; %bb.288:                              ;   in Loop: Header=BB297_153 Depth=1
	v_bfi_b32 v19, s44, v22, v19
                                        ; implicit-def: $vgpr22
; %bb.289:                              ;   in Loop: Header=BB297_153 Depth=1
	s_andn2_saveexec_b64 s[10:11], s[10:11]
; %bb.290:                              ;   in Loop: Header=BB297_153 Depth=1
	v_and_b32_e32 v22, 0x7fffffff, v22
	v_bfi_b32 v19, s44, v18, v19
	v_mov_b32_e32 v18, v22
; %bb.291:                              ;   in Loop: Header=BB297_153 Depth=1
	s_or_b64 exec, exec, s[10:11]
.LBB297_292:                            ;   in Loop: Header=BB297_153 Depth=1
	s_or_b64 exec, exec, s[8:9]
.LBB297_293:                            ;   in Loop: Header=BB297_153 Depth=1
	s_andn2_saveexec_b64 s[8:9], s[34:35]
; %bb.294:                              ;   in Loop: Header=BB297_153 Depth=1
	v_sub_f32_e32 v19, v19, v19
	v_div_scale_f32 v22, vcc, v19, v19, v19
	v_rcp_f32_e32 v23, v22
	v_fma_f32 v28, -v22, v23, 1.0
	v_fmac_f32_e32 v23, v28, v23
	v_mul_f32_e32 v28, v22, v23
	v_fma_f32 v29, -v22, v28, v22
	v_fmac_f32_e32 v28, v29, v23
	v_fma_f32 v22, -v22, v28, v22
	v_div_fmas_f32 v22, v22, v23, v28
	v_div_fixup_f32 v19, v22, v19, v19
; %bb.295:                              ;   in Loop: Header=BB297_153 Depth=1
	s_or_b64 exec, exec, s[8:9]
	v_mov_b32_e32 v28, v18
.LBB297_296:                            ;   in Loop: Header=BB297_153 Depth=1
	s_or_b64 exec, exec, s[30:31]
.LBB297_297:                            ;   in Loop: Header=BB297_153 Depth=1
	s_or_b64 exec, exec, s[28:29]
	v_cmp_gt_f32_e32 vcc, 0, v19
	v_cndmask_b32_e64 v29, v19, -v19, vcc
	v_cmp_gt_f32_e32 vcc, 0, v28
	v_cndmask_b32_e64 v18, v28, -v28, vcc
	v_cmp_ge_f32_e32 vcc, v18, v29
                                        ; implicit-def: $vgpr22_vgpr23
	s_and_saveexec_b64 s[8:9], vcc
	s_xor_b64 s[10:11], exec, s[8:9]
	s_cbranch_execz .LBB297_307
; %bb.298:                              ;   in Loop: Header=BB297_153 Depth=1
	v_cmp_neq_f32_e32 vcc, 0, v28
	v_cmp_neq_f32_e64 s[8:9], 0, v19
	s_or_b64 s[8:9], vcc, s[8:9]
                                        ; implicit-def: $vgpr22_vgpr23
	s_and_saveexec_b64 s[28:29], s[8:9]
	s_xor_b64 s[8:9], exec, s[28:29]
	s_cbranch_execz .LBB297_300
; %bb.299:                              ;   in Loop: Header=BB297_153 Depth=1
	v_div_scale_f32 v18, s[28:29], v28, v28, v19
	v_rcp_f32_e32 v22, v18
	v_div_scale_f32 v23, vcc, v19, v28, v19
	v_fma_f32 v29, -v18, v22, 1.0
	v_fmac_f32_e32 v22, v29, v22
	v_mul_f32_e32 v29, v23, v22
	v_fma_f32 v37, -v18, v29, v23
	v_fmac_f32_e32 v29, v37, v22
	v_fma_f32 v18, -v18, v29, v23
	v_div_fmas_f32 v18, v18, v22, v29
	v_div_fixup_f32 v23, v18, v28, v19
	v_fmac_f32_e32 v28, v19, v23
	v_div_scale_f32 v18, s[28:29], v28, v28, 1.0
	v_rcp_f32_e32 v19, v18
	v_fma_f32 v22, -v18, v19, 1.0
	v_fmac_f32_e32 v19, v22, v19
	v_div_scale_f32 v22, vcc, 1.0, v28, 1.0
	v_mul_f32_e32 v29, v22, v19
	v_fma_f32 v37, -v18, v29, v22
	v_fmac_f32_e32 v29, v37, v19
	v_fma_f32 v18, -v18, v29, v22
	v_div_fmas_f32 v18, v18, v19, v29
	v_mul_f32_e32 v22, 0, v23
	v_div_fixup_f32 v18, v18, v28, 1.0
	v_pk_add_f32 v[28:29], v[22:23], s[24:25]
	v_pk_add_f32 v[22:23], v[22:23], s[16:17] neg_lo:[1,0] neg_hi:[1,0]
	v_mov_b32_e32 v29, v23
	v_pk_mul_f32 v[22:23], v[28:29], v[18:19] op_sel_hi:[1,0]
                                        ; implicit-def: $vgpr29
                                        ; implicit-def: $vgpr18
.LBB297_300:                            ;   in Loop: Header=BB297_153 Depth=1
	s_andn2_saveexec_b64 s[8:9], s[8:9]
	s_cbranch_execz .LBB297_302
; %bb.301:                              ;   in Loop: Header=BB297_153 Depth=1
	v_div_scale_f32 v19, s[28:29], v29, v29, 0
	v_rcp_f32_e32 v22, v19
	v_div_scale_f32 v23, vcc, 0, v29, 0
	v_fma_f32 v28, -v19, v22, 1.0
	v_fmac_f32_e32 v22, v28, v22
	v_mul_f32_e32 v28, v23, v22
	v_fma_f32 v37, -v19, v28, v23
	v_fmac_f32_e32 v28, v37, v22
	v_div_scale_f32 v37, s[28:29], v18, v18, 1.0
	v_rcp_f32_e32 v38, v37
	v_fma_f32 v19, -v19, v28, v23
	v_div_fmas_f32 v19, v19, v22, v28
	v_div_fixup_f32 v23, v19, v29, 0
	v_fma_f32 v19, -v37, v38, 1.0
	v_fmac_f32_e32 v38, v19, v38
	v_div_scale_f32 v19, vcc, 1.0, v18, 1.0
	v_mul_f32_e32 v22, v19, v38
	v_fma_f32 v28, -v37, v22, v19
	v_fmac_f32_e32 v22, v28, v38
	v_fma_f32 v19, -v37, v22, v19
	v_div_fmas_f32 v19, v19, v38, v22
	v_div_fixup_f32 v22, v19, v18, 1.0
.LBB297_302:                            ;   in Loop: Header=BB297_153 Depth=1
	s_or_b64 exec, exec, s[8:9]
                                        ; implicit-def: $vgpr19
                                        ; implicit-def: $vgpr28
	s_andn2_saveexec_b64 s[8:9], s[10:11]
	s_cbranch_execnz .LBB297_308
.LBB297_303:                            ;   in Loop: Header=BB297_153 Depth=1
	s_or_b64 exec, exec, s[8:9]
	s_and_saveexec_b64 s[8:9], s[0:1]
	s_xor_b64 s[0:1], exec, s[8:9]
	s_cbranch_execz .LBB297_309
.LBB297_304:                            ;   in Loop: Header=BB297_153 Depth=1
	v_mov_b32_e32 v19, s13
	v_add_co_u32_e32 v18, vcc, s12, v4
	v_addc_co_u32_e32 v19, vcc, v3, v19, vcc
	global_store_dwordx2 v[18:19], v[20:21], off
	s_or_b64 exec, exec, s[0:1]
	s_and_saveexec_b64 s[0:1], s[2:3]
	s_cbranch_execnz .LBB297_310
.LBB297_305:                            ;   in Loop: Header=BB297_153 Depth=1
	s_or_b64 exec, exec, s[0:1]
	s_and_saveexec_b64 s[0:1], s[4:5]
	s_cbranch_execz .LBB297_311
.LBB297_306:                            ;   in Loop: Header=BB297_153 Depth=1
	v_mov_b32_e32 v19, s13
	v_add_co_u32_e32 v18, vcc, s12, v12
	v_addc_co_u32_e32 v19, vcc, v11, v19, vcc
	global_store_dwordx2 v[18:19], v[26:27], off
	s_or_b64 exec, exec, s[0:1]
	s_and_saveexec_b64 s[0:1], s[6:7]
	s_cbranch_execz .LBB297_152
	s_branch .LBB297_312
.LBB297_307:                            ;   in Loop: Header=BB297_153 Depth=1
	s_andn2_saveexec_b64 s[8:9], s[10:11]
	s_cbranch_execz .LBB297_303
.LBB297_308:                            ;   in Loop: Header=BB297_153 Depth=1
	v_div_scale_f32 v18, s[10:11], v19, v19, v28
	v_rcp_f32_e32 v22, v18
	v_div_scale_f32 v23, vcc, v28, v19, v28
	s_mov_b32 s26, s17
	v_fma_f32 v29, -v18, v22, 1.0
	v_fmac_f32_e32 v22, v29, v22
	v_mul_f32_e32 v29, v23, v22
	v_fma_f32 v37, -v18, v29, v23
	v_fmac_f32_e32 v29, v37, v22
	v_fma_f32 v18, -v18, v29, v23
	v_div_fmas_f32 v18, v18, v22, v29
	v_div_fixup_f32 v18, v18, v19, v28
	v_fmac_f32_e32 v19, v28, v18
	v_div_scale_f32 v22, s[10:11], v19, v19, 1.0
	v_rcp_f32_e32 v23, v22
	v_fma_f32 v28, -v22, v23, 1.0
	v_fmac_f32_e32 v23, v28, v23
	v_div_scale_f32 v28, vcc, 1.0, v19, 1.0
	v_mul_f32_e32 v29, v28, v23
	v_fma_f32 v37, -v22, v29, v28
	v_fmac_f32_e32 v29, v37, v23
	v_fma_f32 v22, -v22, v29, v28
	v_div_fmas_f32 v22, v22, v23, v29
	v_div_fixup_f32 v22, v22, v19, 1.0
	v_mul_f32_e32 v19, 0, v18
	v_pk_add_f32 v[18:19], v[18:19], s[26:27]
	v_pk_mul_f32 v[22:23], v[18:19], v[22:23] op_sel_hi:[1,0]
	s_or_b64 exec, exec, s[8:9]
	s_and_saveexec_b64 s[8:9], s[0:1]
	s_xor_b64 s[0:1], exec, s[8:9]
	s_cbranch_execnz .LBB297_304
.LBB297_309:                            ;   in Loop: Header=BB297_153 Depth=1
	s_or_b64 exec, exec, s[0:1]
	s_and_saveexec_b64 s[0:1], s[2:3]
	s_cbranch_execz .LBB297_305
.LBB297_310:                            ;   in Loop: Header=BB297_153 Depth=1
	v_mov_b32_e32 v19, s13
	v_add_co_u32_e32 v18, vcc, s12, v16
	v_addc_co_u32_e32 v19, vcc, v15, v19, vcc
	global_store_dwordx2 v[18:19], v[24:25], off
	s_or_b64 exec, exec, s[0:1]
	s_and_saveexec_b64 s[0:1], s[4:5]
	s_cbranch_execnz .LBB297_306
.LBB297_311:                            ;   in Loop: Header=BB297_153 Depth=1
	s_or_b64 exec, exec, s[0:1]
	s_and_saveexec_b64 s[0:1], s[6:7]
	s_cbranch_execz .LBB297_152
.LBB297_312:                            ;   in Loop: Header=BB297_153 Depth=1
	v_mov_b32_e32 v19, s13
	v_add_co_u32_e32 v18, vcc, s12, v8
	v_addc_co_u32_e32 v19, vcc, v7, v19, vcc
	global_store_dwordx2 v[18:19], v[22:23], off
	s_branch .LBB297_152
.LBB297_313:
	s_endpgm
	.section	.rodata,"a",@progbits
	.p2align	6, 0x0
	.amdhsa_kernel _ZN2at6native12_GLOBAL__N_125multi_tensor_apply_kernelINS1_18TensorListMetadataILi2EEENS1_14UnaryOpFunctorIN3c107complexIfEELi2ELi1ELi1EEEJNS0_5RsqrtIS8_EEEEEvT_T0_DpT1_
		.amdhsa_group_segment_fixed_size 0
		.amdhsa_private_segment_fixed_size 0
		.amdhsa_kernarg_size 3408
		.amdhsa_user_sgpr_count 6
		.amdhsa_user_sgpr_private_segment_buffer 1
		.amdhsa_user_sgpr_dispatch_ptr 0
		.amdhsa_user_sgpr_queue_ptr 0
		.amdhsa_user_sgpr_kernarg_segment_ptr 1
		.amdhsa_user_sgpr_dispatch_id 0
		.amdhsa_user_sgpr_flat_scratch_init 0
		.amdhsa_user_sgpr_kernarg_preload_length 0
		.amdhsa_user_sgpr_kernarg_preload_offset 0
		.amdhsa_user_sgpr_private_segment_size 0
		.amdhsa_uses_dynamic_stack 0
		.amdhsa_system_sgpr_private_segment_wavefront_offset 0
		.amdhsa_system_sgpr_workgroup_id_x 1
		.amdhsa_system_sgpr_workgroup_id_y 0
		.amdhsa_system_sgpr_workgroup_id_z 0
		.amdhsa_system_sgpr_workgroup_info 0
		.amdhsa_system_vgpr_workitem_id 0
		.amdhsa_next_free_vgpr 39
		.amdhsa_next_free_sgpr 49
		.amdhsa_accum_offset 40
		.amdhsa_reserve_vcc 1
		.amdhsa_reserve_flat_scratch 0
		.amdhsa_float_round_mode_32 0
		.amdhsa_float_round_mode_16_64 0
		.amdhsa_float_denorm_mode_32 3
		.amdhsa_float_denorm_mode_16_64 3
		.amdhsa_dx10_clamp 1
		.amdhsa_ieee_mode 1
		.amdhsa_fp16_overflow 0
		.amdhsa_tg_split 0
		.amdhsa_exception_fp_ieee_invalid_op 0
		.amdhsa_exception_fp_denorm_src 0
		.amdhsa_exception_fp_ieee_div_zero 0
		.amdhsa_exception_fp_ieee_overflow 0
		.amdhsa_exception_fp_ieee_underflow 0
		.amdhsa_exception_fp_ieee_inexact 0
		.amdhsa_exception_int_div_zero 0
	.end_amdhsa_kernel
	.section	.text._ZN2at6native12_GLOBAL__N_125multi_tensor_apply_kernelINS1_18TensorListMetadataILi2EEENS1_14UnaryOpFunctorIN3c107complexIfEELi2ELi1ELi1EEEJNS0_5RsqrtIS8_EEEEEvT_T0_DpT1_,"axG",@progbits,_ZN2at6native12_GLOBAL__N_125multi_tensor_apply_kernelINS1_18TensorListMetadataILi2EEENS1_14UnaryOpFunctorIN3c107complexIfEELi2ELi1ELi1EEEJNS0_5RsqrtIS8_EEEEEvT_T0_DpT1_,comdat
.Lfunc_end297:
	.size	_ZN2at6native12_GLOBAL__N_125multi_tensor_apply_kernelINS1_18TensorListMetadataILi2EEENS1_14UnaryOpFunctorIN3c107complexIfEELi2ELi1ELi1EEEJNS0_5RsqrtIS8_EEEEEvT_T0_DpT1_, .Lfunc_end297-_ZN2at6native12_GLOBAL__N_125multi_tensor_apply_kernelINS1_18TensorListMetadataILi2EEENS1_14UnaryOpFunctorIN3c107complexIfEELi2ELi1ELi1EEEJNS0_5RsqrtIS8_EEEEEvT_T0_DpT1_
                                        ; -- End function
	.section	.AMDGPU.csdata,"",@progbits
; Kernel info:
; codeLenInByte = 13332
; NumSgprs: 53
; NumVgprs: 39
; NumAgprs: 0
; TotalNumVgprs: 39
; ScratchSize: 0
; MemoryBound: 0
; FloatMode: 240
; IeeeMode: 1
; LDSByteSize: 0 bytes/workgroup (compile time only)
; SGPRBlocks: 6
; VGPRBlocks: 4
; NumSGPRsForWavesPerEU: 53
; NumVGPRsForWavesPerEU: 39
; AccumOffset: 40
; Occupancy: 8
; WaveLimiterHint : 0
; COMPUTE_PGM_RSRC2:SCRATCH_EN: 0
; COMPUTE_PGM_RSRC2:USER_SGPR: 6
; COMPUTE_PGM_RSRC2:TRAP_HANDLER: 0
; COMPUTE_PGM_RSRC2:TGID_X_EN: 1
; COMPUTE_PGM_RSRC2:TGID_Y_EN: 0
; COMPUTE_PGM_RSRC2:TGID_Z_EN: 0
; COMPUTE_PGM_RSRC2:TIDIG_COMP_CNT: 0
; COMPUTE_PGM_RSRC3_GFX90A:ACCUM_OFFSET: 9
; COMPUTE_PGM_RSRC3_GFX90A:TG_SPLIT: 0
	.section	.text._ZN2at6native12_GLOBAL__N_125multi_tensor_apply_kernelINS1_18TensorListMetadataILi2EEENS1_14UnaryOpFunctorIN3c104HalfELi2ELi1ELi1EEEJNS0_5RsqrtIfEEEEEvT_T0_DpT1_,"axG",@progbits,_ZN2at6native12_GLOBAL__N_125multi_tensor_apply_kernelINS1_18TensorListMetadataILi2EEENS1_14UnaryOpFunctorIN3c104HalfELi2ELi1ELi1EEEJNS0_5RsqrtIfEEEEEvT_T0_DpT1_,comdat
	.globl	_ZN2at6native12_GLOBAL__N_125multi_tensor_apply_kernelINS1_18TensorListMetadataILi2EEENS1_14UnaryOpFunctorIN3c104HalfELi2ELi1ELi1EEEJNS0_5RsqrtIfEEEEEvT_T0_DpT1_ ; -- Begin function _ZN2at6native12_GLOBAL__N_125multi_tensor_apply_kernelINS1_18TensorListMetadataILi2EEENS1_14UnaryOpFunctorIN3c104HalfELi2ELi1ELi1EEEJNS0_5RsqrtIfEEEEEvT_T0_DpT1_
	.p2align	8
	.type	_ZN2at6native12_GLOBAL__N_125multi_tensor_apply_kernelINS1_18TensorListMetadataILi2EEENS1_14UnaryOpFunctorIN3c104HalfELi2ELi1ELi1EEEJNS0_5RsqrtIfEEEEEvT_T0_DpT1_,@function
_ZN2at6native12_GLOBAL__N_125multi_tensor_apply_kernelINS1_18TensorListMetadataILi2EEENS1_14UnaryOpFunctorIN3c104HalfELi2ELi1ELi1EEEJNS0_5RsqrtIfEEEEEvT_T0_DpT1_: ; @_ZN2at6native12_GLOBAL__N_125multi_tensor_apply_kernelINS1_18TensorListMetadataILi2EEENS1_14UnaryOpFunctorIN3c104HalfELi2ELi1ELi1EEEJNS0_5RsqrtIfEEEEEvT_T0_DpT1_
; %bb.0:
	v_mov_b32_e32 v1, s6
	global_load_ubyte v1, v1, s[4:5] offset:1536
	s_add_u32 s0, s4, s6
	s_mul_hi_u32 s2, s6, 3
	s_mul_i32 s6, s6, 3
	s_addc_u32 s9, s5, 0
	s_add_u32 s8, s0, s6
	s_addc_u32 s9, s9, s2
	s_load_dword s10, s[8:9], 0x740
	s_mov_b32 s1, 0
	s_mov_b32 s7, s1
	;; [unrolled: 1-line block ×3, first 2 shown]
	s_waitcnt lgkmcnt(0)
	s_ashr_i32 s11, s10, 31
	s_lshl_b64 s[8:9], s[10:11], 17
	s_waitcnt vmcnt(0)
	v_readfirstlane_b32 s0, v1
	s_lshl_b32 s0, s0, 3
	s_load_dwordx2 s[16:17], s[4:5], s0 offset:0x0
	s_load_dwordx2 s[12:13], s[4:5], s0 offset:0x400
	;; [unrolled: 1-line block ×3, first 2 shown]
	s_waitcnt lgkmcnt(0)
	s_add_u32 s22, s16, s8
	s_addc_u32 s23, s17, s9
	s_and_b32 s0, s22, 7
	s_add_u32 s24, s14, s8
	s_addc_u32 s25, s15, s9
	s_and_b32 s6, s12, 3
	s_and_b32 s2, s24, 7
	s_or_b64 s[6:7], s[0:1], s[6:7]
	s_or_b64 s[2:3], s[2:3], s[6:7]
	s_lshl_b64 s[6:7], s[10:11], 16
	s_sub_u32 s10, s12, s6
	s_subb_u32 s11, s13, s7
	s_cmp_eq_u64 s[2:3], 0
	s_mov_b64 s[2:3], -1
	s_cbranch_scc0 .LBB298_5
; %bb.1:
	v_mov_b32_e32 v3, 0
	v_lshlrev_b32_e32 v2, 2, v0
	v_cmp_gt_i64_e32 vcc, s[10:11], v[2:3]
	s_and_saveexec_b64 s[12:13], vcc
	s_cbranch_execz .LBB298_4
; %bb.2:
	s_load_dword s0, s[4:5], 0xc5c
	v_lshlrev_b32_e32 v4, 3, v0
	s_mov_b64 s[18:19], 0
	s_mov_b32 s28, 0x800000
	s_mov_b64 s[20:21], 0xffff
	s_waitcnt lgkmcnt(0)
	s_and_b32 s0, s0, 0xffff
	v_add_lshl_u32 v2, v0, s0, 2
	s_lshl_b32 s26, s0, 2
	s_lshl_b32 s27, s0, 3
	v_mov_b32_e32 v1, s1
.LBB298_3:                              ; =>This Inner Loop Header: Depth=1
	v_mov_b32_e32 v5, s23
	v_add_co_u32_e32 v6, vcc, s22, v4
	v_addc_co_u32_e32 v7, vcc, 0, v5, vcc
	global_load_dwordx2 v[6:7], v[6:7], off
	v_cmp_le_i64_e32 vcc, s[10:11], v[2:3]
	v_cmp_lt_u64_e64 s[0:1], s[20:21], v[2:3]
	v_add_co_u32_e64 v2, s[2:3], s26, v2
	v_addc_co_u32_e64 v3, s[2:3], v3, v1, s[2:3]
	v_mov_b32_e32 v5, s25
	v_add_co_u32_e64 v8, s[2:3], s24, v4
	v_addc_co_u32_e64 v9, s[2:3], 0, v5, s[2:3]
	s_or_b64 s[30:31], vcc, s[0:1]
	s_add_u32 s22, s22, s27
	s_addc_u32 s23, s23, 0
	s_add_u32 s24, s24, s27
	s_addc_u32 s25, s25, 0
	s_waitcnt vmcnt(0)
	v_cvt_f32_f16_e32 v5, v6
	v_cvt_f32_f16_sdwa v6, v6 dst_sel:DWORD dst_unused:UNUSED_PAD src0_sel:WORD_1
	v_cvt_f32_f16_e32 v10, v7
	v_cvt_f32_f16_sdwa v7, v7 dst_sel:DWORD dst_unused:UNUSED_PAD src0_sel:WORD_1
	v_mul_f32_e32 v11, 0x4b800000, v5
	v_mul_f32_e32 v12, 0x4b800000, v6
	v_cmp_gt_f32_e32 vcc, s28, v6
	v_mul_f32_e32 v13, 0x4b800000, v10
	v_cmp_gt_f32_e64 s[0:1], s28, v10
	v_mul_f32_e32 v14, 0x4b800000, v7
	v_cmp_gt_f32_e64 s[2:3], s28, v7
	v_cmp_gt_f32_e64 s[6:7], s28, v5
	v_cndmask_b32_e64 v5, v5, v11, s[6:7]
	v_cndmask_b32_e32 v6, v6, v12, vcc
	v_cndmask_b32_e64 v10, v10, v13, s[0:1]
	v_cndmask_b32_e64 v7, v7, v14, s[2:3]
	v_rsq_f32_e32 v5, v5
	v_rsq_f32_e32 v6, v6
	;; [unrolled: 1-line block ×4, first 2 shown]
	v_mul_f32_e32 v11, 0x45800000, v5
	v_mul_f32_e32 v12, 0x45800000, v6
	;; [unrolled: 1-line block ×4, first 2 shown]
	v_cndmask_b32_e64 v5, v5, v11, s[6:7]
	v_cndmask_b32_e32 v6, v6, v12, vcc
	v_cndmask_b32_e64 v10, v10, v13, s[0:1]
	v_cndmask_b32_e64 v7, v7, v14, s[2:3]
	v_cvt_f16_f32_e32 v5, v5
	v_cvt_f16_f32_e32 v10, v10
	;; [unrolled: 1-line block ×4, first 2 shown]
	s_and_b64 s[0:1], exec, s[30:31]
	s_or_b64 s[18:19], s[0:1], s[18:19]
	v_pack_b32_f16 v7, v10, v7
	v_pack_b32_f16 v6, v5, v6
	global_store_dwordx2 v[8:9], v[6:7], off
	s_andn2_b64 exec, exec, s[18:19]
	s_cbranch_execnz .LBB298_3
.LBB298_4:
	s_or_b64 exec, exec, s[12:13]
	s_mov_b64 s[2:3], 0
.LBB298_5:
	s_andn2_b64 vcc, exec, s[2:3]
	s_cbranch_vccnz .LBB298_25
; %bb.6:
	v_cmp_lt_i64_e64 s[0:1], s[10:11], 1
	s_and_b64 vcc, exec, s[0:1]
	s_cbranch_vccnz .LBB298_25
; %bb.7:
	s_load_dword s0, s[4:5], 0xc5c
	v_mov_b32_e32 v2, 0x10000
	v_mov_b32_e32 v3, 0
	v_cmp_lt_u64_e32 vcc, s[10:11], v[2:3]
	v_lshlrev_b32_e32 v10, 1, v0
	s_waitcnt lgkmcnt(0)
	s_and_b32 s2, s0, 0xffff
	s_and_b64 s[0:1], vcc, exec
	v_mov_b32_e32 v13, s17
	v_add_co_u32_e32 v2, vcc, s16, v10
	v_addc_co_u32_e32 v1, vcc, 0, v13, vcc
	v_mov_b32_e32 v11, 0
	v_mov_b32_e32 v15, s15
	v_add_co_u32_e32 v4, vcc, s14, v10
	v_addc_co_u32_e32 v3, vcc, 0, v15, vcc
	v_mad_u64_u32 v[8:9], s[0:1], s2, 6, v[10:11]
	v_add_co_u32_e32 v6, vcc, s16, v8
	v_addc_co_u32_e32 v5, vcc, v13, v9, vcc
	v_add_co_u32_e32 v8, vcc, s14, v8
	s_mul_i32 s4, s2, 3
	v_addc_co_u32_e32 v7, vcc, v15, v9, vcc
	s_cselect_b32 s13, s11, 0
	s_cselect_b32 s12, s10, 0x10000
	s_lshl_b32 s19, s2, 2
	v_add_co_u32_e32 v17, vcc, s4, v0
	v_addc_co_u32_e64 v18, s[0:1], 0, 0, vcc
	v_add_co_u32_e32 v11, vcc, s19, v10
	v_addc_co_u32_e64 v14, s[0:1], 0, 0, vcc
	v_add_co_u32_e32 v10, vcc, s16, v11
	v_addc_co_u32_e32 v9, vcc, v13, v14, vcc
	v_add_co_u32_e32 v12, vcc, s14, v11
	s_lshl_b32 s3, s2, 1
	v_addc_co_u32_e32 v11, vcc, v15, v14, vcc
	v_add_co_u32_e32 v19, vcc, s3, v0
	v_addc_co_u32_e64 v20, s[0:1], 0, 0, vcc
	v_add_co_u32_e32 v21, vcc, s2, v0
	v_lshlrev_b32_e32 v16, 1, v21
	v_addc_co_u32_e64 v22, s[0:1], 0, 0, vcc
	v_add_co_u32_e32 v14, vcc, s16, v16
	v_addc_co_u32_e32 v13, vcc, 0, v13, vcc
	v_add_co_u32_e32 v16, vcc, s14, v16
	s_mov_b32 s18, 0
	s_lshl_b32 s20, s2, 3
	v_addc_co_u32_e32 v15, vcc, 0, v15, vcc
	s_mov_b64 s[14:15], 0
	s_mov_b32 s21, 0x800000
	s_branch .LBB298_9
.LBB298_8:                              ;   in Loop: Header=BB298_9 Depth=1
	s_or_b64 exec, exec, s[0:1]
	s_add_u32 s14, s14, s19
	s_addc_u32 s15, s15, 0
	s_waitcnt vmcnt(0)
	v_pk_mov_b32 v[24:25], s[10:11], s[10:11] op_sel:[0,1]
	v_cmp_ge_i64_e32 vcc, s[14:15], v[24:25]
	v_mov_b32_e32 v24, 0xffff
	v_mov_b32_e32 v25, 0
	v_cmp_gt_u64_e64 s[0:1], s[14:15], v[24:25]
	s_or_b64 s[0:1], vcc, s[0:1]
	v_mov_b32_e32 v23, s18
	v_add_co_u32_e32 v2, vcc, s20, v2
	v_addc_co_u32_e32 v1, vcc, v1, v23, vcc
	v_add_co_u32_e32 v4, vcc, s20, v4
	v_addc_co_u32_e32 v3, vcc, v3, v23, vcc
	v_add_co_u32_e32 v6, vcc, s20, v6
	v_addc_co_u32_e32 v5, vcc, v5, v23, vcc
	v_add_co_u32_e32 v8, vcc, s20, v8
	v_addc_co_u32_e32 v7, vcc, v7, v23, vcc
	v_add_co_u32_e32 v10, vcc, s20, v10
	v_addc_co_u32_e32 v9, vcc, v9, v23, vcc
	v_add_co_u32_e32 v12, vcc, s20, v12
	v_addc_co_u32_e32 v11, vcc, v11, v23, vcc
	v_add_co_u32_e32 v14, vcc, s20, v14
	v_addc_co_u32_e32 v13, vcc, v13, v23, vcc
	v_add_co_u32_e32 v16, vcc, s20, v16
	v_addc_co_u32_e32 v15, vcc, v15, v23, vcc
	s_and_b64 vcc, exec, s[0:1]
	s_cbranch_vccnz .LBB298_25
.LBB298_9:                              ; =>This Inner Loop Header: Depth=1
	v_mov_b32_e32 v23, s15
	v_add_co_u32_e32 v24, vcc, s14, v0
	v_addc_co_u32_e32 v25, vcc, 0, v23, vcc
	v_cmp_gt_u64_e64 s[4:5], s[12:13], v[24:25]
	v_mov_b32_e32 v26, 0
	s_and_saveexec_b64 s[0:1], s[4:5]
	s_cbranch_execz .LBB298_11
; %bb.10:                               ;   in Loop: Header=BB298_9 Depth=1
	v_mov_b32_e32 v23, s9
	v_add_co_u32_e32 v24, vcc, s8, v2
	v_addc_co_u32_e32 v25, vcc, v1, v23, vcc
	global_load_ushort v26, v[24:25], off
.LBB298_11:                             ;   in Loop: Header=BB298_9 Depth=1
	s_or_b64 exec, exec, s[0:1]
	v_mov_b32_e32 v23, s15
	v_add_co_u32_e32 v24, vcc, s14, v21
	v_addc_co_u32_e32 v25, vcc, v22, v23, vcc
	v_cmp_gt_u64_e64 s[2:3], s[12:13], v[24:25]
	v_mov_b32_e32 v25, 0
	s_and_saveexec_b64 s[0:1], s[2:3]
	s_cbranch_execz .LBB298_13
; %bb.12:                               ;   in Loop: Header=BB298_9 Depth=1
	v_mov_b32_e32 v23, s9
	v_add_co_u32_e32 v24, vcc, s8, v14
	v_addc_co_u32_e32 v25, vcc, v13, v23, vcc
	global_load_ushort v25, v[24:25], off
.LBB298_13:                             ;   in Loop: Header=BB298_9 Depth=1
	s_or_b64 exec, exec, s[0:1]
	v_mov_b32_e32 v23, s15
	v_add_co_u32_e32 v28, vcc, s14, v19
	v_addc_co_u32_e32 v29, vcc, v20, v23, vcc
	v_cmp_gt_u64_e64 s[0:1], s[12:13], v[28:29]
	v_mov_b32_e32 v23, 0
	v_mov_b32_e32 v24, 0
	s_and_saveexec_b64 s[6:7], s[0:1]
	s_cbranch_execz .LBB298_15
; %bb.14:                               ;   in Loop: Header=BB298_9 Depth=1
	v_mov_b32_e32 v24, s9
	v_add_co_u32_e32 v28, vcc, s8, v10
	v_addc_co_u32_e32 v29, vcc, v9, v24, vcc
	global_load_ushort v24, v[28:29], off
.LBB298_15:                             ;   in Loop: Header=BB298_9 Depth=1
	s_or_b64 exec, exec, s[6:7]
	v_mov_b32_e32 v27, s15
	v_add_co_u32_e32 v28, vcc, s14, v17
	v_addc_co_u32_e32 v29, vcc, v18, v27, vcc
	v_cmp_gt_u64_e32 vcc, s[12:13], v[28:29]
	s_and_saveexec_b64 s[16:17], vcc
	s_cbranch_execnz .LBB298_20
; %bb.16:                               ;   in Loop: Header=BB298_9 Depth=1
	s_or_b64 exec, exec, s[16:17]
	s_and_saveexec_b64 s[6:7], s[4:5]
	s_cbranch_execnz .LBB298_21
.LBB298_17:                             ;   in Loop: Header=BB298_9 Depth=1
	s_or_b64 exec, exec, s[6:7]
	s_and_saveexec_b64 s[4:5], s[2:3]
	s_cbranch_execnz .LBB298_22
.LBB298_18:                             ;   in Loop: Header=BB298_9 Depth=1
	s_or_b64 exec, exec, s[4:5]
	s_and_saveexec_b64 s[2:3], s[0:1]
	s_cbranch_execnz .LBB298_23
.LBB298_19:                             ;   in Loop: Header=BB298_9 Depth=1
	s_or_b64 exec, exec, s[2:3]
	s_and_saveexec_b64 s[0:1], vcc
	s_cbranch_execz .LBB298_8
	s_branch .LBB298_24
.LBB298_20:                             ;   in Loop: Header=BB298_9 Depth=1
	v_mov_b32_e32 v23, s9
	v_add_co_u32_e64 v28, s[6:7], s8, v6
	v_addc_co_u32_e64 v29, s[6:7], v5, v23, s[6:7]
	global_load_ushort v23, v[28:29], off
	s_or_b64 exec, exec, s[16:17]
	s_and_saveexec_b64 s[6:7], s[4:5]
	s_cbranch_execz .LBB298_17
.LBB298_21:                             ;   in Loop: Header=BB298_9 Depth=1
	s_waitcnt vmcnt(0)
	v_cvt_f32_f16_e32 v26, v26
	v_mul_f32_e32 v27, 0x4b800000, v26
	v_cmp_gt_f32_e64 s[4:5], s21, v26
	v_cndmask_b32_e64 v26, v26, v27, s[4:5]
	v_rsq_f32_e32 v26, v26
	v_mov_b32_e32 v27, s9
	v_mul_f32_e32 v28, 0x45800000, v26
	v_cndmask_b32_e64 v26, v26, v28, s[4:5]
	v_cvt_f16_f32_e32 v28, v26
	v_add_co_u32_e64 v26, s[4:5], s8, v4
	v_addc_co_u32_e64 v27, s[4:5], v3, v27, s[4:5]
	global_store_short v[26:27], v28, off
	s_or_b64 exec, exec, s[6:7]
	s_and_saveexec_b64 s[4:5], s[2:3]
	s_cbranch_execz .LBB298_18
.LBB298_22:                             ;   in Loop: Header=BB298_9 Depth=1
	s_waitcnt vmcnt(0)
	v_cvt_f32_f16_e32 v25, v25
	v_mov_b32_e32 v27, s9
	v_mul_f32_e32 v26, 0x4b800000, v25
	v_cmp_gt_f32_e64 s[2:3], s21, v25
	v_cndmask_b32_e64 v25, v25, v26, s[2:3]
	v_rsq_f32_e32 v25, v25
	v_mul_f32_e32 v26, 0x45800000, v25
	v_cndmask_b32_e64 v25, v25, v26, s[2:3]
	v_cvt_f16_f32_e32 v25, v25
	v_add_co_u32_e64 v26, s[2:3], s8, v16
	v_addc_co_u32_e64 v27, s[2:3], v15, v27, s[2:3]
	global_store_short v[26:27], v25, off
	s_or_b64 exec, exec, s[4:5]
	s_and_saveexec_b64 s[2:3], s[0:1]
	s_cbranch_execz .LBB298_19
.LBB298_23:                             ;   in Loop: Header=BB298_9 Depth=1
	s_waitcnt vmcnt(0)
	v_cvt_f32_f16_e32 v24, v24
	v_mul_f32_e32 v25, 0x4b800000, v24
	v_cmp_gt_f32_e64 s[0:1], s21, v24
	v_cndmask_b32_e64 v24, v24, v25, s[0:1]
	v_rsq_f32_e32 v24, v24
	v_mov_b32_e32 v25, s9
	v_mul_f32_e32 v26, 0x45800000, v24
	v_cndmask_b32_e64 v24, v24, v26, s[0:1]
	v_cvt_f16_f32_e32 v26, v24
	v_add_co_u32_e64 v24, s[0:1], s8, v12
	v_addc_co_u32_e64 v25, s[0:1], v11, v25, s[0:1]
	global_store_short v[24:25], v26, off
	s_or_b64 exec, exec, s[2:3]
	s_and_saveexec_b64 s[0:1], vcc
	s_cbranch_execz .LBB298_8
.LBB298_24:                             ;   in Loop: Header=BB298_9 Depth=1
	s_waitcnt vmcnt(0)
	v_cvt_f32_f16_e32 v23, v23
	v_mov_b32_e32 v25, s9
	v_mul_f32_e32 v24, 0x4b800000, v23
	v_cmp_gt_f32_e32 vcc, s21, v23
	v_cndmask_b32_e32 v23, v23, v24, vcc
	v_rsq_f32_e32 v23, v23
	v_mul_f32_e32 v24, 0x45800000, v23
	v_cndmask_b32_e32 v23, v23, v24, vcc
	v_cvt_f16_f32_e32 v23, v23
	v_add_co_u32_e32 v24, vcc, s8, v8
	v_addc_co_u32_e32 v25, vcc, v7, v25, vcc
	global_store_short v[24:25], v23, off
	s_branch .LBB298_8
.LBB298_25:
	s_endpgm
	.section	.rodata,"a",@progbits
	.p2align	6, 0x0
	.amdhsa_kernel _ZN2at6native12_GLOBAL__N_125multi_tensor_apply_kernelINS1_18TensorListMetadataILi2EEENS1_14UnaryOpFunctorIN3c104HalfELi2ELi1ELi1EEEJNS0_5RsqrtIfEEEEEvT_T0_DpT1_
		.amdhsa_group_segment_fixed_size 0
		.amdhsa_private_segment_fixed_size 0
		.amdhsa_kernarg_size 3408
		.amdhsa_user_sgpr_count 6
		.amdhsa_user_sgpr_private_segment_buffer 1
		.amdhsa_user_sgpr_dispatch_ptr 0
		.amdhsa_user_sgpr_queue_ptr 0
		.amdhsa_user_sgpr_kernarg_segment_ptr 1
		.amdhsa_user_sgpr_dispatch_id 0
		.amdhsa_user_sgpr_flat_scratch_init 0
		.amdhsa_user_sgpr_kernarg_preload_length 0
		.amdhsa_user_sgpr_kernarg_preload_offset 0
		.amdhsa_user_sgpr_private_segment_size 0
		.amdhsa_uses_dynamic_stack 0
		.amdhsa_system_sgpr_private_segment_wavefront_offset 0
		.amdhsa_system_sgpr_workgroup_id_x 1
		.amdhsa_system_sgpr_workgroup_id_y 0
		.amdhsa_system_sgpr_workgroup_id_z 0
		.amdhsa_system_sgpr_workgroup_info 0
		.amdhsa_system_vgpr_workitem_id 0
		.amdhsa_next_free_vgpr 30
		.amdhsa_next_free_sgpr 32
		.amdhsa_accum_offset 32
		.amdhsa_reserve_vcc 1
		.amdhsa_reserve_flat_scratch 0
		.amdhsa_float_round_mode_32 0
		.amdhsa_float_round_mode_16_64 0
		.amdhsa_float_denorm_mode_32 3
		.amdhsa_float_denorm_mode_16_64 3
		.amdhsa_dx10_clamp 1
		.amdhsa_ieee_mode 1
		.amdhsa_fp16_overflow 0
		.amdhsa_tg_split 0
		.amdhsa_exception_fp_ieee_invalid_op 0
		.amdhsa_exception_fp_denorm_src 0
		.amdhsa_exception_fp_ieee_div_zero 0
		.amdhsa_exception_fp_ieee_overflow 0
		.amdhsa_exception_fp_ieee_underflow 0
		.amdhsa_exception_fp_ieee_inexact 0
		.amdhsa_exception_int_div_zero 0
	.end_amdhsa_kernel
	.section	.text._ZN2at6native12_GLOBAL__N_125multi_tensor_apply_kernelINS1_18TensorListMetadataILi2EEENS1_14UnaryOpFunctorIN3c104HalfELi2ELi1ELi1EEEJNS0_5RsqrtIfEEEEEvT_T0_DpT1_,"axG",@progbits,_ZN2at6native12_GLOBAL__N_125multi_tensor_apply_kernelINS1_18TensorListMetadataILi2EEENS1_14UnaryOpFunctorIN3c104HalfELi2ELi1ELi1EEEJNS0_5RsqrtIfEEEEEvT_T0_DpT1_,comdat
.Lfunc_end298:
	.size	_ZN2at6native12_GLOBAL__N_125multi_tensor_apply_kernelINS1_18TensorListMetadataILi2EEENS1_14UnaryOpFunctorIN3c104HalfELi2ELi1ELi1EEEJNS0_5RsqrtIfEEEEEvT_T0_DpT1_, .Lfunc_end298-_ZN2at6native12_GLOBAL__N_125multi_tensor_apply_kernelINS1_18TensorListMetadataILi2EEENS1_14UnaryOpFunctorIN3c104HalfELi2ELi1ELi1EEEJNS0_5RsqrtIfEEEEEvT_T0_DpT1_
                                        ; -- End function
	.section	.AMDGPU.csdata,"",@progbits
; Kernel info:
; codeLenInByte = 1624
; NumSgprs: 36
; NumVgprs: 30
; NumAgprs: 0
; TotalNumVgprs: 30
; ScratchSize: 0
; MemoryBound: 0
; FloatMode: 240
; IeeeMode: 1
; LDSByteSize: 0 bytes/workgroup (compile time only)
; SGPRBlocks: 4
; VGPRBlocks: 3
; NumSGPRsForWavesPerEU: 36
; NumVGPRsForWavesPerEU: 30
; AccumOffset: 32
; Occupancy: 8
; WaveLimiterHint : 0
; COMPUTE_PGM_RSRC2:SCRATCH_EN: 0
; COMPUTE_PGM_RSRC2:USER_SGPR: 6
; COMPUTE_PGM_RSRC2:TRAP_HANDLER: 0
; COMPUTE_PGM_RSRC2:TGID_X_EN: 1
; COMPUTE_PGM_RSRC2:TGID_Y_EN: 0
; COMPUTE_PGM_RSRC2:TGID_Z_EN: 0
; COMPUTE_PGM_RSRC2:TIDIG_COMP_CNT: 0
; COMPUTE_PGM_RSRC3_GFX90A:ACCUM_OFFSET: 7
; COMPUTE_PGM_RSRC3_GFX90A:TG_SPLIT: 0
	.section	.text._ZN2at6native12_GLOBAL__N_125multi_tensor_apply_kernelINS1_18TensorListMetadataILi2EEENS1_14UnaryOpFunctorIN3c108BFloat16ELi2ELi1ELi1EEEJNS0_5RsqrtIfEEEEEvT_T0_DpT1_,"axG",@progbits,_ZN2at6native12_GLOBAL__N_125multi_tensor_apply_kernelINS1_18TensorListMetadataILi2EEENS1_14UnaryOpFunctorIN3c108BFloat16ELi2ELi1ELi1EEEJNS0_5RsqrtIfEEEEEvT_T0_DpT1_,comdat
	.globl	_ZN2at6native12_GLOBAL__N_125multi_tensor_apply_kernelINS1_18TensorListMetadataILi2EEENS1_14UnaryOpFunctorIN3c108BFloat16ELi2ELi1ELi1EEEJNS0_5RsqrtIfEEEEEvT_T0_DpT1_ ; -- Begin function _ZN2at6native12_GLOBAL__N_125multi_tensor_apply_kernelINS1_18TensorListMetadataILi2EEENS1_14UnaryOpFunctorIN3c108BFloat16ELi2ELi1ELi1EEEJNS0_5RsqrtIfEEEEEvT_T0_DpT1_
	.p2align	8
	.type	_ZN2at6native12_GLOBAL__N_125multi_tensor_apply_kernelINS1_18TensorListMetadataILi2EEENS1_14UnaryOpFunctorIN3c108BFloat16ELi2ELi1ELi1EEEJNS0_5RsqrtIfEEEEEvT_T0_DpT1_,@function
_ZN2at6native12_GLOBAL__N_125multi_tensor_apply_kernelINS1_18TensorListMetadataILi2EEENS1_14UnaryOpFunctorIN3c108BFloat16ELi2ELi1ELi1EEEJNS0_5RsqrtIfEEEEEvT_T0_DpT1_: ; @_ZN2at6native12_GLOBAL__N_125multi_tensor_apply_kernelINS1_18TensorListMetadataILi2EEENS1_14UnaryOpFunctorIN3c108BFloat16ELi2ELi1ELi1EEEJNS0_5RsqrtIfEEEEEvT_T0_DpT1_
; %bb.0:
	v_mov_b32_e32 v1, s6
	global_load_ubyte v1, v1, s[4:5] offset:1536
	s_add_u32 s0, s4, s6
	s_mul_hi_u32 s2, s6, 3
	s_mul_i32 s6, s6, 3
	s_addc_u32 s7, s5, 0
	s_add_u32 s6, s0, s6
	s_addc_u32 s7, s7, s2
	s_mov_b32 s1, 0
	s_mov_b32 s3, s1
	s_waitcnt vmcnt(0)
	v_readfirstlane_b32 s0, v1
	s_lshl_b32 s0, s0, 3
	s_load_dword s10, s[6:7], 0x740
	s_load_dwordx2 s[16:17], s[4:5], s0 offset:0x0
	s_load_dwordx2 s[12:13], s[4:5], s0 offset:0x400
	;; [unrolled: 1-line block ×3, first 2 shown]
	s_mov_b32 s7, s1
	s_waitcnt lgkmcnt(0)
	s_ashr_i32 s11, s10, 31
	s_and_b32 s0, s16, 7
	s_and_b32 s6, s12, 3
	;; [unrolled: 1-line block ×3, first 2 shown]
	s_or_b64 s[6:7], s[0:1], s[6:7]
	s_lshl_b64 s[8:9], s[10:11], 17
	s_or_b64 s[2:3], s[2:3], s[6:7]
	s_lshl_b64 s[6:7], s[10:11], 16
	s_sub_u32 s10, s12, s6
	s_subb_u32 s11, s13, s7
	s_cmp_eq_u64 s[2:3], 0
	s_mov_b64 s[2:3], -1
	s_cbranch_scc0 .LBB299_5
; %bb.1:
	v_mov_b32_e32 v3, 0
	v_lshlrev_b32_e32 v2, 2, v0
	v_cmp_gt_i64_e32 vcc, s[10:11], v[2:3]
	s_and_saveexec_b64 s[12:13], vcc
	s_cbranch_execz .LBB299_4
; %bb.2:
	s_load_dword s0, s[4:5], 0xc5c
	v_lshlrev_b32_e32 v1, 3, v0
	v_mov_b32_e32 v2, s9
	v_add_co_u32_e32 v4, vcc, s8, v1
	s_waitcnt lgkmcnt(0)
	s_and_b32 s0, s0, 0xffff
	v_addc_co_u32_e32 v1, vcc, 0, v2, vcc
	s_lshl_b32 s22, s0, 3
	v_add_lshl_u32 v2, v0, s0, 2
	s_lshl_b32 s23, s0, 2
	s_mov_b64 s[18:19], 0
	v_mov_b32_e32 v5, s17
	s_mov_b32 s24, 0x800000
	s_movk_i32 s25, 0x7fff
	v_mov_b32_e32 v6, s15
	v_mov_b32_e32 v7, 0x7fc00000
	;; [unrolled: 1-line block ×3, first 2 shown]
	s_mov_b64 s[20:21], 0xffff
	v_mov_b32_e32 v9, s1
	v_mov_b32_e32 v10, s1
.LBB299_3:                              ; =>This Inner Loop Header: Depth=1
	v_add_co_u32_e32 v12, vcc, s16, v4
	v_addc_co_u32_e32 v13, vcc, v5, v1, vcc
	global_load_dwordx2 v[12:13], v[12:13], off
	v_add_co_u32_e32 v14, vcc, s14, v4
	v_addc_co_u32_e32 v15, vcc, v6, v1, vcc
	v_add_co_u32_e64 v4, s[2:3], s22, v4
	v_cmp_le_i64_e32 vcc, s[10:11], v[2:3]
	v_cmp_lt_u64_e64 s[0:1], s[20:21], v[2:3]
	v_addc_co_u32_e64 v1, s[2:3], v1, v9, s[2:3]
	v_add_co_u32_e64 v2, s[2:3], s23, v2
	s_or_b64 s[0:1], vcc, s[0:1]
	v_addc_co_u32_e64 v3, s[2:3], v3, v10, s[2:3]
	s_and_b64 s[0:1], exec, s[0:1]
	s_or_b64 s[18:19], s[0:1], s[18:19]
	s_waitcnt vmcnt(0)
	v_and_b32_e32 v11, 0xffff0000, v12
	v_lshlrev_b32_e32 v16, 16, v12
	v_alignbit_b32 v12, v13, v12, 16
	v_and_b32_e32 v13, 0xffff0000, v13
	v_mul_f32_e32 v17, 0x4b800000, v16
	v_mul_f32_e32 v18, 0x4b800000, v11
	v_cmp_gt_f32_e32 vcc, s24, v11
	v_and_b32_e32 v12, 0xffff0000, v12
	v_mul_f32_e32 v19, 0x4b800000, v13
	v_cmp_gt_f32_e64 s[0:1], s24, v13
	v_cmp_gt_f32_e64 s[2:3], s24, v16
	v_cndmask_b32_e64 v16, v16, v17, s[2:3]
	v_cndmask_b32_e32 v11, v11, v18, vcc
	v_mul_f32_e32 v17, 0x4b800000, v12
	v_cndmask_b32_e64 v13, v13, v19, s[0:1]
	v_cmp_gt_f32_e64 s[6:7], s24, v12
	v_rsq_f32_e32 v16, v16
	v_rsq_f32_e32 v11, v11
	v_cndmask_b32_e64 v12, v12, v17, s[6:7]
	v_rsq_f32_e32 v13, v13
	v_rsq_f32_e32 v12, v12
	v_mul_f32_e32 v17, 0x45800000, v16
	v_mul_f32_e32 v18, 0x45800000, v11
	;; [unrolled: 1-line block ×3, first 2 shown]
	v_cndmask_b32_e64 v16, v16, v17, s[2:3]
	v_cndmask_b32_e32 v11, v11, v18, vcc
	v_mul_f32_e32 v17, 0x45800000, v12
	v_cndmask_b32_e64 v13, v13, v19, s[0:1]
	v_bfe_u32 v18, v16, 16, 1
	v_bfe_u32 v19, v11, 16, 1
	v_cndmask_b32_e64 v12, v12, v17, s[6:7]
	v_bfe_u32 v17, v13, 16, 1
	v_add3_u32 v18, v16, v18, s25
	v_add3_u32 v19, v11, v19, s25
	v_bfe_u32 v20, v12, 16, 1
	v_add3_u32 v17, v13, v17, s25
	v_lshrrev_b32_e32 v18, 16, v18
	v_and_b32_e32 v19, 0xffff0000, v19
	v_add3_u32 v20, v12, v20, s25
	v_and_b32_e32 v17, 0xffff0000, v17
	v_cmp_o_f32_e32 vcc, v11, v11
	v_cmp_o_f32_e64 s[0:1], v16, v16
	v_cmp_o_f32_e64 s[2:3], v13, v13
	v_lshrrev_b32_e32 v11, 16, v20
	v_cndmask_b32_e64 v13, v7, v17, s[2:3]
	v_cndmask_b32_e32 v16, v7, v19, vcc
	v_cndmask_b32_e64 v17, v8, v18, s[0:1]
	v_cmp_o_f32_e32 vcc, v12, v12
	v_cndmask_b32_e32 v11, v8, v11, vcc
	v_or_b32_e32 v12, v17, v16
	v_or3_b32 v13, 0, v11, v13
	v_or3_b32 v12, v12, 0, 0
	global_store_dwordx2 v[14:15], v[12:13], off
	s_andn2_b64 exec, exec, s[18:19]
	s_cbranch_execnz .LBB299_3
.LBB299_4:
	s_or_b64 exec, exec, s[12:13]
	s_mov_b64 s[2:3], 0
.LBB299_5:
	s_andn2_b64 vcc, exec, s[2:3]
	s_cbranch_vccnz .LBB299_25
; %bb.6:
	v_cmp_lt_i64_e64 s[0:1], s[10:11], 1
	s_and_b64 vcc, exec, s[0:1]
	s_cbranch_vccnz .LBB299_25
; %bb.7:
	s_load_dword s0, s[4:5], 0xc5c
	v_mov_b32_e32 v2, 0x10000
	v_mov_b32_e32 v3, 0
	v_cmp_lt_u64_e32 vcc, s[10:11], v[2:3]
	v_lshlrev_b32_e32 v10, 1, v0
	s_waitcnt lgkmcnt(0)
	s_and_b32 s2, s0, 0xffff
	s_and_b64 s[0:1], vcc, exec
	v_mov_b32_e32 v13, s17
	v_add_co_u32_e32 v2, vcc, s16, v10
	v_addc_co_u32_e32 v1, vcc, 0, v13, vcc
	v_mov_b32_e32 v11, 0
	v_mov_b32_e32 v15, s15
	v_add_co_u32_e32 v4, vcc, s14, v10
	v_addc_co_u32_e32 v3, vcc, 0, v15, vcc
	v_mad_u64_u32 v[8:9], s[0:1], s2, 6, v[10:11]
	v_add_co_u32_e32 v6, vcc, s16, v8
	v_addc_co_u32_e32 v5, vcc, v13, v9, vcc
	v_add_co_u32_e32 v8, vcc, s14, v8
	s_mul_i32 s4, s2, 3
	v_addc_co_u32_e32 v7, vcc, v15, v9, vcc
	s_cselect_b32 s13, s11, 0
	s_cselect_b32 s12, s10, 0x10000
	s_lshl_b32 s19, s2, 2
	v_add_co_u32_e32 v17, vcc, s4, v0
	v_addc_co_u32_e64 v18, s[0:1], 0, 0, vcc
	v_add_co_u32_e32 v11, vcc, s19, v10
	v_addc_co_u32_e64 v14, s[0:1], 0, 0, vcc
	v_add_co_u32_e32 v10, vcc, s16, v11
	v_addc_co_u32_e32 v9, vcc, v13, v14, vcc
	v_add_co_u32_e32 v12, vcc, s14, v11
	s_lshl_b32 s3, s2, 1
	v_addc_co_u32_e32 v11, vcc, v15, v14, vcc
	v_add_co_u32_e32 v19, vcc, s3, v0
	v_addc_co_u32_e64 v20, s[0:1], 0, 0, vcc
	v_add_co_u32_e32 v21, vcc, s2, v0
	v_lshlrev_b32_e32 v16, 1, v21
	v_addc_co_u32_e64 v22, s[0:1], 0, 0, vcc
	v_add_co_u32_e32 v14, vcc, s16, v16
	v_addc_co_u32_e32 v13, vcc, 0, v13, vcc
	v_add_co_u32_e32 v16, vcc, s14, v16
	s_mov_b32 s18, 0
	s_lshl_b32 s20, s2, 3
	v_addc_co_u32_e32 v15, vcc, 0, v15, vcc
	s_mov_b64 s[14:15], 0
	s_mov_b32 s21, 0x800000
	s_movk_i32 s22, 0x7fff
	v_mov_b32_e32 v23, 0x7fc0
	s_branch .LBB299_9
.LBB299_8:                              ;   in Loop: Header=BB299_9 Depth=1
	s_or_b64 exec, exec, s[0:1]
	s_add_u32 s14, s14, s19
	s_addc_u32 s15, s15, 0
	s_waitcnt vmcnt(0)
	v_pk_mov_b32 v[24:25], s[10:11], s[10:11] op_sel:[0,1]
	v_cmp_ge_i64_e32 vcc, s[14:15], v[24:25]
	v_mov_b32_e32 v24, 0xffff
	v_mov_b32_e32 v25, 0
	v_cmp_gt_u64_e64 s[0:1], s[14:15], v[24:25]
	s_or_b64 s[0:1], vcc, s[0:1]
	v_mov_b32_e32 v24, s18
	v_add_co_u32_e32 v2, vcc, s20, v2
	v_addc_co_u32_e32 v1, vcc, v1, v24, vcc
	v_add_co_u32_e32 v4, vcc, s20, v4
	v_addc_co_u32_e32 v3, vcc, v3, v24, vcc
	;; [unrolled: 2-line block ×8, first 2 shown]
	s_and_b64 vcc, exec, s[0:1]
	s_cbranch_vccnz .LBB299_25
.LBB299_9:                              ; =>This Inner Loop Header: Depth=1
	v_mov_b32_e32 v25, s15
	v_add_co_u32_e32 v24, vcc, s14, v0
	v_addc_co_u32_e32 v25, vcc, 0, v25, vcc
	v_cmp_gt_u64_e64 s[4:5], s[12:13], v[24:25]
	v_mov_b32_e32 v27, 0
	s_and_saveexec_b64 s[0:1], s[4:5]
	s_cbranch_execz .LBB299_11
; %bb.10:                               ;   in Loop: Header=BB299_9 Depth=1
	v_mov_b32_e32 v25, s9
	v_add_co_u32_e32 v24, vcc, s8, v2
	v_addc_co_u32_e32 v25, vcc, v1, v25, vcc
	global_load_ushort v27, v[24:25], off
.LBB299_11:                             ;   in Loop: Header=BB299_9 Depth=1
	s_or_b64 exec, exec, s[0:1]
	v_mov_b32_e32 v25, s15
	v_add_co_u32_e32 v24, vcc, s14, v21
	v_addc_co_u32_e32 v25, vcc, v22, v25, vcc
	v_cmp_gt_u64_e64 s[2:3], s[12:13], v[24:25]
	v_mov_b32_e32 v26, 0
	s_and_saveexec_b64 s[0:1], s[2:3]
	s_cbranch_execz .LBB299_13
; %bb.12:                               ;   in Loop: Header=BB299_9 Depth=1
	v_mov_b32_e32 v25, s9
	v_add_co_u32_e32 v24, vcc, s8, v14
	v_addc_co_u32_e32 v25, vcc, v13, v25, vcc
	global_load_ushort v26, v[24:25], off
.LBB299_13:                             ;   in Loop: Header=BB299_9 Depth=1
	s_or_b64 exec, exec, s[0:1]
	v_mov_b32_e32 v25, s15
	v_add_co_u32_e32 v24, vcc, s14, v19
	v_addc_co_u32_e32 v25, vcc, v20, v25, vcc
	v_cmp_gt_u64_e64 s[0:1], s[12:13], v[24:25]
	v_mov_b32_e32 v24, 0
	v_mov_b32_e32 v25, 0
	s_and_saveexec_b64 s[6:7], s[0:1]
	s_cbranch_execz .LBB299_15
; %bb.14:                               ;   in Loop: Header=BB299_9 Depth=1
	v_mov_b32_e32 v25, s9
	v_add_co_u32_e32 v28, vcc, s8, v10
	v_addc_co_u32_e32 v29, vcc, v9, v25, vcc
	global_load_ushort v25, v[28:29], off
.LBB299_15:                             ;   in Loop: Header=BB299_9 Depth=1
	s_or_b64 exec, exec, s[6:7]
	v_mov_b32_e32 v29, s15
	v_add_co_u32_e32 v28, vcc, s14, v17
	v_addc_co_u32_e32 v29, vcc, v18, v29, vcc
	v_cmp_gt_u64_e32 vcc, s[12:13], v[28:29]
	s_and_saveexec_b64 s[16:17], vcc
	s_cbranch_execnz .LBB299_20
; %bb.16:                               ;   in Loop: Header=BB299_9 Depth=1
	s_or_b64 exec, exec, s[16:17]
	s_and_saveexec_b64 s[6:7], s[4:5]
	s_cbranch_execnz .LBB299_21
.LBB299_17:                             ;   in Loop: Header=BB299_9 Depth=1
	s_or_b64 exec, exec, s[6:7]
	s_and_saveexec_b64 s[4:5], s[2:3]
	s_cbranch_execnz .LBB299_22
.LBB299_18:                             ;   in Loop: Header=BB299_9 Depth=1
	s_or_b64 exec, exec, s[4:5]
	s_and_saveexec_b64 s[2:3], s[0:1]
	s_cbranch_execnz .LBB299_23
.LBB299_19:                             ;   in Loop: Header=BB299_9 Depth=1
	s_or_b64 exec, exec, s[2:3]
	s_and_saveexec_b64 s[0:1], vcc
	s_cbranch_execz .LBB299_8
	s_branch .LBB299_24
.LBB299_20:                             ;   in Loop: Header=BB299_9 Depth=1
	v_mov_b32_e32 v24, s9
	v_add_co_u32_e64 v28, s[6:7], s8, v6
	v_addc_co_u32_e64 v29, s[6:7], v5, v24, s[6:7]
	global_load_ushort v24, v[28:29], off
	s_or_b64 exec, exec, s[16:17]
	s_and_saveexec_b64 s[6:7], s[4:5]
	s_cbranch_execz .LBB299_17
.LBB299_21:                             ;   in Loop: Header=BB299_9 Depth=1
	s_waitcnt vmcnt(0)
	v_lshlrev_b32_e32 v27, 16, v27
	v_mul_f32_e32 v28, 0x4b800000, v27
	v_cmp_gt_f32_e64 s[4:5], s21, v27
	v_cndmask_b32_e64 v27, v27, v28, s[4:5]
	v_rsq_f32_e32 v27, v27
	v_mov_b32_e32 v29, s9
	v_mul_f32_e32 v28, 0x45800000, v27
	v_cndmask_b32_e64 v27, v27, v28, s[4:5]
	v_bfe_u32 v28, v27, 16, 1
	v_add3_u32 v28, v27, v28, s22
	v_lshrrev_b32_e32 v28, 16, v28
	v_cmp_o_f32_e64 s[4:5], v27, v27
	v_cndmask_b32_e64 v27, v23, v28, s[4:5]
	v_add_co_u32_e64 v28, s[4:5], s8, v4
	v_addc_co_u32_e64 v29, s[4:5], v3, v29, s[4:5]
	global_store_short v[28:29], v27, off
	s_or_b64 exec, exec, s[6:7]
	s_and_saveexec_b64 s[4:5], s[2:3]
	s_cbranch_execz .LBB299_18
.LBB299_22:                             ;   in Loop: Header=BB299_9 Depth=1
	s_waitcnt vmcnt(0)
	v_lshlrev_b32_e32 v26, 16, v26
	v_mul_f32_e32 v27, 0x4b800000, v26
	v_cmp_gt_f32_e64 s[2:3], s21, v26
	v_cndmask_b32_e64 v26, v26, v27, s[2:3]
	v_rsq_f32_e32 v26, v26
	v_mov_b32_e32 v27, s9
	v_mul_f32_e32 v28, 0x45800000, v26
	v_cndmask_b32_e64 v26, v26, v28, s[2:3]
	v_bfe_u32 v28, v26, 16, 1
	v_add3_u32 v28, v26, v28, s22
	v_lshrrev_b32_e32 v28, 16, v28
	v_cmp_o_f32_e64 s[2:3], v26, v26
	v_cndmask_b32_e64 v28, v23, v28, s[2:3]
	v_add_co_u32_e64 v26, s[2:3], s8, v16
	v_addc_co_u32_e64 v27, s[2:3], v15, v27, s[2:3]
	global_store_short v[26:27], v28, off
	s_or_b64 exec, exec, s[4:5]
	s_and_saveexec_b64 s[2:3], s[0:1]
	s_cbranch_execz .LBB299_19
.LBB299_23:                             ;   in Loop: Header=BB299_9 Depth=1
	s_waitcnt vmcnt(0)
	v_lshlrev_b32_e32 v25, 16, v25
	v_mul_f32_e32 v26, 0x4b800000, v25
	v_cmp_gt_f32_e64 s[0:1], s21, v25
	v_cndmask_b32_e64 v25, v25, v26, s[0:1]
	v_rsq_f32_e32 v25, v25
	v_mov_b32_e32 v27, s9
	v_mul_f32_e32 v26, 0x45800000, v25
	v_cndmask_b32_e64 v25, v25, v26, s[0:1]
	v_bfe_u32 v26, v25, 16, 1
	v_add3_u32 v26, v25, v26, s22
	v_lshrrev_b32_e32 v26, 16, v26
	v_cmp_o_f32_e64 s[0:1], v25, v25
	v_cndmask_b32_e64 v25, v23, v26, s[0:1]
	v_add_co_u32_e64 v26, s[0:1], s8, v12
	v_addc_co_u32_e64 v27, s[0:1], v11, v27, s[0:1]
	global_store_short v[26:27], v25, off
	s_or_b64 exec, exec, s[2:3]
	s_and_saveexec_b64 s[0:1], vcc
	s_cbranch_execz .LBB299_8
.LBB299_24:                             ;   in Loop: Header=BB299_9 Depth=1
	s_waitcnt vmcnt(0)
	v_lshlrev_b32_e32 v24, 16, v24
	v_mul_f32_e32 v25, 0x4b800000, v24
	v_cmp_gt_f32_e32 vcc, s21, v24
	v_cndmask_b32_e32 v24, v24, v25, vcc
	v_rsq_f32_e32 v24, v24
	v_mov_b32_e32 v25, s9
	v_mul_f32_e32 v26, 0x45800000, v24
	v_cndmask_b32_e32 v24, v24, v26, vcc
	v_bfe_u32 v26, v24, 16, 1
	v_add3_u32 v26, v24, v26, s22
	v_lshrrev_b32_e32 v26, 16, v26
	v_cmp_o_f32_e32 vcc, v24, v24
	v_cndmask_b32_e32 v26, v23, v26, vcc
	v_add_co_u32_e32 v24, vcc, s8, v8
	v_addc_co_u32_e32 v25, vcc, v7, v25, vcc
	global_store_short v[24:25], v26, off
	s_branch .LBB299_8
.LBB299_25:
	s_endpgm
	.section	.rodata,"a",@progbits
	.p2align	6, 0x0
	.amdhsa_kernel _ZN2at6native12_GLOBAL__N_125multi_tensor_apply_kernelINS1_18TensorListMetadataILi2EEENS1_14UnaryOpFunctorIN3c108BFloat16ELi2ELi1ELi1EEEJNS0_5RsqrtIfEEEEEvT_T0_DpT1_
		.amdhsa_group_segment_fixed_size 0
		.amdhsa_private_segment_fixed_size 0
		.amdhsa_kernarg_size 3408
		.amdhsa_user_sgpr_count 6
		.amdhsa_user_sgpr_private_segment_buffer 1
		.amdhsa_user_sgpr_dispatch_ptr 0
		.amdhsa_user_sgpr_queue_ptr 0
		.amdhsa_user_sgpr_kernarg_segment_ptr 1
		.amdhsa_user_sgpr_dispatch_id 0
		.amdhsa_user_sgpr_flat_scratch_init 0
		.amdhsa_user_sgpr_kernarg_preload_length 0
		.amdhsa_user_sgpr_kernarg_preload_offset 0
		.amdhsa_user_sgpr_private_segment_size 0
		.amdhsa_uses_dynamic_stack 0
		.amdhsa_system_sgpr_private_segment_wavefront_offset 0
		.amdhsa_system_sgpr_workgroup_id_x 1
		.amdhsa_system_sgpr_workgroup_id_y 0
		.amdhsa_system_sgpr_workgroup_id_z 0
		.amdhsa_system_sgpr_workgroup_info 0
		.amdhsa_system_vgpr_workitem_id 0
		.amdhsa_next_free_vgpr 30
		.amdhsa_next_free_sgpr 26
		.amdhsa_accum_offset 32
		.amdhsa_reserve_vcc 1
		.amdhsa_reserve_flat_scratch 0
		.amdhsa_float_round_mode_32 0
		.amdhsa_float_round_mode_16_64 0
		.amdhsa_float_denorm_mode_32 3
		.amdhsa_float_denorm_mode_16_64 3
		.amdhsa_dx10_clamp 1
		.amdhsa_ieee_mode 1
		.amdhsa_fp16_overflow 0
		.amdhsa_tg_split 0
		.amdhsa_exception_fp_ieee_invalid_op 0
		.amdhsa_exception_fp_denorm_src 0
		.amdhsa_exception_fp_ieee_div_zero 0
		.amdhsa_exception_fp_ieee_overflow 0
		.amdhsa_exception_fp_ieee_underflow 0
		.amdhsa_exception_fp_ieee_inexact 0
		.amdhsa_exception_int_div_zero 0
	.end_amdhsa_kernel
	.section	.text._ZN2at6native12_GLOBAL__N_125multi_tensor_apply_kernelINS1_18TensorListMetadataILi2EEENS1_14UnaryOpFunctorIN3c108BFloat16ELi2ELi1ELi1EEEJNS0_5RsqrtIfEEEEEvT_T0_DpT1_,"axG",@progbits,_ZN2at6native12_GLOBAL__N_125multi_tensor_apply_kernelINS1_18TensorListMetadataILi2EEENS1_14UnaryOpFunctorIN3c108BFloat16ELi2ELi1ELi1EEEJNS0_5RsqrtIfEEEEEvT_T0_DpT1_,comdat
.Lfunc_end299:
	.size	_ZN2at6native12_GLOBAL__N_125multi_tensor_apply_kernelINS1_18TensorListMetadataILi2EEENS1_14UnaryOpFunctorIN3c108BFloat16ELi2ELi1ELi1EEEJNS0_5RsqrtIfEEEEEvT_T0_DpT1_, .Lfunc_end299-_ZN2at6native12_GLOBAL__N_125multi_tensor_apply_kernelINS1_18TensorListMetadataILi2EEENS1_14UnaryOpFunctorIN3c108BFloat16ELi2ELi1ELi1EEEJNS0_5RsqrtIfEEEEEvT_T0_DpT1_
                                        ; -- End function
	.section	.AMDGPU.csdata,"",@progbits
; Kernel info:
; codeLenInByte = 1900
; NumSgprs: 30
; NumVgprs: 30
; NumAgprs: 0
; TotalNumVgprs: 30
; ScratchSize: 0
; MemoryBound: 0
; FloatMode: 240
; IeeeMode: 1
; LDSByteSize: 0 bytes/workgroup (compile time only)
; SGPRBlocks: 3
; VGPRBlocks: 3
; NumSGPRsForWavesPerEU: 30
; NumVGPRsForWavesPerEU: 30
; AccumOffset: 32
; Occupancy: 8
; WaveLimiterHint : 0
; COMPUTE_PGM_RSRC2:SCRATCH_EN: 0
; COMPUTE_PGM_RSRC2:USER_SGPR: 6
; COMPUTE_PGM_RSRC2:TRAP_HANDLER: 0
; COMPUTE_PGM_RSRC2:TGID_X_EN: 1
; COMPUTE_PGM_RSRC2:TGID_Y_EN: 0
; COMPUTE_PGM_RSRC2:TGID_Z_EN: 0
; COMPUTE_PGM_RSRC2:TIDIG_COMP_CNT: 0
; COMPUTE_PGM_RSRC3_GFX90A:ACCUM_OFFSET: 7
; COMPUTE_PGM_RSRC3_GFX90A:TG_SPLIT: 0
	.section	.text._ZN2at6native12_GLOBAL__N_125multi_tensor_apply_kernelINS1_18TensorListMetadataILi1EEENS1_14UnaryOpFunctorIdLi1ELi1ELi0EEEJNS0_5RsqrtIdEEEEEvT_T0_DpT1_,"axG",@progbits,_ZN2at6native12_GLOBAL__N_125multi_tensor_apply_kernelINS1_18TensorListMetadataILi1EEENS1_14UnaryOpFunctorIdLi1ELi1ELi0EEEJNS0_5RsqrtIdEEEEEvT_T0_DpT1_,comdat
	.globl	_ZN2at6native12_GLOBAL__N_125multi_tensor_apply_kernelINS1_18TensorListMetadataILi1EEENS1_14UnaryOpFunctorIdLi1ELi1ELi0EEEJNS0_5RsqrtIdEEEEEvT_T0_DpT1_ ; -- Begin function _ZN2at6native12_GLOBAL__N_125multi_tensor_apply_kernelINS1_18TensorListMetadataILi1EEENS1_14UnaryOpFunctorIdLi1ELi1ELi0EEEJNS0_5RsqrtIdEEEEEvT_T0_DpT1_
	.p2align	8
	.type	_ZN2at6native12_GLOBAL__N_125multi_tensor_apply_kernelINS1_18TensorListMetadataILi1EEENS1_14UnaryOpFunctorIdLi1ELi1ELi0EEEJNS0_5RsqrtIdEEEEEvT_T0_DpT1_,@function
_ZN2at6native12_GLOBAL__N_125multi_tensor_apply_kernelINS1_18TensorListMetadataILi1EEENS1_14UnaryOpFunctorIdLi1ELi1ELi0EEEJNS0_5RsqrtIdEEEEEvT_T0_DpT1_: ; @_ZN2at6native12_GLOBAL__N_125multi_tensor_apply_kernelINS1_18TensorListMetadataILi1EEENS1_14UnaryOpFunctorIdLi1ELi1ELi0EEEJNS0_5RsqrtIdEEEEEvT_T0_DpT1_
; %bb.0:
	v_mov_b32_e32 v1, s6
	global_load_ubyte v1, v1, s[4:5] offset:1760
	s_add_u32 s0, s4, s6
	s_mul_hi_u32 s1, s6, 3
	s_mul_i32 s6, s6, 3
	s_addc_u32 s2, s5, 0
	s_add_u32 s0, s0, s6
	s_addc_u32 s1, s2, s1
	s_load_dword s0, s[0:1], 0x820
	s_mov_b32 s7, 0
	s_waitcnt vmcnt(0)
	v_readfirstlane_b32 s2, v1
	s_lshl_b32 s1, s2, 3
	s_load_dwordx2 s[2:3], s[4:5], s1 offset:0x370
	s_load_dwordx2 s[12:13], s[4:5], s1 offset:0x0
	s_waitcnt lgkmcnt(0)
	s_ashr_i32 s1, s0, 31
	s_lshl_b64 s[14:15], s[0:1], 19
	s_lshl_b64 s[0:1], s[0:1], 16
	s_and_b32 s6, s12, 31
	s_sub_u32 s10, s2, s0
	s_subb_u32 s11, s3, s1
	s_and_b32 s0, s2, 3
	s_mov_b32 s1, s7
	s_or_b64 s[0:1], s[6:7], s[0:1]
	s_cmp_eq_u64 s[0:1], 0
	s_cbranch_scc1 .LBB300_21
; %bb.1:
	v_cmp_lt_i64_e64 s[0:1], s[10:11], 1
	s_and_b64 vcc, exec, s[0:1]
	s_cbranch_vccnz .LBB300_20
; %bb.2:
	s_load_dword s0, s[4:5], 0xd3c
	v_mov_b32_e32 v2, 0x10000
	v_mov_b32_e32 v3, 0
	v_cmp_lt_u64_e32 vcc, s[10:11], v[2:3]
	v_lshlrev_b32_e32 v1, 3, v0
	s_waitcnt lgkmcnt(0)
	s_and_b32 s2, s0, 0xffff
	s_and_b64 s[0:1], vcc, exec
	s_cselect_b32 s17, s11, 0
	s_cselect_b32 s16, s10, 0x10000
	s_lshl_b32 s3, s2, 1
	s_lshl_b32 s25, s2, 2
	s_add_u32 s6, s12, s14
	s_addc_u32 s7, s13, s15
	v_mov_b32_e32 v3, s7
	v_add_co_u32_e32 v2, vcc, s6, v1
	s_mul_i32 s0, s2, 3
	v_addc_co_u32_e32 v3, vcc, 0, v3, vcc
	v_add_co_u32_e32 v1, vcc, s0, v0
	v_addc_co_u32_e64 v14, s[0:1], 0, 0, vcc
	v_add_co_u32_e32 v15, vcc, s3, v0
	v_addc_co_u32_e64 v16, s[0:1], 0, 0, vcc
	v_add_co_u32_e32 v17, vcc, s2, v0
	v_lshlrev_b32_e32 v4, 3, v17
	s_mov_b32 s24, 0
	v_addc_co_u32_e64 v18, s[0:1], 0, 0, vcc
	v_mov_b32_e32 v5, s7
	v_add_co_u32_e32 v4, vcc, s6, v4
	s_mov_b32 s20, 0
	s_lshl_b32 s26, s2, 5
	s_mul_i32 s27, s2, 24
	s_mov_b32 s28, s24
	s_lshl_b32 s29, s2, 4
	s_mov_b32 s30, s24
	v_addc_co_u32_e32 v5, vcc, 0, v5, vcc
	s_mov_b64 s[18:19], 0
	v_mov_b32_e32 v19, 0x180
	s_mov_b32 s21, 0x3fd80000
	s_branch .LBB300_4
.LBB300_3:                              ;   in Loop: Header=BB300_4 Depth=1
	s_or_b64 exec, exec, s[2:3]
	s_add_u32 s18, s18, s25
	s_addc_u32 s19, s19, 0
	s_waitcnt vmcnt(0)
	v_pk_mov_b32 v[6:7], s[10:11], s[10:11] op_sel:[0,1]
	v_cmp_lt_i64_e32 vcc, s[18:19], v[6:7]
	v_mov_b32_e32 v6, 0x10000
	v_mov_b32_e32 v7, 0
	v_cmp_lt_u64_e64 s[0:1], s[18:19], v[6:7]
	s_and_b64 s[0:1], vcc, s[0:1]
	v_mov_b32_e32 v6, s24
	v_add_co_u32_e32 v2, vcc, s26, v2
	v_addc_co_u32_e32 v3, vcc, v3, v6, vcc
	v_add_co_u32_e32 v4, vcc, s26, v4
	v_addc_co_u32_e32 v5, vcc, v5, v6, vcc
	s_and_b64 vcc, exec, s[0:1]
	s_cbranch_vccz .LBB300_20
.LBB300_4:                              ; =>This Inner Loop Header: Depth=1
	v_mov_b32_e32 v7, s19
	v_add_co_u32_e32 v6, vcc, s18, v0
	v_addc_co_u32_e32 v7, vcc, 0, v7, vcc
	v_pk_mov_b32 v[8:9], 0, 0
	v_cmp_gt_u64_e64 s[6:7], s[16:17], v[6:7]
	v_pk_mov_b32 v[10:11], v[8:9], v[8:9] op_sel:[0,1]
	s_and_saveexec_b64 s[0:1], s[6:7]
	s_cbranch_execz .LBB300_6
; %bb.5:                                ;   in Loop: Header=BB300_4 Depth=1
	global_load_dwordx2 v[10:11], v[2:3], off
.LBB300_6:                              ;   in Loop: Header=BB300_4 Depth=1
	s_or_b64 exec, exec, s[0:1]
	v_mov_b32_e32 v7, s19
	v_add_co_u32_e32 v6, vcc, s18, v17
	v_addc_co_u32_e32 v7, vcc, v18, v7, vcc
	v_cmp_gt_u64_e64 s[2:3], s[16:17], v[6:7]
	s_and_saveexec_b64 s[0:1], s[2:3]
	s_cbranch_execz .LBB300_8
; %bb.7:                                ;   in Loop: Header=BB300_4 Depth=1
	global_load_dwordx2 v[8:9], v[4:5], off
.LBB300_8:                              ;   in Loop: Header=BB300_4 Depth=1
	s_or_b64 exec, exec, s[0:1]
	v_mov_b32_e32 v7, s19
	v_add_co_u32_e32 v6, vcc, s18, v15
	v_addc_co_u32_e32 v7, vcc, v16, v7, vcc
	v_cmp_gt_u64_e32 vcc, s[16:17], v[6:7]
	v_pk_mov_b32 v[6:7], 0, 0
	v_pk_mov_b32 v[12:13], v[6:7], v[6:7] op_sel:[0,1]
	s_and_saveexec_b64 s[8:9], vcc
	s_cbranch_execz .LBB300_10
; %bb.9:                                ;   in Loop: Header=BB300_4 Depth=1
	v_mov_b32_e32 v13, s30
	v_add_co_u32_e64 v12, s[0:1], s29, v2
	v_addc_co_u32_e64 v13, s[0:1], v3, v13, s[0:1]
	global_load_dwordx2 v[12:13], v[12:13], off
.LBB300_10:                             ;   in Loop: Header=BB300_4 Depth=1
	s_or_b64 exec, exec, s[8:9]
	v_mov_b32_e32 v21, s19
	v_add_co_u32_e64 v20, s[0:1], s18, v1
	v_addc_co_u32_e64 v21, s[0:1], v14, v21, s[0:1]
	v_cmp_gt_u64_e64 s[0:1], s[16:17], v[20:21]
	s_and_saveexec_b64 s[22:23], s[0:1]
	s_cbranch_execnz .LBB300_15
; %bb.11:                               ;   in Loop: Header=BB300_4 Depth=1
	s_or_b64 exec, exec, s[22:23]
	s_and_saveexec_b64 s[8:9], s[6:7]
	s_cbranch_execnz .LBB300_16
.LBB300_12:                             ;   in Loop: Header=BB300_4 Depth=1
	s_or_b64 exec, exec, s[8:9]
	s_and_saveexec_b64 s[6:7], s[2:3]
	s_cbranch_execnz .LBB300_17
.LBB300_13:                             ;   in Loop: Header=BB300_4 Depth=1
	s_or_b64 exec, exec, s[6:7]
	s_and_saveexec_b64 s[2:3], vcc
	s_cbranch_execnz .LBB300_18
.LBB300_14:                             ;   in Loop: Header=BB300_4 Depth=1
	s_or_b64 exec, exec, s[2:3]
	s_and_saveexec_b64 s[2:3], s[0:1]
	s_cbranch_execz .LBB300_3
	s_branch .LBB300_19
.LBB300_15:                             ;   in Loop: Header=BB300_4 Depth=1
	v_mov_b32_e32 v7, s28
	v_add_co_u32_e64 v6, s[8:9], s27, v2
	v_addc_co_u32_e64 v7, s[8:9], v3, v7, s[8:9]
	global_load_dwordx2 v[6:7], v[6:7], off
	s_or_b64 exec, exec, s[22:23]
	s_and_saveexec_b64 s[8:9], s[6:7]
	s_cbranch_execz .LBB300_12
.LBB300_16:                             ;   in Loop: Header=BB300_4 Depth=1
	s_waitcnt vmcnt(0)
	v_rsq_f64_e32 v[20:21], v[10:11]
	v_mul_f64 v[10:11], v[20:21], -v[10:11]
	v_fma_f64 v[10:11], v[10:11], v[20:21], 1.0
	v_mul_f64 v[22:23], v[20:21], v[10:11]
	v_fma_f64 v[10:11], v[10:11], s[20:21], 0.5
	v_fma_f64 v[10:11], v[22:23], v[10:11], v[20:21]
	v_cmp_class_f64_e64 s[6:7], v[20:21], v19
	v_cndmask_b32_e64 v11, v21, v11, s[6:7]
	v_cndmask_b32_e64 v10, v20, v10, s[6:7]
	global_store_dwordx2 v[2:3], v[10:11], off
	s_or_b64 exec, exec, s[8:9]
	s_and_saveexec_b64 s[6:7], s[2:3]
	s_cbranch_execz .LBB300_13
.LBB300_17:                             ;   in Loop: Header=BB300_4 Depth=1
	s_waitcnt vmcnt(0)
	v_rsq_f64_e32 v[10:11], v[8:9]
	v_mul_f64 v[8:9], v[10:11], -v[8:9]
	v_fma_f64 v[8:9], v[8:9], v[10:11], 1.0
	v_mul_f64 v[20:21], v[10:11], v[8:9]
	v_fma_f64 v[8:9], v[8:9], s[20:21], 0.5
	v_fma_f64 v[8:9], v[20:21], v[8:9], v[10:11]
	v_cmp_class_f64_e64 s[2:3], v[10:11], v19
	v_cndmask_b32_e64 v9, v11, v9, s[2:3]
	v_cndmask_b32_e64 v8, v10, v8, s[2:3]
	global_store_dwordx2 v[4:5], v[8:9], off
	s_or_b64 exec, exec, s[6:7]
	s_and_saveexec_b64 s[2:3], vcc
	s_cbranch_execz .LBB300_14
.LBB300_18:                             ;   in Loop: Header=BB300_4 Depth=1
	s_waitcnt vmcnt(0)
	v_rsq_f64_e32 v[8:9], v[12:13]
	v_mul_f64 v[10:11], v[8:9], -v[12:13]
	v_fma_f64 v[10:11], v[10:11], v[8:9], 1.0
	v_mul_f64 v[12:13], v[8:9], v[10:11]
	v_fma_f64 v[10:11], v[10:11], s[20:21], 0.5
	v_fma_f64 v[10:11], v[12:13], v[10:11], v[8:9]
	v_cmp_class_f64_e32 vcc, v[8:9], v19
	v_cndmask_b32_e32 v9, v9, v11, vcc
	v_cndmask_b32_e32 v8, v8, v10, vcc
	v_mov_b32_e32 v11, s30
	v_add_co_u32_e32 v10, vcc, s29, v2
	v_addc_co_u32_e32 v11, vcc, v3, v11, vcc
	global_store_dwordx2 v[10:11], v[8:9], off
	s_or_b64 exec, exec, s[2:3]
	s_and_saveexec_b64 s[2:3], s[0:1]
	s_cbranch_execz .LBB300_3
.LBB300_19:                             ;   in Loop: Header=BB300_4 Depth=1
	s_waitcnt vmcnt(0)
	v_rsq_f64_e32 v[8:9], v[6:7]
	v_mul_f64 v[6:7], v[8:9], -v[6:7]
	v_fma_f64 v[6:7], v[6:7], v[8:9], 1.0
	v_mul_f64 v[10:11], v[8:9], v[6:7]
	v_fma_f64 v[6:7], v[6:7], s[20:21], 0.5
	v_fma_f64 v[6:7], v[10:11], v[6:7], v[8:9]
	v_cmp_class_f64_e32 vcc, v[8:9], v19
	v_cndmask_b32_e32 v7, v9, v7, vcc
	v_cndmask_b32_e32 v6, v8, v6, vcc
	v_mov_b32_e32 v9, s28
	v_add_co_u32_e32 v8, vcc, s27, v2
	v_addc_co_u32_e32 v9, vcc, v3, v9, vcc
	global_store_dwordx2 v[8:9], v[6:7], off
	s_branch .LBB300_3
.LBB300_20:
	s_cbranch_execz .LBB300_22
	s_branch .LBB300_25
.LBB300_21:
.LBB300_22:
	v_mov_b32_e32 v3, 0
	v_lshlrev_b32_e32 v2, 2, v0
	s_mov_b32 s0, 0
	v_cmp_gt_i64_e32 vcc, s[10:11], v[2:3]
	s_and_saveexec_b64 s[2:3], vcc
	s_cbranch_execz .LBB300_25
; %bb.23:
	s_load_dword s1, s[4:5], 0xd3c
	v_lshlrev_b32_e32 v1, 5, v0
	s_mov_b32 s6, 0
	s_mov_b64 s[4:5], 0
	s_mov_b32 s7, 0x3fd80000
	s_waitcnt lgkmcnt(0)
	s_and_b32 s1, s1, 0xffff
	s_lshl_b32 s16, s1, 2
	s_add_u32 s2, s12, s14
	s_addc_u32 s3, s13, s15
	v_add_lshl_u32 v2, v0, s1, 2
	v_mov_b32_e32 v0, s3
	v_add_co_u32_e32 v1, vcc, s2, v1
	v_addc_co_u32_e32 v4, vcc, 0, v0, vcc
	v_add_co_u32_e32 v0, vcc, 16, v1
	v_addc_co_u32_e32 v1, vcc, 0, v4, vcc
	s_lshl_b32 s12, s1, 5
	v_mov_b32_e32 v4, 0x180
	s_mov_b64 s[8:9], 0xffff
	v_mov_b32_e32 v5, s0
	v_mov_b32_e32 v6, s0
.LBB300_24:                             ; =>This Inner Loop Header: Depth=1
	global_load_dwordx4 v[8:11], v[0:1], off offset:-16
	global_load_dwordx4 v[12:15], v[0:1], off
	v_cmp_le_i64_e32 vcc, s[10:11], v[2:3]
	v_cmp_lt_u64_e64 s[0:1], s[8:9], v[2:3]
	s_or_b64 s[0:1], vcc, s[0:1]
	v_add_co_u32_e64 v2, s[2:3], s16, v2
	s_and_b64 s[0:1], exec, s[0:1]
	v_addc_co_u32_e64 v3, s[2:3], v3, v5, s[2:3]
	s_or_b64 s[4:5], s[0:1], s[4:5]
	s_waitcnt vmcnt(1)
	v_rsq_f64_e32 v[16:17], v[8:9]
	v_rsq_f64_e32 v[18:19], v[10:11]
	s_waitcnt vmcnt(0)
	v_rsq_f64_e32 v[20:21], v[12:13]
	v_rsq_f64_e32 v[22:23], v[14:15]
	v_mul_f64 v[8:9], v[16:17], -v[8:9]
	v_mul_f64 v[10:11], v[18:19], -v[10:11]
	v_fma_f64 v[8:9], v[8:9], v[16:17], 1.0
	v_mul_f64 v[12:13], v[20:21], -v[12:13]
	v_fma_f64 v[10:11], v[10:11], v[18:19], 1.0
	v_mul_f64 v[24:25], v[16:17], v[8:9]
	v_fma_f64 v[8:9], v[8:9], s[6:7], 0.5
	v_mul_f64 v[14:15], v[22:23], -v[14:15]
	v_fma_f64 v[12:13], v[12:13], v[20:21], 1.0
	v_mul_f64 v[26:27], v[18:19], v[10:11]
	v_fma_f64 v[10:11], v[10:11], s[6:7], 0.5
	v_fma_f64 v[8:9], v[24:25], v[8:9], v[16:17]
	v_cmp_class_f64_e32 vcc, v[16:17], v4
	v_fma_f64 v[14:15], v[14:15], v[22:23], 1.0
	v_mul_f64 v[28:29], v[20:21], v[12:13]
	v_fma_f64 v[12:13], v[12:13], s[6:7], 0.5
	v_fma_f64 v[10:11], v[26:27], v[10:11], v[18:19]
	v_cndmask_b32_e32 v9, v17, v9, vcc
	v_cndmask_b32_e32 v8, v16, v8, vcc
	v_cmp_class_f64_e32 vcc, v[18:19], v4
	v_mul_f64 v[30:31], v[22:23], v[14:15]
	v_fma_f64 v[14:15], v[14:15], s[6:7], 0.5
	v_fma_f64 v[12:13], v[28:29], v[12:13], v[20:21]
	v_cndmask_b32_e32 v11, v19, v11, vcc
	v_cndmask_b32_e32 v10, v18, v10, vcc
	v_cmp_class_f64_e32 vcc, v[20:21], v4
	v_fma_f64 v[14:15], v[30:31], v[14:15], v[22:23]
	v_cndmask_b32_e32 v13, v21, v13, vcc
	v_cndmask_b32_e32 v12, v20, v12, vcc
	v_cmp_class_f64_e32 vcc, v[22:23], v4
	v_cndmask_b32_e32 v15, v23, v15, vcc
	v_cndmask_b32_e32 v14, v22, v14, vcc
	global_store_dwordx4 v[0:1], v[8:11], off offset:-16
	global_store_dwordx4 v[0:1], v[12:15], off
	v_add_co_u32_e32 v0, vcc, s12, v0
	v_addc_co_u32_e32 v1, vcc, v1, v6, vcc
	s_andn2_b64 exec, exec, s[4:5]
	s_cbranch_execnz .LBB300_24
.LBB300_25:
	s_endpgm
	.section	.rodata,"a",@progbits
	.p2align	6, 0x0
	.amdhsa_kernel _ZN2at6native12_GLOBAL__N_125multi_tensor_apply_kernelINS1_18TensorListMetadataILi1EEENS1_14UnaryOpFunctorIdLi1ELi1ELi0EEEJNS0_5RsqrtIdEEEEEvT_T0_DpT1_
		.amdhsa_group_segment_fixed_size 0
		.amdhsa_private_segment_fixed_size 0
		.amdhsa_kernarg_size 3632
		.amdhsa_user_sgpr_count 6
		.amdhsa_user_sgpr_private_segment_buffer 1
		.amdhsa_user_sgpr_dispatch_ptr 0
		.amdhsa_user_sgpr_queue_ptr 0
		.amdhsa_user_sgpr_kernarg_segment_ptr 1
		.amdhsa_user_sgpr_dispatch_id 0
		.amdhsa_user_sgpr_flat_scratch_init 0
		.amdhsa_user_sgpr_kernarg_preload_length 0
		.amdhsa_user_sgpr_kernarg_preload_offset 0
		.amdhsa_user_sgpr_private_segment_size 0
		.amdhsa_uses_dynamic_stack 0
		.amdhsa_system_sgpr_private_segment_wavefront_offset 0
		.amdhsa_system_sgpr_workgroup_id_x 1
		.amdhsa_system_sgpr_workgroup_id_y 0
		.amdhsa_system_sgpr_workgroup_id_z 0
		.amdhsa_system_sgpr_workgroup_info 0
		.amdhsa_system_vgpr_workitem_id 0
		.amdhsa_next_free_vgpr 32
		.amdhsa_next_free_sgpr 31
		.amdhsa_accum_offset 32
		.amdhsa_reserve_vcc 1
		.amdhsa_reserve_flat_scratch 0
		.amdhsa_float_round_mode_32 0
		.amdhsa_float_round_mode_16_64 0
		.amdhsa_float_denorm_mode_32 3
		.amdhsa_float_denorm_mode_16_64 3
		.amdhsa_dx10_clamp 1
		.amdhsa_ieee_mode 1
		.amdhsa_fp16_overflow 0
		.amdhsa_tg_split 0
		.amdhsa_exception_fp_ieee_invalid_op 0
		.amdhsa_exception_fp_denorm_src 0
		.amdhsa_exception_fp_ieee_div_zero 0
		.amdhsa_exception_fp_ieee_overflow 0
		.amdhsa_exception_fp_ieee_underflow 0
		.amdhsa_exception_fp_ieee_inexact 0
		.amdhsa_exception_int_div_zero 0
	.end_amdhsa_kernel
	.section	.text._ZN2at6native12_GLOBAL__N_125multi_tensor_apply_kernelINS1_18TensorListMetadataILi1EEENS1_14UnaryOpFunctorIdLi1ELi1ELi0EEEJNS0_5RsqrtIdEEEEEvT_T0_DpT1_,"axG",@progbits,_ZN2at6native12_GLOBAL__N_125multi_tensor_apply_kernelINS1_18TensorListMetadataILi1EEENS1_14UnaryOpFunctorIdLi1ELi1ELi0EEEJNS0_5RsqrtIdEEEEEvT_T0_DpT1_,comdat
.Lfunc_end300:
	.size	_ZN2at6native12_GLOBAL__N_125multi_tensor_apply_kernelINS1_18TensorListMetadataILi1EEENS1_14UnaryOpFunctorIdLi1ELi1ELi0EEEJNS0_5RsqrtIdEEEEEvT_T0_DpT1_, .Lfunc_end300-_ZN2at6native12_GLOBAL__N_125multi_tensor_apply_kernelINS1_18TensorListMetadataILi1EEENS1_14UnaryOpFunctorIdLi1ELi1ELi0EEEJNS0_5RsqrtIdEEEEEvT_T0_DpT1_
                                        ; -- End function
	.section	.AMDGPU.csdata,"",@progbits
; Kernel info:
; codeLenInByte = 1532
; NumSgprs: 35
; NumVgprs: 32
; NumAgprs: 0
; TotalNumVgprs: 32
; ScratchSize: 0
; MemoryBound: 0
; FloatMode: 240
; IeeeMode: 1
; LDSByteSize: 0 bytes/workgroup (compile time only)
; SGPRBlocks: 4
; VGPRBlocks: 3
; NumSGPRsForWavesPerEU: 35
; NumVGPRsForWavesPerEU: 32
; AccumOffset: 32
; Occupancy: 8
; WaveLimiterHint : 0
; COMPUTE_PGM_RSRC2:SCRATCH_EN: 0
; COMPUTE_PGM_RSRC2:USER_SGPR: 6
; COMPUTE_PGM_RSRC2:TRAP_HANDLER: 0
; COMPUTE_PGM_RSRC2:TGID_X_EN: 1
; COMPUTE_PGM_RSRC2:TGID_Y_EN: 0
; COMPUTE_PGM_RSRC2:TGID_Z_EN: 0
; COMPUTE_PGM_RSRC2:TIDIG_COMP_CNT: 0
; COMPUTE_PGM_RSRC3_GFX90A:ACCUM_OFFSET: 7
; COMPUTE_PGM_RSRC3_GFX90A:TG_SPLIT: 0
	.section	.text._ZN2at6native12_GLOBAL__N_125multi_tensor_apply_kernelINS1_18TensorListMetadataILi1EEENS1_14UnaryOpFunctorIfLi1ELi1ELi0EEEJNS0_5RsqrtIfEEEEEvT_T0_DpT1_,"axG",@progbits,_ZN2at6native12_GLOBAL__N_125multi_tensor_apply_kernelINS1_18TensorListMetadataILi1EEENS1_14UnaryOpFunctorIfLi1ELi1ELi0EEEJNS0_5RsqrtIfEEEEEvT_T0_DpT1_,comdat
	.globl	_ZN2at6native12_GLOBAL__N_125multi_tensor_apply_kernelINS1_18TensorListMetadataILi1EEENS1_14UnaryOpFunctorIfLi1ELi1ELi0EEEJNS0_5RsqrtIfEEEEEvT_T0_DpT1_ ; -- Begin function _ZN2at6native12_GLOBAL__N_125multi_tensor_apply_kernelINS1_18TensorListMetadataILi1EEENS1_14UnaryOpFunctorIfLi1ELi1ELi0EEEJNS0_5RsqrtIfEEEEEvT_T0_DpT1_
	.p2align	8
	.type	_ZN2at6native12_GLOBAL__N_125multi_tensor_apply_kernelINS1_18TensorListMetadataILi1EEENS1_14UnaryOpFunctorIfLi1ELi1ELi0EEEJNS0_5RsqrtIfEEEEEvT_T0_DpT1_,@function
_ZN2at6native12_GLOBAL__N_125multi_tensor_apply_kernelINS1_18TensorListMetadataILi1EEENS1_14UnaryOpFunctorIfLi1ELi1ELi0EEEJNS0_5RsqrtIfEEEEEvT_T0_DpT1_: ; @_ZN2at6native12_GLOBAL__N_125multi_tensor_apply_kernelINS1_18TensorListMetadataILi1EEENS1_14UnaryOpFunctorIfLi1ELi1ELi0EEEJNS0_5RsqrtIfEEEEEvT_T0_DpT1_
; %bb.0:
	v_mov_b32_e32 v1, s6
	global_load_ubyte v1, v1, s[4:5] offset:1760
	s_add_u32 s0, s4, s6
	s_mul_hi_u32 s1, s6, 3
	s_mul_i32 s6, s6, 3
	s_addc_u32 s2, s5, 0
	s_add_u32 s0, s0, s6
	s_addc_u32 s1, s2, s1
	s_load_dword s0, s[0:1], 0x820
	s_mov_b32 s7, 0
	s_waitcnt vmcnt(0)
	v_readfirstlane_b32 s2, v1
	s_lshl_b32 s1, s2, 3
	s_load_dwordx2 s[2:3], s[4:5], s1 offset:0x370
	s_load_dwordx2 s[12:13], s[4:5], s1 offset:0x0
	s_waitcnt lgkmcnt(0)
	s_ashr_i32 s1, s0, 31
	s_lshl_b64 s[14:15], s[0:1], 18
	s_lshl_b64 s[0:1], s[0:1], 16
	s_and_b32 s6, s12, 15
	s_sub_u32 s10, s2, s0
	s_subb_u32 s11, s3, s1
	s_and_b32 s0, s2, 3
	s_mov_b32 s1, s7
	s_or_b64 s[0:1], s[6:7], s[0:1]
	s_cmp_eq_u64 s[0:1], 0
	s_cbranch_scc1 .LBB301_21
; %bb.1:
	v_cmp_lt_i64_e64 s[0:1], s[10:11], 1
	s_and_b64 vcc, exec, s[0:1]
	s_cbranch_vccnz .LBB301_20
; %bb.2:
	s_load_dword s0, s[4:5], 0xd3c
	v_mov_b32_e32 v2, 0x10000
	v_mov_b32_e32 v3, 0
	v_cmp_lt_u64_e32 vcc, s[10:11], v[2:3]
	v_lshlrev_b32_e32 v1, 2, v0
	s_waitcnt lgkmcnt(0)
	s_and_b32 s3, s0, 0xffff
	s_and_b64 s[0:1], vcc, exec
	s_cselect_b32 s17, s11, 0
	s_cselect_b32 s16, s10, 0x10000
	s_lshl_b32 s6, s3, 1
	s_lshl_b32 s22, s3, 2
	s_add_u32 s7, s12, s14
	s_addc_u32 s8, s13, s15
	v_mov_b32_e32 v5, s8
	v_add_co_u32_e32 v4, vcc, s7, v1
	s_mul_i32 s0, s3, 3
	v_addc_co_u32_e32 v5, vcc, 0, v5, vcc
	v_add_co_u32_e32 v1, vcc, s0, v0
	v_addc_co_u32_e64 v10, s[0:1], 0, 0, vcc
	v_add_co_u32_e32 v11, vcc, s6, v0
	v_addc_co_u32_e64 v12, s[0:1], 0, 0, vcc
	v_add_co_u32_e32 v13, vcc, s3, v0
	v_lshlrev_b32_e32 v6, 2, v13
	s_mov_b32 s2, 0
	v_addc_co_u32_e64 v14, s[0:1], 0, 0, vcc
	v_mov_b32_e32 v7, s8
	v_add_co_u32_e32 v6, vcc, s7, v6
	s_lshl_b32 s23, s3, 4
	s_mul_i32 s24, s3, 12
	s_mov_b32 s25, s2
	s_lshl_b32 s26, s3, 3
	s_mov_b32 s27, s2
	v_addc_co_u32_e32 v7, vcc, 0, v7, vcc
	s_mov_b64 s[18:19], 0
	s_mov_b32 s28, 0x800000
	v_pk_mov_b32 v[8:9], s[10:11], s[10:11] op_sel:[0,1]
	v_mov_b32_e32 v15, s2
	s_branch .LBB301_4
.LBB301_3:                              ;   in Loop: Header=BB301_4 Depth=1
	s_or_b64 exec, exec, s[0:1]
	s_add_u32 s18, s18, s22
	s_addc_u32 s19, s19, 0
	v_cmp_lt_i64_e32 vcc, s[18:19], v[8:9]
	v_cmp_lt_u64_e64 s[0:1], s[18:19], v[2:3]
	s_and_b64 s[0:1], vcc, s[0:1]
	v_add_co_u32_e32 v4, vcc, s23, v4
	v_addc_co_u32_e32 v5, vcc, v5, v15, vcc
	v_add_co_u32_e32 v6, vcc, s23, v6
	v_addc_co_u32_e32 v7, vcc, v7, v15, vcc
	s_and_b64 vcc, exec, s[0:1]
	s_cbranch_vccz .LBB301_20
.LBB301_4:                              ; =>This Inner Loop Header: Depth=1
	s_waitcnt vmcnt(0)
	v_mov_b32_e32 v17, s19
	v_add_co_u32_e32 v16, vcc, s18, v0
	v_addc_co_u32_e32 v17, vcc, 0, v17, vcc
	v_cmp_gt_u64_e32 vcc, s[16:17], v[16:17]
	v_mov_b32_e32 v17, 0
	s_and_saveexec_b64 s[0:1], vcc
	s_cbranch_execz .LBB301_6
; %bb.5:                                ;   in Loop: Header=BB301_4 Depth=1
	global_load_dword v17, v[4:5], off
.LBB301_6:                              ;   in Loop: Header=BB301_4 Depth=1
	s_or_b64 exec, exec, s[0:1]
	v_mov_b32_e32 v16, s19
	v_add_co_u32_e64 v18, s[0:1], s18, v13
	v_addc_co_u32_e64 v19, s[0:1], v14, v16, s[0:1]
	v_cmp_gt_u64_e64 s[0:1], s[16:17], v[18:19]
	v_mov_b32_e32 v18, 0
	s_and_saveexec_b64 s[2:3], s[0:1]
	s_cbranch_execz .LBB301_8
; %bb.7:                                ;   in Loop: Header=BB301_4 Depth=1
	global_load_dword v18, v[6:7], off
.LBB301_8:                              ;   in Loop: Header=BB301_4 Depth=1
	s_or_b64 exec, exec, s[2:3]
	v_mov_b32_e32 v16, s19
	v_add_co_u32_e64 v20, s[2:3], s18, v11
	v_addc_co_u32_e64 v21, s[2:3], v12, v16, s[2:3]
	v_cmp_gt_u64_e64 s[2:3], s[16:17], v[20:21]
	v_mov_b32_e32 v16, 0
	v_mov_b32_e32 v19, 0
	s_and_saveexec_b64 s[8:9], s[2:3]
	s_cbranch_execz .LBB301_10
; %bb.9:                                ;   in Loop: Header=BB301_4 Depth=1
	v_mov_b32_e32 v19, s27
	v_add_co_u32_e64 v20, s[6:7], s26, v4
	v_addc_co_u32_e64 v21, s[6:7], v5, v19, s[6:7]
	global_load_dword v19, v[20:21], off
.LBB301_10:                             ;   in Loop: Header=BB301_4 Depth=1
	s_or_b64 exec, exec, s[8:9]
	v_mov_b32_e32 v21, s19
	v_add_co_u32_e64 v20, s[6:7], s18, v1
	v_addc_co_u32_e64 v21, s[6:7], v10, v21, s[6:7]
	v_cmp_gt_u64_e64 s[6:7], s[16:17], v[20:21]
	s_and_saveexec_b64 s[20:21], s[6:7]
	s_cbranch_execnz .LBB301_15
; %bb.11:                               ;   in Loop: Header=BB301_4 Depth=1
	s_or_b64 exec, exec, s[20:21]
	s_and_saveexec_b64 s[8:9], vcc
	s_cbranch_execnz .LBB301_16
.LBB301_12:                             ;   in Loop: Header=BB301_4 Depth=1
	s_or_b64 exec, exec, s[8:9]
	s_and_saveexec_b64 s[8:9], s[0:1]
	s_cbranch_execnz .LBB301_17
.LBB301_13:                             ;   in Loop: Header=BB301_4 Depth=1
	s_or_b64 exec, exec, s[8:9]
	s_and_saveexec_b64 s[0:1], s[2:3]
	s_cbranch_execnz .LBB301_18
.LBB301_14:                             ;   in Loop: Header=BB301_4 Depth=1
	s_or_b64 exec, exec, s[0:1]
	s_and_saveexec_b64 s[0:1], s[6:7]
	s_cbranch_execz .LBB301_3
	s_branch .LBB301_19
.LBB301_15:                             ;   in Loop: Header=BB301_4 Depth=1
	v_mov_b32_e32 v16, s25
	v_add_co_u32_e64 v20, s[8:9], s24, v4
	v_addc_co_u32_e64 v21, s[8:9], v5, v16, s[8:9]
	global_load_dword v16, v[20:21], off
	s_or_b64 exec, exec, s[20:21]
	s_and_saveexec_b64 s[8:9], vcc
	s_cbranch_execz .LBB301_12
.LBB301_16:                             ;   in Loop: Header=BB301_4 Depth=1
	s_waitcnt vmcnt(0)
	v_mul_f32_e32 v20, 0x4b800000, v17
	v_cmp_gt_f32_e32 vcc, s28, v17
	v_cndmask_b32_e32 v17, v17, v20, vcc
	v_rsq_f32_e32 v17, v17
	v_mul_f32_e32 v20, 0x45800000, v17
	v_cndmask_b32_e32 v17, v17, v20, vcc
	global_store_dword v[4:5], v17, off
	s_or_b64 exec, exec, s[8:9]
	s_and_saveexec_b64 s[8:9], s[0:1]
	s_cbranch_execz .LBB301_13
.LBB301_17:                             ;   in Loop: Header=BB301_4 Depth=1
	s_waitcnt vmcnt(0)
	v_mul_f32_e32 v17, 0x4b800000, v18
	v_cmp_gt_f32_e32 vcc, s28, v18
	v_cndmask_b32_e32 v17, v18, v17, vcc
	v_rsq_f32_e32 v17, v17
	v_mul_f32_e32 v18, 0x45800000, v17
	v_cndmask_b32_e32 v17, v17, v18, vcc
	global_store_dword v[6:7], v17, off
	s_or_b64 exec, exec, s[8:9]
	s_and_saveexec_b64 s[0:1], s[2:3]
	s_cbranch_execz .LBB301_14
.LBB301_18:                             ;   in Loop: Header=BB301_4 Depth=1
	s_waitcnt vmcnt(0)
	v_mul_f32_e32 v17, 0x4b800000, v19
	v_cmp_gt_f32_e32 vcc, s28, v19
	v_cndmask_b32_e32 v17, v19, v17, vcc
	v_rsq_f32_e32 v17, v17
	v_mov_b32_e32 v19, s27
	v_mul_f32_e32 v18, 0x45800000, v17
	v_cndmask_b32_e32 v17, v17, v18, vcc
	v_add_co_u32_e32 v18, vcc, s26, v4
	v_addc_co_u32_e32 v19, vcc, v5, v19, vcc
	global_store_dword v[18:19], v17, off
	s_or_b64 exec, exec, s[0:1]
	s_and_saveexec_b64 s[0:1], s[6:7]
	s_cbranch_execz .LBB301_3
.LBB301_19:                             ;   in Loop: Header=BB301_4 Depth=1
	s_waitcnt vmcnt(0)
	v_mul_f32_e32 v17, 0x4b800000, v16
	v_cmp_gt_f32_e32 vcc, s28, v16
	v_cndmask_b32_e32 v16, v16, v17, vcc
	v_rsq_f32_e32 v16, v16
	v_mov_b32_e32 v17, s25
	v_mul_f32_e32 v18, 0x45800000, v16
	v_cndmask_b32_e32 v18, v16, v18, vcc
	v_add_co_u32_e32 v16, vcc, s24, v4
	v_addc_co_u32_e32 v17, vcc, v5, v17, vcc
	global_store_dword v[16:17], v18, off
	s_branch .LBB301_3
.LBB301_20:
	s_cbranch_execz .LBB301_22
	s_branch .LBB301_25
.LBB301_21:
.LBB301_22:
	v_mov_b32_e32 v3, 0
	v_lshlrev_b32_e32 v2, 2, v0
	s_mov_b32 s0, 0
	v_cmp_gt_i64_e32 vcc, s[10:11], v[2:3]
	s_and_saveexec_b64 s[2:3], vcc
	s_cbranch_execz .LBB301_25
; %bb.23:
	s_load_dword s1, s[4:5], 0xd3c
	v_lshlrev_b32_e32 v1, 4, v0
	s_mov_b64 s[6:7], 0
	s_mov_b32 s8, 0x45800000
	s_waitcnt lgkmcnt(0)
	s_and_b32 s1, s1, 0xffff
	s_add_u32 s2, s12, s14
	s_addc_u32 s3, s13, s15
	v_mov_b32_e32 v2, s3
	v_add_co_u32_e32 v1, vcc, s2, v1
	v_addc_co_u32_e32 v2, vcc, 0, v2, vcc
	v_add_co_u32_e32 v4, vcc, 8, v1
	v_addc_co_u32_e32 v5, vcc, 0, v2, vcc
	s_lshl_b32 s9, s1, 4
	v_add_lshl_u32 v2, v0, s1, 2
	s_lshl_b32 s14, s1, 2
	s_mov_b32 s15, 0x800000
	s_mov_b64 s[12:13], 0xffff
	v_mov_b32_e32 v0, s0
	v_mov_b32_e32 v1, s0
.LBB301_24:                             ; =>This Inner Loop Header: Depth=1
	global_load_dwordx4 v[6:9], v[4:5], off offset:-8
	v_cmp_le_i64_e32 vcc, s[10:11], v[2:3]
	v_cmp_lt_u64_e64 s[0:1], s[12:13], v[2:3]
	s_or_b64 s[16:17], vcc, s[0:1]
	s_and_b64 s[16:17], exec, s[16:17]
	s_or_b64 s[6:7], s[16:17], s[6:7]
	s_waitcnt vmcnt(0)
	v_mul_f32_e32 v10, 0x4b800000, v6
	v_mul_f32_e32 v11, 0x4b800000, v7
	v_mul_f32_e32 v12, 0x4b800000, v8
	v_mul_f32_e32 v13, 0x4b800000, v9
	v_cmp_gt_f32_e32 vcc, s15, v6
	v_cmp_gt_f32_e64 s[0:1], s15, v7
	v_cmp_gt_f32_e64 s[2:3], s15, v8
	;; [unrolled: 1-line block ×3, first 2 shown]
	v_cndmask_b32_e32 v6, v6, v10, vcc
	v_cndmask_b32_e64 v7, v7, v11, s[0:1]
	v_cndmask_b32_e64 v8, v8, v12, s[2:3]
	;; [unrolled: 1-line block ×3, first 2 shown]
	v_rsq_f32_e32 v6, v6
	v_rsq_f32_e32 v7, v7
	;; [unrolled: 1-line block ×4, first 2 shown]
	v_pk_mul_f32 v[10:11], v[6:7], s[8:9] op_sel_hi:[1,0]
	v_cndmask_b32_e64 v7, v7, v11, s[0:1]
	v_pk_mul_f32 v[12:13], v[8:9], s[8:9] op_sel_hi:[1,0]
	v_cndmask_b32_e32 v6, v6, v10, vcc
	v_cndmask_b32_e64 v9, v9, v13, s[4:5]
	v_cndmask_b32_e64 v8, v8, v12, s[2:3]
	global_store_dwordx4 v[4:5], v[6:9], off offset:-8
	v_add_co_u32_e32 v4, vcc, s9, v4
	v_addc_co_u32_e32 v5, vcc, v5, v0, vcc
	v_add_co_u32_e32 v2, vcc, s14, v2
	v_addc_co_u32_e32 v3, vcc, v3, v1, vcc
	s_andn2_b64 exec, exec, s[6:7]
	s_cbranch_execnz .LBB301_24
.LBB301_25:
	s_endpgm
	.section	.rodata,"a",@progbits
	.p2align	6, 0x0
	.amdhsa_kernel _ZN2at6native12_GLOBAL__N_125multi_tensor_apply_kernelINS1_18TensorListMetadataILi1EEENS1_14UnaryOpFunctorIfLi1ELi1ELi0EEEJNS0_5RsqrtIfEEEEEvT_T0_DpT1_
		.amdhsa_group_segment_fixed_size 0
		.amdhsa_private_segment_fixed_size 0
		.amdhsa_kernarg_size 3632
		.amdhsa_user_sgpr_count 6
		.amdhsa_user_sgpr_private_segment_buffer 1
		.amdhsa_user_sgpr_dispatch_ptr 0
		.amdhsa_user_sgpr_queue_ptr 0
		.amdhsa_user_sgpr_kernarg_segment_ptr 1
		.amdhsa_user_sgpr_dispatch_id 0
		.amdhsa_user_sgpr_flat_scratch_init 0
		.amdhsa_user_sgpr_kernarg_preload_length 0
		.amdhsa_user_sgpr_kernarg_preload_offset 0
		.amdhsa_user_sgpr_private_segment_size 0
		.amdhsa_uses_dynamic_stack 0
		.amdhsa_system_sgpr_private_segment_wavefront_offset 0
		.amdhsa_system_sgpr_workgroup_id_x 1
		.amdhsa_system_sgpr_workgroup_id_y 0
		.amdhsa_system_sgpr_workgroup_id_z 0
		.amdhsa_system_sgpr_workgroup_info 0
		.amdhsa_system_vgpr_workitem_id 0
		.amdhsa_next_free_vgpr 22
		.amdhsa_next_free_sgpr 29
		.amdhsa_accum_offset 24
		.amdhsa_reserve_vcc 1
		.amdhsa_reserve_flat_scratch 0
		.amdhsa_float_round_mode_32 0
		.amdhsa_float_round_mode_16_64 0
		.amdhsa_float_denorm_mode_32 3
		.amdhsa_float_denorm_mode_16_64 3
		.amdhsa_dx10_clamp 1
		.amdhsa_ieee_mode 1
		.amdhsa_fp16_overflow 0
		.amdhsa_tg_split 0
		.amdhsa_exception_fp_ieee_invalid_op 0
		.amdhsa_exception_fp_denorm_src 0
		.amdhsa_exception_fp_ieee_div_zero 0
		.amdhsa_exception_fp_ieee_overflow 0
		.amdhsa_exception_fp_ieee_underflow 0
		.amdhsa_exception_fp_ieee_inexact 0
		.amdhsa_exception_int_div_zero 0
	.end_amdhsa_kernel
	.section	.text._ZN2at6native12_GLOBAL__N_125multi_tensor_apply_kernelINS1_18TensorListMetadataILi1EEENS1_14UnaryOpFunctorIfLi1ELi1ELi0EEEJNS0_5RsqrtIfEEEEEvT_T0_DpT1_,"axG",@progbits,_ZN2at6native12_GLOBAL__N_125multi_tensor_apply_kernelINS1_18TensorListMetadataILi1EEENS1_14UnaryOpFunctorIfLi1ELi1ELi0EEEJNS0_5RsqrtIfEEEEEvT_T0_DpT1_,comdat
.Lfunc_end301:
	.size	_ZN2at6native12_GLOBAL__N_125multi_tensor_apply_kernelINS1_18TensorListMetadataILi1EEENS1_14UnaryOpFunctorIfLi1ELi1ELi0EEEJNS0_5RsqrtIfEEEEEvT_T0_DpT1_, .Lfunc_end301-_ZN2at6native12_GLOBAL__N_125multi_tensor_apply_kernelINS1_18TensorListMetadataILi1EEENS1_14UnaryOpFunctorIfLi1ELi1ELi0EEEJNS0_5RsqrtIfEEEEEvT_T0_DpT1_
                                        ; -- End function
	.section	.AMDGPU.csdata,"",@progbits
; Kernel info:
; codeLenInByte = 1280
; NumSgprs: 33
; NumVgprs: 22
; NumAgprs: 0
; TotalNumVgprs: 22
; ScratchSize: 0
; MemoryBound: 0
; FloatMode: 240
; IeeeMode: 1
; LDSByteSize: 0 bytes/workgroup (compile time only)
; SGPRBlocks: 4
; VGPRBlocks: 2
; NumSGPRsForWavesPerEU: 33
; NumVGPRsForWavesPerEU: 22
; AccumOffset: 24
; Occupancy: 8
; WaveLimiterHint : 0
; COMPUTE_PGM_RSRC2:SCRATCH_EN: 0
; COMPUTE_PGM_RSRC2:USER_SGPR: 6
; COMPUTE_PGM_RSRC2:TRAP_HANDLER: 0
; COMPUTE_PGM_RSRC2:TGID_X_EN: 1
; COMPUTE_PGM_RSRC2:TGID_Y_EN: 0
; COMPUTE_PGM_RSRC2:TGID_Z_EN: 0
; COMPUTE_PGM_RSRC2:TIDIG_COMP_CNT: 0
; COMPUTE_PGM_RSRC3_GFX90A:ACCUM_OFFSET: 5
; COMPUTE_PGM_RSRC3_GFX90A:TG_SPLIT: 0
	.section	.text._ZN2at6native12_GLOBAL__N_125multi_tensor_apply_kernelINS1_18TensorListMetadataILi1EEENS1_14UnaryOpFunctorIN3c107complexIdEELi1ELi1ELi0EEEJNS0_5RsqrtIS8_EEEEEvT_T0_DpT1_,"axG",@progbits,_ZN2at6native12_GLOBAL__N_125multi_tensor_apply_kernelINS1_18TensorListMetadataILi1EEENS1_14UnaryOpFunctorIN3c107complexIdEELi1ELi1ELi0EEEJNS0_5RsqrtIS8_EEEEEvT_T0_DpT1_,comdat
	.globl	_ZN2at6native12_GLOBAL__N_125multi_tensor_apply_kernelINS1_18TensorListMetadataILi1EEENS1_14UnaryOpFunctorIN3c107complexIdEELi1ELi1ELi0EEEJNS0_5RsqrtIS8_EEEEEvT_T0_DpT1_ ; -- Begin function _ZN2at6native12_GLOBAL__N_125multi_tensor_apply_kernelINS1_18TensorListMetadataILi1EEENS1_14UnaryOpFunctorIN3c107complexIdEELi1ELi1ELi0EEEJNS0_5RsqrtIS8_EEEEEvT_T0_DpT1_
	.p2align	8
	.type	_ZN2at6native12_GLOBAL__N_125multi_tensor_apply_kernelINS1_18TensorListMetadataILi1EEENS1_14UnaryOpFunctorIN3c107complexIdEELi1ELi1ELi0EEEJNS0_5RsqrtIS8_EEEEEvT_T0_DpT1_,@function
_ZN2at6native12_GLOBAL__N_125multi_tensor_apply_kernelINS1_18TensorListMetadataILi1EEENS1_14UnaryOpFunctorIN3c107complexIdEELi1ELi1ELi0EEEJNS0_5RsqrtIS8_EEEEEvT_T0_DpT1_: ; @_ZN2at6native12_GLOBAL__N_125multi_tensor_apply_kernelINS1_18TensorListMetadataILi1EEENS1_14UnaryOpFunctorIN3c107complexIdEELi1ELi1ELi0EEEJNS0_5RsqrtIS8_EEEEEvT_T0_DpT1_
; %bb.0:
	v_mov_b32_e32 v1, s6
	global_load_ubyte v1, v1, s[4:5] offset:1760
	s_add_u32 s0, s4, s6
	s_mul_hi_u32 s1, s6, 3
	s_mul_i32 s6, s6, 3
	s_addc_u32 s2, s5, 0
	s_add_u32 s0, s0, s6
	s_addc_u32 s1, s2, s1
	s_load_dword s0, s[0:1], 0x820
	s_mov_b32 s7, 0
	s_waitcnt vmcnt(0)
	v_readfirstlane_b32 s1, v1
	s_lshl_b32 s1, s1, 3
	s_load_dwordx2 s[16:17], s[4:5], s1 offset:0x0
	s_load_dwordx2 s[2:3], s[4:5], s1 offset:0x370
	s_waitcnt lgkmcnt(0)
	s_ashr_i32 s1, s0, 31
	s_lshl_b64 s[18:19], s[0:1], 20
	s_add_u32 s33, s16, s18
	s_addc_u32 s46, s17, s19
	s_lshl_b64 s[0:1], s[0:1], 16
	s_and_b32 s6, s33, 63
	s_sub_u32 s14, s2, s0
	s_subb_u32 s15, s3, s1
	s_and_b32 s0, s2, 3
	s_mov_b32 s1, s7
	s_or_b64 s[0:1], s[6:7], s[0:1]
	s_cmp_eq_u64 s[0:1], 0
	s_cbranch_scc1 .LBB302_173
; %bb.1:
	v_cmp_lt_i64_e64 s[0:1], s[14:15], 1
	s_and_b64 vcc, exec, s[0:1]
	s_cbranch_vccnz .LBB302_172
; %bb.2:
	s_load_dword s0, s[4:5], 0xd3c
	v_mov_b32_e32 v2, 0x10000
	v_mov_b32_e32 v3, 0
	v_cmp_lt_u64_e32 vcc, s[14:15], v[2:3]
	v_mov_b32_e32 v25, 0
	s_waitcnt lgkmcnt(0)
	s_and_b32 s2, s0, 0xffff
	s_and_b64 s[0:1], vcc, exec
	s_mul_i32 s6, s2, 3
	v_lshlrev_b32_e32 v24, 4, v0
	v_add_co_u32_e32 v29, vcc, s2, v0
	v_addc_co_u32_e64 v31, s[0:1], 0, 0, vcc
	v_mad_u64_u32 v[26:27], s[0:1], s2, 48, v[24:25]
	v_add_co_u32_e32 v25, vcc, s6, v0
	v_addc_co_u32_e64 v34, s[0:1], 0, 0, vcc
	s_cselect_b32 s21, s15, 0
	s_cselect_b32 s20, s14, 0x10000
	s_lshl_b32 s0, s2, 5
	s_lshl_b32 s3, s2, 1
	v_add_co_u32_e32 v2, vcc, s0, v24
	v_addc_co_u32_e64 v1, s[0:1], 0, 0, vcc
	v_add_co_u32_e32 v35, vcc, s3, v0
	s_mov_b32 s24, 0
	s_mov_b32 s26, 0x99fcef32
	;; [unrolled: 1-line block ×4, first 2 shown]
	s_lshl_b32 s47, s2, 2
	s_lshl_b32 s48, s2, 6
	v_or_b32_e32 v26, 8, v26
	v_lshlrev_b32_e32 v28, 4, v29
	v_or_b32_e32 v30, 8, v2
	v_addc_co_u32_e64 v36, s[0:1], 0, 0, vcc
	s_mov_b64 s[22:23], 0
	s_mov_b32 s25, 0x7ff00000
	s_mov_b32 s27, 0x7fda8279
	;; [unrolled: 1-line block ×3, first 2 shown]
	s_movk_i32 s49, 0x204
	s_brev_b32 s31, 8
	v_mov_b32_e32 v37, 0x260
	s_brev_b32 s50, -2
	v_mov_b32_e32 v38, 0x7ff80000
	v_mov_b32_e32 v39, 0x7ff00000
	;; [unrolled: 1-line block ×3, first 2 shown]
	s_branch .LBB302_4
.LBB302_3:                              ;   in Loop: Header=BB302_4 Depth=1
	s_or_b64 exec, exec, s[0:1]
	s_add_u32 s22, s22, s47
	s_addc_u32 s23, s23, 0
	v_pk_mov_b32 v[2:3], s[14:15], s[14:15] op_sel:[0,1]
	v_cmp_ge_i64_e32 vcc, s[22:23], v[2:3]
	v_mov_b32_e32 v2, 0xffff
	v_mov_b32_e32 v3, 0
	v_cmp_gt_u64_e64 s[0:1], s[22:23], v[2:3]
	s_or_b64 s[0:1], vcc, s[0:1]
	s_add_u32 s33, s33, s48
	s_addc_u32 s46, s46, 0
	s_and_b64 vcc, exec, s[0:1]
	s_cbranch_vccnz .LBB302_172
.LBB302_4:                              ; =>This Inner Loop Header: Depth=1
	v_mov_b32_e32 v3, s23
	v_add_co_u32_e32 v2, vcc, s22, v0
	v_addc_co_u32_e32 v3, vcc, 0, v3, vcc
	v_pk_mov_b32 v[18:19], 0, 0
	v_cmp_gt_u64_e64 s[0:1], s[20:21], v[2:3]
	v_pk_mov_b32 v[22:23], v[18:19], v[18:19] op_sel:[0,1]
	v_pk_mov_b32 v[20:21], v[18:19], v[18:19] op_sel:[0,1]
	s_and_saveexec_b64 s[2:3], s[0:1]
	s_cbranch_execz .LBB302_6
; %bb.5:                                ;   in Loop: Header=BB302_4 Depth=1
	v_mov_b32_e32 v3, s46
	v_add_co_u32_e32 v2, vcc, s33, v24
	v_addc_co_u32_e32 v3, vcc, 0, v3, vcc
	global_load_dwordx4 v[20:23], v[2:3], off
.LBB302_6:                              ;   in Loop: Header=BB302_4 Depth=1
	s_or_b64 exec, exec, s[2:3]
	v_mov_b32_e32 v3, s23
	v_add_co_u32_e32 v2, vcc, s22, v29
	v_addc_co_u32_e32 v3, vcc, v31, v3, vcc
	v_cmp_gt_u64_e64 s[2:3], s[20:21], v[2:3]
	v_pk_mov_b32 v[16:17], v[18:19], v[18:19] op_sel:[0,1]
	s_and_saveexec_b64 s[6:7], s[2:3]
	s_cbranch_execz .LBB302_8
; %bb.7:                                ;   in Loop: Header=BB302_4 Depth=1
	v_mov_b32_e32 v3, s46
	v_add_co_u32_e32 v2, vcc, s33, v28
	v_addc_co_u32_e32 v3, vcc, 0, v3, vcc
	global_load_dwordx4 v[16:19], v[2:3], off
.LBB302_8:                              ;   in Loop: Header=BB302_4 Depth=1
	s_or_b64 exec, exec, s[6:7]
	v_mov_b32_e32 v3, s23
	v_add_co_u32_e32 v2, vcc, s22, v35
	v_addc_co_u32_e32 v3, vcc, v36, v3, vcc
	v_pk_mov_b32 v[4:5], 0, 0
	v_cmp_gt_u64_e64 s[6:7], s[20:21], v[2:3]
	v_pk_mov_b32 v[12:13], v[4:5], v[4:5] op_sel:[0,1]
	v_pk_mov_b32 v[10:11], v[4:5], v[4:5] op_sel:[0,1]
	s_and_saveexec_b64 s[8:9], s[6:7]
	s_cbranch_execz .LBB302_10
; %bb.9:                                ;   in Loop: Header=BB302_4 Depth=1
	v_mov_b32_e32 v3, s46
	v_add_co_u32_e32 v2, vcc, s33, v30
	v_addc_co_u32_e32 v3, vcc, v3, v1, vcc
	global_load_dwordx4 v[10:13], v[2:3], off offset:-8
.LBB302_10:                             ;   in Loop: Header=BB302_4 Depth=1
	s_or_b64 exec, exec, s[8:9]
	v_mov_b32_e32 v3, s23
	v_add_co_u32_e32 v2, vcc, s22, v25
	v_addc_co_u32_e32 v3, vcc, v34, v3, vcc
	v_cmp_gt_u64_e64 s[8:9], s[20:21], v[2:3]
	v_pk_mov_b32 v[2:3], v[4:5], v[4:5] op_sel:[0,1]
	s_and_saveexec_b64 s[10:11], s[8:9]
	s_cbranch_execz .LBB302_12
; %bb.11:                               ;   in Loop: Header=BB302_4 Depth=1
	v_mov_b32_e32 v3, s46
	v_add_co_u32_e32 v2, vcc, s33, v26
	v_addc_co_u32_e32 v3, vcc, v3, v27, vcc
	global_load_dwordx4 v[2:5], v[2:3], off offset:-8
.LBB302_12:                             ;   in Loop: Header=BB302_4 Depth=1
	s_or_b64 exec, exec, s[10:11]
	s_waitcnt vmcnt(0)
	v_cmp_neq_f64_e32 vcc, 0, v[20:21]
	v_cmp_neq_f64_e64 s[10:11], 0, v[22:23]
	s_or_b64 s[10:11], vcc, s[10:11]
	v_pk_mov_b32 v[14:15], 0, 0
	s_and_saveexec_b64 s[34:35], s[10:11]
	s_cbranch_execz .LBB302_41
; %bb.13:                               ;   in Loop: Header=BB302_4 Depth=1
	v_cmp_neq_f64_e64 s[10:11], |v[22:23]|, s[24:25]
	v_pk_mov_b32 v[14:15], s[24:25], s[24:25] op_sel:[0,1]
	s_and_saveexec_b64 s[36:37], s[10:11]
	s_cbranch_execz .LBB302_40
; %bb.14:                               ;   in Loop: Header=BB302_4 Depth=1
	v_cmp_o_f64_e32 vcc, v[20:21], v[20:21]
	s_and_saveexec_b64 s[10:11], vcc
	s_xor_b64 s[38:39], exec, s[10:11]
	s_cbranch_execz .LBB302_37
; %bb.15:                               ;   in Loop: Header=BB302_4 Depth=1
	v_cmp_neq_f64_e64 s[10:11], |v[20:21]|, s[24:25]
	s_and_saveexec_b64 s[12:13], s[10:11]
	s_xor_b64 s[40:41], exec, s[12:13]
	s_cbranch_execz .LBB302_31
; %bb.16:                               ;   in Loop: Header=BB302_4 Depth=1
	v_max_f64 v[6:7], |v[20:21]|, |v[20:21]|
	v_max_f64 v[8:9], |v[22:23]|, |v[22:23]|
	v_max_f64 v[6:7], v[8:9], v[6:7]
	v_cmp_nle_f64_e64 s[10:11], s[26:27], v[6:7]
                                        ; implicit-def: $sgpr42_sgpr43
	s_and_saveexec_b64 s[12:13], s[10:11]
	s_xor_b64 s[12:13], exec, s[12:13]
	s_cbranch_execz .LBB302_20
; %bb.17:                               ;   in Loop: Header=BB302_4 Depth=1
	v_cmp_le_f64_e64 s[42:43], |v[20:21]|, s[28:29]
	v_cmp_le_f64_e64 s[44:45], |v[22:23]|, s[28:29]
	s_and_b64 s[52:53], s[44:45], s[42:43]
	s_mov_b64 s[42:43], 0
	s_and_saveexec_b64 s[44:45], s[52:53]
; %bb.18:                               ;   in Loop: Header=BB302_4 Depth=1
	s_mov_b64 s[42:43], exec
	v_mul_f64 v[20:21], v[20:21], 4.0
	v_mul_f64 v[22:23], v[22:23], 4.0
; %bb.19:                               ;   in Loop: Header=BB302_4 Depth=1
	s_or_b64 exec, exec, s[44:45]
	s_and_b64 s[42:43], s[42:43], exec
.LBB302_20:                             ;   in Loop: Header=BB302_4 Depth=1
	s_andn2_saveexec_b64 s[12:13], s[12:13]
; %bb.21:                               ;   in Loop: Header=BB302_4 Depth=1
	v_ldexp_f64 v[20:21], v[20:21], -2
	v_ldexp_f64 v[22:23], v[22:23], -2
	s_andn2_b64 s[42:43], s[42:43], exec
; %bb.22:                               ;   in Loop: Header=BB302_4 Depth=1
	s_or_b64 exec, exec, s[12:13]
	v_max_f64 v[6:7], |v[22:23]|, |v[22:23]|
	v_max_f64 v[8:9], |v[20:21]|, |v[20:21]|
	v_max_f64 v[6:7], v[8:9], v[6:7]
	v_frexp_exp_i32_f64_e32 v41, v[6:7]
	v_sub_u32_e32 v8, 0, v41
	v_ldexp_f64 v[6:7], |v[20:21]|, v8
	v_ldexp_f64 v[8:9], |v[22:23]|, v8
	v_mul_f64 v[8:9], v[8:9], v[8:9]
	v_fmac_f64_e32 v[8:9], v[6:7], v[6:7]
	v_rsq_f64_e32 v[6:7], v[8:9]
	v_cmp_eq_f64_e64 s[12:13], 0, v[8:9]
	v_cmp_class_f64_e64 s[44:45], v[22:23], s49
	v_cmp_le_f64_e32 vcc, 0, v[20:21]
	v_mul_f64 v[14:15], v[8:9], v[6:7]
	v_mul_f64 v[6:7], v[6:7], 0.5
	v_fma_f64 v[32:33], -v[6:7], v[14:15], 0.5
	v_fmac_f64_e32 v[14:15], v[14:15], v[32:33]
	v_fmac_f64_e32 v[6:7], v[6:7], v[32:33]
	v_fma_f64 v[32:33], -v[14:15], v[14:15], v[8:9]
	v_fmac_f64_e32 v[14:15], v[32:33], v[6:7]
	v_cndmask_b32_e64 v7, v15, v9, s[12:13]
	v_cndmask_b32_e64 v6, v14, v8, s[12:13]
	v_ldexp_f64 v[6:7], v[6:7], v41
	v_cmp_o_f64_e64 s[12:13], v[22:23], v[22:23]
	v_cndmask_b32_e64 v6, 0, v6, s[12:13]
	v_cndmask_b32_e64 v7, v38, v7, s[12:13]
	v_cmp_class_f64_e64 s[12:13], v[20:21], s49
	s_or_b64 s[12:13], s[44:45], s[12:13]
	v_cndmask_b32_e64 v15, v7, v39, s[12:13]
	v_cndmask_b32_e64 v14, v6, 0, s[12:13]
                                        ; implicit-def: $vgpr6_vgpr7
                                        ; implicit-def: $vgpr8_vgpr9
	s_and_saveexec_b64 s[12:13], vcc
	s_xor_b64 s[12:13], exec, s[12:13]
	s_cbranch_execz .LBB302_24
; %bb.23:                               ;   in Loop: Header=BB302_4 Depth=1
	v_add_f64 v[6:7], v[20:21], v[14:15]
	v_mul_f64 v[6:7], v[6:7], 0.5
	v_cmp_gt_f64_e32 vcc, s[30:31], v[6:7]
	v_cndmask_b32_e64 v8, 0, 1, vcc
	v_lshlrev_b32_e32 v8, 8, v8
	v_ldexp_f64 v[6:7], v[6:7], v8
	v_rsq_f64_e32 v[8:9], v[6:7]
	v_mul_f64 v[14:15], v[6:7], v[8:9]
	v_mul_f64 v[8:9], v[8:9], 0.5
	v_fma_f64 v[20:21], -v[8:9], v[14:15], 0.5
	v_fmac_f64_e32 v[14:15], v[14:15], v[20:21]
	v_fmac_f64_e32 v[8:9], v[8:9], v[20:21]
	v_fma_f64 v[20:21], -v[14:15], v[14:15], v[6:7]
	v_fmac_f64_e32 v[14:15], v[20:21], v[8:9]
	v_fma_f64 v[20:21], -v[14:15], v[14:15], v[6:7]
	v_fmac_f64_e32 v[14:15], v[20:21], v[8:9]
	v_cndmask_b32_e32 v8, 0, v40, vcc
	v_ldexp_f64 v[8:9], v[14:15], v8
	v_cmp_class_f64_e32 vcc, v[6:7], v37
	v_cndmask_b32_e32 v9, v9, v7, vcc
	v_cndmask_b32_e32 v8, v8, v6, vcc
	v_add_f64 v[6:7], v[8:9], v[8:9]
	v_div_scale_f64 v[14:15], s[44:45], v[6:7], v[6:7], v[22:23]
	v_rcp_f64_e32 v[20:21], v[14:15]
	v_fma_f64 v[32:33], -v[14:15], v[20:21], 1.0
	v_fmac_f64_e32 v[20:21], v[20:21], v[32:33]
	v_fma_f64 v[32:33], -v[14:15], v[20:21], 1.0
	v_fmac_f64_e32 v[20:21], v[20:21], v[32:33]
	v_div_scale_f64 v[32:33], vcc, v[22:23], v[6:7], v[22:23]
	v_mul_f64 v[42:43], v[32:33], v[20:21]
	v_fma_f64 v[14:15], -v[14:15], v[42:43], v[32:33]
	s_nop 1
	v_div_fmas_f64 v[14:15], v[14:15], v[20:21], v[42:43]
	v_div_fixup_f64 v[6:7], v[14:15], v[6:7], v[22:23]
                                        ; implicit-def: $vgpr14_vgpr15
                                        ; implicit-def: $vgpr20_vgpr21
	s_andn2_saveexec_b64 s[12:13], s[12:13]
	s_cbranch_execz .LBB302_26
	s_branch .LBB302_25
.LBB302_24:                             ;   in Loop: Header=BB302_4 Depth=1
	s_andn2_saveexec_b64 s[12:13], s[12:13]
	s_cbranch_execz .LBB302_26
.LBB302_25:                             ;   in Loop: Header=BB302_4 Depth=1
	v_add_f64 v[6:7], v[14:15], -v[20:21]
	v_mul_f64 v[6:7], v[6:7], 0.5
	v_cmp_gt_f64_e32 vcc, s[30:31], v[6:7]
	v_cndmask_b32_e64 v8, 0, 1, vcc
	v_lshlrev_b32_e32 v8, 8, v8
	v_ldexp_f64 v[6:7], v[6:7], v8
	v_rsq_f64_e32 v[8:9], v[6:7]
	v_mul_f64 v[14:15], v[6:7], v[8:9]
	v_mul_f64 v[8:9], v[8:9], 0.5
	v_fma_f64 v[20:21], -v[8:9], v[14:15], 0.5
	v_fmac_f64_e32 v[14:15], v[14:15], v[20:21]
	v_fmac_f64_e32 v[8:9], v[8:9], v[20:21]
	v_fma_f64 v[20:21], -v[14:15], v[14:15], v[6:7]
	v_fmac_f64_e32 v[14:15], v[20:21], v[8:9]
	v_fma_f64 v[20:21], -v[14:15], v[14:15], v[6:7]
	v_fmac_f64_e32 v[14:15], v[20:21], v[8:9]
	v_cndmask_b32_e32 v8, 0, v40, vcc
	v_ldexp_f64 v[8:9], v[14:15], v8
	v_cmp_class_f64_e32 vcc, v[6:7], v37
	v_cndmask_b32_e32 v7, v9, v7, vcc
	v_cndmask_b32_e32 v6, v8, v6, vcc
	v_add_f64 v[8:9], v[6:7], v[6:7]
	v_and_b32_e32 v15, 0x7fffffff, v23
	v_mov_b32_e32 v14, v22
	v_div_scale_f64 v[20:21], s[44:45], v[8:9], v[8:9], v[14:15]
	v_rcp_f64_e32 v[32:33], v[20:21]
	v_div_scale_f64 v[14:15], vcc, v[14:15], v[8:9], v[14:15]
	v_bfi_b32 v7, s50, v7, v23
	v_fma_f64 v[42:43], -v[20:21], v[32:33], 1.0
	v_fmac_f64_e32 v[32:33], v[32:33], v[42:43]
	v_fma_f64 v[42:43], -v[20:21], v[32:33], 1.0
	v_fmac_f64_e32 v[32:33], v[32:33], v[42:43]
	v_mul_f64 v[42:43], v[14:15], v[32:33]
	v_fma_f64 v[14:15], -v[20:21], v[42:43], v[14:15]
	v_div_fmas_f64 v[14:15], v[14:15], v[32:33], v[42:43]
	v_div_fixup_f64 v[8:9], v[14:15], v[8:9], |v[22:23]|
.LBB302_26:                             ;   in Loop: Header=BB302_4 Depth=1
	s_or_b64 exec, exec, s[12:13]
                                        ; implicit-def: $vgpr22_vgpr23
	s_and_saveexec_b64 s[12:13], s[10:11]
	s_xor_b64 s[10:11], exec, s[12:13]
	s_cbranch_execz .LBB302_28
; %bb.27:                               ;   in Loop: Header=BB302_4 Depth=1
	v_mul_f64 v[14:15], v[8:9], 0.5
	v_mul_f64 v[22:23], v[6:7], 0.5
	v_cndmask_b32_e64 v21, v9, v15, s[42:43]
	v_cndmask_b32_e64 v20, v8, v14, s[42:43]
	v_cndmask_b32_e64 v23, v7, v23, s[42:43]
	v_cndmask_b32_e64 v22, v6, v22, s[42:43]
                                        ; implicit-def: $vgpr8_vgpr9
                                        ; implicit-def: $vgpr6_vgpr7
	s_andn2_saveexec_b64 s[10:11], s[10:11]
	s_cbranch_execnz .LBB302_29
	s_branch .LBB302_30
.LBB302_28:                             ;   in Loop: Header=BB302_4 Depth=1
	s_andn2_saveexec_b64 s[10:11], s[10:11]
.LBB302_29:                             ;   in Loop: Header=BB302_4 Depth=1
	v_add_f64 v[20:21], v[8:9], v[8:9]
	v_add_f64 v[22:23], v[6:7], v[6:7]
.LBB302_30:                             ;   in Loop: Header=BB302_4 Depth=1
	s_or_b64 exec, exec, s[10:11]
.LBB302_31:                             ;   in Loop: Header=BB302_4 Depth=1
	s_andn2_saveexec_b64 s[10:11], s[40:41]
	s_cbranch_execz .LBB302_61
; %bb.32:                               ;   in Loop: Header=BB302_4 Depth=1
	v_cmp_lt_i64_e32 vcc, -1, v[20:21]
	v_add_f64 v[6:7], v[22:23], -v[22:23]
	s_and_saveexec_b64 s[12:13], vcc
	s_xor_b64 s[12:13], exec, s[12:13]
; %bb.33:                               ;   in Loop: Header=BB302_4 Depth=1
	v_bfi_b32 v7, s50, v7, v23
	v_pk_mov_b32 v[22:23], v[6:7], v[6:7] op_sel:[0,1]
                                        ; implicit-def: $vgpr6_vgpr7
; %bb.34:                               ;   in Loop: Header=BB302_4 Depth=1
	s_andn2_saveexec_b64 s[12:13], s[12:13]
; %bb.35:                               ;   in Loop: Header=BB302_4 Depth=1
	v_and_b32_e32 v7, 0x7fffffff, v7
	v_bfi_b32 v21, s50, v21, v23
	v_pk_mov_b32 v[22:23], v[20:21], v[20:21] op_sel:[0,1]
	v_pk_mov_b32 v[20:21], v[6:7], v[6:7] op_sel:[0,1]
; %bb.36:                               ;   in Loop: Header=BB302_4 Depth=1
	s_or_b64 exec, exec, s[12:13]
	s_or_b64 exec, exec, s[10:11]
.LBB302_37:                             ;   in Loop: Header=BB302_4 Depth=1
	s_andn2_saveexec_b64 s[10:11], s[38:39]
.LBB302_38:                             ;   in Loop: Header=BB302_4 Depth=1
	v_add_f64 v[6:7], v[22:23], -v[22:23]
	v_div_scale_f64 v[8:9], vcc, v[6:7], v[6:7], v[6:7]
	v_rcp_f64_e32 v[14:15], v[8:9]
	v_fma_f64 v[22:23], -v[8:9], v[14:15], 1.0
	v_fmac_f64_e32 v[14:15], v[14:15], v[22:23]
	v_fma_f64 v[22:23], -v[8:9], v[14:15], 1.0
	v_fmac_f64_e32 v[14:15], v[14:15], v[22:23]
	v_mul_f64 v[22:23], v[8:9], v[14:15]
	v_fma_f64 v[8:9], -v[8:9], v[22:23], v[8:9]
	v_div_fmas_f64 v[8:9], v[8:9], v[14:15], v[22:23]
	v_div_fixup_f64 v[22:23], v[8:9], v[6:7], v[6:7]
.LBB302_39:                             ;   in Loop: Header=BB302_4 Depth=1
	s_or_b64 exec, exec, s[10:11]
	v_pk_mov_b32 v[14:15], v[20:21], v[20:21] op_sel:[0,1]
.LBB302_40:                             ;   in Loop: Header=BB302_4 Depth=1
	s_or_b64 exec, exec, s[36:37]
.LBB302_41:                             ;   in Loop: Header=BB302_4 Depth=1
	s_or_b64 exec, exec, s[34:35]
	v_xor_b32_e32 v6, 0x80000000, v15
	v_cmp_gt_f64_e32 vcc, 0, v[14:15]
	v_cndmask_b32_e32 v33, v15, v6, vcc
	v_cndmask_b32_e32 v32, v14, v14, vcc
	v_xor_b32_e32 v6, 0x80000000, v23
	v_cmp_gt_f64_e32 vcc, 0, v[22:23]
	v_cndmask_b32_e32 v21, v23, v6, vcc
	v_cndmask_b32_e32 v20, v22, v22, vcc
	v_cmp_ge_f64_e32 vcc, v[32:33], v[20:21]
                                        ; implicit-def: $vgpr8_vgpr9
	s_and_saveexec_b64 s[10:11], vcc
	s_xor_b64 s[12:13], exec, s[10:11]
	s_cbranch_execz .LBB302_47
; %bb.42:                               ;   in Loop: Header=BB302_4 Depth=1
	v_cmp_neq_f64_e32 vcc, 0, v[14:15]
	v_cmp_neq_f64_e64 s[10:11], 0, v[22:23]
	s_or_b64 s[10:11], vcc, s[10:11]
                                        ; implicit-def: $vgpr8_vgpr9
	s_and_saveexec_b64 s[34:35], s[10:11]
	s_xor_b64 s[10:11], exec, s[34:35]
	s_cbranch_execz .LBB302_44
; %bb.43:                               ;   in Loop: Header=BB302_4 Depth=1
	v_div_scale_f64 v[6:7], s[34:35], v[14:15], v[14:15], v[22:23]
	v_rcp_f64_e32 v[8:9], v[6:7]
	v_div_scale_f64 v[20:21], vcc, v[22:23], v[14:15], v[22:23]
	v_fma_f64 v[32:33], -v[6:7], v[8:9], 1.0
	v_fmac_f64_e32 v[8:9], v[8:9], v[32:33]
	v_fma_f64 v[32:33], -v[6:7], v[8:9], 1.0
	v_fmac_f64_e32 v[8:9], v[8:9], v[32:33]
	v_mul_f64 v[32:33], v[20:21], v[8:9]
	v_fma_f64 v[6:7], -v[6:7], v[32:33], v[20:21]
	v_div_fmas_f64 v[6:7], v[6:7], v[8:9], v[32:33]
	v_div_fixup_f64 v[8:9], v[6:7], v[14:15], v[22:23]
	v_fmac_f64_e32 v[14:15], v[22:23], v[8:9]
	v_div_scale_f64 v[6:7], s[34:35], v[14:15], v[14:15], 1.0
	v_rcp_f64_e32 v[20:21], v[6:7]
	v_fma_f64 v[22:23], -v[6:7], v[20:21], 1.0
	v_fmac_f64_e32 v[20:21], v[20:21], v[22:23]
	v_fma_f64 v[22:23], -v[6:7], v[20:21], 1.0
	v_fmac_f64_e32 v[20:21], v[20:21], v[22:23]
	v_div_scale_f64 v[22:23], vcc, 1.0, v[14:15], 1.0
	v_mul_f64 v[32:33], v[22:23], v[20:21]
	v_fma_f64 v[6:7], -v[6:7], v[32:33], v[22:23]
	s_nop 1
	v_div_fmas_f64 v[6:7], v[6:7], v[20:21], v[32:33]
	v_div_fixup_f64 v[14:15], v[6:7], v[14:15], 1.0
	v_fma_f64 v[6:7], v[8:9], 0, 1.0
	v_add_f64 v[8:9], -v[8:9], 0
	v_mul_f64 v[6:7], v[6:7], v[14:15]
	v_mul_f64 v[8:9], v[8:9], v[14:15]
                                        ; implicit-def: $vgpr32_vgpr33
                                        ; implicit-def: $vgpr20_vgpr21
.LBB302_44:                             ;   in Loop: Header=BB302_4 Depth=1
	s_andn2_saveexec_b64 s[10:11], s[10:11]
	s_cbranch_execz .LBB302_46
; %bb.45:                               ;   in Loop: Header=BB302_4 Depth=1
	v_div_scale_f64 v[6:7], s[34:35], v[32:33], v[32:33], 1.0
	v_rcp_f64_e32 v[8:9], v[6:7]
	v_div_scale_f64 v[14:15], vcc, 1.0, v[32:33], 1.0
	v_fma_f64 v[22:23], -v[6:7], v[8:9], 1.0
	v_fmac_f64_e32 v[8:9], v[8:9], v[22:23]
	v_fma_f64 v[22:23], -v[6:7], v[8:9], 1.0
	v_fmac_f64_e32 v[8:9], v[8:9], v[22:23]
	v_mul_f64 v[22:23], v[14:15], v[8:9]
	v_fma_f64 v[6:7], -v[6:7], v[22:23], v[14:15]
	v_div_scale_f64 v[14:15], s[34:35], v[20:21], v[20:21], 0
	v_rcp_f64_e32 v[42:43], v[14:15]
	v_div_fmas_f64 v[6:7], v[6:7], v[8:9], v[22:23]
	v_div_fixup_f64 v[6:7], v[6:7], v[32:33], 1.0
	v_fma_f64 v[8:9], -v[14:15], v[42:43], 1.0
	v_fmac_f64_e32 v[42:43], v[42:43], v[8:9]
	v_fma_f64 v[8:9], -v[14:15], v[42:43], 1.0
	v_fmac_f64_e32 v[42:43], v[42:43], v[8:9]
	v_div_scale_f64 v[8:9], vcc, 0, v[20:21], 0
	v_mul_f64 v[22:23], v[8:9], v[42:43]
	v_fma_f64 v[8:9], -v[14:15], v[22:23], v[8:9]
	s_nop 1
	v_div_fmas_f64 v[8:9], v[8:9], v[42:43], v[22:23]
	v_div_fixup_f64 v[8:9], v[8:9], v[20:21], 0
.LBB302_46:                             ;   in Loop: Header=BB302_4 Depth=1
	s_or_b64 exec, exec, s[10:11]
                                        ; implicit-def: $vgpr22_vgpr23
                                        ; implicit-def: $vgpr14_vgpr15
.LBB302_47:                             ;   in Loop: Header=BB302_4 Depth=1
	s_andn2_saveexec_b64 s[10:11], s[12:13]
	s_cbranch_execz .LBB302_49
; %bb.48:                               ;   in Loop: Header=BB302_4 Depth=1
	v_div_scale_f64 v[6:7], s[12:13], v[22:23], v[22:23], v[14:15]
	v_rcp_f64_e32 v[8:9], v[6:7]
	v_div_scale_f64 v[20:21], vcc, v[14:15], v[22:23], v[14:15]
	v_fma_f64 v[32:33], -v[6:7], v[8:9], 1.0
	v_fmac_f64_e32 v[8:9], v[8:9], v[32:33]
	v_fma_f64 v[32:33], -v[6:7], v[8:9], 1.0
	v_fmac_f64_e32 v[8:9], v[8:9], v[32:33]
	v_mul_f64 v[32:33], v[20:21], v[8:9]
	v_fma_f64 v[6:7], -v[6:7], v[32:33], v[20:21]
	v_div_fmas_f64 v[6:7], v[6:7], v[8:9], v[32:33]
	v_div_fixup_f64 v[8:9], v[6:7], v[22:23], v[14:15]
	v_fmac_f64_e32 v[22:23], v[14:15], v[8:9]
	v_div_scale_f64 v[6:7], s[12:13], v[22:23], v[22:23], 1.0
	v_rcp_f64_e32 v[14:15], v[6:7]
	v_fma_f64 v[20:21], -v[6:7], v[14:15], 1.0
	v_fmac_f64_e32 v[14:15], v[14:15], v[20:21]
	v_fma_f64 v[20:21], -v[6:7], v[14:15], 1.0
	v_fmac_f64_e32 v[14:15], v[14:15], v[20:21]
	v_div_scale_f64 v[20:21], vcc, 1.0, v[22:23], 1.0
	v_mul_f64 v[32:33], v[20:21], v[14:15]
	v_fma_f64 v[6:7], -v[6:7], v[32:33], v[20:21]
	s_nop 1
	v_div_fmas_f64 v[6:7], v[6:7], v[14:15], v[32:33]
	v_div_fixup_f64 v[14:15], v[6:7], v[22:23], 1.0
	v_add_f64 v[6:7], v[8:9], 0
	v_fma_f64 v[8:9], v[8:9], 0, -1.0
	v_mul_f64 v[6:7], v[6:7], v[14:15]
	v_mul_f64 v[8:9], v[8:9], v[14:15]
.LBB302_49:                             ;   in Loop: Header=BB302_4 Depth=1
	s_or_b64 exec, exec, s[10:11]
	v_cmp_neq_f64_e32 vcc, 0, v[16:17]
	v_cmp_neq_f64_e64 s[10:11], 0, v[18:19]
	s_or_b64 s[10:11], vcc, s[10:11]
	v_pk_mov_b32 v[20:21], 0, 0
	s_and_saveexec_b64 s[34:35], s[10:11]
	s_cbranch_execz .LBB302_80
; %bb.50:                               ;   in Loop: Header=BB302_4 Depth=1
	v_cmp_neq_f64_e64 s[10:11], |v[18:19]|, s[24:25]
	v_pk_mov_b32 v[20:21], s[24:25], s[24:25] op_sel:[0,1]
	s_and_saveexec_b64 s[36:37], s[10:11]
	s_cbranch_execz .LBB302_79
; %bb.51:                               ;   in Loop: Header=BB302_4 Depth=1
	v_cmp_o_f64_e32 vcc, v[16:17], v[16:17]
	s_and_saveexec_b64 s[10:11], vcc
	s_xor_b64 s[38:39], exec, s[10:11]
	s_cbranch_execz .LBB302_76
; %bb.52:                               ;   in Loop: Header=BB302_4 Depth=1
	v_cmp_neq_f64_e64 s[10:11], |v[16:17]|, s[24:25]
	s_and_saveexec_b64 s[12:13], s[10:11]
	s_xor_b64 s[40:41], exec, s[12:13]
	s_cbranch_execz .LBB302_69
; %bb.53:                               ;   in Loop: Header=BB302_4 Depth=1
	v_max_f64 v[14:15], |v[16:17]|, |v[16:17]|
	v_max_f64 v[20:21], |v[18:19]|, |v[18:19]|
	v_max_f64 v[14:15], v[20:21], v[14:15]
	v_cmp_nle_f64_e64 s[10:11], s[26:27], v[14:15]
                                        ; implicit-def: $sgpr42_sgpr43
	s_and_saveexec_b64 s[12:13], s[10:11]
	s_xor_b64 s[12:13], exec, s[12:13]
	s_cbranch_execz .LBB302_57
; %bb.54:                               ;   in Loop: Header=BB302_4 Depth=1
	v_cmp_le_f64_e64 s[42:43], |v[16:17]|, s[28:29]
	v_cmp_le_f64_e64 s[44:45], |v[18:19]|, s[28:29]
	s_and_b64 s[52:53], s[44:45], s[42:43]
	s_mov_b64 s[42:43], 0
	s_and_saveexec_b64 s[44:45], s[52:53]
; %bb.55:                               ;   in Loop: Header=BB302_4 Depth=1
	s_mov_b64 s[42:43], exec
	v_mul_f64 v[16:17], v[16:17], 4.0
	v_mul_f64 v[18:19], v[18:19], 4.0
; %bb.56:                               ;   in Loop: Header=BB302_4 Depth=1
	s_or_b64 exec, exec, s[44:45]
	s_and_b64 s[42:43], s[42:43], exec
.LBB302_57:                             ;   in Loop: Header=BB302_4 Depth=1
	s_andn2_saveexec_b64 s[12:13], s[12:13]
; %bb.58:                               ;   in Loop: Header=BB302_4 Depth=1
	v_ldexp_f64 v[16:17], v[16:17], -2
	v_ldexp_f64 v[18:19], v[18:19], -2
	s_andn2_b64 s[42:43], s[42:43], exec
; %bb.59:                               ;   in Loop: Header=BB302_4 Depth=1
	s_or_b64 exec, exec, s[12:13]
	v_max_f64 v[14:15], |v[18:19]|, |v[18:19]|
	v_max_f64 v[20:21], |v[16:17]|, |v[16:17]|
	v_max_f64 v[14:15], v[20:21], v[14:15]
	v_frexp_exp_i32_f64_e32 v41, v[14:15]
	v_sub_u32_e32 v20, 0, v41
	v_ldexp_f64 v[14:15], |v[16:17]|, v20
	v_ldexp_f64 v[20:21], |v[18:19]|, v20
	v_mul_f64 v[20:21], v[20:21], v[20:21]
	v_fmac_f64_e32 v[20:21], v[14:15], v[14:15]
	v_rsq_f64_e32 v[14:15], v[20:21]
	v_cmp_eq_f64_e64 s[12:13], 0, v[20:21]
	v_cmp_class_f64_e64 s[44:45], v[18:19], s49
	v_cmp_le_f64_e32 vcc, 0, v[16:17]
	v_mul_f64 v[22:23], v[20:21], v[14:15]
	v_mul_f64 v[14:15], v[14:15], 0.5
	v_fma_f64 v[32:33], -v[14:15], v[22:23], 0.5
	v_fmac_f64_e32 v[22:23], v[22:23], v[32:33]
	v_fmac_f64_e32 v[14:15], v[14:15], v[32:33]
	v_fma_f64 v[32:33], -v[22:23], v[22:23], v[20:21]
	v_fmac_f64_e32 v[22:23], v[32:33], v[14:15]
	v_cndmask_b32_e64 v15, v23, v21, s[12:13]
	v_cndmask_b32_e64 v14, v22, v20, s[12:13]
	v_ldexp_f64 v[14:15], v[14:15], v41
	v_cmp_o_f64_e64 s[12:13], v[18:19], v[18:19]
	v_cndmask_b32_e64 v14, 0, v14, s[12:13]
	v_cndmask_b32_e64 v15, v38, v15, s[12:13]
	v_cmp_class_f64_e64 s[12:13], v[16:17], s49
	s_or_b64 s[12:13], s[44:45], s[12:13]
	v_cndmask_b32_e64 v23, v15, v39, s[12:13]
	v_cndmask_b32_e64 v22, v14, 0, s[12:13]
                                        ; implicit-def: $vgpr14_vgpr15
                                        ; implicit-def: $vgpr20_vgpr21
	s_and_saveexec_b64 s[12:13], vcc
	s_xor_b64 s[12:13], exec, s[12:13]
	s_cbranch_execz .LBB302_62
; %bb.60:                               ;   in Loop: Header=BB302_4 Depth=1
	v_add_f64 v[14:15], v[16:17], v[22:23]
	v_mul_f64 v[14:15], v[14:15], 0.5
	v_cmp_gt_f64_e32 vcc, s[30:31], v[14:15]
	v_cndmask_b32_e64 v16, 0, 1, vcc
	v_lshlrev_b32_e32 v16, 8, v16
	v_ldexp_f64 v[14:15], v[14:15], v16
	v_rsq_f64_e32 v[16:17], v[14:15]
	v_mul_f64 v[20:21], v[14:15], v[16:17]
	v_mul_f64 v[16:17], v[16:17], 0.5
	v_fma_f64 v[22:23], -v[16:17], v[20:21], 0.5
	v_fmac_f64_e32 v[20:21], v[20:21], v[22:23]
	v_fmac_f64_e32 v[16:17], v[16:17], v[22:23]
	v_fma_f64 v[22:23], -v[20:21], v[20:21], v[14:15]
	v_fmac_f64_e32 v[20:21], v[22:23], v[16:17]
	v_fma_f64 v[22:23], -v[20:21], v[20:21], v[14:15]
	v_fmac_f64_e32 v[20:21], v[22:23], v[16:17]
	v_cndmask_b32_e32 v16, 0, v40, vcc
	v_ldexp_f64 v[16:17], v[20:21], v16
	v_cmp_class_f64_e32 vcc, v[14:15], v37
	v_cndmask_b32_e32 v21, v17, v15, vcc
	v_cndmask_b32_e32 v20, v16, v14, vcc
	v_add_f64 v[14:15], v[20:21], v[20:21]
	v_div_scale_f64 v[16:17], s[44:45], v[14:15], v[14:15], v[18:19]
	v_rcp_f64_e32 v[22:23], v[16:17]
	v_fma_f64 v[32:33], -v[16:17], v[22:23], 1.0
	v_fmac_f64_e32 v[22:23], v[22:23], v[32:33]
	v_fma_f64 v[32:33], -v[16:17], v[22:23], 1.0
	v_fmac_f64_e32 v[22:23], v[22:23], v[32:33]
	v_div_scale_f64 v[32:33], vcc, v[18:19], v[14:15], v[18:19]
	v_mul_f64 v[42:43], v[32:33], v[22:23]
	v_fma_f64 v[16:17], -v[16:17], v[42:43], v[32:33]
	s_nop 1
	v_div_fmas_f64 v[16:17], v[16:17], v[22:23], v[42:43]
	v_div_fixup_f64 v[14:15], v[16:17], v[14:15], v[18:19]
                                        ; implicit-def: $vgpr22_vgpr23
                                        ; implicit-def: $vgpr16_vgpr17
	s_andn2_saveexec_b64 s[12:13], s[12:13]
	s_cbranch_execz .LBB302_64
	s_branch .LBB302_63
.LBB302_61:                             ;   in Loop: Header=BB302_4 Depth=1
	s_or_b64 exec, exec, s[10:11]
	s_andn2_saveexec_b64 s[10:11], s[38:39]
	s_cbranch_execnz .LBB302_38
	s_branch .LBB302_39
.LBB302_62:                             ;   in Loop: Header=BB302_4 Depth=1
	s_andn2_saveexec_b64 s[12:13], s[12:13]
	s_cbranch_execz .LBB302_64
.LBB302_63:                             ;   in Loop: Header=BB302_4 Depth=1
	v_add_f64 v[14:15], v[22:23], -v[16:17]
	v_mul_f64 v[14:15], v[14:15], 0.5
	v_cmp_gt_f64_e32 vcc, s[30:31], v[14:15]
	v_cndmask_b32_e64 v16, 0, 1, vcc
	v_lshlrev_b32_e32 v16, 8, v16
	v_ldexp_f64 v[14:15], v[14:15], v16
	v_rsq_f64_e32 v[16:17], v[14:15]
	v_mul_f64 v[20:21], v[14:15], v[16:17]
	v_mul_f64 v[16:17], v[16:17], 0.5
	v_fma_f64 v[22:23], -v[16:17], v[20:21], 0.5
	v_fmac_f64_e32 v[20:21], v[20:21], v[22:23]
	v_fmac_f64_e32 v[16:17], v[16:17], v[22:23]
	v_fma_f64 v[22:23], -v[20:21], v[20:21], v[14:15]
	v_fmac_f64_e32 v[20:21], v[22:23], v[16:17]
	v_fma_f64 v[22:23], -v[20:21], v[20:21], v[14:15]
	v_fmac_f64_e32 v[20:21], v[22:23], v[16:17]
	v_cndmask_b32_e32 v16, 0, v40, vcc
	v_ldexp_f64 v[16:17], v[20:21], v16
	v_cmp_class_f64_e32 vcc, v[14:15], v37
	v_cndmask_b32_e32 v15, v17, v15, vcc
	v_cndmask_b32_e32 v14, v16, v14, vcc
	v_add_f64 v[16:17], v[14:15], v[14:15]
	v_and_b32_e32 v21, 0x7fffffff, v19
	v_mov_b32_e32 v20, v18
	v_div_scale_f64 v[22:23], s[44:45], v[16:17], v[16:17], v[20:21]
	v_rcp_f64_e32 v[32:33], v[22:23]
	v_div_scale_f64 v[20:21], vcc, v[20:21], v[16:17], v[20:21]
	v_bfi_b32 v15, s50, v15, v19
	v_fma_f64 v[42:43], -v[22:23], v[32:33], 1.0
	v_fmac_f64_e32 v[32:33], v[32:33], v[42:43]
	v_fma_f64 v[42:43], -v[22:23], v[32:33], 1.0
	v_fmac_f64_e32 v[32:33], v[32:33], v[42:43]
	v_mul_f64 v[42:43], v[20:21], v[32:33]
	v_fma_f64 v[20:21], -v[22:23], v[42:43], v[20:21]
	v_div_fmas_f64 v[20:21], v[20:21], v[32:33], v[42:43]
	v_div_fixup_f64 v[20:21], v[20:21], v[16:17], |v[18:19]|
.LBB302_64:                             ;   in Loop: Header=BB302_4 Depth=1
	s_or_b64 exec, exec, s[12:13]
                                        ; implicit-def: $vgpr18_vgpr19
	s_and_saveexec_b64 s[12:13], s[10:11]
	s_xor_b64 s[10:11], exec, s[12:13]
	s_cbranch_execz .LBB302_66
; %bb.65:                               ;   in Loop: Header=BB302_4 Depth=1
	v_mul_f64 v[16:17], v[20:21], 0.5
	v_mul_f64 v[18:19], v[14:15], 0.5
	v_cndmask_b32_e64 v17, v21, v17, s[42:43]
	v_cndmask_b32_e64 v16, v20, v16, s[42:43]
	v_cndmask_b32_e64 v19, v15, v19, s[42:43]
	v_cndmask_b32_e64 v18, v14, v18, s[42:43]
                                        ; implicit-def: $vgpr20_vgpr21
                                        ; implicit-def: $vgpr14_vgpr15
	s_andn2_saveexec_b64 s[10:11], s[10:11]
	s_cbranch_execnz .LBB302_67
	s_branch .LBB302_68
.LBB302_66:                             ;   in Loop: Header=BB302_4 Depth=1
	s_andn2_saveexec_b64 s[10:11], s[10:11]
.LBB302_67:                             ;   in Loop: Header=BB302_4 Depth=1
	v_add_f64 v[16:17], v[20:21], v[20:21]
	v_add_f64 v[18:19], v[14:15], v[14:15]
.LBB302_68:                             ;   in Loop: Header=BB302_4 Depth=1
	s_or_b64 exec, exec, s[10:11]
.LBB302_69:                             ;   in Loop: Header=BB302_4 Depth=1
	s_andn2_saveexec_b64 s[10:11], s[40:41]
	s_cbranch_execz .LBB302_75
; %bb.70:                               ;   in Loop: Header=BB302_4 Depth=1
	v_cmp_lt_i64_e32 vcc, -1, v[16:17]
	v_add_f64 v[14:15], v[18:19], -v[18:19]
	s_and_saveexec_b64 s[12:13], vcc
	s_xor_b64 s[12:13], exec, s[12:13]
; %bb.71:                               ;   in Loop: Header=BB302_4 Depth=1
	v_bfi_b32 v15, s50, v15, v19
	v_pk_mov_b32 v[18:19], v[14:15], v[14:15] op_sel:[0,1]
                                        ; implicit-def: $vgpr14_vgpr15
; %bb.72:                               ;   in Loop: Header=BB302_4 Depth=1
	s_andn2_saveexec_b64 s[12:13], s[12:13]
; %bb.73:                               ;   in Loop: Header=BB302_4 Depth=1
	v_and_b32_e32 v15, 0x7fffffff, v15
	v_bfi_b32 v17, s50, v17, v19
	v_pk_mov_b32 v[18:19], v[16:17], v[16:17] op_sel:[0,1]
	v_pk_mov_b32 v[16:17], v[14:15], v[14:15] op_sel:[0,1]
; %bb.74:                               ;   in Loop: Header=BB302_4 Depth=1
	s_or_b64 exec, exec, s[12:13]
.LBB302_75:                             ;   in Loop: Header=BB302_4 Depth=1
	s_or_b64 exec, exec, s[10:11]
.LBB302_76:                             ;   in Loop: Header=BB302_4 Depth=1
	s_andn2_saveexec_b64 s[10:11], s[38:39]
; %bb.77:                               ;   in Loop: Header=BB302_4 Depth=1
	v_add_f64 v[14:15], v[18:19], -v[18:19]
	v_div_scale_f64 v[18:19], vcc, v[14:15], v[14:15], v[14:15]
	v_rcp_f64_e32 v[20:21], v[18:19]
	v_fma_f64 v[22:23], -v[18:19], v[20:21], 1.0
	v_fmac_f64_e32 v[20:21], v[20:21], v[22:23]
	v_fma_f64 v[22:23], -v[18:19], v[20:21], 1.0
	v_fmac_f64_e32 v[20:21], v[20:21], v[22:23]
	v_mul_f64 v[22:23], v[18:19], v[20:21]
	v_fma_f64 v[18:19], -v[18:19], v[22:23], v[18:19]
	v_div_fmas_f64 v[18:19], v[18:19], v[20:21], v[22:23]
	v_div_fixup_f64 v[18:19], v[18:19], v[14:15], v[14:15]
; %bb.78:                               ;   in Loop: Header=BB302_4 Depth=1
	s_or_b64 exec, exec, s[10:11]
	v_pk_mov_b32 v[20:21], v[16:17], v[16:17] op_sel:[0,1]
.LBB302_79:                             ;   in Loop: Header=BB302_4 Depth=1
	s_or_b64 exec, exec, s[36:37]
.LBB302_80:                             ;   in Loop: Header=BB302_4 Depth=1
	s_or_b64 exec, exec, s[34:35]
	v_xor_b32_e32 v14, 0x80000000, v21
	v_cmp_gt_f64_e32 vcc, 0, v[20:21]
	v_cndmask_b32_e32 v33, v21, v14, vcc
	v_cndmask_b32_e32 v32, v20, v20, vcc
	v_xor_b32_e32 v14, 0x80000000, v19
	v_cmp_gt_f64_e32 vcc, 0, v[18:19]
	v_cndmask_b32_e32 v23, v19, v14, vcc
	v_cndmask_b32_e32 v22, v18, v18, vcc
	v_cmp_ge_f64_e32 vcc, v[32:33], v[22:23]
                                        ; implicit-def: $vgpr16_vgpr17
	s_and_saveexec_b64 s[10:11], vcc
	s_xor_b64 s[12:13], exec, s[10:11]
	s_cbranch_execz .LBB302_86
; %bb.81:                               ;   in Loop: Header=BB302_4 Depth=1
	v_cmp_neq_f64_e32 vcc, 0, v[20:21]
	v_cmp_neq_f64_e64 s[10:11], 0, v[18:19]
	s_or_b64 s[10:11], vcc, s[10:11]
                                        ; implicit-def: $vgpr16_vgpr17
	s_and_saveexec_b64 s[34:35], s[10:11]
	s_xor_b64 s[10:11], exec, s[34:35]
	s_cbranch_execz .LBB302_83
; %bb.82:                               ;   in Loop: Header=BB302_4 Depth=1
	v_div_scale_f64 v[14:15], s[34:35], v[20:21], v[20:21], v[18:19]
	v_rcp_f64_e32 v[16:17], v[14:15]
	v_div_scale_f64 v[22:23], vcc, v[18:19], v[20:21], v[18:19]
	v_fma_f64 v[32:33], -v[14:15], v[16:17], 1.0
	v_fmac_f64_e32 v[16:17], v[16:17], v[32:33]
	v_fma_f64 v[32:33], -v[14:15], v[16:17], 1.0
	v_fmac_f64_e32 v[16:17], v[16:17], v[32:33]
	v_mul_f64 v[32:33], v[22:23], v[16:17]
	v_fma_f64 v[14:15], -v[14:15], v[32:33], v[22:23]
	v_div_fmas_f64 v[14:15], v[14:15], v[16:17], v[32:33]
	v_div_fixup_f64 v[16:17], v[14:15], v[20:21], v[18:19]
	v_fmac_f64_e32 v[20:21], v[18:19], v[16:17]
	v_div_scale_f64 v[14:15], s[34:35], v[20:21], v[20:21], 1.0
	v_rcp_f64_e32 v[18:19], v[14:15]
	v_fma_f64 v[22:23], -v[14:15], v[18:19], 1.0
	v_fmac_f64_e32 v[18:19], v[18:19], v[22:23]
	v_fma_f64 v[22:23], -v[14:15], v[18:19], 1.0
	v_fmac_f64_e32 v[18:19], v[18:19], v[22:23]
	v_div_scale_f64 v[22:23], vcc, 1.0, v[20:21], 1.0
	v_mul_f64 v[32:33], v[22:23], v[18:19]
	v_fma_f64 v[14:15], -v[14:15], v[32:33], v[22:23]
                                        ; implicit-def: $vgpr22_vgpr23
	s_nop 1
	v_div_fmas_f64 v[14:15], v[14:15], v[18:19], v[32:33]
	v_div_fixup_f64 v[18:19], v[14:15], v[20:21], 1.0
	v_fma_f64 v[14:15], v[16:17], 0, 1.0
	v_add_f64 v[16:17], -v[16:17], 0
	v_mul_f64 v[14:15], v[14:15], v[18:19]
	v_mul_f64 v[16:17], v[16:17], v[18:19]
                                        ; implicit-def: $vgpr32_vgpr33
.LBB302_83:                             ;   in Loop: Header=BB302_4 Depth=1
	s_andn2_saveexec_b64 s[10:11], s[10:11]
	s_cbranch_execz .LBB302_85
; %bb.84:                               ;   in Loop: Header=BB302_4 Depth=1
	v_div_scale_f64 v[14:15], s[34:35], v[32:33], v[32:33], 1.0
	v_rcp_f64_e32 v[16:17], v[14:15]
	v_div_scale_f64 v[18:19], vcc, 1.0, v[32:33], 1.0
	v_fma_f64 v[20:21], -v[14:15], v[16:17], 1.0
	v_fmac_f64_e32 v[16:17], v[16:17], v[20:21]
	v_fma_f64 v[20:21], -v[14:15], v[16:17], 1.0
	v_fmac_f64_e32 v[16:17], v[16:17], v[20:21]
	v_mul_f64 v[20:21], v[18:19], v[16:17]
	v_fma_f64 v[14:15], -v[14:15], v[20:21], v[18:19]
	v_div_scale_f64 v[18:19], s[34:35], v[22:23], v[22:23], 0
	v_rcp_f64_e32 v[42:43], v[18:19]
	v_div_fmas_f64 v[14:15], v[14:15], v[16:17], v[20:21]
	v_div_fixup_f64 v[14:15], v[14:15], v[32:33], 1.0
	v_fma_f64 v[16:17], -v[18:19], v[42:43], 1.0
	v_fmac_f64_e32 v[42:43], v[42:43], v[16:17]
	v_fma_f64 v[16:17], -v[18:19], v[42:43], 1.0
	v_fmac_f64_e32 v[42:43], v[42:43], v[16:17]
	v_div_scale_f64 v[16:17], vcc, 0, v[22:23], 0
	v_mul_f64 v[20:21], v[16:17], v[42:43]
	v_fma_f64 v[16:17], -v[18:19], v[20:21], v[16:17]
	s_nop 1
	v_div_fmas_f64 v[16:17], v[16:17], v[42:43], v[20:21]
	v_div_fixup_f64 v[16:17], v[16:17], v[22:23], 0
.LBB302_85:                             ;   in Loop: Header=BB302_4 Depth=1
	s_or_b64 exec, exec, s[10:11]
                                        ; implicit-def: $vgpr18_vgpr19
                                        ; implicit-def: $vgpr20_vgpr21
.LBB302_86:                             ;   in Loop: Header=BB302_4 Depth=1
	s_andn2_saveexec_b64 s[10:11], s[12:13]
	s_cbranch_execz .LBB302_88
; %bb.87:                               ;   in Loop: Header=BB302_4 Depth=1
	v_div_scale_f64 v[14:15], s[12:13], v[18:19], v[18:19], v[20:21]
	v_rcp_f64_e32 v[16:17], v[14:15]
	v_div_scale_f64 v[22:23], vcc, v[20:21], v[18:19], v[20:21]
	v_fma_f64 v[32:33], -v[14:15], v[16:17], 1.0
	v_fmac_f64_e32 v[16:17], v[16:17], v[32:33]
	v_fma_f64 v[32:33], -v[14:15], v[16:17], 1.0
	v_fmac_f64_e32 v[16:17], v[16:17], v[32:33]
	v_mul_f64 v[32:33], v[22:23], v[16:17]
	v_fma_f64 v[14:15], -v[14:15], v[32:33], v[22:23]
	v_div_fmas_f64 v[14:15], v[14:15], v[16:17], v[32:33]
	v_div_fixup_f64 v[16:17], v[14:15], v[18:19], v[20:21]
	v_fmac_f64_e32 v[18:19], v[20:21], v[16:17]
	v_div_scale_f64 v[14:15], s[12:13], v[18:19], v[18:19], 1.0
	v_rcp_f64_e32 v[20:21], v[14:15]
	v_fma_f64 v[22:23], -v[14:15], v[20:21], 1.0
	v_fmac_f64_e32 v[20:21], v[20:21], v[22:23]
	v_fma_f64 v[22:23], -v[14:15], v[20:21], 1.0
	v_fmac_f64_e32 v[20:21], v[20:21], v[22:23]
	v_div_scale_f64 v[22:23], vcc, 1.0, v[18:19], 1.0
	v_mul_f64 v[32:33], v[22:23], v[20:21]
	v_fma_f64 v[14:15], -v[14:15], v[32:33], v[22:23]
	s_nop 1
	v_div_fmas_f64 v[14:15], v[14:15], v[20:21], v[32:33]
	v_div_fixup_f64 v[18:19], v[14:15], v[18:19], 1.0
	v_add_f64 v[14:15], v[16:17], 0
	v_fma_f64 v[16:17], v[16:17], 0, -1.0
	v_mul_f64 v[14:15], v[14:15], v[18:19]
	v_mul_f64 v[16:17], v[16:17], v[18:19]
.LBB302_88:                             ;   in Loop: Header=BB302_4 Depth=1
	s_or_b64 exec, exec, s[10:11]
	v_cmp_neq_f64_e32 vcc, 0, v[10:11]
	v_cmp_neq_f64_e64 s[10:11], 0, v[12:13]
	s_or_b64 s[10:11], vcc, s[10:11]
	v_pk_mov_b32 v[22:23], 0, 0
	s_and_saveexec_b64 s[34:35], s[10:11]
	s_cbranch_execz .LBB302_118
; %bb.89:                               ;   in Loop: Header=BB302_4 Depth=1
	v_cmp_neq_f64_e64 s[10:11], |v[12:13]|, s[24:25]
	v_pk_mov_b32 v[22:23], s[24:25], s[24:25] op_sel:[0,1]
	s_and_saveexec_b64 s[36:37], s[10:11]
	s_cbranch_execz .LBB302_117
; %bb.90:                               ;   in Loop: Header=BB302_4 Depth=1
	v_cmp_o_f64_e32 vcc, v[10:11], v[10:11]
	s_and_saveexec_b64 s[10:11], vcc
	s_xor_b64 s[38:39], exec, s[10:11]
	s_cbranch_execz .LBB302_114
; %bb.91:                               ;   in Loop: Header=BB302_4 Depth=1
	v_cmp_neq_f64_e64 s[10:11], |v[10:11]|, s[24:25]
	s_and_saveexec_b64 s[12:13], s[10:11]
	s_xor_b64 s[40:41], exec, s[12:13]
	s_cbranch_execz .LBB302_107
; %bb.92:                               ;   in Loop: Header=BB302_4 Depth=1
	v_max_f64 v[18:19], |v[10:11]|, |v[10:11]|
	v_max_f64 v[20:21], |v[12:13]|, |v[12:13]|
	v_max_f64 v[18:19], v[20:21], v[18:19]
	v_cmp_nle_f64_e64 s[10:11], s[26:27], v[18:19]
                                        ; implicit-def: $sgpr42_sgpr43
	s_and_saveexec_b64 s[12:13], s[10:11]
	s_xor_b64 s[12:13], exec, s[12:13]
	s_cbranch_execz .LBB302_96
; %bb.93:                               ;   in Loop: Header=BB302_4 Depth=1
	v_cmp_le_f64_e64 s[42:43], |v[10:11]|, s[28:29]
	v_cmp_le_f64_e64 s[44:45], |v[12:13]|, s[28:29]
	s_and_b64 s[52:53], s[44:45], s[42:43]
	s_mov_b64 s[42:43], 0
	s_and_saveexec_b64 s[44:45], s[52:53]
; %bb.94:                               ;   in Loop: Header=BB302_4 Depth=1
	s_mov_b64 s[42:43], exec
	v_mul_f64 v[10:11], v[10:11], 4.0
	v_mul_f64 v[12:13], v[12:13], 4.0
; %bb.95:                               ;   in Loop: Header=BB302_4 Depth=1
	s_or_b64 exec, exec, s[44:45]
	s_and_b64 s[42:43], s[42:43], exec
.LBB302_96:                             ;   in Loop: Header=BB302_4 Depth=1
	s_andn2_saveexec_b64 s[12:13], s[12:13]
; %bb.97:                               ;   in Loop: Header=BB302_4 Depth=1
	v_ldexp_f64 v[10:11], v[10:11], -2
	v_ldexp_f64 v[12:13], v[12:13], -2
	s_andn2_b64 s[42:43], s[42:43], exec
; %bb.98:                               ;   in Loop: Header=BB302_4 Depth=1
	s_or_b64 exec, exec, s[12:13]
	v_max_f64 v[18:19], |v[12:13]|, |v[12:13]|
	v_max_f64 v[20:21], |v[10:11]|, |v[10:11]|
	v_max_f64 v[18:19], v[20:21], v[18:19]
	v_frexp_exp_i32_f64_e32 v41, v[18:19]
	v_sub_u32_e32 v20, 0, v41
	v_ldexp_f64 v[18:19], |v[10:11]|, v20
	v_ldexp_f64 v[20:21], |v[12:13]|, v20
	v_mul_f64 v[20:21], v[20:21], v[20:21]
	v_fmac_f64_e32 v[20:21], v[18:19], v[18:19]
	v_rsq_f64_e32 v[18:19], v[20:21]
	v_cmp_eq_f64_e64 s[12:13], 0, v[20:21]
	v_cmp_class_f64_e64 s[44:45], v[12:13], s49
	v_cmp_le_f64_e32 vcc, 0, v[10:11]
	v_mul_f64 v[22:23], v[20:21], v[18:19]
	v_mul_f64 v[18:19], v[18:19], 0.5
	v_fma_f64 v[32:33], -v[18:19], v[22:23], 0.5
	v_fmac_f64_e32 v[22:23], v[22:23], v[32:33]
	v_fmac_f64_e32 v[18:19], v[18:19], v[32:33]
	v_fma_f64 v[32:33], -v[22:23], v[22:23], v[20:21]
	v_fmac_f64_e32 v[22:23], v[32:33], v[18:19]
	v_cndmask_b32_e64 v19, v23, v21, s[12:13]
	v_cndmask_b32_e64 v18, v22, v20, s[12:13]
	v_ldexp_f64 v[18:19], v[18:19], v41
	v_cmp_o_f64_e64 s[12:13], v[12:13], v[12:13]
	v_cndmask_b32_e64 v18, 0, v18, s[12:13]
	v_cndmask_b32_e64 v19, v38, v19, s[12:13]
	v_cmp_class_f64_e64 s[12:13], v[10:11], s49
	s_or_b64 s[12:13], s[44:45], s[12:13]
	v_cndmask_b32_e64 v23, v19, v39, s[12:13]
	v_cndmask_b32_e64 v22, v18, 0, s[12:13]
                                        ; implicit-def: $vgpr18_vgpr19
                                        ; implicit-def: $vgpr20_vgpr21
	s_and_saveexec_b64 s[12:13], vcc
	s_xor_b64 s[12:13], exec, s[12:13]
	s_cbranch_execz .LBB302_100
; %bb.99:                               ;   in Loop: Header=BB302_4 Depth=1
	v_add_f64 v[10:11], v[10:11], v[22:23]
	v_mul_f64 v[10:11], v[10:11], 0.5
	v_cmp_gt_f64_e32 vcc, s[30:31], v[10:11]
	v_cndmask_b32_e64 v18, 0, 1, vcc
	v_lshlrev_b32_e32 v18, 8, v18
	v_ldexp_f64 v[10:11], v[10:11], v18
	v_rsq_f64_e32 v[18:19], v[10:11]
	v_mul_f64 v[20:21], v[10:11], v[18:19]
	v_mul_f64 v[18:19], v[18:19], 0.5
	v_fma_f64 v[22:23], -v[18:19], v[20:21], 0.5
	v_fmac_f64_e32 v[20:21], v[20:21], v[22:23]
	v_fmac_f64_e32 v[18:19], v[18:19], v[22:23]
	v_fma_f64 v[22:23], -v[20:21], v[20:21], v[10:11]
	v_fmac_f64_e32 v[20:21], v[22:23], v[18:19]
	v_fma_f64 v[22:23], -v[20:21], v[20:21], v[10:11]
	v_fmac_f64_e32 v[20:21], v[22:23], v[18:19]
	v_cndmask_b32_e32 v18, 0, v40, vcc
	v_ldexp_f64 v[18:19], v[20:21], v18
	v_cmp_class_f64_e32 vcc, v[10:11], v37
	v_cndmask_b32_e32 v21, v19, v11, vcc
	v_cndmask_b32_e32 v20, v18, v10, vcc
	v_add_f64 v[10:11], v[20:21], v[20:21]
	v_div_scale_f64 v[18:19], s[44:45], v[10:11], v[10:11], v[12:13]
	v_rcp_f64_e32 v[22:23], v[18:19]
	v_fma_f64 v[32:33], -v[18:19], v[22:23], 1.0
	v_fmac_f64_e32 v[22:23], v[22:23], v[32:33]
	v_fma_f64 v[32:33], -v[18:19], v[22:23], 1.0
	v_fmac_f64_e32 v[22:23], v[22:23], v[32:33]
	v_div_scale_f64 v[32:33], vcc, v[12:13], v[10:11], v[12:13]
	v_mul_f64 v[42:43], v[32:33], v[22:23]
	v_fma_f64 v[18:19], -v[18:19], v[42:43], v[32:33]
	s_nop 1
	v_div_fmas_f64 v[18:19], v[18:19], v[22:23], v[42:43]
	v_div_fixup_f64 v[18:19], v[18:19], v[10:11], v[12:13]
                                        ; implicit-def: $vgpr22_vgpr23
                                        ; implicit-def: $vgpr10_vgpr11
	s_andn2_saveexec_b64 s[12:13], s[12:13]
	s_cbranch_execz .LBB302_102
	s_branch .LBB302_101
.LBB302_100:                            ;   in Loop: Header=BB302_4 Depth=1
	s_andn2_saveexec_b64 s[12:13], s[12:13]
	s_cbranch_execz .LBB302_102
.LBB302_101:                            ;   in Loop: Header=BB302_4 Depth=1
	v_add_f64 v[10:11], v[22:23], -v[10:11]
	v_mul_f64 v[10:11], v[10:11], 0.5
	v_cmp_gt_f64_e32 vcc, s[30:31], v[10:11]
	v_cndmask_b32_e64 v18, 0, 1, vcc
	v_lshlrev_b32_e32 v18, 8, v18
	v_ldexp_f64 v[10:11], v[10:11], v18
	v_rsq_f64_e32 v[18:19], v[10:11]
	v_mul_f64 v[20:21], v[10:11], v[18:19]
	v_mul_f64 v[18:19], v[18:19], 0.5
	v_fma_f64 v[22:23], -v[18:19], v[20:21], 0.5
	v_fmac_f64_e32 v[20:21], v[20:21], v[22:23]
	v_fmac_f64_e32 v[18:19], v[18:19], v[22:23]
	v_fma_f64 v[22:23], -v[20:21], v[20:21], v[10:11]
	v_fmac_f64_e32 v[20:21], v[22:23], v[18:19]
	v_fma_f64 v[22:23], -v[20:21], v[20:21], v[10:11]
	v_fmac_f64_e32 v[20:21], v[22:23], v[18:19]
	v_cndmask_b32_e32 v18, 0, v40, vcc
	v_ldexp_f64 v[18:19], v[20:21], v18
	v_cmp_class_f64_e32 vcc, v[10:11], v37
	v_cndmask_b32_e32 v19, v19, v11, vcc
	v_cndmask_b32_e32 v18, v18, v10, vcc
	v_add_f64 v[10:11], v[18:19], v[18:19]
	v_and_b32_e32 v21, 0x7fffffff, v13
	v_mov_b32_e32 v20, v12
	v_div_scale_f64 v[22:23], s[44:45], v[10:11], v[10:11], v[20:21]
	v_rcp_f64_e32 v[32:33], v[22:23]
	v_div_scale_f64 v[20:21], vcc, v[20:21], v[10:11], v[20:21]
	v_bfi_b32 v19, s50, v19, v13
	v_fma_f64 v[42:43], -v[22:23], v[32:33], 1.0
	v_fmac_f64_e32 v[32:33], v[32:33], v[42:43]
	v_fma_f64 v[42:43], -v[22:23], v[32:33], 1.0
	v_fmac_f64_e32 v[32:33], v[32:33], v[42:43]
	v_mul_f64 v[42:43], v[20:21], v[32:33]
	v_fma_f64 v[20:21], -v[22:23], v[42:43], v[20:21]
	v_div_fmas_f64 v[20:21], v[20:21], v[32:33], v[42:43]
	v_div_fixup_f64 v[20:21], v[20:21], v[10:11], |v[12:13]|
.LBB302_102:                            ;   in Loop: Header=BB302_4 Depth=1
	s_or_b64 exec, exec, s[12:13]
                                        ; implicit-def: $vgpr12_vgpr13
	s_and_saveexec_b64 s[12:13], s[10:11]
	s_xor_b64 s[10:11], exec, s[12:13]
	s_cbranch_execz .LBB302_104
; %bb.103:                              ;   in Loop: Header=BB302_4 Depth=1
	v_mul_f64 v[10:11], v[20:21], 0.5
	v_mul_f64 v[12:13], v[18:19], 0.5
	v_cndmask_b32_e64 v11, v21, v11, s[42:43]
	v_cndmask_b32_e64 v10, v20, v10, s[42:43]
	;; [unrolled: 1-line block ×4, first 2 shown]
                                        ; implicit-def: $vgpr20_vgpr21
                                        ; implicit-def: $vgpr18_vgpr19
	s_andn2_saveexec_b64 s[10:11], s[10:11]
	s_cbranch_execnz .LBB302_105
	s_branch .LBB302_106
.LBB302_104:                            ;   in Loop: Header=BB302_4 Depth=1
	s_andn2_saveexec_b64 s[10:11], s[10:11]
.LBB302_105:                            ;   in Loop: Header=BB302_4 Depth=1
	v_add_f64 v[10:11], v[20:21], v[20:21]
	v_add_f64 v[12:13], v[18:19], v[18:19]
.LBB302_106:                            ;   in Loop: Header=BB302_4 Depth=1
	s_or_b64 exec, exec, s[10:11]
.LBB302_107:                            ;   in Loop: Header=BB302_4 Depth=1
	s_andn2_saveexec_b64 s[10:11], s[40:41]
	s_cbranch_execz .LBB302_113
; %bb.108:                              ;   in Loop: Header=BB302_4 Depth=1
	v_cmp_lt_i64_e32 vcc, -1, v[10:11]
	v_add_f64 v[18:19], v[12:13], -v[12:13]
	s_and_saveexec_b64 s[12:13], vcc
	s_xor_b64 s[12:13], exec, s[12:13]
; %bb.109:                              ;   in Loop: Header=BB302_4 Depth=1
	v_bfi_b32 v19, s50, v19, v13
	v_pk_mov_b32 v[12:13], v[18:19], v[18:19] op_sel:[0,1]
                                        ; implicit-def: $vgpr18_vgpr19
; %bb.110:                              ;   in Loop: Header=BB302_4 Depth=1
	s_andn2_saveexec_b64 s[12:13], s[12:13]
; %bb.111:                              ;   in Loop: Header=BB302_4 Depth=1
	v_and_b32_e32 v19, 0x7fffffff, v19
	v_bfi_b32 v11, s50, v11, v13
	v_pk_mov_b32 v[12:13], v[10:11], v[10:11] op_sel:[0,1]
	v_pk_mov_b32 v[10:11], v[18:19], v[18:19] op_sel:[0,1]
; %bb.112:                              ;   in Loop: Header=BB302_4 Depth=1
	s_or_b64 exec, exec, s[12:13]
.LBB302_113:                            ;   in Loop: Header=BB302_4 Depth=1
	s_or_b64 exec, exec, s[10:11]
.LBB302_114:                            ;   in Loop: Header=BB302_4 Depth=1
	s_andn2_saveexec_b64 s[10:11], s[38:39]
; %bb.115:                              ;   in Loop: Header=BB302_4 Depth=1
	v_add_f64 v[12:13], v[12:13], -v[12:13]
	v_div_scale_f64 v[18:19], vcc, v[12:13], v[12:13], v[12:13]
	v_rcp_f64_e32 v[20:21], v[18:19]
	v_fma_f64 v[22:23], -v[18:19], v[20:21], 1.0
	v_fmac_f64_e32 v[20:21], v[20:21], v[22:23]
	v_fma_f64 v[22:23], -v[18:19], v[20:21], 1.0
	v_fmac_f64_e32 v[20:21], v[20:21], v[22:23]
	v_mul_f64 v[22:23], v[18:19], v[20:21]
	v_fma_f64 v[18:19], -v[18:19], v[22:23], v[18:19]
	v_div_fmas_f64 v[18:19], v[18:19], v[20:21], v[22:23]
	v_div_fixup_f64 v[12:13], v[18:19], v[12:13], v[12:13]
; %bb.116:                              ;   in Loop: Header=BB302_4 Depth=1
	s_or_b64 exec, exec, s[10:11]
	v_pk_mov_b32 v[22:23], v[10:11], v[10:11] op_sel:[0,1]
.LBB302_117:                            ;   in Loop: Header=BB302_4 Depth=1
	s_or_b64 exec, exec, s[36:37]
.LBB302_118:                            ;   in Loop: Header=BB302_4 Depth=1
	s_or_b64 exec, exec, s[34:35]
	v_xor_b32_e32 v10, 0x80000000, v23
	v_cmp_gt_f64_e32 vcc, 0, v[22:23]
	v_cndmask_b32_e32 v33, v23, v10, vcc
	v_cndmask_b32_e32 v32, v22, v22, vcc
	v_xor_b32_e32 v10, 0x80000000, v13
	v_cmp_gt_f64_e32 vcc, 0, v[12:13]
	v_cndmask_b32_e32 v11, v13, v10, vcc
	v_cndmask_b32_e32 v10, v12, v12, vcc
	v_cmp_ge_f64_e32 vcc, v[32:33], v[10:11]
                                        ; implicit-def: $vgpr20_vgpr21
	s_and_saveexec_b64 s[10:11], vcc
	s_xor_b64 s[12:13], exec, s[10:11]
	s_cbranch_execz .LBB302_124
; %bb.119:                              ;   in Loop: Header=BB302_4 Depth=1
	v_cmp_neq_f64_e32 vcc, 0, v[22:23]
	v_cmp_neq_f64_e64 s[10:11], 0, v[12:13]
	s_or_b64 s[10:11], vcc, s[10:11]
                                        ; implicit-def: $vgpr20_vgpr21
	s_and_saveexec_b64 s[34:35], s[10:11]
	s_xor_b64 s[10:11], exec, s[34:35]
	s_cbranch_execz .LBB302_121
; %bb.120:                              ;   in Loop: Header=BB302_4 Depth=1
	v_div_scale_f64 v[10:11], s[34:35], v[22:23], v[22:23], v[12:13]
	v_rcp_f64_e32 v[18:19], v[10:11]
	v_div_scale_f64 v[20:21], vcc, v[12:13], v[22:23], v[12:13]
	v_fma_f64 v[32:33], -v[10:11], v[18:19], 1.0
	v_fmac_f64_e32 v[18:19], v[18:19], v[32:33]
	v_fma_f64 v[32:33], -v[10:11], v[18:19], 1.0
	v_fmac_f64_e32 v[18:19], v[18:19], v[32:33]
	v_mul_f64 v[32:33], v[20:21], v[18:19]
	v_fma_f64 v[10:11], -v[10:11], v[32:33], v[20:21]
	v_div_fmas_f64 v[10:11], v[10:11], v[18:19], v[32:33]
	v_div_fixup_f64 v[10:11], v[10:11], v[22:23], v[12:13]
	v_fmac_f64_e32 v[22:23], v[12:13], v[10:11]
	v_div_scale_f64 v[12:13], s[34:35], v[22:23], v[22:23], 1.0
	v_rcp_f64_e32 v[18:19], v[12:13]
	v_fma_f64 v[20:21], -v[12:13], v[18:19], 1.0
	v_fmac_f64_e32 v[18:19], v[18:19], v[20:21]
	v_fma_f64 v[20:21], -v[12:13], v[18:19], 1.0
	v_fmac_f64_e32 v[18:19], v[18:19], v[20:21]
	v_div_scale_f64 v[20:21], vcc, 1.0, v[22:23], 1.0
	v_mul_f64 v[32:33], v[20:21], v[18:19]
	v_fma_f64 v[12:13], -v[12:13], v[32:33], v[20:21]
	s_nop 1
	v_div_fmas_f64 v[12:13], v[12:13], v[18:19], v[32:33]
	v_div_fixup_f64 v[12:13], v[12:13], v[22:23], 1.0
	v_fma_f64 v[18:19], v[10:11], 0, 1.0
	v_add_f64 v[10:11], -v[10:11], 0
	v_mul_f64 v[18:19], v[18:19], v[12:13]
	v_mul_f64 v[20:21], v[10:11], v[12:13]
                                        ; implicit-def: $vgpr32_vgpr33
                                        ; implicit-def: $vgpr10_vgpr11
.LBB302_121:                            ;   in Loop: Header=BB302_4 Depth=1
	s_andn2_saveexec_b64 s[10:11], s[10:11]
	s_cbranch_execz .LBB302_123
; %bb.122:                              ;   in Loop: Header=BB302_4 Depth=1
	v_div_scale_f64 v[12:13], s[34:35], v[32:33], v[32:33], 1.0
	v_rcp_f64_e32 v[18:19], v[12:13]
	v_div_scale_f64 v[20:21], vcc, 1.0, v[32:33], 1.0
	v_fma_f64 v[22:23], -v[12:13], v[18:19], 1.0
	v_fmac_f64_e32 v[18:19], v[18:19], v[22:23]
	v_fma_f64 v[22:23], -v[12:13], v[18:19], 1.0
	v_fmac_f64_e32 v[18:19], v[18:19], v[22:23]
	v_mul_f64 v[22:23], v[20:21], v[18:19]
	v_fma_f64 v[12:13], -v[12:13], v[22:23], v[20:21]
	v_div_scale_f64 v[20:21], s[34:35], v[10:11], v[10:11], 0
	v_rcp_f64_e32 v[42:43], v[20:21]
	v_div_fmas_f64 v[12:13], v[12:13], v[18:19], v[22:23]
	v_div_fixup_f64 v[18:19], v[12:13], v[32:33], 1.0
	v_fma_f64 v[12:13], -v[20:21], v[42:43], 1.0
	v_fmac_f64_e32 v[42:43], v[42:43], v[12:13]
	v_fma_f64 v[12:13], -v[20:21], v[42:43], 1.0
	v_fmac_f64_e32 v[42:43], v[42:43], v[12:13]
	v_div_scale_f64 v[12:13], vcc, 0, v[10:11], 0
	v_mul_f64 v[22:23], v[12:13], v[42:43]
	v_fma_f64 v[12:13], -v[20:21], v[22:23], v[12:13]
	s_nop 1
	v_div_fmas_f64 v[12:13], v[12:13], v[42:43], v[22:23]
	v_div_fixup_f64 v[20:21], v[12:13], v[10:11], 0
.LBB302_123:                            ;   in Loop: Header=BB302_4 Depth=1
	s_or_b64 exec, exec, s[10:11]
                                        ; implicit-def: $vgpr12_vgpr13
                                        ; implicit-def: $vgpr22_vgpr23
.LBB302_124:                            ;   in Loop: Header=BB302_4 Depth=1
	s_andn2_saveexec_b64 s[10:11], s[12:13]
	s_cbranch_execz .LBB302_126
; %bb.125:                              ;   in Loop: Header=BB302_4 Depth=1
	v_div_scale_f64 v[10:11], s[12:13], v[12:13], v[12:13], v[22:23]
	v_rcp_f64_e32 v[18:19], v[10:11]
	v_div_scale_f64 v[20:21], vcc, v[22:23], v[12:13], v[22:23]
	v_fma_f64 v[32:33], -v[10:11], v[18:19], 1.0
	v_fmac_f64_e32 v[18:19], v[18:19], v[32:33]
	v_fma_f64 v[32:33], -v[10:11], v[18:19], 1.0
	v_fmac_f64_e32 v[18:19], v[18:19], v[32:33]
	v_mul_f64 v[32:33], v[20:21], v[18:19]
	v_fma_f64 v[10:11], -v[10:11], v[32:33], v[20:21]
	v_div_fmas_f64 v[10:11], v[10:11], v[18:19], v[32:33]
	v_div_fixup_f64 v[10:11], v[10:11], v[12:13], v[22:23]
	v_fmac_f64_e32 v[12:13], v[22:23], v[10:11]
	v_div_scale_f64 v[18:19], s[12:13], v[12:13], v[12:13], 1.0
	v_rcp_f64_e32 v[20:21], v[18:19]
	v_fma_f64 v[22:23], -v[18:19], v[20:21], 1.0
	v_fmac_f64_e32 v[20:21], v[20:21], v[22:23]
	v_fma_f64 v[22:23], -v[18:19], v[20:21], 1.0
	v_fmac_f64_e32 v[20:21], v[20:21], v[22:23]
	v_div_scale_f64 v[22:23], vcc, 1.0, v[12:13], 1.0
	v_mul_f64 v[32:33], v[22:23], v[20:21]
	v_fma_f64 v[18:19], -v[18:19], v[32:33], v[22:23]
	s_nop 1
	v_div_fmas_f64 v[18:19], v[18:19], v[20:21], v[32:33]
	v_div_fixup_f64 v[12:13], v[18:19], v[12:13], 1.0
	v_add_f64 v[18:19], v[10:11], 0
	v_fma_f64 v[10:11], v[10:11], 0, -1.0
	v_mul_f64 v[18:19], v[18:19], v[12:13]
	v_mul_f64 v[20:21], v[10:11], v[12:13]
.LBB302_126:                            ;   in Loop: Header=BB302_4 Depth=1
	s_or_b64 exec, exec, s[10:11]
	v_cmp_neq_f64_e32 vcc, 0, v[2:3]
	v_cmp_neq_f64_e64 s[10:11], 0, v[4:5]
	s_or_b64 s[10:11], vcc, s[10:11]
	v_pk_mov_b32 v[22:23], 0, 0
	s_and_saveexec_b64 s[34:35], s[10:11]
	s_cbranch_execz .LBB302_156
; %bb.127:                              ;   in Loop: Header=BB302_4 Depth=1
	v_cmp_neq_f64_e64 s[10:11], |v[4:5]|, s[24:25]
	v_pk_mov_b32 v[22:23], s[24:25], s[24:25] op_sel:[0,1]
	s_and_saveexec_b64 s[36:37], s[10:11]
	s_cbranch_execz .LBB302_155
; %bb.128:                              ;   in Loop: Header=BB302_4 Depth=1
	v_cmp_o_f64_e32 vcc, v[2:3], v[2:3]
	s_and_saveexec_b64 s[10:11], vcc
	s_xor_b64 s[38:39], exec, s[10:11]
	s_cbranch_execz .LBB302_152
; %bb.129:                              ;   in Loop: Header=BB302_4 Depth=1
	v_cmp_neq_f64_e64 s[10:11], |v[2:3]|, s[24:25]
	s_and_saveexec_b64 s[12:13], s[10:11]
	s_xor_b64 s[40:41], exec, s[12:13]
	s_cbranch_execz .LBB302_145
; %bb.130:                              ;   in Loop: Header=BB302_4 Depth=1
	v_max_f64 v[10:11], |v[2:3]|, |v[2:3]|
	v_max_f64 v[12:13], |v[4:5]|, |v[4:5]|
	v_max_f64 v[10:11], v[12:13], v[10:11]
	v_cmp_nle_f64_e64 s[10:11], s[26:27], v[10:11]
                                        ; implicit-def: $sgpr42_sgpr43
	s_and_saveexec_b64 s[12:13], s[10:11]
	s_xor_b64 s[12:13], exec, s[12:13]
	s_cbranch_execz .LBB302_134
; %bb.131:                              ;   in Loop: Header=BB302_4 Depth=1
	v_cmp_le_f64_e64 s[42:43], |v[2:3]|, s[28:29]
	v_cmp_le_f64_e64 s[44:45], |v[4:5]|, s[28:29]
	s_and_b64 s[52:53], s[44:45], s[42:43]
	s_mov_b64 s[42:43], 0
	s_and_saveexec_b64 s[44:45], s[52:53]
; %bb.132:                              ;   in Loop: Header=BB302_4 Depth=1
	s_mov_b64 s[42:43], exec
	v_mul_f64 v[2:3], v[2:3], 4.0
	v_mul_f64 v[4:5], v[4:5], 4.0
; %bb.133:                              ;   in Loop: Header=BB302_4 Depth=1
	s_or_b64 exec, exec, s[44:45]
	s_and_b64 s[42:43], s[42:43], exec
.LBB302_134:                            ;   in Loop: Header=BB302_4 Depth=1
	s_andn2_saveexec_b64 s[12:13], s[12:13]
; %bb.135:                              ;   in Loop: Header=BB302_4 Depth=1
	v_ldexp_f64 v[2:3], v[2:3], -2
	v_ldexp_f64 v[4:5], v[4:5], -2
	s_andn2_b64 s[42:43], s[42:43], exec
; %bb.136:                              ;   in Loop: Header=BB302_4 Depth=1
	s_or_b64 exec, exec, s[12:13]
	v_max_f64 v[10:11], |v[4:5]|, |v[4:5]|
	v_max_f64 v[12:13], |v[2:3]|, |v[2:3]|
	v_max_f64 v[10:11], v[12:13], v[10:11]
	v_frexp_exp_i32_f64_e32 v41, v[10:11]
	v_sub_u32_e32 v12, 0, v41
	v_ldexp_f64 v[10:11], |v[2:3]|, v12
	v_ldexp_f64 v[12:13], |v[4:5]|, v12
	v_mul_f64 v[12:13], v[12:13], v[12:13]
	v_fmac_f64_e32 v[12:13], v[10:11], v[10:11]
	v_rsq_f64_e32 v[10:11], v[12:13]
	v_cmp_eq_f64_e64 s[12:13], 0, v[12:13]
	v_cmp_class_f64_e64 s[44:45], v[4:5], s49
	v_cmp_le_f64_e32 vcc, 0, v[2:3]
	v_mul_f64 v[22:23], v[12:13], v[10:11]
	v_mul_f64 v[10:11], v[10:11], 0.5
	v_fma_f64 v[32:33], -v[10:11], v[22:23], 0.5
	v_fmac_f64_e32 v[22:23], v[22:23], v[32:33]
	v_fmac_f64_e32 v[10:11], v[10:11], v[32:33]
	v_fma_f64 v[32:33], -v[22:23], v[22:23], v[12:13]
	v_fmac_f64_e32 v[22:23], v[32:33], v[10:11]
	v_cndmask_b32_e64 v11, v23, v13, s[12:13]
	v_cndmask_b32_e64 v10, v22, v12, s[12:13]
	v_ldexp_f64 v[10:11], v[10:11], v41
	v_cmp_o_f64_e64 s[12:13], v[4:5], v[4:5]
	v_cndmask_b32_e64 v10, 0, v10, s[12:13]
	v_cndmask_b32_e64 v11, v38, v11, s[12:13]
	v_cmp_class_f64_e64 s[12:13], v[2:3], s49
	s_or_b64 s[12:13], s[44:45], s[12:13]
	v_cndmask_b32_e64 v23, v11, v39, s[12:13]
	v_cndmask_b32_e64 v22, v10, 0, s[12:13]
                                        ; implicit-def: $vgpr10_vgpr11
                                        ; implicit-def: $vgpr12_vgpr13
	s_and_saveexec_b64 s[12:13], vcc
	s_xor_b64 s[12:13], exec, s[12:13]
	s_cbranch_execz .LBB302_138
; %bb.137:                              ;   in Loop: Header=BB302_4 Depth=1
	v_add_f64 v[2:3], v[2:3], v[22:23]
	v_mul_f64 v[2:3], v[2:3], 0.5
	v_cmp_gt_f64_e32 vcc, s[30:31], v[2:3]
	v_cndmask_b32_e64 v10, 0, 1, vcc
	v_lshlrev_b32_e32 v10, 8, v10
	v_ldexp_f64 v[2:3], v[2:3], v10
	v_rsq_f64_e32 v[10:11], v[2:3]
	v_mul_f64 v[12:13], v[2:3], v[10:11]
	v_mul_f64 v[10:11], v[10:11], 0.5
	v_fma_f64 v[22:23], -v[10:11], v[12:13], 0.5
	v_fmac_f64_e32 v[12:13], v[12:13], v[22:23]
	v_fmac_f64_e32 v[10:11], v[10:11], v[22:23]
	v_fma_f64 v[22:23], -v[12:13], v[12:13], v[2:3]
	v_fmac_f64_e32 v[12:13], v[22:23], v[10:11]
	v_fma_f64 v[22:23], -v[12:13], v[12:13], v[2:3]
	v_fmac_f64_e32 v[12:13], v[22:23], v[10:11]
	v_cndmask_b32_e32 v10, 0, v40, vcc
	v_ldexp_f64 v[10:11], v[12:13], v10
	v_cmp_class_f64_e32 vcc, v[2:3], v37
	v_cndmask_b32_e32 v13, v11, v3, vcc
	v_cndmask_b32_e32 v12, v10, v2, vcc
	v_add_f64 v[2:3], v[12:13], v[12:13]
	v_div_scale_f64 v[10:11], s[44:45], v[2:3], v[2:3], v[4:5]
	v_rcp_f64_e32 v[22:23], v[10:11]
	v_fma_f64 v[32:33], -v[10:11], v[22:23], 1.0
	v_fmac_f64_e32 v[22:23], v[22:23], v[32:33]
	v_fma_f64 v[32:33], -v[10:11], v[22:23], 1.0
	v_fmac_f64_e32 v[22:23], v[22:23], v[32:33]
	v_div_scale_f64 v[32:33], vcc, v[4:5], v[2:3], v[4:5]
	v_mul_f64 v[42:43], v[32:33], v[22:23]
	v_fma_f64 v[10:11], -v[10:11], v[42:43], v[32:33]
	s_nop 1
	v_div_fmas_f64 v[10:11], v[10:11], v[22:23], v[42:43]
	v_div_fixup_f64 v[10:11], v[10:11], v[2:3], v[4:5]
                                        ; implicit-def: $vgpr22_vgpr23
                                        ; implicit-def: $vgpr2_vgpr3
	s_andn2_saveexec_b64 s[12:13], s[12:13]
	s_cbranch_execz .LBB302_140
	s_branch .LBB302_139
.LBB302_138:                            ;   in Loop: Header=BB302_4 Depth=1
	s_andn2_saveexec_b64 s[12:13], s[12:13]
	s_cbranch_execz .LBB302_140
.LBB302_139:                            ;   in Loop: Header=BB302_4 Depth=1
	v_add_f64 v[2:3], v[22:23], -v[2:3]
	v_mul_f64 v[2:3], v[2:3], 0.5
	v_cmp_gt_f64_e32 vcc, s[30:31], v[2:3]
	v_cndmask_b32_e64 v10, 0, 1, vcc
	v_lshlrev_b32_e32 v10, 8, v10
	v_ldexp_f64 v[2:3], v[2:3], v10
	v_rsq_f64_e32 v[10:11], v[2:3]
	v_mul_f64 v[12:13], v[2:3], v[10:11]
	v_mul_f64 v[10:11], v[10:11], 0.5
	v_fma_f64 v[22:23], -v[10:11], v[12:13], 0.5
	v_fmac_f64_e32 v[12:13], v[12:13], v[22:23]
	v_fmac_f64_e32 v[10:11], v[10:11], v[22:23]
	v_fma_f64 v[22:23], -v[12:13], v[12:13], v[2:3]
	v_fmac_f64_e32 v[12:13], v[22:23], v[10:11]
	v_fma_f64 v[22:23], -v[12:13], v[12:13], v[2:3]
	v_fmac_f64_e32 v[12:13], v[22:23], v[10:11]
	v_cndmask_b32_e32 v10, 0, v40, vcc
	v_ldexp_f64 v[10:11], v[12:13], v10
	v_cmp_class_f64_e32 vcc, v[2:3], v37
	v_cndmask_b32_e32 v11, v11, v3, vcc
	v_cndmask_b32_e32 v10, v10, v2, vcc
	v_add_f64 v[2:3], v[10:11], v[10:11]
	v_and_b32_e32 v13, 0x7fffffff, v5
	v_mov_b32_e32 v12, v4
	v_div_scale_f64 v[22:23], s[44:45], v[2:3], v[2:3], v[12:13]
	v_rcp_f64_e32 v[32:33], v[22:23]
	v_div_scale_f64 v[12:13], vcc, v[12:13], v[2:3], v[12:13]
	v_bfi_b32 v11, s50, v11, v5
	v_fma_f64 v[42:43], -v[22:23], v[32:33], 1.0
	v_fmac_f64_e32 v[32:33], v[32:33], v[42:43]
	v_fma_f64 v[42:43], -v[22:23], v[32:33], 1.0
	v_fmac_f64_e32 v[32:33], v[32:33], v[42:43]
	v_mul_f64 v[42:43], v[12:13], v[32:33]
	v_fma_f64 v[12:13], -v[22:23], v[42:43], v[12:13]
	v_div_fmas_f64 v[12:13], v[12:13], v[32:33], v[42:43]
	v_div_fixup_f64 v[12:13], v[12:13], v[2:3], |v[4:5]|
.LBB302_140:                            ;   in Loop: Header=BB302_4 Depth=1
	s_or_b64 exec, exec, s[12:13]
                                        ; implicit-def: $vgpr4_vgpr5
	s_and_saveexec_b64 s[12:13], s[10:11]
	s_xor_b64 s[10:11], exec, s[12:13]
	s_cbranch_execz .LBB302_142
; %bb.141:                              ;   in Loop: Header=BB302_4 Depth=1
	v_mul_f64 v[2:3], v[12:13], 0.5
	v_mul_f64 v[4:5], v[10:11], 0.5
	v_cndmask_b32_e64 v3, v13, v3, s[42:43]
	v_cndmask_b32_e64 v2, v12, v2, s[42:43]
	;; [unrolled: 1-line block ×4, first 2 shown]
                                        ; implicit-def: $vgpr12_vgpr13
                                        ; implicit-def: $vgpr10_vgpr11
	s_andn2_saveexec_b64 s[10:11], s[10:11]
	s_cbranch_execnz .LBB302_143
	s_branch .LBB302_144
.LBB302_142:                            ;   in Loop: Header=BB302_4 Depth=1
	s_andn2_saveexec_b64 s[10:11], s[10:11]
.LBB302_143:                            ;   in Loop: Header=BB302_4 Depth=1
	v_add_f64 v[2:3], v[12:13], v[12:13]
	v_add_f64 v[4:5], v[10:11], v[10:11]
.LBB302_144:                            ;   in Loop: Header=BB302_4 Depth=1
	s_or_b64 exec, exec, s[10:11]
.LBB302_145:                            ;   in Loop: Header=BB302_4 Depth=1
	s_andn2_saveexec_b64 s[10:11], s[40:41]
	s_cbranch_execz .LBB302_151
; %bb.146:                              ;   in Loop: Header=BB302_4 Depth=1
	v_cmp_lt_i64_e32 vcc, -1, v[2:3]
	v_add_f64 v[10:11], v[4:5], -v[4:5]
	s_and_saveexec_b64 s[12:13], vcc
	s_xor_b64 s[12:13], exec, s[12:13]
; %bb.147:                              ;   in Loop: Header=BB302_4 Depth=1
	v_bfi_b32 v11, s50, v11, v5
	v_pk_mov_b32 v[4:5], v[10:11], v[10:11] op_sel:[0,1]
                                        ; implicit-def: $vgpr10_vgpr11
; %bb.148:                              ;   in Loop: Header=BB302_4 Depth=1
	s_andn2_saveexec_b64 s[12:13], s[12:13]
; %bb.149:                              ;   in Loop: Header=BB302_4 Depth=1
	v_and_b32_e32 v11, 0x7fffffff, v11
	v_bfi_b32 v3, s50, v3, v5
	v_pk_mov_b32 v[4:5], v[2:3], v[2:3] op_sel:[0,1]
	v_pk_mov_b32 v[2:3], v[10:11], v[10:11] op_sel:[0,1]
; %bb.150:                              ;   in Loop: Header=BB302_4 Depth=1
	s_or_b64 exec, exec, s[12:13]
.LBB302_151:                            ;   in Loop: Header=BB302_4 Depth=1
	s_or_b64 exec, exec, s[10:11]
.LBB302_152:                            ;   in Loop: Header=BB302_4 Depth=1
	s_andn2_saveexec_b64 s[10:11], s[38:39]
; %bb.153:                              ;   in Loop: Header=BB302_4 Depth=1
	v_add_f64 v[4:5], v[4:5], -v[4:5]
	v_div_scale_f64 v[10:11], vcc, v[4:5], v[4:5], v[4:5]
	v_rcp_f64_e32 v[12:13], v[10:11]
	v_fma_f64 v[22:23], -v[10:11], v[12:13], 1.0
	v_fmac_f64_e32 v[12:13], v[12:13], v[22:23]
	v_fma_f64 v[22:23], -v[10:11], v[12:13], 1.0
	v_fmac_f64_e32 v[12:13], v[12:13], v[22:23]
	v_mul_f64 v[22:23], v[10:11], v[12:13]
	v_fma_f64 v[10:11], -v[10:11], v[22:23], v[10:11]
	v_div_fmas_f64 v[10:11], v[10:11], v[12:13], v[22:23]
	v_div_fixup_f64 v[4:5], v[10:11], v[4:5], v[4:5]
; %bb.154:                              ;   in Loop: Header=BB302_4 Depth=1
	s_or_b64 exec, exec, s[10:11]
	v_pk_mov_b32 v[22:23], v[2:3], v[2:3] op_sel:[0,1]
.LBB302_155:                            ;   in Loop: Header=BB302_4 Depth=1
	s_or_b64 exec, exec, s[36:37]
.LBB302_156:                            ;   in Loop: Header=BB302_4 Depth=1
	s_or_b64 exec, exec, s[34:35]
	v_xor_b32_e32 v2, 0x80000000, v23
	v_cmp_gt_f64_e32 vcc, 0, v[22:23]
	v_cndmask_b32_e32 v33, v23, v2, vcc
	v_cndmask_b32_e32 v32, v22, v22, vcc
	v_xor_b32_e32 v2, 0x80000000, v5
	v_cmp_gt_f64_e32 vcc, 0, v[4:5]
	v_cndmask_b32_e32 v3, v5, v2, vcc
	v_cndmask_b32_e32 v2, v4, v4, vcc
	v_cmp_ge_f64_e32 vcc, v[32:33], v[2:3]
                                        ; implicit-def: $vgpr12_vgpr13
	s_and_saveexec_b64 s[10:11], vcc
	s_xor_b64 s[12:13], exec, s[10:11]
	s_cbranch_execz .LBB302_166
; %bb.157:                              ;   in Loop: Header=BB302_4 Depth=1
	v_cmp_neq_f64_e32 vcc, 0, v[22:23]
	v_cmp_neq_f64_e64 s[10:11], 0, v[4:5]
	s_or_b64 s[10:11], vcc, s[10:11]
                                        ; implicit-def: $vgpr12_vgpr13
	s_and_saveexec_b64 s[34:35], s[10:11]
	s_xor_b64 s[10:11], exec, s[34:35]
	s_cbranch_execz .LBB302_159
; %bb.158:                              ;   in Loop: Header=BB302_4 Depth=1
	v_div_scale_f64 v[2:3], s[34:35], v[22:23], v[22:23], v[4:5]
	v_rcp_f64_e32 v[10:11], v[2:3]
	v_div_scale_f64 v[12:13], vcc, v[4:5], v[22:23], v[4:5]
	v_fma_f64 v[32:33], -v[2:3], v[10:11], 1.0
	v_fmac_f64_e32 v[10:11], v[10:11], v[32:33]
	v_fma_f64 v[32:33], -v[2:3], v[10:11], 1.0
	v_fmac_f64_e32 v[10:11], v[10:11], v[32:33]
	v_mul_f64 v[32:33], v[12:13], v[10:11]
	v_fma_f64 v[2:3], -v[2:3], v[32:33], v[12:13]
	v_div_fmas_f64 v[2:3], v[2:3], v[10:11], v[32:33]
	v_div_fixup_f64 v[2:3], v[2:3], v[22:23], v[4:5]
	v_fmac_f64_e32 v[22:23], v[4:5], v[2:3]
	v_div_scale_f64 v[4:5], s[34:35], v[22:23], v[22:23], 1.0
	v_rcp_f64_e32 v[10:11], v[4:5]
	v_fma_f64 v[12:13], -v[4:5], v[10:11], 1.0
	v_fmac_f64_e32 v[10:11], v[10:11], v[12:13]
	v_fma_f64 v[12:13], -v[4:5], v[10:11], 1.0
	v_fmac_f64_e32 v[10:11], v[10:11], v[12:13]
	v_div_scale_f64 v[12:13], vcc, 1.0, v[22:23], 1.0
	v_mul_f64 v[32:33], v[12:13], v[10:11]
	v_fma_f64 v[4:5], -v[4:5], v[32:33], v[12:13]
	s_nop 1
	v_div_fmas_f64 v[4:5], v[4:5], v[10:11], v[32:33]
	v_div_fixup_f64 v[4:5], v[4:5], v[22:23], 1.0
	v_fma_f64 v[10:11], v[2:3], 0, 1.0
	v_add_f64 v[2:3], -v[2:3], 0
	v_mul_f64 v[10:11], v[10:11], v[4:5]
	v_mul_f64 v[12:13], v[2:3], v[4:5]
                                        ; implicit-def: $vgpr32_vgpr33
                                        ; implicit-def: $vgpr2_vgpr3
.LBB302_159:                            ;   in Loop: Header=BB302_4 Depth=1
	s_andn2_saveexec_b64 s[10:11], s[10:11]
	s_cbranch_execz .LBB302_161
; %bb.160:                              ;   in Loop: Header=BB302_4 Depth=1
	v_div_scale_f64 v[4:5], s[34:35], v[32:33], v[32:33], 1.0
	v_rcp_f64_e32 v[10:11], v[4:5]
	v_div_scale_f64 v[12:13], vcc, 1.0, v[32:33], 1.0
	v_fma_f64 v[22:23], -v[4:5], v[10:11], 1.0
	v_fmac_f64_e32 v[10:11], v[10:11], v[22:23]
	v_fma_f64 v[22:23], -v[4:5], v[10:11], 1.0
	v_fmac_f64_e32 v[10:11], v[10:11], v[22:23]
	v_mul_f64 v[22:23], v[12:13], v[10:11]
	v_fma_f64 v[4:5], -v[4:5], v[22:23], v[12:13]
	v_div_scale_f64 v[12:13], s[34:35], v[2:3], v[2:3], 0
	v_rcp_f64_e32 v[42:43], v[12:13]
	v_div_fmas_f64 v[4:5], v[4:5], v[10:11], v[22:23]
	v_div_fixup_f64 v[10:11], v[4:5], v[32:33], 1.0
	v_fma_f64 v[4:5], -v[12:13], v[42:43], 1.0
	v_fmac_f64_e32 v[42:43], v[42:43], v[4:5]
	v_fma_f64 v[4:5], -v[12:13], v[42:43], 1.0
	v_fmac_f64_e32 v[42:43], v[42:43], v[4:5]
	v_div_scale_f64 v[4:5], vcc, 0, v[2:3], 0
	v_mul_f64 v[22:23], v[4:5], v[42:43]
	v_fma_f64 v[4:5], -v[12:13], v[22:23], v[4:5]
	s_nop 1
	v_div_fmas_f64 v[4:5], v[4:5], v[42:43], v[22:23]
	v_div_fixup_f64 v[12:13], v[4:5], v[2:3], 0
.LBB302_161:                            ;   in Loop: Header=BB302_4 Depth=1
	s_or_b64 exec, exec, s[10:11]
                                        ; implicit-def: $vgpr4_vgpr5
                                        ; implicit-def: $vgpr22_vgpr23
	s_andn2_saveexec_b64 s[10:11], s[12:13]
	s_cbranch_execnz .LBB302_167
.LBB302_162:                            ;   in Loop: Header=BB302_4 Depth=1
	s_or_b64 exec, exec, s[10:11]
	s_and_saveexec_b64 s[10:11], s[0:1]
	s_xor_b64 s[0:1], exec, s[10:11]
	s_cbranch_execz .LBB302_168
.LBB302_163:                            ;   in Loop: Header=BB302_4 Depth=1
	v_mov_b32_e32 v3, s46
	v_add_co_u32_e32 v2, vcc, s33, v24
	v_addc_co_u32_e32 v3, vcc, 0, v3, vcc
	global_store_dwordx4 v[2:3], v[6:9], off
	s_or_b64 exec, exec, s[0:1]
	s_and_saveexec_b64 s[0:1], s[2:3]
	s_cbranch_execnz .LBB302_169
.LBB302_164:                            ;   in Loop: Header=BB302_4 Depth=1
	s_or_b64 exec, exec, s[0:1]
	s_and_saveexec_b64 s[0:1], s[6:7]
	s_cbranch_execz .LBB302_170
.LBB302_165:                            ;   in Loop: Header=BB302_4 Depth=1
	v_mov_b32_e32 v3, s46
	v_add_co_u32_e32 v2, vcc, s33, v30
	v_addc_co_u32_e32 v3, vcc, v3, v1, vcc
	global_store_dwordx4 v[2:3], v[18:21], off offset:-8
	s_or_b64 exec, exec, s[0:1]
	s_and_saveexec_b64 s[0:1], s[8:9]
	s_cbranch_execz .LBB302_3
	s_branch .LBB302_171
.LBB302_166:                            ;   in Loop: Header=BB302_4 Depth=1
	s_andn2_saveexec_b64 s[10:11], s[12:13]
	s_cbranch_execz .LBB302_162
.LBB302_167:                            ;   in Loop: Header=BB302_4 Depth=1
	v_div_scale_f64 v[2:3], s[12:13], v[4:5], v[4:5], v[22:23]
	v_rcp_f64_e32 v[10:11], v[2:3]
	v_div_scale_f64 v[12:13], vcc, v[22:23], v[4:5], v[22:23]
	v_fma_f64 v[32:33], -v[2:3], v[10:11], 1.0
	v_fmac_f64_e32 v[10:11], v[10:11], v[32:33]
	v_fma_f64 v[32:33], -v[2:3], v[10:11], 1.0
	v_fmac_f64_e32 v[10:11], v[10:11], v[32:33]
	v_mul_f64 v[32:33], v[12:13], v[10:11]
	v_fma_f64 v[2:3], -v[2:3], v[32:33], v[12:13]
	v_div_fmas_f64 v[2:3], v[2:3], v[10:11], v[32:33]
	v_div_fixup_f64 v[2:3], v[2:3], v[4:5], v[22:23]
	v_fmac_f64_e32 v[4:5], v[22:23], v[2:3]
	v_div_scale_f64 v[10:11], s[12:13], v[4:5], v[4:5], 1.0
	v_rcp_f64_e32 v[12:13], v[10:11]
	v_fma_f64 v[22:23], -v[10:11], v[12:13], 1.0
	v_fmac_f64_e32 v[12:13], v[12:13], v[22:23]
	v_fma_f64 v[22:23], -v[10:11], v[12:13], 1.0
	v_fmac_f64_e32 v[12:13], v[12:13], v[22:23]
	v_div_scale_f64 v[22:23], vcc, 1.0, v[4:5], 1.0
	v_mul_f64 v[32:33], v[22:23], v[12:13]
	v_fma_f64 v[10:11], -v[10:11], v[32:33], v[22:23]
	s_nop 1
	v_div_fmas_f64 v[10:11], v[10:11], v[12:13], v[32:33]
	v_div_fixup_f64 v[4:5], v[10:11], v[4:5], 1.0
	v_add_f64 v[10:11], v[2:3], 0
	v_fma_f64 v[2:3], v[2:3], 0, -1.0
	v_mul_f64 v[10:11], v[10:11], v[4:5]
	v_mul_f64 v[12:13], v[2:3], v[4:5]
	s_or_b64 exec, exec, s[10:11]
	s_and_saveexec_b64 s[10:11], s[0:1]
	s_xor_b64 s[0:1], exec, s[10:11]
	s_cbranch_execnz .LBB302_163
.LBB302_168:                            ;   in Loop: Header=BB302_4 Depth=1
	s_or_b64 exec, exec, s[0:1]
	s_and_saveexec_b64 s[0:1], s[2:3]
	s_cbranch_execz .LBB302_164
.LBB302_169:                            ;   in Loop: Header=BB302_4 Depth=1
	v_mov_b32_e32 v3, s46
	v_add_co_u32_e32 v2, vcc, s33, v28
	v_addc_co_u32_e32 v3, vcc, 0, v3, vcc
	global_store_dwordx4 v[2:3], v[14:17], off
	s_or_b64 exec, exec, s[0:1]
	s_and_saveexec_b64 s[0:1], s[6:7]
	s_cbranch_execnz .LBB302_165
.LBB302_170:                            ;   in Loop: Header=BB302_4 Depth=1
	s_or_b64 exec, exec, s[0:1]
	s_and_saveexec_b64 s[0:1], s[8:9]
	s_cbranch_execz .LBB302_3
.LBB302_171:                            ;   in Loop: Header=BB302_4 Depth=1
	v_mov_b32_e32 v3, s46
	v_add_co_u32_e32 v2, vcc, s33, v26
	v_addc_co_u32_e32 v3, vcc, v3, v27, vcc
	global_store_dwordx4 v[2:3], v[10:13], off offset:-8
	s_branch .LBB302_3
.LBB302_172:
	s_cbranch_execz .LBB302_174
	s_branch .LBB302_329
.LBB302_173:
.LBB302_174:
	v_mov_b32_e32 v23, 0
	v_lshlrev_b32_e32 v22, 2, v0
	s_mov_b32 s30, 0
	v_cmp_gt_i64_e32 vcc, s[14:15], v[22:23]
	s_and_saveexec_b64 s[0:1], vcc
	s_cbranch_execz .LBB302_329
; %bb.175:
	s_load_dword s0, s[4:5], 0xd3c
	v_lshlrev_b32_e32 v1, 6, v0
	s_mov_b32 s6, 0
	s_mov_b32 s8, 0x99fcef32
	;; [unrolled: 1-line block ×3, first 2 shown]
	s_waitcnt lgkmcnt(0)
	s_and_b32 s0, s0, 0xffff
	s_lshl_b32 s31, s0, 2
	s_add_u32 s1, s16, s18
	s_addc_u32 s2, s17, s19
	v_add_lshl_u32 v22, v0, s0, 2
	v_mov_b32_e32 v0, s2
	v_add_co_u32_e32 v24, vcc, s1, v1
	s_mov_b32 s12, 0
	v_addc_co_u32_e32 v25, vcc, 0, v0, vcc
	s_lshl_b32 s33, s0, 6
	s_mov_b32 s34, s30
	s_mov_b64 s[4:5], 0
	s_mov_b32 s7, 0x7ff00000
	s_mov_b32 s9, 0x7fda8279
	;; [unrolled: 1-line block ×3, first 2 shown]
	s_movk_i32 s35, 0x204
	s_brev_b32 s13, 8
	v_mov_b32_e32 v28, 0x260
	s_brev_b32 s36, -2
	s_mov_b64 s[16:17], 0xffff
	v_mov_b32_e32 v29, 0x7ff80000
	v_mov_b32_e32 v30, 0x7ff00000
	v_mov_b32_e32 v31, 0xffffff80
	s_branch .LBB302_177
.LBB302_176:                            ;   in Loop: Header=BB302_177 Depth=1
	s_or_b64 exec, exec, s[0:1]
	v_cmp_le_i64_e32 vcc, s[14:15], v[22:23]
	v_cmp_lt_u64_e64 s[0:1], s[16:17], v[22:23]
	s_or_b64 s[0:1], vcc, s[0:1]
	v_mov_b32_e32 v0, s30
	v_add_co_u32_e32 v22, vcc, s31, v22
	v_addc_co_u32_e32 v23, vcc, v23, v0, vcc
	global_store_dwordx4 v[24:25], v[4:7], off
	global_store_dwordx4 v[24:25], v[12:15], off offset:16
	global_store_dwordx4 v[24:25], v[16:19], off offset:32
	;; [unrolled: 1-line block ×3, first 2 shown]
	v_mov_b32_e32 v0, s34
	s_and_b64 s[0:1], exec, s[0:1]
	v_add_co_u32_e32 v24, vcc, s33, v24
	s_or_b64 s[4:5], s[0:1], s[4:5]
	v_addc_co_u32_e32 v25, vcc, v25, v0, vcc
	s_andn2_b64 exec, exec, s[4:5]
	s_cbranch_execz .LBB302_329
.LBB302_177:                            ; =>This Inner Loop Header: Depth=1
	global_load_dwordx4 v[18:21], v[24:25], off
	global_load_dwordx4 v[14:17], v[24:25], off offset:16
	global_load_dwordx4 v[0:3], v[24:25], off offset:48
	;; [unrolled: 1-line block ×3, first 2 shown]
	v_pk_mov_b32 v[12:13], 0, 0
	s_waitcnt vmcnt(3)
	v_cmp_neq_f64_e32 vcc, 0, v[18:19]
	v_cmp_neq_f64_e64 s[0:1], 0, v[20:21]
	s_or_b64 s[0:1], vcc, s[0:1]
	s_and_saveexec_b64 s[18:19], s[0:1]
	s_cbranch_execz .LBB302_206
; %bb.178:                              ;   in Loop: Header=BB302_177 Depth=1
	v_cmp_neq_f64_e64 s[0:1], |v[20:21]|, s[6:7]
	v_pk_mov_b32 v[12:13], s[6:7], s[6:7] op_sel:[0,1]
	s_and_saveexec_b64 s[20:21], s[0:1]
	s_cbranch_execz .LBB302_205
; %bb.179:                              ;   in Loop: Header=BB302_177 Depth=1
	v_cmp_o_f64_e32 vcc, v[18:19], v[18:19]
	s_and_saveexec_b64 s[0:1], vcc
	s_xor_b64 s[22:23], exec, s[0:1]
	s_cbranch_execz .LBB302_202
; %bb.180:                              ;   in Loop: Header=BB302_177 Depth=1
	v_cmp_neq_f64_e64 s[0:1], |v[18:19]|, s[6:7]
	s_and_saveexec_b64 s[2:3], s[0:1]
	s_xor_b64 s[24:25], exec, s[2:3]
	s_cbranch_execz .LBB302_196
; %bb.181:                              ;   in Loop: Header=BB302_177 Depth=1
	v_max_f64 v[4:5], |v[20:21]|, |v[20:21]|
	v_max_f64 v[6:7], |v[18:19]|, |v[18:19]|
	v_max_f64 v[4:5], v[6:7], v[4:5]
	v_cmp_nle_f64_e64 s[0:1], s[8:9], v[4:5]
                                        ; implicit-def: $sgpr26_sgpr27
	s_and_saveexec_b64 s[2:3], s[0:1]
	s_xor_b64 s[2:3], exec, s[2:3]
	s_cbranch_execz .LBB302_185
; %bb.182:                              ;   in Loop: Header=BB302_177 Depth=1
	v_cmp_le_f64_e64 s[26:27], |v[18:19]|, s[10:11]
	v_cmp_le_f64_e64 s[28:29], |v[20:21]|, s[10:11]
	s_and_b64 s[38:39], s[26:27], s[28:29]
	s_mov_b64 s[26:27], 0
	s_and_saveexec_b64 s[28:29], s[38:39]
; %bb.183:                              ;   in Loop: Header=BB302_177 Depth=1
	s_mov_b64 s[26:27], exec
	v_mul_f64 v[18:19], v[18:19], 4.0
	v_mul_f64 v[20:21], v[20:21], 4.0
; %bb.184:                              ;   in Loop: Header=BB302_177 Depth=1
	s_or_b64 exec, exec, s[28:29]
	s_and_b64 s[26:27], s[26:27], exec
.LBB302_185:                            ;   in Loop: Header=BB302_177 Depth=1
	s_andn2_saveexec_b64 s[2:3], s[2:3]
; %bb.186:                              ;   in Loop: Header=BB302_177 Depth=1
	v_ldexp_f64 v[18:19], v[18:19], -2
	v_ldexp_f64 v[20:21], v[20:21], -2
	s_andn2_b64 s[26:27], s[26:27], exec
; %bb.187:                              ;   in Loop: Header=BB302_177 Depth=1
	s_or_b64 exec, exec, s[2:3]
	v_max_f64 v[4:5], |v[20:21]|, |v[20:21]|
	v_max_f64 v[6:7], |v[18:19]|, |v[18:19]|
	v_max_f64 v[4:5], v[6:7], v[4:5]
	v_frexp_exp_i32_f64_e32 v32, v[4:5]
	v_sub_u32_e32 v6, 0, v32
	v_ldexp_f64 v[4:5], |v[18:19]|, v6
	v_ldexp_f64 v[6:7], |v[20:21]|, v6
	v_mul_f64 v[6:7], v[6:7], v[6:7]
	v_fmac_f64_e32 v[6:7], v[4:5], v[4:5]
	v_rsq_f64_e32 v[4:5], v[6:7]
	v_cmp_eq_f64_e64 s[2:3], 0, v[6:7]
	v_cmp_class_f64_e64 s[28:29], v[20:21], s35
	v_cmp_le_f64_e32 vcc, 0, v[18:19]
	v_mul_f64 v[12:13], v[6:7], v[4:5]
	v_mul_f64 v[4:5], v[4:5], 0.5
	v_fma_f64 v[26:27], -v[4:5], v[12:13], 0.5
	v_fmac_f64_e32 v[12:13], v[12:13], v[26:27]
	v_fmac_f64_e32 v[4:5], v[4:5], v[26:27]
	v_fma_f64 v[26:27], -v[12:13], v[12:13], v[6:7]
	v_fmac_f64_e32 v[12:13], v[26:27], v[4:5]
	v_cndmask_b32_e64 v5, v13, v7, s[2:3]
	v_cndmask_b32_e64 v4, v12, v6, s[2:3]
	v_ldexp_f64 v[4:5], v[4:5], v32
	v_cmp_o_f64_e64 s[2:3], v[20:21], v[20:21]
	v_cndmask_b32_e64 v4, 0, v4, s[2:3]
	v_cndmask_b32_e64 v5, v29, v5, s[2:3]
	v_cmp_class_f64_e64 s[2:3], v[18:19], s35
	s_or_b64 s[2:3], s[28:29], s[2:3]
	v_cndmask_b32_e64 v13, v5, v30, s[2:3]
	v_cndmask_b32_e64 v12, v4, 0, s[2:3]
                                        ; implicit-def: $vgpr4_vgpr5
                                        ; implicit-def: $vgpr6_vgpr7
	s_and_saveexec_b64 s[2:3], vcc
	s_xor_b64 s[2:3], exec, s[2:3]
	s_cbranch_execz .LBB302_189
; %bb.188:                              ;   in Loop: Header=BB302_177 Depth=1
	v_add_f64 v[4:5], v[18:19], v[12:13]
	v_mul_f64 v[4:5], v[4:5], 0.5
	v_cmp_gt_f64_e32 vcc, s[12:13], v[4:5]
	v_cndmask_b32_e64 v6, 0, 1, vcc
	v_lshlrev_b32_e32 v6, 8, v6
	v_ldexp_f64 v[4:5], v[4:5], v6
	v_rsq_f64_e32 v[6:7], v[4:5]
	v_mul_f64 v[12:13], v[4:5], v[6:7]
	v_mul_f64 v[6:7], v[6:7], 0.5
	v_fma_f64 v[18:19], -v[6:7], v[12:13], 0.5
	v_fmac_f64_e32 v[12:13], v[12:13], v[18:19]
	v_fmac_f64_e32 v[6:7], v[6:7], v[18:19]
	v_fma_f64 v[18:19], -v[12:13], v[12:13], v[4:5]
	v_fmac_f64_e32 v[12:13], v[18:19], v[6:7]
	v_fma_f64 v[18:19], -v[12:13], v[12:13], v[4:5]
	v_fmac_f64_e32 v[12:13], v[18:19], v[6:7]
	v_cndmask_b32_e32 v6, 0, v31, vcc
	v_ldexp_f64 v[6:7], v[12:13], v6
	v_cmp_class_f64_e32 vcc, v[4:5], v28
	v_cndmask_b32_e32 v7, v7, v5, vcc
	v_cndmask_b32_e32 v6, v6, v4, vcc
	v_add_f64 v[4:5], v[6:7], v[6:7]
	v_div_scale_f64 v[12:13], s[28:29], v[4:5], v[4:5], v[20:21]
	v_rcp_f64_e32 v[18:19], v[12:13]
	v_fma_f64 v[26:27], -v[12:13], v[18:19], 1.0
	v_fmac_f64_e32 v[18:19], v[18:19], v[26:27]
	v_fma_f64 v[26:27], -v[12:13], v[18:19], 1.0
	v_fmac_f64_e32 v[18:19], v[18:19], v[26:27]
	v_div_scale_f64 v[26:27], vcc, v[20:21], v[4:5], v[20:21]
	v_mul_f64 v[32:33], v[26:27], v[18:19]
	v_fma_f64 v[12:13], -v[12:13], v[32:33], v[26:27]
	s_nop 1
	v_div_fmas_f64 v[12:13], v[12:13], v[18:19], v[32:33]
	v_div_fixup_f64 v[4:5], v[12:13], v[4:5], v[20:21]
                                        ; implicit-def: $vgpr12_vgpr13
                                        ; implicit-def: $vgpr18_vgpr19
	s_andn2_saveexec_b64 s[2:3], s[2:3]
	s_cbranch_execz .LBB302_191
	s_branch .LBB302_190
.LBB302_189:                            ;   in Loop: Header=BB302_177 Depth=1
	s_andn2_saveexec_b64 s[2:3], s[2:3]
	s_cbranch_execz .LBB302_191
.LBB302_190:                            ;   in Loop: Header=BB302_177 Depth=1
	v_add_f64 v[4:5], v[12:13], -v[18:19]
	v_mul_f64 v[4:5], v[4:5], 0.5
	v_cmp_gt_f64_e32 vcc, s[12:13], v[4:5]
	v_cndmask_b32_e64 v6, 0, 1, vcc
	v_lshlrev_b32_e32 v6, 8, v6
	v_ldexp_f64 v[4:5], v[4:5], v6
	v_rsq_f64_e32 v[6:7], v[4:5]
	v_mul_f64 v[12:13], v[4:5], v[6:7]
	v_mul_f64 v[6:7], v[6:7], 0.5
	v_fma_f64 v[18:19], -v[6:7], v[12:13], 0.5
	v_fmac_f64_e32 v[12:13], v[12:13], v[18:19]
	v_fmac_f64_e32 v[6:7], v[6:7], v[18:19]
	v_fma_f64 v[18:19], -v[12:13], v[12:13], v[4:5]
	v_fmac_f64_e32 v[12:13], v[18:19], v[6:7]
	v_fma_f64 v[18:19], -v[12:13], v[12:13], v[4:5]
	v_fmac_f64_e32 v[12:13], v[18:19], v[6:7]
	v_cndmask_b32_e32 v6, 0, v31, vcc
	v_ldexp_f64 v[6:7], v[12:13], v6
	v_cmp_class_f64_e32 vcc, v[4:5], v28
	v_cndmask_b32_e32 v5, v7, v5, vcc
	v_cndmask_b32_e32 v4, v6, v4, vcc
	v_add_f64 v[6:7], v[4:5], v[4:5]
	v_and_b32_e32 v13, 0x7fffffff, v21
	v_mov_b32_e32 v12, v20
	v_div_scale_f64 v[18:19], s[28:29], v[6:7], v[6:7], v[12:13]
	v_rcp_f64_e32 v[26:27], v[18:19]
	v_div_scale_f64 v[12:13], vcc, v[12:13], v[6:7], v[12:13]
	v_bfi_b32 v5, s36, v5, v21
	v_fma_f64 v[32:33], -v[18:19], v[26:27], 1.0
	v_fmac_f64_e32 v[26:27], v[26:27], v[32:33]
	v_fma_f64 v[32:33], -v[18:19], v[26:27], 1.0
	v_fmac_f64_e32 v[26:27], v[26:27], v[32:33]
	v_mul_f64 v[32:33], v[12:13], v[26:27]
	v_fma_f64 v[12:13], -v[18:19], v[32:33], v[12:13]
	v_div_fmas_f64 v[12:13], v[12:13], v[26:27], v[32:33]
	v_div_fixup_f64 v[6:7], v[12:13], v[6:7], |v[20:21]|
.LBB302_191:                            ;   in Loop: Header=BB302_177 Depth=1
	s_or_b64 exec, exec, s[2:3]
                                        ; implicit-def: $vgpr20_vgpr21
	s_and_saveexec_b64 s[2:3], s[0:1]
	s_xor_b64 s[0:1], exec, s[2:3]
	s_cbranch_execz .LBB302_193
; %bb.192:                              ;   in Loop: Header=BB302_177 Depth=1
	v_mul_f64 v[12:13], v[6:7], 0.5
	v_mul_f64 v[20:21], v[4:5], 0.5
	v_cndmask_b32_e64 v19, v7, v13, s[26:27]
	v_cndmask_b32_e64 v18, v6, v12, s[26:27]
	;; [unrolled: 1-line block ×4, first 2 shown]
                                        ; implicit-def: $vgpr6_vgpr7
                                        ; implicit-def: $vgpr4_vgpr5
	s_andn2_saveexec_b64 s[0:1], s[0:1]
	s_cbranch_execnz .LBB302_194
	s_branch .LBB302_195
.LBB302_193:                            ;   in Loop: Header=BB302_177 Depth=1
	s_andn2_saveexec_b64 s[0:1], s[0:1]
.LBB302_194:                            ;   in Loop: Header=BB302_177 Depth=1
	v_add_f64 v[18:19], v[6:7], v[6:7]
	v_add_f64 v[20:21], v[4:5], v[4:5]
.LBB302_195:                            ;   in Loop: Header=BB302_177 Depth=1
	s_or_b64 exec, exec, s[0:1]
.LBB302_196:                            ;   in Loop: Header=BB302_177 Depth=1
	s_andn2_saveexec_b64 s[0:1], s[24:25]
	s_cbranch_execz .LBB302_226
; %bb.197:                              ;   in Loop: Header=BB302_177 Depth=1
	v_cmp_lt_i64_e32 vcc, -1, v[18:19]
	v_add_f64 v[4:5], v[20:21], -v[20:21]
	s_and_saveexec_b64 s[2:3], vcc
	s_xor_b64 s[2:3], exec, s[2:3]
; %bb.198:                              ;   in Loop: Header=BB302_177 Depth=1
	v_bfi_b32 v5, s36, v5, v21
	v_pk_mov_b32 v[20:21], v[4:5], v[4:5] op_sel:[0,1]
                                        ; implicit-def: $vgpr4_vgpr5
; %bb.199:                              ;   in Loop: Header=BB302_177 Depth=1
	s_andn2_saveexec_b64 s[2:3], s[2:3]
; %bb.200:                              ;   in Loop: Header=BB302_177 Depth=1
	v_and_b32_e32 v5, 0x7fffffff, v5
	v_bfi_b32 v19, s36, v19, v21
	v_pk_mov_b32 v[20:21], v[18:19], v[18:19] op_sel:[0,1]
	v_pk_mov_b32 v[18:19], v[4:5], v[4:5] op_sel:[0,1]
; %bb.201:                              ;   in Loop: Header=BB302_177 Depth=1
	s_or_b64 exec, exec, s[2:3]
	s_or_b64 exec, exec, s[0:1]
.LBB302_202:                            ;   in Loop: Header=BB302_177 Depth=1
	s_andn2_saveexec_b64 s[0:1], s[22:23]
.LBB302_203:                            ;   in Loop: Header=BB302_177 Depth=1
	v_add_f64 v[4:5], v[20:21], -v[20:21]
	v_div_scale_f64 v[6:7], vcc, v[4:5], v[4:5], v[4:5]
	v_rcp_f64_e32 v[12:13], v[6:7]
	v_fma_f64 v[20:21], -v[6:7], v[12:13], 1.0
	v_fmac_f64_e32 v[12:13], v[12:13], v[20:21]
	v_fma_f64 v[20:21], -v[6:7], v[12:13], 1.0
	v_fmac_f64_e32 v[12:13], v[12:13], v[20:21]
	v_mul_f64 v[20:21], v[6:7], v[12:13]
	v_fma_f64 v[6:7], -v[6:7], v[20:21], v[6:7]
	v_div_fmas_f64 v[6:7], v[6:7], v[12:13], v[20:21]
	v_div_fixup_f64 v[20:21], v[6:7], v[4:5], v[4:5]
.LBB302_204:                            ;   in Loop: Header=BB302_177 Depth=1
	s_or_b64 exec, exec, s[0:1]
	v_pk_mov_b32 v[12:13], v[18:19], v[18:19] op_sel:[0,1]
.LBB302_205:                            ;   in Loop: Header=BB302_177 Depth=1
	s_or_b64 exec, exec, s[20:21]
.LBB302_206:                            ;   in Loop: Header=BB302_177 Depth=1
	s_or_b64 exec, exec, s[18:19]
	v_xor_b32_e32 v4, 0x80000000, v13
	v_cmp_gt_f64_e32 vcc, 0, v[12:13]
	v_cndmask_b32_e32 v27, v13, v4, vcc
	v_cndmask_b32_e32 v26, v12, v12, vcc
	v_xor_b32_e32 v4, 0x80000000, v21
	v_cmp_gt_f64_e32 vcc, 0, v[20:21]
	v_cndmask_b32_e32 v19, v21, v4, vcc
	v_cndmask_b32_e32 v18, v20, v20, vcc
	v_cmp_ge_f64_e32 vcc, v[26:27], v[18:19]
                                        ; implicit-def: $vgpr6_vgpr7
	s_and_saveexec_b64 s[0:1], vcc
	s_xor_b64 s[2:3], exec, s[0:1]
	s_cbranch_execz .LBB302_212
; %bb.207:                              ;   in Loop: Header=BB302_177 Depth=1
	v_cmp_neq_f64_e32 vcc, 0, v[12:13]
	v_cmp_neq_f64_e64 s[0:1], 0, v[20:21]
	s_or_b64 s[0:1], vcc, s[0:1]
                                        ; implicit-def: $vgpr6_vgpr7
	s_and_saveexec_b64 s[18:19], s[0:1]
	s_xor_b64 s[0:1], exec, s[18:19]
	s_cbranch_execz .LBB302_209
; %bb.208:                              ;   in Loop: Header=BB302_177 Depth=1
	v_div_scale_f64 v[4:5], s[18:19], v[12:13], v[12:13], v[20:21]
	v_rcp_f64_e32 v[6:7], v[4:5]
	v_div_scale_f64 v[18:19], vcc, v[20:21], v[12:13], v[20:21]
	v_fma_f64 v[26:27], -v[4:5], v[6:7], 1.0
	v_fmac_f64_e32 v[6:7], v[6:7], v[26:27]
	v_fma_f64 v[26:27], -v[4:5], v[6:7], 1.0
	v_fmac_f64_e32 v[6:7], v[6:7], v[26:27]
	v_mul_f64 v[26:27], v[18:19], v[6:7]
	v_fma_f64 v[4:5], -v[4:5], v[26:27], v[18:19]
	v_div_fmas_f64 v[4:5], v[4:5], v[6:7], v[26:27]
	v_div_fixup_f64 v[6:7], v[4:5], v[12:13], v[20:21]
	v_fmac_f64_e32 v[12:13], v[20:21], v[6:7]
	v_div_scale_f64 v[4:5], s[18:19], v[12:13], v[12:13], 1.0
	v_rcp_f64_e32 v[18:19], v[4:5]
	v_fma_f64 v[20:21], -v[4:5], v[18:19], 1.0
	v_fmac_f64_e32 v[18:19], v[18:19], v[20:21]
	v_fma_f64 v[20:21], -v[4:5], v[18:19], 1.0
	v_fmac_f64_e32 v[18:19], v[18:19], v[20:21]
	v_div_scale_f64 v[20:21], vcc, 1.0, v[12:13], 1.0
	v_mul_f64 v[26:27], v[20:21], v[18:19]
	v_fma_f64 v[4:5], -v[4:5], v[26:27], v[20:21]
	s_nop 1
	v_div_fmas_f64 v[4:5], v[4:5], v[18:19], v[26:27]
	v_div_fixup_f64 v[12:13], v[4:5], v[12:13], 1.0
	v_fma_f64 v[4:5], v[6:7], 0, 1.0
	v_add_f64 v[6:7], -v[6:7], 0
	v_mul_f64 v[4:5], v[4:5], v[12:13]
	v_mul_f64 v[6:7], v[6:7], v[12:13]
                                        ; implicit-def: $vgpr26_vgpr27
                                        ; implicit-def: $vgpr18_vgpr19
.LBB302_209:                            ;   in Loop: Header=BB302_177 Depth=1
	s_andn2_saveexec_b64 s[0:1], s[0:1]
	s_cbranch_execz .LBB302_211
; %bb.210:                              ;   in Loop: Header=BB302_177 Depth=1
	v_div_scale_f64 v[4:5], s[18:19], v[26:27], v[26:27], 1.0
	v_rcp_f64_e32 v[6:7], v[4:5]
	v_div_scale_f64 v[12:13], vcc, 1.0, v[26:27], 1.0
	v_fma_f64 v[20:21], -v[4:5], v[6:7], 1.0
	v_fmac_f64_e32 v[6:7], v[6:7], v[20:21]
	v_fma_f64 v[20:21], -v[4:5], v[6:7], 1.0
	v_fmac_f64_e32 v[6:7], v[6:7], v[20:21]
	v_mul_f64 v[20:21], v[12:13], v[6:7]
	v_fma_f64 v[4:5], -v[4:5], v[20:21], v[12:13]
	v_div_scale_f64 v[12:13], s[18:19], v[18:19], v[18:19], 0
	v_rcp_f64_e32 v[32:33], v[12:13]
	v_div_fmas_f64 v[4:5], v[4:5], v[6:7], v[20:21]
	v_div_fixup_f64 v[4:5], v[4:5], v[26:27], 1.0
	v_fma_f64 v[6:7], -v[12:13], v[32:33], 1.0
	v_fmac_f64_e32 v[32:33], v[32:33], v[6:7]
	v_fma_f64 v[6:7], -v[12:13], v[32:33], 1.0
	v_fmac_f64_e32 v[32:33], v[32:33], v[6:7]
	v_div_scale_f64 v[6:7], vcc, 0, v[18:19], 0
	v_mul_f64 v[20:21], v[6:7], v[32:33]
	v_fma_f64 v[6:7], -v[12:13], v[20:21], v[6:7]
	s_nop 1
	v_div_fmas_f64 v[6:7], v[6:7], v[32:33], v[20:21]
	v_div_fixup_f64 v[6:7], v[6:7], v[18:19], 0
.LBB302_211:                            ;   in Loop: Header=BB302_177 Depth=1
	s_or_b64 exec, exec, s[0:1]
                                        ; implicit-def: $vgpr20_vgpr21
                                        ; implicit-def: $vgpr12_vgpr13
.LBB302_212:                            ;   in Loop: Header=BB302_177 Depth=1
	s_andn2_saveexec_b64 s[0:1], s[2:3]
	s_cbranch_execz .LBB302_214
; %bb.213:                              ;   in Loop: Header=BB302_177 Depth=1
	v_div_scale_f64 v[4:5], s[2:3], v[20:21], v[20:21], v[12:13]
	v_rcp_f64_e32 v[6:7], v[4:5]
	v_div_scale_f64 v[18:19], vcc, v[12:13], v[20:21], v[12:13]
	v_fma_f64 v[26:27], -v[4:5], v[6:7], 1.0
	v_fmac_f64_e32 v[6:7], v[6:7], v[26:27]
	v_fma_f64 v[26:27], -v[4:5], v[6:7], 1.0
	v_fmac_f64_e32 v[6:7], v[6:7], v[26:27]
	v_mul_f64 v[26:27], v[18:19], v[6:7]
	v_fma_f64 v[4:5], -v[4:5], v[26:27], v[18:19]
	v_div_fmas_f64 v[4:5], v[4:5], v[6:7], v[26:27]
	v_div_fixup_f64 v[6:7], v[4:5], v[20:21], v[12:13]
	v_fmac_f64_e32 v[20:21], v[12:13], v[6:7]
	v_div_scale_f64 v[4:5], s[2:3], v[20:21], v[20:21], 1.0
	v_rcp_f64_e32 v[12:13], v[4:5]
	v_fma_f64 v[18:19], -v[4:5], v[12:13], 1.0
	v_fmac_f64_e32 v[12:13], v[12:13], v[18:19]
	v_fma_f64 v[18:19], -v[4:5], v[12:13], 1.0
	v_fmac_f64_e32 v[12:13], v[12:13], v[18:19]
	v_div_scale_f64 v[18:19], vcc, 1.0, v[20:21], 1.0
	v_mul_f64 v[26:27], v[18:19], v[12:13]
	v_fma_f64 v[4:5], -v[4:5], v[26:27], v[18:19]
	s_nop 1
	v_div_fmas_f64 v[4:5], v[4:5], v[12:13], v[26:27]
	v_div_fixup_f64 v[12:13], v[4:5], v[20:21], 1.0
	v_add_f64 v[4:5], v[6:7], 0
	v_fma_f64 v[6:7], v[6:7], 0, -1.0
	v_mul_f64 v[4:5], v[4:5], v[12:13]
	v_mul_f64 v[6:7], v[6:7], v[12:13]
.LBB302_214:                            ;   in Loop: Header=BB302_177 Depth=1
	s_or_b64 exec, exec, s[0:1]
	s_waitcnt vmcnt(2)
	v_cmp_neq_f64_e32 vcc, 0, v[14:15]
	v_cmp_neq_f64_e64 s[0:1], 0, v[16:17]
	s_or_b64 s[0:1], vcc, s[0:1]
	v_pk_mov_b32 v[18:19], 0, 0
	s_and_saveexec_b64 s[18:19], s[0:1]
	s_cbranch_execz .LBB302_245
; %bb.215:                              ;   in Loop: Header=BB302_177 Depth=1
	v_cmp_neq_f64_e64 s[0:1], |v[16:17]|, s[6:7]
	v_pk_mov_b32 v[18:19], s[6:7], s[6:7] op_sel:[0,1]
	s_and_saveexec_b64 s[20:21], s[0:1]
	s_cbranch_execz .LBB302_244
; %bb.216:                              ;   in Loop: Header=BB302_177 Depth=1
	v_cmp_o_f64_e32 vcc, v[14:15], v[14:15]
	s_and_saveexec_b64 s[0:1], vcc
	s_xor_b64 s[22:23], exec, s[0:1]
	s_cbranch_execz .LBB302_241
; %bb.217:                              ;   in Loop: Header=BB302_177 Depth=1
	v_cmp_neq_f64_e64 s[0:1], |v[14:15]|, s[6:7]
	s_and_saveexec_b64 s[2:3], s[0:1]
	s_xor_b64 s[24:25], exec, s[2:3]
	s_cbranch_execz .LBB302_234
; %bb.218:                              ;   in Loop: Header=BB302_177 Depth=1
	v_max_f64 v[12:13], |v[16:17]|, |v[16:17]|
	v_max_f64 v[18:19], |v[14:15]|, |v[14:15]|
	v_max_f64 v[12:13], v[18:19], v[12:13]
	v_cmp_nle_f64_e64 s[0:1], s[8:9], v[12:13]
                                        ; implicit-def: $sgpr26_sgpr27
	s_and_saveexec_b64 s[2:3], s[0:1]
	s_xor_b64 s[2:3], exec, s[2:3]
	s_cbranch_execz .LBB302_222
; %bb.219:                              ;   in Loop: Header=BB302_177 Depth=1
	v_cmp_le_f64_e64 s[26:27], |v[14:15]|, s[10:11]
	v_cmp_le_f64_e64 s[28:29], |v[16:17]|, s[10:11]
	s_and_b64 s[38:39], s[26:27], s[28:29]
	s_mov_b64 s[26:27], 0
	s_and_saveexec_b64 s[28:29], s[38:39]
; %bb.220:                              ;   in Loop: Header=BB302_177 Depth=1
	s_mov_b64 s[26:27], exec
	v_mul_f64 v[14:15], v[14:15], 4.0
	v_mul_f64 v[16:17], v[16:17], 4.0
; %bb.221:                              ;   in Loop: Header=BB302_177 Depth=1
	s_or_b64 exec, exec, s[28:29]
	s_and_b64 s[26:27], s[26:27], exec
.LBB302_222:                            ;   in Loop: Header=BB302_177 Depth=1
	s_andn2_saveexec_b64 s[2:3], s[2:3]
; %bb.223:                              ;   in Loop: Header=BB302_177 Depth=1
	v_ldexp_f64 v[14:15], v[14:15], -2
	v_ldexp_f64 v[16:17], v[16:17], -2
	s_andn2_b64 s[26:27], s[26:27], exec
; %bb.224:                              ;   in Loop: Header=BB302_177 Depth=1
	s_or_b64 exec, exec, s[2:3]
	v_max_f64 v[12:13], |v[16:17]|, |v[16:17]|
	v_max_f64 v[18:19], |v[14:15]|, |v[14:15]|
	v_max_f64 v[12:13], v[18:19], v[12:13]
	v_frexp_exp_i32_f64_e32 v32, v[12:13]
	v_sub_u32_e32 v18, 0, v32
	v_ldexp_f64 v[12:13], |v[14:15]|, v18
	v_ldexp_f64 v[18:19], |v[16:17]|, v18
	v_mul_f64 v[18:19], v[18:19], v[18:19]
	v_fmac_f64_e32 v[18:19], v[12:13], v[12:13]
	v_rsq_f64_e32 v[12:13], v[18:19]
	v_cmp_eq_f64_e64 s[2:3], 0, v[18:19]
	v_cmp_class_f64_e64 s[28:29], v[16:17], s35
	v_cmp_le_f64_e32 vcc, 0, v[14:15]
	v_mul_f64 v[20:21], v[18:19], v[12:13]
	v_mul_f64 v[12:13], v[12:13], 0.5
	v_fma_f64 v[26:27], -v[12:13], v[20:21], 0.5
	v_fmac_f64_e32 v[20:21], v[20:21], v[26:27]
	v_fmac_f64_e32 v[12:13], v[12:13], v[26:27]
	v_fma_f64 v[26:27], -v[20:21], v[20:21], v[18:19]
	v_fmac_f64_e32 v[20:21], v[26:27], v[12:13]
	v_cndmask_b32_e64 v13, v21, v19, s[2:3]
	v_cndmask_b32_e64 v12, v20, v18, s[2:3]
	v_ldexp_f64 v[12:13], v[12:13], v32
	v_cmp_o_f64_e64 s[2:3], v[16:17], v[16:17]
	v_cndmask_b32_e64 v12, 0, v12, s[2:3]
	v_cndmask_b32_e64 v13, v29, v13, s[2:3]
	v_cmp_class_f64_e64 s[2:3], v[14:15], s35
	s_or_b64 s[2:3], s[28:29], s[2:3]
	v_cndmask_b32_e64 v21, v13, v30, s[2:3]
	v_cndmask_b32_e64 v20, v12, 0, s[2:3]
                                        ; implicit-def: $vgpr12_vgpr13
                                        ; implicit-def: $vgpr18_vgpr19
	s_and_saveexec_b64 s[2:3], vcc
	s_xor_b64 s[2:3], exec, s[2:3]
	s_cbranch_execz .LBB302_227
; %bb.225:                              ;   in Loop: Header=BB302_177 Depth=1
	v_add_f64 v[12:13], v[14:15], v[20:21]
	v_mul_f64 v[12:13], v[12:13], 0.5
	v_cmp_gt_f64_e32 vcc, s[12:13], v[12:13]
	v_cndmask_b32_e64 v14, 0, 1, vcc
	v_lshlrev_b32_e32 v14, 8, v14
	v_ldexp_f64 v[12:13], v[12:13], v14
	v_rsq_f64_e32 v[14:15], v[12:13]
	v_mul_f64 v[18:19], v[12:13], v[14:15]
	v_mul_f64 v[14:15], v[14:15], 0.5
	v_fma_f64 v[20:21], -v[14:15], v[18:19], 0.5
	v_fmac_f64_e32 v[18:19], v[18:19], v[20:21]
	v_fmac_f64_e32 v[14:15], v[14:15], v[20:21]
	v_fma_f64 v[20:21], -v[18:19], v[18:19], v[12:13]
	v_fmac_f64_e32 v[18:19], v[20:21], v[14:15]
	v_fma_f64 v[20:21], -v[18:19], v[18:19], v[12:13]
	v_fmac_f64_e32 v[18:19], v[20:21], v[14:15]
	v_cndmask_b32_e32 v14, 0, v31, vcc
	v_ldexp_f64 v[14:15], v[18:19], v14
	v_cmp_class_f64_e32 vcc, v[12:13], v28
	v_cndmask_b32_e32 v19, v15, v13, vcc
	v_cndmask_b32_e32 v18, v14, v12, vcc
	v_add_f64 v[12:13], v[18:19], v[18:19]
	v_div_scale_f64 v[14:15], s[28:29], v[12:13], v[12:13], v[16:17]
	v_rcp_f64_e32 v[20:21], v[14:15]
	v_fma_f64 v[26:27], -v[14:15], v[20:21], 1.0
	v_fmac_f64_e32 v[20:21], v[20:21], v[26:27]
	v_fma_f64 v[26:27], -v[14:15], v[20:21], 1.0
	v_fmac_f64_e32 v[20:21], v[20:21], v[26:27]
	v_div_scale_f64 v[26:27], vcc, v[16:17], v[12:13], v[16:17]
	v_mul_f64 v[32:33], v[26:27], v[20:21]
	v_fma_f64 v[14:15], -v[14:15], v[32:33], v[26:27]
	s_nop 1
	v_div_fmas_f64 v[14:15], v[14:15], v[20:21], v[32:33]
	v_div_fixup_f64 v[12:13], v[14:15], v[12:13], v[16:17]
                                        ; implicit-def: $vgpr20_vgpr21
                                        ; implicit-def: $vgpr14_vgpr15
	s_andn2_saveexec_b64 s[2:3], s[2:3]
	s_cbranch_execz .LBB302_229
	s_branch .LBB302_228
.LBB302_226:                            ;   in Loop: Header=BB302_177 Depth=1
	s_or_b64 exec, exec, s[0:1]
	s_andn2_saveexec_b64 s[0:1], s[22:23]
	s_cbranch_execnz .LBB302_203
	s_branch .LBB302_204
.LBB302_227:                            ;   in Loop: Header=BB302_177 Depth=1
	s_andn2_saveexec_b64 s[2:3], s[2:3]
	s_cbranch_execz .LBB302_229
.LBB302_228:                            ;   in Loop: Header=BB302_177 Depth=1
	v_add_f64 v[12:13], v[20:21], -v[14:15]
	v_mul_f64 v[12:13], v[12:13], 0.5
	v_cmp_gt_f64_e32 vcc, s[12:13], v[12:13]
	v_cndmask_b32_e64 v14, 0, 1, vcc
	v_lshlrev_b32_e32 v14, 8, v14
	v_ldexp_f64 v[12:13], v[12:13], v14
	v_rsq_f64_e32 v[14:15], v[12:13]
	v_mul_f64 v[18:19], v[12:13], v[14:15]
	v_mul_f64 v[14:15], v[14:15], 0.5
	v_fma_f64 v[20:21], -v[14:15], v[18:19], 0.5
	v_fmac_f64_e32 v[18:19], v[18:19], v[20:21]
	v_fmac_f64_e32 v[14:15], v[14:15], v[20:21]
	v_fma_f64 v[20:21], -v[18:19], v[18:19], v[12:13]
	v_fmac_f64_e32 v[18:19], v[20:21], v[14:15]
	v_fma_f64 v[20:21], -v[18:19], v[18:19], v[12:13]
	v_fmac_f64_e32 v[18:19], v[20:21], v[14:15]
	v_cndmask_b32_e32 v14, 0, v31, vcc
	v_ldexp_f64 v[14:15], v[18:19], v14
	v_cmp_class_f64_e32 vcc, v[12:13], v28
	v_cndmask_b32_e32 v13, v15, v13, vcc
	v_cndmask_b32_e32 v12, v14, v12, vcc
	v_add_f64 v[14:15], v[12:13], v[12:13]
	v_and_b32_e32 v19, 0x7fffffff, v17
	v_mov_b32_e32 v18, v16
	v_div_scale_f64 v[20:21], s[28:29], v[14:15], v[14:15], v[18:19]
	v_rcp_f64_e32 v[26:27], v[20:21]
	v_div_scale_f64 v[18:19], vcc, v[18:19], v[14:15], v[18:19]
	v_bfi_b32 v13, s36, v13, v17
	v_fma_f64 v[32:33], -v[20:21], v[26:27], 1.0
	v_fmac_f64_e32 v[26:27], v[26:27], v[32:33]
	v_fma_f64 v[32:33], -v[20:21], v[26:27], 1.0
	v_fmac_f64_e32 v[26:27], v[26:27], v[32:33]
	v_mul_f64 v[32:33], v[18:19], v[26:27]
	v_fma_f64 v[18:19], -v[20:21], v[32:33], v[18:19]
	v_div_fmas_f64 v[18:19], v[18:19], v[26:27], v[32:33]
	v_div_fixup_f64 v[18:19], v[18:19], v[14:15], |v[16:17]|
.LBB302_229:                            ;   in Loop: Header=BB302_177 Depth=1
	s_or_b64 exec, exec, s[2:3]
                                        ; implicit-def: $vgpr16_vgpr17
	s_and_saveexec_b64 s[2:3], s[0:1]
	s_xor_b64 s[0:1], exec, s[2:3]
	s_cbranch_execz .LBB302_231
; %bb.230:                              ;   in Loop: Header=BB302_177 Depth=1
	v_mul_f64 v[14:15], v[18:19], 0.5
	v_mul_f64 v[16:17], v[12:13], 0.5
	v_cndmask_b32_e64 v15, v19, v15, s[26:27]
	v_cndmask_b32_e64 v14, v18, v14, s[26:27]
	;; [unrolled: 1-line block ×4, first 2 shown]
                                        ; implicit-def: $vgpr18_vgpr19
                                        ; implicit-def: $vgpr12_vgpr13
	s_andn2_saveexec_b64 s[0:1], s[0:1]
	s_cbranch_execnz .LBB302_232
	s_branch .LBB302_233
.LBB302_231:                            ;   in Loop: Header=BB302_177 Depth=1
	s_andn2_saveexec_b64 s[0:1], s[0:1]
.LBB302_232:                            ;   in Loop: Header=BB302_177 Depth=1
	v_add_f64 v[14:15], v[18:19], v[18:19]
	v_add_f64 v[16:17], v[12:13], v[12:13]
.LBB302_233:                            ;   in Loop: Header=BB302_177 Depth=1
	s_or_b64 exec, exec, s[0:1]
.LBB302_234:                            ;   in Loop: Header=BB302_177 Depth=1
	s_andn2_saveexec_b64 s[0:1], s[24:25]
	s_cbranch_execz .LBB302_240
; %bb.235:                              ;   in Loop: Header=BB302_177 Depth=1
	v_cmp_lt_i64_e32 vcc, -1, v[14:15]
	v_add_f64 v[12:13], v[16:17], -v[16:17]
	s_and_saveexec_b64 s[2:3], vcc
	s_xor_b64 s[2:3], exec, s[2:3]
; %bb.236:                              ;   in Loop: Header=BB302_177 Depth=1
	v_bfi_b32 v13, s36, v13, v17
	v_pk_mov_b32 v[16:17], v[12:13], v[12:13] op_sel:[0,1]
                                        ; implicit-def: $vgpr12_vgpr13
; %bb.237:                              ;   in Loop: Header=BB302_177 Depth=1
	s_andn2_saveexec_b64 s[2:3], s[2:3]
; %bb.238:                              ;   in Loop: Header=BB302_177 Depth=1
	v_and_b32_e32 v13, 0x7fffffff, v13
	v_bfi_b32 v15, s36, v15, v17
	v_pk_mov_b32 v[16:17], v[14:15], v[14:15] op_sel:[0,1]
	v_pk_mov_b32 v[14:15], v[12:13], v[12:13] op_sel:[0,1]
; %bb.239:                              ;   in Loop: Header=BB302_177 Depth=1
	s_or_b64 exec, exec, s[2:3]
.LBB302_240:                            ;   in Loop: Header=BB302_177 Depth=1
	s_or_b64 exec, exec, s[0:1]
.LBB302_241:                            ;   in Loop: Header=BB302_177 Depth=1
	s_andn2_saveexec_b64 s[0:1], s[22:23]
; %bb.242:                              ;   in Loop: Header=BB302_177 Depth=1
	v_add_f64 v[12:13], v[16:17], -v[16:17]
	v_div_scale_f64 v[16:17], vcc, v[12:13], v[12:13], v[12:13]
	v_rcp_f64_e32 v[18:19], v[16:17]
	v_fma_f64 v[20:21], -v[16:17], v[18:19], 1.0
	v_fmac_f64_e32 v[18:19], v[18:19], v[20:21]
	v_fma_f64 v[20:21], -v[16:17], v[18:19], 1.0
	v_fmac_f64_e32 v[18:19], v[18:19], v[20:21]
	v_mul_f64 v[20:21], v[16:17], v[18:19]
	v_fma_f64 v[16:17], -v[16:17], v[20:21], v[16:17]
	v_div_fmas_f64 v[16:17], v[16:17], v[18:19], v[20:21]
	v_div_fixup_f64 v[16:17], v[16:17], v[12:13], v[12:13]
; %bb.243:                              ;   in Loop: Header=BB302_177 Depth=1
	s_or_b64 exec, exec, s[0:1]
	v_pk_mov_b32 v[18:19], v[14:15], v[14:15] op_sel:[0,1]
.LBB302_244:                            ;   in Loop: Header=BB302_177 Depth=1
	s_or_b64 exec, exec, s[20:21]
.LBB302_245:                            ;   in Loop: Header=BB302_177 Depth=1
	s_or_b64 exec, exec, s[18:19]
	v_xor_b32_e32 v12, 0x80000000, v19
	v_cmp_gt_f64_e32 vcc, 0, v[18:19]
	v_cndmask_b32_e32 v27, v19, v12, vcc
	v_cndmask_b32_e32 v26, v18, v18, vcc
	v_xor_b32_e32 v12, 0x80000000, v17
	v_cmp_gt_f64_e32 vcc, 0, v[16:17]
	v_cndmask_b32_e32 v21, v17, v12, vcc
	v_cndmask_b32_e32 v20, v16, v16, vcc
	v_cmp_ge_f64_e32 vcc, v[26:27], v[20:21]
                                        ; implicit-def: $vgpr14_vgpr15
	s_and_saveexec_b64 s[0:1], vcc
	s_xor_b64 s[2:3], exec, s[0:1]
	s_cbranch_execz .LBB302_251
; %bb.246:                              ;   in Loop: Header=BB302_177 Depth=1
	v_cmp_neq_f64_e32 vcc, 0, v[18:19]
	v_cmp_neq_f64_e64 s[0:1], 0, v[16:17]
	s_or_b64 s[0:1], vcc, s[0:1]
                                        ; implicit-def: $vgpr14_vgpr15
	s_and_saveexec_b64 s[18:19], s[0:1]
	s_xor_b64 s[0:1], exec, s[18:19]
	s_cbranch_execz .LBB302_248
; %bb.247:                              ;   in Loop: Header=BB302_177 Depth=1
	v_div_scale_f64 v[12:13], s[18:19], v[18:19], v[18:19], v[16:17]
	v_rcp_f64_e32 v[14:15], v[12:13]
	v_div_scale_f64 v[20:21], vcc, v[16:17], v[18:19], v[16:17]
	v_fma_f64 v[26:27], -v[12:13], v[14:15], 1.0
	v_fmac_f64_e32 v[14:15], v[14:15], v[26:27]
	v_fma_f64 v[26:27], -v[12:13], v[14:15], 1.0
	v_fmac_f64_e32 v[14:15], v[14:15], v[26:27]
	v_mul_f64 v[26:27], v[20:21], v[14:15]
	v_fma_f64 v[12:13], -v[12:13], v[26:27], v[20:21]
	v_div_fmas_f64 v[12:13], v[12:13], v[14:15], v[26:27]
	v_div_fixup_f64 v[14:15], v[12:13], v[18:19], v[16:17]
	v_fmac_f64_e32 v[18:19], v[16:17], v[14:15]
	v_div_scale_f64 v[12:13], s[18:19], v[18:19], v[18:19], 1.0
	v_rcp_f64_e32 v[16:17], v[12:13]
	v_fma_f64 v[20:21], -v[12:13], v[16:17], 1.0
	v_fmac_f64_e32 v[16:17], v[16:17], v[20:21]
	v_fma_f64 v[20:21], -v[12:13], v[16:17], 1.0
	v_fmac_f64_e32 v[16:17], v[16:17], v[20:21]
	v_div_scale_f64 v[20:21], vcc, 1.0, v[18:19], 1.0
	v_mul_f64 v[26:27], v[20:21], v[16:17]
	v_fma_f64 v[12:13], -v[12:13], v[26:27], v[20:21]
                                        ; implicit-def: $vgpr20_vgpr21
	s_nop 1
	v_div_fmas_f64 v[12:13], v[12:13], v[16:17], v[26:27]
	v_div_fixup_f64 v[16:17], v[12:13], v[18:19], 1.0
	v_fma_f64 v[12:13], v[14:15], 0, 1.0
	v_add_f64 v[14:15], -v[14:15], 0
	v_mul_f64 v[12:13], v[12:13], v[16:17]
	v_mul_f64 v[14:15], v[14:15], v[16:17]
                                        ; implicit-def: $vgpr26_vgpr27
.LBB302_248:                            ;   in Loop: Header=BB302_177 Depth=1
	s_andn2_saveexec_b64 s[0:1], s[0:1]
	s_cbranch_execz .LBB302_250
; %bb.249:                              ;   in Loop: Header=BB302_177 Depth=1
	v_div_scale_f64 v[12:13], s[18:19], v[26:27], v[26:27], 1.0
	v_rcp_f64_e32 v[14:15], v[12:13]
	v_div_scale_f64 v[16:17], vcc, 1.0, v[26:27], 1.0
	v_fma_f64 v[18:19], -v[12:13], v[14:15], 1.0
	v_fmac_f64_e32 v[14:15], v[14:15], v[18:19]
	v_fma_f64 v[18:19], -v[12:13], v[14:15], 1.0
	v_fmac_f64_e32 v[14:15], v[14:15], v[18:19]
	v_mul_f64 v[18:19], v[16:17], v[14:15]
	v_fma_f64 v[12:13], -v[12:13], v[18:19], v[16:17]
	v_div_scale_f64 v[16:17], s[18:19], v[20:21], v[20:21], 0
	v_rcp_f64_e32 v[32:33], v[16:17]
	v_div_fmas_f64 v[12:13], v[12:13], v[14:15], v[18:19]
	v_div_fixup_f64 v[12:13], v[12:13], v[26:27], 1.0
	v_fma_f64 v[14:15], -v[16:17], v[32:33], 1.0
	v_fmac_f64_e32 v[32:33], v[32:33], v[14:15]
	v_fma_f64 v[14:15], -v[16:17], v[32:33], 1.0
	v_fmac_f64_e32 v[32:33], v[32:33], v[14:15]
	v_div_scale_f64 v[14:15], vcc, 0, v[20:21], 0
	v_mul_f64 v[18:19], v[14:15], v[32:33]
	v_fma_f64 v[14:15], -v[16:17], v[18:19], v[14:15]
	s_nop 1
	v_div_fmas_f64 v[14:15], v[14:15], v[32:33], v[18:19]
	v_div_fixup_f64 v[14:15], v[14:15], v[20:21], 0
.LBB302_250:                            ;   in Loop: Header=BB302_177 Depth=1
	s_or_b64 exec, exec, s[0:1]
                                        ; implicit-def: $vgpr16_vgpr17
                                        ; implicit-def: $vgpr18_vgpr19
.LBB302_251:                            ;   in Loop: Header=BB302_177 Depth=1
	s_andn2_saveexec_b64 s[0:1], s[2:3]
	s_cbranch_execz .LBB302_253
; %bb.252:                              ;   in Loop: Header=BB302_177 Depth=1
	v_div_scale_f64 v[12:13], s[2:3], v[16:17], v[16:17], v[18:19]
	v_rcp_f64_e32 v[14:15], v[12:13]
	v_div_scale_f64 v[20:21], vcc, v[18:19], v[16:17], v[18:19]
	v_fma_f64 v[26:27], -v[12:13], v[14:15], 1.0
	v_fmac_f64_e32 v[14:15], v[14:15], v[26:27]
	v_fma_f64 v[26:27], -v[12:13], v[14:15], 1.0
	v_fmac_f64_e32 v[14:15], v[14:15], v[26:27]
	v_mul_f64 v[26:27], v[20:21], v[14:15]
	v_fma_f64 v[12:13], -v[12:13], v[26:27], v[20:21]
	v_div_fmas_f64 v[12:13], v[12:13], v[14:15], v[26:27]
	v_div_fixup_f64 v[14:15], v[12:13], v[16:17], v[18:19]
	v_fmac_f64_e32 v[16:17], v[18:19], v[14:15]
	v_div_scale_f64 v[12:13], s[2:3], v[16:17], v[16:17], 1.0
	v_rcp_f64_e32 v[18:19], v[12:13]
	v_fma_f64 v[20:21], -v[12:13], v[18:19], 1.0
	v_fmac_f64_e32 v[18:19], v[18:19], v[20:21]
	v_fma_f64 v[20:21], -v[12:13], v[18:19], 1.0
	v_fmac_f64_e32 v[18:19], v[18:19], v[20:21]
	v_div_scale_f64 v[20:21], vcc, 1.0, v[16:17], 1.0
	v_mul_f64 v[26:27], v[20:21], v[18:19]
	v_fma_f64 v[12:13], -v[12:13], v[26:27], v[20:21]
	s_nop 1
	v_div_fmas_f64 v[12:13], v[12:13], v[18:19], v[26:27]
	v_div_fixup_f64 v[16:17], v[12:13], v[16:17], 1.0
	v_add_f64 v[12:13], v[14:15], 0
	v_fma_f64 v[14:15], v[14:15], 0, -1.0
	v_mul_f64 v[12:13], v[12:13], v[16:17]
	v_mul_f64 v[14:15], v[14:15], v[16:17]
.LBB302_253:                            ;   in Loop: Header=BB302_177 Depth=1
	s_or_b64 exec, exec, s[0:1]
	s_waitcnt vmcnt(0)
	v_cmp_neq_f64_e32 vcc, 0, v[8:9]
	v_cmp_neq_f64_e64 s[0:1], 0, v[10:11]
	s_or_b64 s[0:1], vcc, s[0:1]
	v_pk_mov_b32 v[20:21], 0, 0
	s_and_saveexec_b64 s[18:19], s[0:1]
	s_cbranch_execz .LBB302_283
; %bb.254:                              ;   in Loop: Header=BB302_177 Depth=1
	v_cmp_neq_f64_e64 s[0:1], |v[10:11]|, s[6:7]
	v_pk_mov_b32 v[20:21], s[6:7], s[6:7] op_sel:[0,1]
	s_and_saveexec_b64 s[20:21], s[0:1]
	s_cbranch_execz .LBB302_282
; %bb.255:                              ;   in Loop: Header=BB302_177 Depth=1
	v_cmp_o_f64_e32 vcc, v[8:9], v[8:9]
	s_and_saveexec_b64 s[0:1], vcc
	s_xor_b64 s[22:23], exec, s[0:1]
	s_cbranch_execz .LBB302_279
; %bb.256:                              ;   in Loop: Header=BB302_177 Depth=1
	v_cmp_neq_f64_e64 s[0:1], |v[8:9]|, s[6:7]
	s_and_saveexec_b64 s[2:3], s[0:1]
	s_xor_b64 s[24:25], exec, s[2:3]
	s_cbranch_execz .LBB302_272
; %bb.257:                              ;   in Loop: Header=BB302_177 Depth=1
	v_max_f64 v[16:17], |v[10:11]|, |v[10:11]|
	v_max_f64 v[18:19], |v[8:9]|, |v[8:9]|
	v_max_f64 v[16:17], v[18:19], v[16:17]
	v_cmp_nle_f64_e64 s[0:1], s[8:9], v[16:17]
                                        ; implicit-def: $sgpr26_sgpr27
	s_and_saveexec_b64 s[2:3], s[0:1]
	s_xor_b64 s[2:3], exec, s[2:3]
	s_cbranch_execz .LBB302_261
; %bb.258:                              ;   in Loop: Header=BB302_177 Depth=1
	v_cmp_le_f64_e64 s[26:27], |v[8:9]|, s[10:11]
	v_cmp_le_f64_e64 s[28:29], |v[10:11]|, s[10:11]
	s_and_b64 s[38:39], s[26:27], s[28:29]
	s_mov_b64 s[26:27], 0
	s_and_saveexec_b64 s[28:29], s[38:39]
; %bb.259:                              ;   in Loop: Header=BB302_177 Depth=1
	s_mov_b64 s[26:27], exec
	v_mul_f64 v[8:9], v[8:9], 4.0
	v_mul_f64 v[10:11], v[10:11], 4.0
; %bb.260:                              ;   in Loop: Header=BB302_177 Depth=1
	s_or_b64 exec, exec, s[28:29]
	s_and_b64 s[26:27], s[26:27], exec
.LBB302_261:                            ;   in Loop: Header=BB302_177 Depth=1
	s_andn2_saveexec_b64 s[2:3], s[2:3]
; %bb.262:                              ;   in Loop: Header=BB302_177 Depth=1
	v_ldexp_f64 v[8:9], v[8:9], -2
	v_ldexp_f64 v[10:11], v[10:11], -2
	s_andn2_b64 s[26:27], s[26:27], exec
; %bb.263:                              ;   in Loop: Header=BB302_177 Depth=1
	s_or_b64 exec, exec, s[2:3]
	v_max_f64 v[16:17], |v[10:11]|, |v[10:11]|
	v_max_f64 v[18:19], |v[8:9]|, |v[8:9]|
	v_max_f64 v[16:17], v[18:19], v[16:17]
	v_frexp_exp_i32_f64_e32 v32, v[16:17]
	v_sub_u32_e32 v18, 0, v32
	v_ldexp_f64 v[16:17], |v[8:9]|, v18
	v_ldexp_f64 v[18:19], |v[10:11]|, v18
	v_mul_f64 v[18:19], v[18:19], v[18:19]
	v_fmac_f64_e32 v[18:19], v[16:17], v[16:17]
	v_rsq_f64_e32 v[16:17], v[18:19]
	v_cmp_eq_f64_e64 s[2:3], 0, v[18:19]
	v_cmp_class_f64_e64 s[28:29], v[10:11], s35
	v_cmp_le_f64_e32 vcc, 0, v[8:9]
	v_mul_f64 v[20:21], v[18:19], v[16:17]
	v_mul_f64 v[16:17], v[16:17], 0.5
	v_fma_f64 v[26:27], -v[16:17], v[20:21], 0.5
	v_fmac_f64_e32 v[20:21], v[20:21], v[26:27]
	v_fmac_f64_e32 v[16:17], v[16:17], v[26:27]
	v_fma_f64 v[26:27], -v[20:21], v[20:21], v[18:19]
	v_fmac_f64_e32 v[20:21], v[26:27], v[16:17]
	v_cndmask_b32_e64 v17, v21, v19, s[2:3]
	v_cndmask_b32_e64 v16, v20, v18, s[2:3]
	v_ldexp_f64 v[16:17], v[16:17], v32
	v_cmp_o_f64_e64 s[2:3], v[10:11], v[10:11]
	v_cndmask_b32_e64 v16, 0, v16, s[2:3]
	v_cndmask_b32_e64 v17, v29, v17, s[2:3]
	v_cmp_class_f64_e64 s[2:3], v[8:9], s35
	s_or_b64 s[2:3], s[28:29], s[2:3]
	v_cndmask_b32_e64 v21, v17, v30, s[2:3]
	v_cndmask_b32_e64 v20, v16, 0, s[2:3]
                                        ; implicit-def: $vgpr16_vgpr17
                                        ; implicit-def: $vgpr18_vgpr19
	s_and_saveexec_b64 s[2:3], vcc
	s_xor_b64 s[2:3], exec, s[2:3]
	s_cbranch_execz .LBB302_265
; %bb.264:                              ;   in Loop: Header=BB302_177 Depth=1
	v_add_f64 v[8:9], v[8:9], v[20:21]
	v_mul_f64 v[8:9], v[8:9], 0.5
	v_cmp_gt_f64_e32 vcc, s[12:13], v[8:9]
	v_cndmask_b32_e64 v16, 0, 1, vcc
	v_lshlrev_b32_e32 v16, 8, v16
	v_ldexp_f64 v[8:9], v[8:9], v16
	v_rsq_f64_e32 v[16:17], v[8:9]
	v_mul_f64 v[18:19], v[8:9], v[16:17]
	v_mul_f64 v[16:17], v[16:17], 0.5
	v_fma_f64 v[20:21], -v[16:17], v[18:19], 0.5
	v_fmac_f64_e32 v[18:19], v[18:19], v[20:21]
	v_fmac_f64_e32 v[16:17], v[16:17], v[20:21]
	v_fma_f64 v[20:21], -v[18:19], v[18:19], v[8:9]
	v_fmac_f64_e32 v[18:19], v[20:21], v[16:17]
	v_fma_f64 v[20:21], -v[18:19], v[18:19], v[8:9]
	v_fmac_f64_e32 v[18:19], v[20:21], v[16:17]
	v_cndmask_b32_e32 v16, 0, v31, vcc
	v_ldexp_f64 v[16:17], v[18:19], v16
	v_cmp_class_f64_e32 vcc, v[8:9], v28
	v_cndmask_b32_e32 v19, v17, v9, vcc
	v_cndmask_b32_e32 v18, v16, v8, vcc
	v_add_f64 v[8:9], v[18:19], v[18:19]
	v_div_scale_f64 v[16:17], s[28:29], v[8:9], v[8:9], v[10:11]
	v_rcp_f64_e32 v[20:21], v[16:17]
	v_fma_f64 v[26:27], -v[16:17], v[20:21], 1.0
	v_fmac_f64_e32 v[20:21], v[20:21], v[26:27]
	v_fma_f64 v[26:27], -v[16:17], v[20:21], 1.0
	v_fmac_f64_e32 v[20:21], v[20:21], v[26:27]
	v_div_scale_f64 v[26:27], vcc, v[10:11], v[8:9], v[10:11]
	v_mul_f64 v[32:33], v[26:27], v[20:21]
	v_fma_f64 v[16:17], -v[16:17], v[32:33], v[26:27]
	s_nop 1
	v_div_fmas_f64 v[16:17], v[16:17], v[20:21], v[32:33]
	v_div_fixup_f64 v[16:17], v[16:17], v[8:9], v[10:11]
                                        ; implicit-def: $vgpr20_vgpr21
                                        ; implicit-def: $vgpr8_vgpr9
	s_andn2_saveexec_b64 s[2:3], s[2:3]
	s_cbranch_execz .LBB302_267
	s_branch .LBB302_266
.LBB302_265:                            ;   in Loop: Header=BB302_177 Depth=1
	s_andn2_saveexec_b64 s[2:3], s[2:3]
	s_cbranch_execz .LBB302_267
.LBB302_266:                            ;   in Loop: Header=BB302_177 Depth=1
	v_add_f64 v[8:9], v[20:21], -v[8:9]
	v_mul_f64 v[8:9], v[8:9], 0.5
	v_cmp_gt_f64_e32 vcc, s[12:13], v[8:9]
	v_cndmask_b32_e64 v16, 0, 1, vcc
	v_lshlrev_b32_e32 v16, 8, v16
	v_ldexp_f64 v[8:9], v[8:9], v16
	v_rsq_f64_e32 v[16:17], v[8:9]
	v_mul_f64 v[18:19], v[8:9], v[16:17]
	v_mul_f64 v[16:17], v[16:17], 0.5
	v_fma_f64 v[20:21], -v[16:17], v[18:19], 0.5
	v_fmac_f64_e32 v[18:19], v[18:19], v[20:21]
	v_fmac_f64_e32 v[16:17], v[16:17], v[20:21]
	v_fma_f64 v[20:21], -v[18:19], v[18:19], v[8:9]
	v_fmac_f64_e32 v[18:19], v[20:21], v[16:17]
	v_fma_f64 v[20:21], -v[18:19], v[18:19], v[8:9]
	v_fmac_f64_e32 v[18:19], v[20:21], v[16:17]
	v_cndmask_b32_e32 v16, 0, v31, vcc
	v_ldexp_f64 v[16:17], v[18:19], v16
	v_cmp_class_f64_e32 vcc, v[8:9], v28
	v_cndmask_b32_e32 v17, v17, v9, vcc
	v_cndmask_b32_e32 v16, v16, v8, vcc
	v_add_f64 v[8:9], v[16:17], v[16:17]
	v_and_b32_e32 v19, 0x7fffffff, v11
	v_mov_b32_e32 v18, v10
	v_div_scale_f64 v[20:21], s[28:29], v[8:9], v[8:9], v[18:19]
	v_rcp_f64_e32 v[26:27], v[20:21]
	v_div_scale_f64 v[18:19], vcc, v[18:19], v[8:9], v[18:19]
	v_bfi_b32 v17, s36, v17, v11
	v_fma_f64 v[32:33], -v[20:21], v[26:27], 1.0
	v_fmac_f64_e32 v[26:27], v[26:27], v[32:33]
	v_fma_f64 v[32:33], -v[20:21], v[26:27], 1.0
	v_fmac_f64_e32 v[26:27], v[26:27], v[32:33]
	v_mul_f64 v[32:33], v[18:19], v[26:27]
	v_fma_f64 v[18:19], -v[20:21], v[32:33], v[18:19]
	v_div_fmas_f64 v[18:19], v[18:19], v[26:27], v[32:33]
	v_div_fixup_f64 v[18:19], v[18:19], v[8:9], |v[10:11]|
.LBB302_267:                            ;   in Loop: Header=BB302_177 Depth=1
	s_or_b64 exec, exec, s[2:3]
                                        ; implicit-def: $vgpr10_vgpr11
	s_and_saveexec_b64 s[2:3], s[0:1]
	s_xor_b64 s[0:1], exec, s[2:3]
	s_cbranch_execz .LBB302_269
; %bb.268:                              ;   in Loop: Header=BB302_177 Depth=1
	v_mul_f64 v[8:9], v[18:19], 0.5
	v_mul_f64 v[10:11], v[16:17], 0.5
	v_cndmask_b32_e64 v9, v19, v9, s[26:27]
	v_cndmask_b32_e64 v8, v18, v8, s[26:27]
	;; [unrolled: 1-line block ×4, first 2 shown]
                                        ; implicit-def: $vgpr18_vgpr19
                                        ; implicit-def: $vgpr16_vgpr17
	s_andn2_saveexec_b64 s[0:1], s[0:1]
	s_cbranch_execnz .LBB302_270
	s_branch .LBB302_271
.LBB302_269:                            ;   in Loop: Header=BB302_177 Depth=1
	s_andn2_saveexec_b64 s[0:1], s[0:1]
.LBB302_270:                            ;   in Loop: Header=BB302_177 Depth=1
	v_add_f64 v[8:9], v[18:19], v[18:19]
	v_add_f64 v[10:11], v[16:17], v[16:17]
.LBB302_271:                            ;   in Loop: Header=BB302_177 Depth=1
	s_or_b64 exec, exec, s[0:1]
.LBB302_272:                            ;   in Loop: Header=BB302_177 Depth=1
	s_andn2_saveexec_b64 s[0:1], s[24:25]
	s_cbranch_execz .LBB302_278
; %bb.273:                              ;   in Loop: Header=BB302_177 Depth=1
	v_cmp_lt_i64_e32 vcc, -1, v[8:9]
	v_add_f64 v[16:17], v[10:11], -v[10:11]
	s_and_saveexec_b64 s[2:3], vcc
	s_xor_b64 s[2:3], exec, s[2:3]
; %bb.274:                              ;   in Loop: Header=BB302_177 Depth=1
	v_bfi_b32 v17, s36, v17, v11
	v_pk_mov_b32 v[10:11], v[16:17], v[16:17] op_sel:[0,1]
                                        ; implicit-def: $vgpr16_vgpr17
; %bb.275:                              ;   in Loop: Header=BB302_177 Depth=1
	s_andn2_saveexec_b64 s[2:3], s[2:3]
; %bb.276:                              ;   in Loop: Header=BB302_177 Depth=1
	v_and_b32_e32 v17, 0x7fffffff, v17
	v_bfi_b32 v9, s36, v9, v11
	v_pk_mov_b32 v[10:11], v[8:9], v[8:9] op_sel:[0,1]
	v_pk_mov_b32 v[8:9], v[16:17], v[16:17] op_sel:[0,1]
; %bb.277:                              ;   in Loop: Header=BB302_177 Depth=1
	s_or_b64 exec, exec, s[2:3]
.LBB302_278:                            ;   in Loop: Header=BB302_177 Depth=1
	s_or_b64 exec, exec, s[0:1]
.LBB302_279:                            ;   in Loop: Header=BB302_177 Depth=1
	s_andn2_saveexec_b64 s[0:1], s[22:23]
; %bb.280:                              ;   in Loop: Header=BB302_177 Depth=1
	v_add_f64 v[10:11], v[10:11], -v[10:11]
	v_div_scale_f64 v[16:17], vcc, v[10:11], v[10:11], v[10:11]
	v_rcp_f64_e32 v[18:19], v[16:17]
	v_fma_f64 v[20:21], -v[16:17], v[18:19], 1.0
	v_fmac_f64_e32 v[18:19], v[18:19], v[20:21]
	v_fma_f64 v[20:21], -v[16:17], v[18:19], 1.0
	v_fmac_f64_e32 v[18:19], v[18:19], v[20:21]
	v_mul_f64 v[20:21], v[16:17], v[18:19]
	v_fma_f64 v[16:17], -v[16:17], v[20:21], v[16:17]
	v_div_fmas_f64 v[16:17], v[16:17], v[18:19], v[20:21]
	v_div_fixup_f64 v[10:11], v[16:17], v[10:11], v[10:11]
; %bb.281:                              ;   in Loop: Header=BB302_177 Depth=1
	s_or_b64 exec, exec, s[0:1]
	v_pk_mov_b32 v[20:21], v[8:9], v[8:9] op_sel:[0,1]
.LBB302_282:                            ;   in Loop: Header=BB302_177 Depth=1
	s_or_b64 exec, exec, s[20:21]
.LBB302_283:                            ;   in Loop: Header=BB302_177 Depth=1
	s_or_b64 exec, exec, s[18:19]
	v_xor_b32_e32 v8, 0x80000000, v21
	v_cmp_gt_f64_e32 vcc, 0, v[20:21]
	v_cndmask_b32_e32 v27, v21, v8, vcc
	v_cndmask_b32_e32 v26, v20, v20, vcc
	v_xor_b32_e32 v8, 0x80000000, v11
	v_cmp_gt_f64_e32 vcc, 0, v[10:11]
	v_cndmask_b32_e32 v9, v11, v8, vcc
	v_cndmask_b32_e32 v8, v10, v10, vcc
	v_cmp_ge_f64_e32 vcc, v[26:27], v[8:9]
                                        ; implicit-def: $vgpr18_vgpr19
	s_and_saveexec_b64 s[0:1], vcc
	s_xor_b64 s[2:3], exec, s[0:1]
	s_cbranch_execz .LBB302_289
; %bb.284:                              ;   in Loop: Header=BB302_177 Depth=1
	v_cmp_neq_f64_e32 vcc, 0, v[20:21]
	v_cmp_neq_f64_e64 s[0:1], 0, v[10:11]
	s_or_b64 s[0:1], vcc, s[0:1]
                                        ; implicit-def: $vgpr18_vgpr19
	s_and_saveexec_b64 s[18:19], s[0:1]
	s_xor_b64 s[0:1], exec, s[18:19]
	s_cbranch_execz .LBB302_286
; %bb.285:                              ;   in Loop: Header=BB302_177 Depth=1
	v_div_scale_f64 v[8:9], s[18:19], v[20:21], v[20:21], v[10:11]
	v_rcp_f64_e32 v[16:17], v[8:9]
	v_div_scale_f64 v[18:19], vcc, v[10:11], v[20:21], v[10:11]
	v_fma_f64 v[26:27], -v[8:9], v[16:17], 1.0
	v_fmac_f64_e32 v[16:17], v[16:17], v[26:27]
	v_fma_f64 v[26:27], -v[8:9], v[16:17], 1.0
	v_fmac_f64_e32 v[16:17], v[16:17], v[26:27]
	v_mul_f64 v[26:27], v[18:19], v[16:17]
	v_fma_f64 v[8:9], -v[8:9], v[26:27], v[18:19]
	v_div_fmas_f64 v[8:9], v[8:9], v[16:17], v[26:27]
	v_div_fixup_f64 v[8:9], v[8:9], v[20:21], v[10:11]
	v_fmac_f64_e32 v[20:21], v[10:11], v[8:9]
	v_div_scale_f64 v[10:11], s[18:19], v[20:21], v[20:21], 1.0
	v_rcp_f64_e32 v[16:17], v[10:11]
	v_fma_f64 v[18:19], -v[10:11], v[16:17], 1.0
	v_fmac_f64_e32 v[16:17], v[16:17], v[18:19]
	v_fma_f64 v[18:19], -v[10:11], v[16:17], 1.0
	v_fmac_f64_e32 v[16:17], v[16:17], v[18:19]
	v_div_scale_f64 v[18:19], vcc, 1.0, v[20:21], 1.0
	v_mul_f64 v[26:27], v[18:19], v[16:17]
	v_fma_f64 v[10:11], -v[10:11], v[26:27], v[18:19]
	s_nop 1
	v_div_fmas_f64 v[10:11], v[10:11], v[16:17], v[26:27]
	v_div_fixup_f64 v[10:11], v[10:11], v[20:21], 1.0
	v_fma_f64 v[16:17], v[8:9], 0, 1.0
	v_add_f64 v[8:9], -v[8:9], 0
	v_mul_f64 v[16:17], v[16:17], v[10:11]
	v_mul_f64 v[18:19], v[8:9], v[10:11]
                                        ; implicit-def: $vgpr26_vgpr27
                                        ; implicit-def: $vgpr8_vgpr9
.LBB302_286:                            ;   in Loop: Header=BB302_177 Depth=1
	s_andn2_saveexec_b64 s[0:1], s[0:1]
	s_cbranch_execz .LBB302_288
; %bb.287:                              ;   in Loop: Header=BB302_177 Depth=1
	v_div_scale_f64 v[10:11], s[18:19], v[26:27], v[26:27], 1.0
	v_rcp_f64_e32 v[16:17], v[10:11]
	v_div_scale_f64 v[18:19], vcc, 1.0, v[26:27], 1.0
	v_fma_f64 v[20:21], -v[10:11], v[16:17], 1.0
	v_fmac_f64_e32 v[16:17], v[16:17], v[20:21]
	v_fma_f64 v[20:21], -v[10:11], v[16:17], 1.0
	v_fmac_f64_e32 v[16:17], v[16:17], v[20:21]
	v_mul_f64 v[20:21], v[18:19], v[16:17]
	v_fma_f64 v[10:11], -v[10:11], v[20:21], v[18:19]
	v_div_scale_f64 v[18:19], s[18:19], v[8:9], v[8:9], 0
	v_rcp_f64_e32 v[32:33], v[18:19]
	v_div_fmas_f64 v[10:11], v[10:11], v[16:17], v[20:21]
	v_div_fixup_f64 v[16:17], v[10:11], v[26:27], 1.0
	v_fma_f64 v[10:11], -v[18:19], v[32:33], 1.0
	v_fmac_f64_e32 v[32:33], v[32:33], v[10:11]
	v_fma_f64 v[10:11], -v[18:19], v[32:33], 1.0
	v_fmac_f64_e32 v[32:33], v[32:33], v[10:11]
	v_div_scale_f64 v[10:11], vcc, 0, v[8:9], 0
	v_mul_f64 v[20:21], v[10:11], v[32:33]
	v_fma_f64 v[10:11], -v[18:19], v[20:21], v[10:11]
	s_nop 1
	v_div_fmas_f64 v[10:11], v[10:11], v[32:33], v[20:21]
	v_div_fixup_f64 v[18:19], v[10:11], v[8:9], 0
.LBB302_288:                            ;   in Loop: Header=BB302_177 Depth=1
	s_or_b64 exec, exec, s[0:1]
                                        ; implicit-def: $vgpr10_vgpr11
                                        ; implicit-def: $vgpr20_vgpr21
.LBB302_289:                            ;   in Loop: Header=BB302_177 Depth=1
	s_andn2_saveexec_b64 s[0:1], s[2:3]
	s_cbranch_execz .LBB302_291
; %bb.290:                              ;   in Loop: Header=BB302_177 Depth=1
	v_div_scale_f64 v[8:9], s[2:3], v[10:11], v[10:11], v[20:21]
	v_rcp_f64_e32 v[16:17], v[8:9]
	v_div_scale_f64 v[18:19], vcc, v[20:21], v[10:11], v[20:21]
	v_fma_f64 v[26:27], -v[8:9], v[16:17], 1.0
	v_fmac_f64_e32 v[16:17], v[16:17], v[26:27]
	v_fma_f64 v[26:27], -v[8:9], v[16:17], 1.0
	v_fmac_f64_e32 v[16:17], v[16:17], v[26:27]
	v_mul_f64 v[26:27], v[18:19], v[16:17]
	v_fma_f64 v[8:9], -v[8:9], v[26:27], v[18:19]
	v_div_fmas_f64 v[8:9], v[8:9], v[16:17], v[26:27]
	v_div_fixup_f64 v[8:9], v[8:9], v[10:11], v[20:21]
	v_fmac_f64_e32 v[10:11], v[20:21], v[8:9]
	v_div_scale_f64 v[16:17], s[2:3], v[10:11], v[10:11], 1.0
	v_rcp_f64_e32 v[18:19], v[16:17]
	v_fma_f64 v[20:21], -v[16:17], v[18:19], 1.0
	v_fmac_f64_e32 v[18:19], v[18:19], v[20:21]
	v_fma_f64 v[20:21], -v[16:17], v[18:19], 1.0
	v_fmac_f64_e32 v[18:19], v[18:19], v[20:21]
	v_div_scale_f64 v[20:21], vcc, 1.0, v[10:11], 1.0
	v_mul_f64 v[26:27], v[20:21], v[18:19]
	v_fma_f64 v[16:17], -v[16:17], v[26:27], v[20:21]
	s_nop 1
	v_div_fmas_f64 v[16:17], v[16:17], v[18:19], v[26:27]
	v_div_fixup_f64 v[10:11], v[16:17], v[10:11], 1.0
	v_add_f64 v[16:17], v[8:9], 0
	v_fma_f64 v[8:9], v[8:9], 0, -1.0
	v_mul_f64 v[16:17], v[16:17], v[10:11]
	v_mul_f64 v[18:19], v[8:9], v[10:11]
.LBB302_291:                            ;   in Loop: Header=BB302_177 Depth=1
	s_or_b64 exec, exec, s[0:1]
	v_cmp_neq_f64_e32 vcc, 0, v[0:1]
	v_cmp_neq_f64_e64 s[0:1], 0, v[2:3]
	s_or_b64 s[0:1], vcc, s[0:1]
	v_pk_mov_b32 v[20:21], 0, 0
	s_and_saveexec_b64 s[18:19], s[0:1]
	s_cbranch_execz .LBB302_321
; %bb.292:                              ;   in Loop: Header=BB302_177 Depth=1
	v_cmp_neq_f64_e64 s[0:1], |v[2:3]|, s[6:7]
	v_pk_mov_b32 v[20:21], s[6:7], s[6:7] op_sel:[0,1]
	s_and_saveexec_b64 s[20:21], s[0:1]
	s_cbranch_execz .LBB302_320
; %bb.293:                              ;   in Loop: Header=BB302_177 Depth=1
	v_cmp_o_f64_e32 vcc, v[0:1], v[0:1]
	s_and_saveexec_b64 s[0:1], vcc
	s_xor_b64 s[22:23], exec, s[0:1]
	s_cbranch_execz .LBB302_317
; %bb.294:                              ;   in Loop: Header=BB302_177 Depth=1
	v_cmp_neq_f64_e64 s[0:1], |v[0:1]|, s[6:7]
	s_and_saveexec_b64 s[2:3], s[0:1]
	s_xor_b64 s[24:25], exec, s[2:3]
	s_cbranch_execz .LBB302_310
; %bb.295:                              ;   in Loop: Header=BB302_177 Depth=1
	v_max_f64 v[8:9], |v[2:3]|, |v[2:3]|
	v_max_f64 v[10:11], |v[0:1]|, |v[0:1]|
	v_max_f64 v[8:9], v[10:11], v[8:9]
	v_cmp_nle_f64_e64 s[0:1], s[8:9], v[8:9]
                                        ; implicit-def: $sgpr26_sgpr27
	s_and_saveexec_b64 s[2:3], s[0:1]
	s_xor_b64 s[2:3], exec, s[2:3]
	s_cbranch_execz .LBB302_299
; %bb.296:                              ;   in Loop: Header=BB302_177 Depth=1
	v_cmp_le_f64_e64 s[26:27], |v[0:1]|, s[10:11]
	v_cmp_le_f64_e64 s[28:29], |v[2:3]|, s[10:11]
	s_and_b64 s[38:39], s[26:27], s[28:29]
	s_mov_b64 s[26:27], 0
	s_and_saveexec_b64 s[28:29], s[38:39]
; %bb.297:                              ;   in Loop: Header=BB302_177 Depth=1
	s_mov_b64 s[26:27], exec
	v_mul_f64 v[0:1], v[0:1], 4.0
	v_mul_f64 v[2:3], v[2:3], 4.0
; %bb.298:                              ;   in Loop: Header=BB302_177 Depth=1
	s_or_b64 exec, exec, s[28:29]
	s_and_b64 s[26:27], s[26:27], exec
.LBB302_299:                            ;   in Loop: Header=BB302_177 Depth=1
	s_andn2_saveexec_b64 s[2:3], s[2:3]
; %bb.300:                              ;   in Loop: Header=BB302_177 Depth=1
	v_ldexp_f64 v[0:1], v[0:1], -2
	v_ldexp_f64 v[2:3], v[2:3], -2
	s_andn2_b64 s[26:27], s[26:27], exec
; %bb.301:                              ;   in Loop: Header=BB302_177 Depth=1
	s_or_b64 exec, exec, s[2:3]
	v_max_f64 v[8:9], |v[2:3]|, |v[2:3]|
	v_max_f64 v[10:11], |v[0:1]|, |v[0:1]|
	v_max_f64 v[8:9], v[10:11], v[8:9]
	v_frexp_exp_i32_f64_e32 v32, v[8:9]
	v_sub_u32_e32 v10, 0, v32
	v_ldexp_f64 v[8:9], |v[0:1]|, v10
	v_ldexp_f64 v[10:11], |v[2:3]|, v10
	v_mul_f64 v[10:11], v[10:11], v[10:11]
	v_fmac_f64_e32 v[10:11], v[8:9], v[8:9]
	v_rsq_f64_e32 v[8:9], v[10:11]
	v_cmp_eq_f64_e64 s[2:3], 0, v[10:11]
	v_cmp_class_f64_e64 s[28:29], v[2:3], s35
	v_cmp_le_f64_e32 vcc, 0, v[0:1]
	v_mul_f64 v[20:21], v[10:11], v[8:9]
	v_mul_f64 v[8:9], v[8:9], 0.5
	v_fma_f64 v[26:27], -v[8:9], v[20:21], 0.5
	v_fmac_f64_e32 v[20:21], v[20:21], v[26:27]
	v_fmac_f64_e32 v[8:9], v[8:9], v[26:27]
	v_fma_f64 v[26:27], -v[20:21], v[20:21], v[10:11]
	v_fmac_f64_e32 v[20:21], v[26:27], v[8:9]
	v_cndmask_b32_e64 v9, v21, v11, s[2:3]
	v_cndmask_b32_e64 v8, v20, v10, s[2:3]
	v_ldexp_f64 v[8:9], v[8:9], v32
	v_cmp_o_f64_e64 s[2:3], v[2:3], v[2:3]
	v_cndmask_b32_e64 v8, 0, v8, s[2:3]
	v_cndmask_b32_e64 v9, v29, v9, s[2:3]
	v_cmp_class_f64_e64 s[2:3], v[0:1], s35
	s_or_b64 s[2:3], s[28:29], s[2:3]
	v_cndmask_b32_e64 v21, v9, v30, s[2:3]
	v_cndmask_b32_e64 v20, v8, 0, s[2:3]
                                        ; implicit-def: $vgpr8_vgpr9
                                        ; implicit-def: $vgpr10_vgpr11
	s_and_saveexec_b64 s[2:3], vcc
	s_xor_b64 s[2:3], exec, s[2:3]
	s_cbranch_execz .LBB302_303
; %bb.302:                              ;   in Loop: Header=BB302_177 Depth=1
	v_add_f64 v[0:1], v[0:1], v[20:21]
	v_mul_f64 v[0:1], v[0:1], 0.5
	v_cmp_gt_f64_e32 vcc, s[12:13], v[0:1]
	v_cndmask_b32_e64 v8, 0, 1, vcc
	v_lshlrev_b32_e32 v8, 8, v8
	v_ldexp_f64 v[0:1], v[0:1], v8
	v_rsq_f64_e32 v[8:9], v[0:1]
	v_mul_f64 v[10:11], v[0:1], v[8:9]
	v_mul_f64 v[8:9], v[8:9], 0.5
	v_fma_f64 v[20:21], -v[8:9], v[10:11], 0.5
	v_fmac_f64_e32 v[10:11], v[10:11], v[20:21]
	v_fmac_f64_e32 v[8:9], v[8:9], v[20:21]
	v_fma_f64 v[20:21], -v[10:11], v[10:11], v[0:1]
	v_fmac_f64_e32 v[10:11], v[20:21], v[8:9]
	v_fma_f64 v[20:21], -v[10:11], v[10:11], v[0:1]
	v_fmac_f64_e32 v[10:11], v[20:21], v[8:9]
	v_cndmask_b32_e32 v8, 0, v31, vcc
	v_ldexp_f64 v[8:9], v[10:11], v8
	v_cmp_class_f64_e32 vcc, v[0:1], v28
	v_cndmask_b32_e32 v11, v9, v1, vcc
	v_cndmask_b32_e32 v10, v8, v0, vcc
	v_add_f64 v[0:1], v[10:11], v[10:11]
	v_div_scale_f64 v[8:9], s[28:29], v[0:1], v[0:1], v[2:3]
	v_rcp_f64_e32 v[20:21], v[8:9]
	v_fma_f64 v[26:27], -v[8:9], v[20:21], 1.0
	v_fmac_f64_e32 v[20:21], v[20:21], v[26:27]
	v_fma_f64 v[26:27], -v[8:9], v[20:21], 1.0
	v_fmac_f64_e32 v[20:21], v[20:21], v[26:27]
	v_div_scale_f64 v[26:27], vcc, v[2:3], v[0:1], v[2:3]
	v_mul_f64 v[32:33], v[26:27], v[20:21]
	v_fma_f64 v[8:9], -v[8:9], v[32:33], v[26:27]
	s_nop 1
	v_div_fmas_f64 v[8:9], v[8:9], v[20:21], v[32:33]
	v_div_fixup_f64 v[8:9], v[8:9], v[0:1], v[2:3]
                                        ; implicit-def: $vgpr20_vgpr21
                                        ; implicit-def: $vgpr0_vgpr1
	s_andn2_saveexec_b64 s[2:3], s[2:3]
	s_cbranch_execz .LBB302_305
	s_branch .LBB302_304
.LBB302_303:                            ;   in Loop: Header=BB302_177 Depth=1
	s_andn2_saveexec_b64 s[2:3], s[2:3]
	s_cbranch_execz .LBB302_305
.LBB302_304:                            ;   in Loop: Header=BB302_177 Depth=1
	v_add_f64 v[0:1], v[20:21], -v[0:1]
	v_mul_f64 v[0:1], v[0:1], 0.5
	v_cmp_gt_f64_e32 vcc, s[12:13], v[0:1]
	v_cndmask_b32_e64 v8, 0, 1, vcc
	v_lshlrev_b32_e32 v8, 8, v8
	v_ldexp_f64 v[0:1], v[0:1], v8
	v_rsq_f64_e32 v[8:9], v[0:1]
	v_mul_f64 v[10:11], v[0:1], v[8:9]
	v_mul_f64 v[8:9], v[8:9], 0.5
	v_fma_f64 v[20:21], -v[8:9], v[10:11], 0.5
	v_fmac_f64_e32 v[10:11], v[10:11], v[20:21]
	v_fmac_f64_e32 v[8:9], v[8:9], v[20:21]
	v_fma_f64 v[20:21], -v[10:11], v[10:11], v[0:1]
	v_fmac_f64_e32 v[10:11], v[20:21], v[8:9]
	v_fma_f64 v[20:21], -v[10:11], v[10:11], v[0:1]
	v_fmac_f64_e32 v[10:11], v[20:21], v[8:9]
	v_cndmask_b32_e32 v8, 0, v31, vcc
	v_ldexp_f64 v[8:9], v[10:11], v8
	v_cmp_class_f64_e32 vcc, v[0:1], v28
	v_cndmask_b32_e32 v9, v9, v1, vcc
	v_cndmask_b32_e32 v8, v8, v0, vcc
	v_add_f64 v[0:1], v[8:9], v[8:9]
	v_and_b32_e32 v11, 0x7fffffff, v3
	v_mov_b32_e32 v10, v2
	v_div_scale_f64 v[20:21], s[28:29], v[0:1], v[0:1], v[10:11]
	v_rcp_f64_e32 v[26:27], v[20:21]
	v_div_scale_f64 v[10:11], vcc, v[10:11], v[0:1], v[10:11]
	v_bfi_b32 v9, s36, v9, v3
	v_fma_f64 v[32:33], -v[20:21], v[26:27], 1.0
	v_fmac_f64_e32 v[26:27], v[26:27], v[32:33]
	v_fma_f64 v[32:33], -v[20:21], v[26:27], 1.0
	v_fmac_f64_e32 v[26:27], v[26:27], v[32:33]
	v_mul_f64 v[32:33], v[10:11], v[26:27]
	v_fma_f64 v[10:11], -v[20:21], v[32:33], v[10:11]
	v_div_fmas_f64 v[10:11], v[10:11], v[26:27], v[32:33]
	v_div_fixup_f64 v[10:11], v[10:11], v[0:1], |v[2:3]|
.LBB302_305:                            ;   in Loop: Header=BB302_177 Depth=1
	s_or_b64 exec, exec, s[2:3]
                                        ; implicit-def: $vgpr2_vgpr3
	s_and_saveexec_b64 s[2:3], s[0:1]
	s_xor_b64 s[0:1], exec, s[2:3]
	s_cbranch_execz .LBB302_307
; %bb.306:                              ;   in Loop: Header=BB302_177 Depth=1
	v_mul_f64 v[0:1], v[10:11], 0.5
	v_mul_f64 v[2:3], v[8:9], 0.5
	v_cndmask_b32_e64 v1, v11, v1, s[26:27]
	v_cndmask_b32_e64 v0, v10, v0, s[26:27]
	;; [unrolled: 1-line block ×4, first 2 shown]
                                        ; implicit-def: $vgpr10_vgpr11
                                        ; implicit-def: $vgpr8_vgpr9
	s_andn2_saveexec_b64 s[0:1], s[0:1]
	s_cbranch_execnz .LBB302_308
	s_branch .LBB302_309
.LBB302_307:                            ;   in Loop: Header=BB302_177 Depth=1
	s_andn2_saveexec_b64 s[0:1], s[0:1]
.LBB302_308:                            ;   in Loop: Header=BB302_177 Depth=1
	v_add_f64 v[0:1], v[10:11], v[10:11]
	v_add_f64 v[2:3], v[8:9], v[8:9]
.LBB302_309:                            ;   in Loop: Header=BB302_177 Depth=1
	s_or_b64 exec, exec, s[0:1]
.LBB302_310:                            ;   in Loop: Header=BB302_177 Depth=1
	s_andn2_saveexec_b64 s[0:1], s[24:25]
	s_cbranch_execz .LBB302_316
; %bb.311:                              ;   in Loop: Header=BB302_177 Depth=1
	v_cmp_lt_i64_e32 vcc, -1, v[0:1]
	v_add_f64 v[8:9], v[2:3], -v[2:3]
	s_and_saveexec_b64 s[2:3], vcc
	s_xor_b64 s[2:3], exec, s[2:3]
; %bb.312:                              ;   in Loop: Header=BB302_177 Depth=1
	v_bfi_b32 v9, s36, v9, v3
	v_pk_mov_b32 v[2:3], v[8:9], v[8:9] op_sel:[0,1]
                                        ; implicit-def: $vgpr8_vgpr9
; %bb.313:                              ;   in Loop: Header=BB302_177 Depth=1
	s_andn2_saveexec_b64 s[2:3], s[2:3]
; %bb.314:                              ;   in Loop: Header=BB302_177 Depth=1
	v_and_b32_e32 v9, 0x7fffffff, v9
	v_bfi_b32 v1, s36, v1, v3
	v_pk_mov_b32 v[2:3], v[0:1], v[0:1] op_sel:[0,1]
	v_pk_mov_b32 v[0:1], v[8:9], v[8:9] op_sel:[0,1]
; %bb.315:                              ;   in Loop: Header=BB302_177 Depth=1
	s_or_b64 exec, exec, s[2:3]
.LBB302_316:                            ;   in Loop: Header=BB302_177 Depth=1
	s_or_b64 exec, exec, s[0:1]
.LBB302_317:                            ;   in Loop: Header=BB302_177 Depth=1
	s_andn2_saveexec_b64 s[0:1], s[22:23]
; %bb.318:                              ;   in Loop: Header=BB302_177 Depth=1
	v_add_f64 v[2:3], v[2:3], -v[2:3]
	v_div_scale_f64 v[8:9], vcc, v[2:3], v[2:3], v[2:3]
	v_rcp_f64_e32 v[10:11], v[8:9]
	v_fma_f64 v[20:21], -v[8:9], v[10:11], 1.0
	v_fmac_f64_e32 v[10:11], v[10:11], v[20:21]
	v_fma_f64 v[20:21], -v[8:9], v[10:11], 1.0
	v_fmac_f64_e32 v[10:11], v[10:11], v[20:21]
	v_mul_f64 v[20:21], v[8:9], v[10:11]
	v_fma_f64 v[8:9], -v[8:9], v[20:21], v[8:9]
	v_div_fmas_f64 v[8:9], v[8:9], v[10:11], v[20:21]
	v_div_fixup_f64 v[2:3], v[8:9], v[2:3], v[2:3]
; %bb.319:                              ;   in Loop: Header=BB302_177 Depth=1
	s_or_b64 exec, exec, s[0:1]
	v_pk_mov_b32 v[20:21], v[0:1], v[0:1] op_sel:[0,1]
.LBB302_320:                            ;   in Loop: Header=BB302_177 Depth=1
	s_or_b64 exec, exec, s[20:21]
.LBB302_321:                            ;   in Loop: Header=BB302_177 Depth=1
	s_or_b64 exec, exec, s[18:19]
	v_xor_b32_e32 v0, 0x80000000, v21
	v_cmp_gt_f64_e32 vcc, 0, v[20:21]
	v_cndmask_b32_e32 v27, v21, v0, vcc
	v_cndmask_b32_e32 v26, v20, v20, vcc
	v_xor_b32_e32 v0, 0x80000000, v3
	v_cmp_gt_f64_e32 vcc, 0, v[2:3]
	v_cndmask_b32_e32 v1, v3, v0, vcc
	v_cndmask_b32_e32 v0, v2, v2, vcc
	v_cmp_ge_f64_e32 vcc, v[26:27], v[0:1]
                                        ; implicit-def: $vgpr10_vgpr11
	s_and_saveexec_b64 s[0:1], vcc
	s_xor_b64 s[2:3], exec, s[0:1]
	s_cbranch_execz .LBB302_327
; %bb.322:                              ;   in Loop: Header=BB302_177 Depth=1
	v_cmp_neq_f64_e32 vcc, 0, v[20:21]
	v_cmp_neq_f64_e64 s[0:1], 0, v[2:3]
	s_or_b64 s[0:1], vcc, s[0:1]
                                        ; implicit-def: $vgpr10_vgpr11
	s_and_saveexec_b64 s[18:19], s[0:1]
	s_xor_b64 s[0:1], exec, s[18:19]
	s_cbranch_execz .LBB302_324
; %bb.323:                              ;   in Loop: Header=BB302_177 Depth=1
	v_div_scale_f64 v[0:1], s[18:19], v[20:21], v[20:21], v[2:3]
	v_rcp_f64_e32 v[8:9], v[0:1]
	v_div_scale_f64 v[10:11], vcc, v[2:3], v[20:21], v[2:3]
	v_fma_f64 v[26:27], -v[0:1], v[8:9], 1.0
	v_fmac_f64_e32 v[8:9], v[8:9], v[26:27]
	v_fma_f64 v[26:27], -v[0:1], v[8:9], 1.0
	v_fmac_f64_e32 v[8:9], v[8:9], v[26:27]
	v_mul_f64 v[26:27], v[10:11], v[8:9]
	v_fma_f64 v[0:1], -v[0:1], v[26:27], v[10:11]
	v_div_fmas_f64 v[0:1], v[0:1], v[8:9], v[26:27]
	v_div_fixup_f64 v[0:1], v[0:1], v[20:21], v[2:3]
	v_fmac_f64_e32 v[20:21], v[2:3], v[0:1]
	v_div_scale_f64 v[2:3], s[18:19], v[20:21], v[20:21], 1.0
	v_rcp_f64_e32 v[8:9], v[2:3]
	v_fma_f64 v[10:11], -v[2:3], v[8:9], 1.0
	v_fmac_f64_e32 v[8:9], v[8:9], v[10:11]
	v_fma_f64 v[10:11], -v[2:3], v[8:9], 1.0
	v_fmac_f64_e32 v[8:9], v[8:9], v[10:11]
	v_div_scale_f64 v[10:11], vcc, 1.0, v[20:21], 1.0
	v_mul_f64 v[26:27], v[10:11], v[8:9]
	v_fma_f64 v[2:3], -v[2:3], v[26:27], v[10:11]
	s_nop 1
	v_div_fmas_f64 v[2:3], v[2:3], v[8:9], v[26:27]
	v_div_fixup_f64 v[2:3], v[2:3], v[20:21], 1.0
	v_fma_f64 v[8:9], v[0:1], 0, 1.0
	v_add_f64 v[0:1], -v[0:1], 0
	v_mul_f64 v[8:9], v[8:9], v[2:3]
	v_mul_f64 v[10:11], v[0:1], v[2:3]
                                        ; implicit-def: $vgpr26_vgpr27
                                        ; implicit-def: $vgpr0_vgpr1
.LBB302_324:                            ;   in Loop: Header=BB302_177 Depth=1
	s_andn2_saveexec_b64 s[0:1], s[0:1]
	s_cbranch_execz .LBB302_326
; %bb.325:                              ;   in Loop: Header=BB302_177 Depth=1
	v_div_scale_f64 v[2:3], s[18:19], v[26:27], v[26:27], 1.0
	v_rcp_f64_e32 v[8:9], v[2:3]
	v_div_scale_f64 v[10:11], vcc, 1.0, v[26:27], 1.0
	v_fma_f64 v[20:21], -v[2:3], v[8:9], 1.0
	v_fmac_f64_e32 v[8:9], v[8:9], v[20:21]
	v_fma_f64 v[20:21], -v[2:3], v[8:9], 1.0
	v_fmac_f64_e32 v[8:9], v[8:9], v[20:21]
	v_mul_f64 v[20:21], v[10:11], v[8:9]
	v_fma_f64 v[2:3], -v[2:3], v[20:21], v[10:11]
	v_div_scale_f64 v[10:11], s[18:19], v[0:1], v[0:1], 0
	v_rcp_f64_e32 v[32:33], v[10:11]
	v_div_fmas_f64 v[2:3], v[2:3], v[8:9], v[20:21]
	v_div_fixup_f64 v[8:9], v[2:3], v[26:27], 1.0
	v_fma_f64 v[2:3], -v[10:11], v[32:33], 1.0
	v_fmac_f64_e32 v[32:33], v[32:33], v[2:3]
	v_fma_f64 v[2:3], -v[10:11], v[32:33], 1.0
	v_fmac_f64_e32 v[32:33], v[32:33], v[2:3]
	v_div_scale_f64 v[2:3], vcc, 0, v[0:1], 0
	v_mul_f64 v[20:21], v[2:3], v[32:33]
	v_fma_f64 v[2:3], -v[10:11], v[20:21], v[2:3]
	s_nop 1
	v_div_fmas_f64 v[2:3], v[2:3], v[32:33], v[20:21]
	v_div_fixup_f64 v[10:11], v[2:3], v[0:1], 0
.LBB302_326:                            ;   in Loop: Header=BB302_177 Depth=1
	s_or_b64 exec, exec, s[0:1]
                                        ; implicit-def: $vgpr2_vgpr3
                                        ; implicit-def: $vgpr20_vgpr21
.LBB302_327:                            ;   in Loop: Header=BB302_177 Depth=1
	s_andn2_saveexec_b64 s[0:1], s[2:3]
	s_cbranch_execz .LBB302_176
; %bb.328:                              ;   in Loop: Header=BB302_177 Depth=1
	v_div_scale_f64 v[0:1], s[2:3], v[2:3], v[2:3], v[20:21]
	v_rcp_f64_e32 v[8:9], v[0:1]
	v_div_scale_f64 v[10:11], vcc, v[20:21], v[2:3], v[20:21]
	v_fma_f64 v[26:27], -v[0:1], v[8:9], 1.0
	v_fmac_f64_e32 v[8:9], v[8:9], v[26:27]
	v_fma_f64 v[26:27], -v[0:1], v[8:9], 1.0
	v_fmac_f64_e32 v[8:9], v[8:9], v[26:27]
	v_mul_f64 v[26:27], v[10:11], v[8:9]
	v_fma_f64 v[0:1], -v[0:1], v[26:27], v[10:11]
	v_div_fmas_f64 v[0:1], v[0:1], v[8:9], v[26:27]
	v_div_fixup_f64 v[0:1], v[0:1], v[2:3], v[20:21]
	v_fmac_f64_e32 v[2:3], v[20:21], v[0:1]
	v_div_scale_f64 v[8:9], s[2:3], v[2:3], v[2:3], 1.0
	v_rcp_f64_e32 v[10:11], v[8:9]
	v_fma_f64 v[20:21], -v[8:9], v[10:11], 1.0
	v_fmac_f64_e32 v[10:11], v[10:11], v[20:21]
	v_fma_f64 v[20:21], -v[8:9], v[10:11], 1.0
	v_fmac_f64_e32 v[10:11], v[10:11], v[20:21]
	v_div_scale_f64 v[20:21], vcc, 1.0, v[2:3], 1.0
	v_mul_f64 v[26:27], v[20:21], v[10:11]
	v_fma_f64 v[8:9], -v[8:9], v[26:27], v[20:21]
	s_nop 1
	v_div_fmas_f64 v[8:9], v[8:9], v[10:11], v[26:27]
	v_div_fixup_f64 v[2:3], v[8:9], v[2:3], 1.0
	v_add_f64 v[8:9], v[0:1], 0
	v_fma_f64 v[0:1], v[0:1], 0, -1.0
	v_mul_f64 v[8:9], v[8:9], v[2:3]
	v_mul_f64 v[10:11], v[0:1], v[2:3]
	s_branch .LBB302_176
.LBB302_329:
	s_endpgm
	.section	.rodata,"a",@progbits
	.p2align	6, 0x0
	.amdhsa_kernel _ZN2at6native12_GLOBAL__N_125multi_tensor_apply_kernelINS1_18TensorListMetadataILi1EEENS1_14UnaryOpFunctorIN3c107complexIdEELi1ELi1ELi0EEEJNS0_5RsqrtIS8_EEEEEvT_T0_DpT1_
		.amdhsa_group_segment_fixed_size 0
		.amdhsa_private_segment_fixed_size 0
		.amdhsa_kernarg_size 3632
		.amdhsa_user_sgpr_count 6
		.amdhsa_user_sgpr_private_segment_buffer 1
		.amdhsa_user_sgpr_dispatch_ptr 0
		.amdhsa_user_sgpr_queue_ptr 0
		.amdhsa_user_sgpr_kernarg_segment_ptr 1
		.amdhsa_user_sgpr_dispatch_id 0
		.amdhsa_user_sgpr_flat_scratch_init 0
		.amdhsa_user_sgpr_kernarg_preload_length 0
		.amdhsa_user_sgpr_kernarg_preload_offset 0
		.amdhsa_user_sgpr_private_segment_size 0
		.amdhsa_uses_dynamic_stack 0
		.amdhsa_system_sgpr_private_segment_wavefront_offset 0
		.amdhsa_system_sgpr_workgroup_id_x 1
		.amdhsa_system_sgpr_workgroup_id_y 0
		.amdhsa_system_sgpr_workgroup_id_z 0
		.amdhsa_system_sgpr_workgroup_info 0
		.amdhsa_system_vgpr_workitem_id 0
		.amdhsa_next_free_vgpr 44
		.amdhsa_next_free_sgpr 54
		.amdhsa_accum_offset 44
		.amdhsa_reserve_vcc 1
		.amdhsa_reserve_flat_scratch 0
		.amdhsa_float_round_mode_32 0
		.amdhsa_float_round_mode_16_64 0
		.amdhsa_float_denorm_mode_32 3
		.amdhsa_float_denorm_mode_16_64 3
		.amdhsa_dx10_clamp 1
		.amdhsa_ieee_mode 1
		.amdhsa_fp16_overflow 0
		.amdhsa_tg_split 0
		.amdhsa_exception_fp_ieee_invalid_op 0
		.amdhsa_exception_fp_denorm_src 0
		.amdhsa_exception_fp_ieee_div_zero 0
		.amdhsa_exception_fp_ieee_overflow 0
		.amdhsa_exception_fp_ieee_underflow 0
		.amdhsa_exception_fp_ieee_inexact 0
		.amdhsa_exception_int_div_zero 0
	.end_amdhsa_kernel
	.section	.text._ZN2at6native12_GLOBAL__N_125multi_tensor_apply_kernelINS1_18TensorListMetadataILi1EEENS1_14UnaryOpFunctorIN3c107complexIdEELi1ELi1ELi0EEEJNS0_5RsqrtIS8_EEEEEvT_T0_DpT1_,"axG",@progbits,_ZN2at6native12_GLOBAL__N_125multi_tensor_apply_kernelINS1_18TensorListMetadataILi1EEENS1_14UnaryOpFunctorIN3c107complexIdEELi1ELi1ELi0EEEJNS0_5RsqrtIS8_EEEEEvT_T0_DpT1_,comdat
.Lfunc_end302:
	.size	_ZN2at6native12_GLOBAL__N_125multi_tensor_apply_kernelINS1_18TensorListMetadataILi1EEENS1_14UnaryOpFunctorIN3c107complexIdEELi1ELi1ELi0EEEJNS0_5RsqrtIS8_EEEEEvT_T0_DpT1_, .Lfunc_end302-_ZN2at6native12_GLOBAL__N_125multi_tensor_apply_kernelINS1_18TensorListMetadataILi1EEENS1_14UnaryOpFunctorIN3c107complexIdEELi1ELi1ELi0EEEJNS0_5RsqrtIS8_EEEEEvT_T0_DpT1_
                                        ; -- End function
	.section	.AMDGPU.csdata,"",@progbits
; Kernel info:
; codeLenInByte = 15956
; NumSgprs: 58
; NumVgprs: 44
; NumAgprs: 0
; TotalNumVgprs: 44
; ScratchSize: 0
; MemoryBound: 1
; FloatMode: 240
; IeeeMode: 1
; LDSByteSize: 0 bytes/workgroup (compile time only)
; SGPRBlocks: 7
; VGPRBlocks: 5
; NumSGPRsForWavesPerEU: 58
; NumVGPRsForWavesPerEU: 44
; AccumOffset: 44
; Occupancy: 8
; WaveLimiterHint : 0
; COMPUTE_PGM_RSRC2:SCRATCH_EN: 0
; COMPUTE_PGM_RSRC2:USER_SGPR: 6
; COMPUTE_PGM_RSRC2:TRAP_HANDLER: 0
; COMPUTE_PGM_RSRC2:TGID_X_EN: 1
; COMPUTE_PGM_RSRC2:TGID_Y_EN: 0
; COMPUTE_PGM_RSRC2:TGID_Z_EN: 0
; COMPUTE_PGM_RSRC2:TIDIG_COMP_CNT: 0
; COMPUTE_PGM_RSRC3_GFX90A:ACCUM_OFFSET: 10
; COMPUTE_PGM_RSRC3_GFX90A:TG_SPLIT: 0
	.section	.text._ZN2at6native12_GLOBAL__N_125multi_tensor_apply_kernelINS1_18TensorListMetadataILi1EEENS1_14UnaryOpFunctorIN3c107complexIfEELi1ELi1ELi0EEEJNS0_5RsqrtIS8_EEEEEvT_T0_DpT1_,"axG",@progbits,_ZN2at6native12_GLOBAL__N_125multi_tensor_apply_kernelINS1_18TensorListMetadataILi1EEENS1_14UnaryOpFunctorIN3c107complexIfEELi1ELi1ELi0EEEJNS0_5RsqrtIS8_EEEEEvT_T0_DpT1_,comdat
	.globl	_ZN2at6native12_GLOBAL__N_125multi_tensor_apply_kernelINS1_18TensorListMetadataILi1EEENS1_14UnaryOpFunctorIN3c107complexIfEELi1ELi1ELi0EEEJNS0_5RsqrtIS8_EEEEEvT_T0_DpT1_ ; -- Begin function _ZN2at6native12_GLOBAL__N_125multi_tensor_apply_kernelINS1_18TensorListMetadataILi1EEENS1_14UnaryOpFunctorIN3c107complexIfEELi1ELi1ELi0EEEJNS0_5RsqrtIS8_EEEEEvT_T0_DpT1_
	.p2align	8
	.type	_ZN2at6native12_GLOBAL__N_125multi_tensor_apply_kernelINS1_18TensorListMetadataILi1EEENS1_14UnaryOpFunctorIN3c107complexIfEELi1ELi1ELi0EEEJNS0_5RsqrtIS8_EEEEEvT_T0_DpT1_,@function
_ZN2at6native12_GLOBAL__N_125multi_tensor_apply_kernelINS1_18TensorListMetadataILi1EEENS1_14UnaryOpFunctorIN3c107complexIfEELi1ELi1ELi0EEEJNS0_5RsqrtIS8_EEEEEvT_T0_DpT1_: ; @_ZN2at6native12_GLOBAL__N_125multi_tensor_apply_kernelINS1_18TensorListMetadataILi1EEENS1_14UnaryOpFunctorIN3c107complexIfEELi1ELi1ELi0EEEJNS0_5RsqrtIS8_EEEEEvT_T0_DpT1_
; %bb.0:
	v_mov_b32_e32 v1, s6
	global_load_ubyte v1, v1, s[4:5] offset:1760
	s_add_u32 s0, s4, s6
	s_mul_hi_u32 s1, s6, 3
	s_mul_i32 s6, s6, 3
	s_addc_u32 s2, s5, 0
	s_add_u32 s0, s0, s6
	s_addc_u32 s1, s2, s1
	s_load_dword s0, s[0:1], 0x820
	s_mov_b32 s7, 0
	s_waitcnt vmcnt(0)
	v_readfirstlane_b32 s2, v1
	s_lshl_b32 s1, s2, 3
	s_load_dwordx2 s[2:3], s[4:5], s1 offset:0x370
	s_load_dwordx2 s[16:17], s[4:5], s1 offset:0x0
	s_waitcnt lgkmcnt(0)
	s_ashr_i32 s1, s0, 31
	s_lshl_b64 s[18:19], s[0:1], 19
	s_lshl_b64 s[0:1], s[0:1], 16
	s_and_b32 s6, s16, 31
	s_sub_u32 s14, s2, s0
	s_subb_u32 s15, s3, s1
	s_and_b32 s0, s2, 3
	s_mov_b32 s1, s7
	s_or_b64 s[0:1], s[6:7], s[0:1]
	s_cmp_eq_u64 s[0:1], 0
	s_cbranch_scc1 .LBB303_165
; %bb.1:
	v_cmp_lt_i64_e64 s[0:1], s[14:15], 1
	s_and_b64 vcc, exec, s[0:1]
	s_cbranch_vccnz .LBB303_164
; %bb.2:
	s_load_dword s0, s[4:5], 0xd3c
	v_mov_b32_e32 v2, 0x10000
	v_mov_b32_e32 v3, 0
	v_cmp_lt_u64_e32 vcc, s[14:15], v[2:3]
	v_lshlrev_b32_e32 v1, 3, v0
	s_waitcnt lgkmcnt(0)
	s_and_b32 s2, s0, 0xffff
	s_and_b64 s[0:1], vcc, exec
	s_cselect_b32 s23, s15, 0
	s_cselect_b32 s22, s14, 0x10000
	s_lshl_b32 s3, s2, 1
	s_lshl_b32 s27, s2, 2
	s_add_u32 s6, s16, s18
	s_addc_u32 s7, s17, s19
	v_mov_b32_e32 v3, s7
	v_add_co_u32_e32 v2, vcc, s6, v1
	s_mul_i32 s0, s2, 3
	v_addc_co_u32_e32 v3, vcc, 0, v3, vcc
	v_add_co_u32_e32 v1, vcc, s0, v0
	v_addc_co_u32_e64 v18, s[0:1], 0, 0, vcc
	v_add_co_u32_e32 v19, vcc, s3, v0
	v_addc_co_u32_e64 v20, s[0:1], 0, 0, vcc
	v_add_co_u32_e32 v21, vcc, s2, v0
	v_lshlrev_b32_e32 v4, 3, v21
	s_mov_b32 s21, 0
	v_addc_co_u32_e64 v22, s[0:1], 0, 0, vcc
	v_mov_b32_e32 v5, s7
	v_add_co_u32_e32 v4, vcc, s6, v4
	s_lshl_b32 s20, s2, 5
	s_mul_i32 s29, s2, 24
	s_mov_b32 s33, s21
	s_lshl_b32 s46, s2, 4
	s_mov_b32 s47, s21
	v_addc_co_u32_e32 v5, vcc, 0, v5, vcc
	s_mov_b64 s[24:25], 0
	s_mov_b32 s48, 0x7f800000
	s_mov_b32 s49, 0x7ed413cb
	s_mov_b32 s50, 0x1000000
	s_mov_b32 s26, 0x3e800000
	s_mov_b32 s51, 0xf800000
	v_mov_b32_e32 v23, 0x260
	s_mov_b32 s28, 1.0
	s_brev_b32 s52, -2
	s_mov_b32 s31, -1.0
	v_mov_b32_e32 v24, 0x7f800000
	s_branch .LBB303_4
.LBB303_3:                              ;   in Loop: Header=BB303_4 Depth=1
	s_or_b64 exec, exec, s[0:1]
	s_add_u32 s24, s24, s27
	s_addc_u32 s25, s25, 0
	v_pk_mov_b32 v[6:7], s[14:15], s[14:15] op_sel:[0,1]
	v_cmp_ge_i64_e32 vcc, s[24:25], v[6:7]
	v_mov_b32_e32 v6, 0xffff
	v_mov_b32_e32 v7, 0
	v_cmp_gt_u64_e64 s[0:1], s[24:25], v[6:7]
	s_or_b64 s[0:1], vcc, s[0:1]
	v_mov_b32_e32 v6, s21
	v_add_co_u32_e32 v2, vcc, s20, v2
	v_addc_co_u32_e32 v3, vcc, v3, v6, vcc
	v_add_co_u32_e32 v4, vcc, s20, v4
	v_addc_co_u32_e32 v5, vcc, v5, v6, vcc
	s_and_b64 vcc, exec, s[0:1]
	s_cbranch_vccnz .LBB303_164
.LBB303_4:                              ; =>This Inner Loop Header: Depth=1
	v_mov_b32_e32 v7, s25
	v_add_co_u32_e32 v6, vcc, s24, v0
	v_addc_co_u32_e32 v7, vcc, 0, v7, vcc
	v_cmp_gt_u64_e64 s[0:1], s[22:23], v[6:7]
	v_mov_b32_e32 v12, 0
	v_mov_b32_e32 v13, 0
	s_and_saveexec_b64 s[2:3], s[0:1]
	s_cbranch_execz .LBB303_6
; %bb.5:                                ;   in Loop: Header=BB303_4 Depth=1
	global_load_dwordx2 v[12:13], v[2:3], off
.LBB303_6:                              ;   in Loop: Header=BB303_4 Depth=1
	s_or_b64 exec, exec, s[2:3]
	v_mov_b32_e32 v7, s25
	v_add_co_u32_e32 v6, vcc, s24, v21
	v_addc_co_u32_e32 v7, vcc, v22, v7, vcc
	v_cmp_gt_u64_e64 s[2:3], s[22:23], v[6:7]
	v_mov_b32_e32 v10, 0
	v_mov_b32_e32 v14, 0
	;; [unrolled: 1-line block ×3, first 2 shown]
	s_and_saveexec_b64 s[6:7], s[2:3]
	s_cbranch_execz .LBB303_8
; %bb.7:                                ;   in Loop: Header=BB303_4 Depth=1
	global_load_dwordx2 v[14:15], v[4:5], off
.LBB303_8:                              ;   in Loop: Header=BB303_4 Depth=1
	s_or_b64 exec, exec, s[6:7]
	v_mov_b32_e32 v7, s25
	v_add_co_u32_e32 v6, vcc, s24, v19
	v_addc_co_u32_e32 v7, vcc, v20, v7, vcc
	v_cmp_gt_u64_e64 s[6:7], s[22:23], v[6:7]
	v_mov_b32_e32 v11, 0
	s_and_saveexec_b64 s[8:9], s[6:7]
	s_cbranch_execz .LBB303_10
; %bb.9:                                ;   in Loop: Header=BB303_4 Depth=1
	v_mov_b32_e32 v7, s47
	v_add_co_u32_e32 v6, vcc, s46, v2
	v_addc_co_u32_e32 v7, vcc, v3, v7, vcc
	global_load_dwordx2 v[10:11], v[6:7], off
.LBB303_10:                             ;   in Loop: Header=BB303_4 Depth=1
	s_or_b64 exec, exec, s[8:9]
	v_mov_b32_e32 v7, s25
	v_add_co_u32_e32 v6, vcc, s24, v1
	v_addc_co_u32_e32 v7, vcc, v18, v7, vcc
	v_cmp_gt_u64_e64 s[8:9], s[22:23], v[6:7]
	v_mov_b32_e32 v16, 0
	v_mov_b32_e32 v6, 0
	;; [unrolled: 1-line block ×3, first 2 shown]
	s_and_saveexec_b64 s[10:11], s[8:9]
	s_cbranch_execz .LBB303_12
; %bb.11:                               ;   in Loop: Header=BB303_4 Depth=1
	v_mov_b32_e32 v7, s33
	v_add_co_u32_e32 v6, vcc, s29, v2
	v_addc_co_u32_e32 v7, vcc, v3, v7, vcc
	global_load_dwordx2 v[6:7], v[6:7], off
.LBB303_12:                             ;   in Loop: Header=BB303_4 Depth=1
	s_or_b64 exec, exec, s[10:11]
	s_waitcnt vmcnt(0)
	v_cmp_neq_f32_e32 vcc, 0, v12
	v_cmp_neq_f32_e64 s[10:11], 0, v13
	s_or_b64 s[10:11], vcc, s[10:11]
	s_and_saveexec_b64 s[34:35], s[10:11]
	s_cbranch_execz .LBB303_39
; %bb.13:                               ;   in Loop: Header=BB303_4 Depth=1
	v_cmp_neq_f32_e64 s[10:11], |v13|, s48
	v_mov_b32_e32 v16, 0x7f800000
	s_and_saveexec_b64 s[36:37], s[10:11]
	s_cbranch_execz .LBB303_38
; %bb.14:                               ;   in Loop: Header=BB303_4 Depth=1
	v_cmp_o_f32_e32 vcc, v12, v12
	s_and_saveexec_b64 s[10:11], vcc
	s_xor_b64 s[38:39], exec, s[10:11]
	s_cbranch_execz .LBB303_35
; %bb.15:                               ;   in Loop: Header=BB303_4 Depth=1
	v_cmp_neq_f32_e64 s[10:11], |v12|, s48
	s_and_saveexec_b64 s[12:13], s[10:11]
	s_xor_b64 s[40:41], exec, s[12:13]
	s_cbranch_execz .LBB303_29
; %bb.16:                               ;   in Loop: Header=BB303_4 Depth=1
	v_max_f32_e64 v8, |v12|, |v12|
	v_max_f32_e64 v9, |v13|, |v13|
	v_max_f32_e32 v8, v9, v8
	v_cmp_nle_f32_e64 s[10:11], s49, v8
                                        ; implicit-def: $sgpr42_sgpr43
                                        ; implicit-def: $vgpr8_vgpr9
	s_and_saveexec_b64 s[12:13], s[10:11]
	s_xor_b64 s[12:13], exec, s[12:13]
; %bb.17:                               ;   in Loop: Header=BB303_4 Depth=1
	v_cmp_nle_f32_e64 s[42:43], |v12|, s50
	v_cmp_nle_f32_e64 s[44:45], |v13|, s50
	s_or_b64 vcc, s[44:45], s[42:43]
	v_pk_mul_f32 v[8:9], v[12:13], 4.0 op_sel_hi:[1,0]
	s_xor_b64 s[42:43], vcc, -1
	v_cndmask_b32_e32 v9, v9, v13, vcc
	v_cndmask_b32_e32 v8, v8, v12, vcc
	s_and_b64 s[42:43], s[42:43], exec
                                        ; implicit-def: $vgpr12_vgpr13
; %bb.18:                               ;   in Loop: Header=BB303_4 Depth=1
	s_andn2_saveexec_b64 s[12:13], s[12:13]
; %bb.19:                               ;   in Loop: Header=BB303_4 Depth=1
	v_pk_mul_f32 v[8:9], v[12:13], s[26:27] op_sel_hi:[1,0]
	s_andn2_b64 s[42:43], s[42:43], exec
; %bb.20:                               ;   in Loop: Header=BB303_4 Depth=1
	s_or_b64 exec, exec, s[12:13]
	v_max_f32_e64 v12, |v9|, |v9|
	v_max_f32_e64 v13, |v8|, |v8|
	v_max_f32_e32 v16, v13, v12
	v_cvt_f64_f32_e32 v[12:13], v16
	v_frexp_exp_i32_f64_e32 v12, v[12:13]
	v_sub_u32_e32 v13, 0, v12
	v_ldexp_f32 v17, |v8|, v13
	v_ldexp_f32 v13, |v9|, v13
	v_mul_f32_e32 v13, v13, v13
	v_fmac_f32_e32 v13, v17, v17
	v_sqrt_f32_e32 v13, v13
	v_cmp_neq_f32_e64 s[12:13], s48, v16
	v_cmp_le_f32_e32 vcc, 0, v8
                                        ; implicit-def: $vgpr16_vgpr17
	v_ldexp_f32 v12, v13, v12
	v_cndmask_b32_e64 v12, v24, v12, s[12:13]
	s_and_saveexec_b64 s[12:13], vcc
	s_xor_b64 s[44:45], exec, s[12:13]
	s_cbranch_execz .LBB303_22
; %bb.21:                               ;   in Loop: Header=BB303_4 Depth=1
	v_add_f32_e32 v8, v8, v12
	v_mul_f32_e32 v8, 0.5, v8
	v_mul_f32_e32 v12, 0x4f800000, v8
	v_cmp_gt_f32_e32 vcc, s51, v8
	v_cndmask_b32_e32 v8, v8, v12, vcc
	v_sqrt_f32_e32 v12, v8
	v_add_u32_e32 v13, -1, v12
	v_fma_f32 v17, -v13, v12, v8
	v_add_u32_e32 v16, 1, v12
	v_cmp_ge_f32_e64 s[12:13], 0, v17
	v_cndmask_b32_e64 v13, v12, v13, s[12:13]
	v_fma_f32 v12, -v16, v12, v8
	v_cmp_lt_f32_e64 s[12:13], 0, v12
	v_cndmask_b32_e64 v12, v13, v16, s[12:13]
	v_mul_f32_e32 v13, 0x37800000, v12
	v_cndmask_b32_e32 v12, v12, v13, vcc
	v_cmp_class_f32_e32 vcc, v8, v23
	v_cndmask_b32_e32 v16, v12, v8, vcc
	v_add_f32_e32 v8, v16, v16
	v_div_scale_f32 v12, s[12:13], v8, v8, v9
	v_rcp_f32_e32 v13, v12
	v_fma_f32 v17, -v12, v13, 1.0
	v_fmac_f32_e32 v13, v17, v13
	v_div_scale_f32 v17, vcc, v9, v8, v9
	v_mul_f32_e32 v25, v17, v13
	v_fma_f32 v26, -v12, v25, v17
	v_fmac_f32_e32 v25, v26, v13
	v_fma_f32 v12, -v12, v25, v17
	v_div_fmas_f32 v12, v12, v13, v25
	v_div_fixup_f32 v17, v12, v8, v9
                                        ; implicit-def: $vgpr12
                                        ; implicit-def: $vgpr8_vgpr9
	s_andn2_saveexec_b64 s[44:45], s[44:45]
	s_cbranch_execz .LBB303_24
	s_branch .LBB303_23
.LBB303_22:                             ;   in Loop: Header=BB303_4 Depth=1
	s_andn2_saveexec_b64 s[44:45], s[44:45]
	s_cbranch_execz .LBB303_24
.LBB303_23:                             ;   in Loop: Header=BB303_4 Depth=1
	v_sub_f32_e32 v8, v12, v8
	v_mul_f32_e32 v8, 0.5, v8
	v_mul_f32_e32 v12, 0x4f800000, v8
	v_cmp_gt_f32_e32 vcc, s51, v8
	v_cndmask_b32_e32 v8, v8, v12, vcc
	v_sqrt_f32_e32 v12, v8
	v_add_u32_e32 v13, -1, v12
	v_fma_f32 v17, -v13, v12, v8
	v_add_u32_e32 v16, 1, v12
	v_cmp_ge_f32_e64 s[12:13], 0, v17
	v_cndmask_b32_e64 v13, v12, v13, s[12:13]
	v_fma_f32 v12, -v16, v12, v8
	v_cmp_lt_f32_e64 s[12:13], 0, v12
	v_cndmask_b32_e64 v12, v13, v16, s[12:13]
	v_mul_f32_e32 v13, 0x37800000, v12
	v_cndmask_b32_e32 v12, v12, v13, vcc
	v_cmp_class_f32_e32 vcc, v8, v23
	v_cndmask_b32_e32 v8, v12, v8, vcc
	v_add_f32_e32 v12, v8, v8
	v_and_b32_e32 v13, 0x7fffffff, v9
	v_div_scale_f32 v16, s[12:13], v12, v12, v13
	v_rcp_f32_e32 v17, v16
	v_div_scale_f32 v13, vcc, v13, v12, v13
	v_fma_f32 v25, -v16, v17, 1.0
	v_fmac_f32_e32 v17, v25, v17
	v_mul_f32_e32 v25, v13, v17
	v_fma_f32 v26, -v16, v25, v13
	v_fmac_f32_e32 v25, v26, v17
	v_fma_f32 v13, -v16, v25, v13
	v_div_fmas_f32 v13, v13, v17, v25
	v_div_fixup_f32 v16, v13, v12, |v9|
	v_bfi_b32 v17, s52, v8, v9
.LBB303_24:                             ;   in Loop: Header=BB303_4 Depth=1
	s_or_b64 exec, exec, s[44:45]
                                        ; implicit-def: $vgpr13
	s_and_saveexec_b64 s[12:13], s[10:11]
	s_xor_b64 s[10:11], exec, s[12:13]
	s_cbranch_execz .LBB303_26
; %bb.25:                               ;   in Loop: Header=BB303_4 Depth=1
	v_pk_mul_f32 v[8:9], v[16:17], 0.5 op_sel_hi:[1,0]
	v_cndmask_b32_e64 v12, v16, v8, s[42:43]
	v_cndmask_b32_e64 v13, v17, v9, s[42:43]
                                        ; implicit-def: $vgpr16_vgpr17
	s_andn2_saveexec_b64 s[10:11], s[10:11]
	s_cbranch_execnz .LBB303_27
	s_branch .LBB303_28
.LBB303_26:                             ;   in Loop: Header=BB303_4 Depth=1
	s_andn2_saveexec_b64 s[10:11], s[10:11]
.LBB303_27:                             ;   in Loop: Header=BB303_4 Depth=1
	v_pk_add_f32 v[12:13], v[16:17], v[16:17]
.LBB303_28:                             ;   in Loop: Header=BB303_4 Depth=1
	s_or_b64 exec, exec, s[10:11]
.LBB303_29:                             ;   in Loop: Header=BB303_4 Depth=1
	s_andn2_saveexec_b64 s[10:11], s[40:41]
	s_cbranch_execz .LBB303_57
; %bb.30:                               ;   in Loop: Header=BB303_4 Depth=1
	v_cmp_lt_i32_e32 vcc, -1, v12
	v_sub_f32_e32 v8, v13, v13
	s_and_saveexec_b64 s[12:13], vcc
	s_xor_b64 s[12:13], exec, s[12:13]
; %bb.31:                               ;   in Loop: Header=BB303_4 Depth=1
	v_bfi_b32 v13, s52, v8, v13
                                        ; implicit-def: $vgpr8
; %bb.32:                               ;   in Loop: Header=BB303_4 Depth=1
	s_andn2_saveexec_b64 s[12:13], s[12:13]
; %bb.33:                               ;   in Loop: Header=BB303_4 Depth=1
	v_and_b32_e32 v8, 0x7fffffff, v8
	v_bfi_b32 v13, s52, v12, v13
	v_mov_b32_e32 v12, v8
; %bb.34:                               ;   in Loop: Header=BB303_4 Depth=1
	s_or_b64 exec, exec, s[12:13]
	s_or_b64 exec, exec, s[10:11]
.LBB303_35:                             ;   in Loop: Header=BB303_4 Depth=1
	s_andn2_saveexec_b64 s[10:11], s[38:39]
.LBB303_36:                             ;   in Loop: Header=BB303_4 Depth=1
	v_sub_f32_e32 v8, v13, v13
	v_div_scale_f32 v9, vcc, v8, v8, v8
	v_rcp_f32_e32 v13, v9
	v_fma_f32 v16, -v9, v13, 1.0
	v_fmac_f32_e32 v13, v16, v13
	v_mul_f32_e32 v16, v9, v13
	v_fma_f32 v17, -v9, v16, v9
	v_fmac_f32_e32 v16, v17, v13
	v_fma_f32 v9, -v9, v16, v9
	v_div_fmas_f32 v9, v9, v13, v16
	v_div_fixup_f32 v13, v9, v8, v8
.LBB303_37:                             ;   in Loop: Header=BB303_4 Depth=1
	s_or_b64 exec, exec, s[10:11]
	v_mov_b32_e32 v16, v12
.LBB303_38:                             ;   in Loop: Header=BB303_4 Depth=1
	s_or_b64 exec, exec, s[36:37]
.LBB303_39:                             ;   in Loop: Header=BB303_4 Depth=1
	s_or_b64 exec, exec, s[34:35]
	v_cmp_gt_f32_e32 vcc, 0, v13
	v_cndmask_b32_e64 v17, v13, -v13, vcc
	v_cmp_gt_f32_e32 vcc, 0, v16
	v_cndmask_b32_e64 v12, v16, -v16, vcc
	v_cmp_ge_f32_e32 vcc, v12, v17
                                        ; implicit-def: $vgpr8_vgpr9
	s_and_saveexec_b64 s[10:11], vcc
	s_xor_b64 s[12:13], exec, s[10:11]
	s_cbranch_execz .LBB303_45
; %bb.40:                               ;   in Loop: Header=BB303_4 Depth=1
	v_cmp_neq_f32_e32 vcc, 0, v16
	v_cmp_neq_f32_e64 s[10:11], 0, v13
	s_or_b64 s[10:11], vcc, s[10:11]
                                        ; implicit-def: $vgpr8_vgpr9
	s_and_saveexec_b64 s[34:35], s[10:11]
	s_xor_b64 s[10:11], exec, s[34:35]
	s_cbranch_execz .LBB303_42
; %bb.41:                               ;   in Loop: Header=BB303_4 Depth=1
	v_div_scale_f32 v8, s[34:35], v16, v16, v13
	v_rcp_f32_e32 v9, v8
	v_div_scale_f32 v12, vcc, v13, v16, v13
	v_fma_f32 v17, -v8, v9, 1.0
	v_fmac_f32_e32 v9, v17, v9
	v_mul_f32_e32 v17, v12, v9
	v_fma_f32 v25, -v8, v17, v12
	v_fmac_f32_e32 v17, v25, v9
	v_fma_f32 v8, -v8, v17, v12
	v_div_fmas_f32 v8, v8, v9, v17
	v_div_fixup_f32 v9, v8, v16, v13
	v_fmac_f32_e32 v16, v13, v9
	v_div_scale_f32 v8, s[34:35], v16, v16, 1.0
	v_rcp_f32_e32 v12, v8
	v_fma_f32 v13, -v8, v12, 1.0
	v_fmac_f32_e32 v12, v13, v12
	v_div_scale_f32 v13, vcc, 1.0, v16, 1.0
	v_mul_f32_e32 v17, v13, v12
	v_fma_f32 v25, -v8, v17, v13
	v_fmac_f32_e32 v17, v25, v12
	v_fma_f32 v8, -v8, v17, v13
	v_div_fmas_f32 v8, v8, v12, v17
	v_div_fixup_f32 v12, v8, v16, 1.0
	v_mul_f32_e32 v8, 0, v9
	v_pk_add_f32 v[16:17], v[8:9], s[28:29]
	v_pk_add_f32 v[8:9], v[8:9], s[20:21] neg_lo:[1,0] neg_hi:[1,0]
	v_mov_b32_e32 v17, v9
	v_pk_mul_f32 v[8:9], v[16:17], v[12:13] op_sel_hi:[1,0]
                                        ; implicit-def: $vgpr17
                                        ; implicit-def: $vgpr12
.LBB303_42:                             ;   in Loop: Header=BB303_4 Depth=1
	s_andn2_saveexec_b64 s[10:11], s[10:11]
	s_cbranch_execz .LBB303_44
; %bb.43:                               ;   in Loop: Header=BB303_4 Depth=1
	v_div_scale_f32 v8, s[34:35], v17, v17, 0
	v_rcp_f32_e32 v9, v8
	v_div_scale_f32 v13, vcc, 0, v17, 0
	v_fma_f32 v16, -v8, v9, 1.0
	v_fmac_f32_e32 v9, v16, v9
	v_mul_f32_e32 v16, v13, v9
	v_fma_f32 v25, -v8, v16, v13
	v_fmac_f32_e32 v16, v25, v9
	v_fma_f32 v8, -v8, v16, v13
	v_div_scale_f32 v13, s[34:35], v12, v12, 1.0
	v_rcp_f32_e32 v25, v13
	v_div_fmas_f32 v8, v8, v9, v16
	v_div_fixup_f32 v9, v8, v17, 0
	v_fma_f32 v8, -v13, v25, 1.0
	v_fmac_f32_e32 v25, v8, v25
	v_div_scale_f32 v8, vcc, 1.0, v12, 1.0
	v_mul_f32_e32 v16, v8, v25
	v_fma_f32 v17, -v13, v16, v8
	v_fmac_f32_e32 v16, v17, v25
	v_fma_f32 v8, -v13, v16, v8
	v_div_fmas_f32 v8, v8, v25, v16
	v_div_fixup_f32 v8, v8, v12, 1.0
.LBB303_44:                             ;   in Loop: Header=BB303_4 Depth=1
	s_or_b64 exec, exec, s[10:11]
                                        ; implicit-def: $vgpr13
                                        ; implicit-def: $vgpr16
.LBB303_45:                             ;   in Loop: Header=BB303_4 Depth=1
	s_andn2_saveexec_b64 s[10:11], s[12:13]
	s_cbranch_execz .LBB303_47
; %bb.46:                               ;   in Loop: Header=BB303_4 Depth=1
	v_div_scale_f32 v8, s[12:13], v13, v13, v16
	v_rcp_f32_e32 v9, v8
	v_div_scale_f32 v12, vcc, v16, v13, v16
	s_mov_b32 s30, s21
	v_fma_f32 v17, -v8, v9, 1.0
	v_fmac_f32_e32 v9, v17, v9
	v_mul_f32_e32 v17, v12, v9
	v_fma_f32 v25, -v8, v17, v12
	v_fmac_f32_e32 v17, v25, v9
	v_fma_f32 v8, -v8, v17, v12
	v_div_fmas_f32 v8, v8, v9, v17
	v_div_fixup_f32 v8, v8, v13, v16
	v_fmac_f32_e32 v13, v16, v8
	v_div_scale_f32 v9, s[12:13], v13, v13, 1.0
	v_rcp_f32_e32 v12, v9
	v_fma_f32 v16, -v9, v12, 1.0
	v_fmac_f32_e32 v12, v16, v12
	v_div_scale_f32 v16, vcc, 1.0, v13, 1.0
	v_mul_f32_e32 v17, v16, v12
	v_fma_f32 v25, -v9, v17, v16
	v_fmac_f32_e32 v17, v25, v12
	v_fma_f32 v9, -v9, v17, v16
	v_div_fmas_f32 v9, v9, v12, v17
	v_div_fixup_f32 v12, v9, v13, 1.0
	v_mul_f32_e32 v9, 0, v8
	v_pk_add_f32 v[8:9], v[8:9], s[30:31]
	v_pk_mul_f32 v[8:9], v[8:9], v[12:13] op_sel_hi:[1,0]
.LBB303_47:                             ;   in Loop: Header=BB303_4 Depth=1
	s_or_b64 exec, exec, s[10:11]
	v_cmp_neq_f32_e32 vcc, 0, v14
	v_cmp_neq_f32_e64 s[10:11], 0, v15
	s_or_b64 s[10:11], vcc, s[10:11]
	v_mov_b32_e32 v16, 0
	s_and_saveexec_b64 s[34:35], s[10:11]
	s_cbranch_execz .LBB303_76
; %bb.48:                               ;   in Loop: Header=BB303_4 Depth=1
	v_cmp_neq_f32_e64 s[10:11], |v15|, s48
	v_mov_b32_e32 v16, 0x7f800000
	s_and_saveexec_b64 s[36:37], s[10:11]
	s_cbranch_execz .LBB303_75
; %bb.49:                               ;   in Loop: Header=BB303_4 Depth=1
	v_cmp_o_f32_e32 vcc, v14, v14
	s_and_saveexec_b64 s[10:11], vcc
	s_xor_b64 s[38:39], exec, s[10:11]
	s_cbranch_execz .LBB303_72
; %bb.50:                               ;   in Loop: Header=BB303_4 Depth=1
	v_cmp_neq_f32_e64 s[10:11], |v14|, s48
	s_and_saveexec_b64 s[12:13], s[10:11]
	s_xor_b64 s[40:41], exec, s[12:13]
	s_cbranch_execz .LBB303_65
; %bb.51:                               ;   in Loop: Header=BB303_4 Depth=1
	v_max_f32_e64 v12, |v14|, |v14|
	v_max_f32_e64 v13, |v15|, |v15|
	v_max_f32_e32 v12, v13, v12
	v_cmp_nle_f32_e64 s[10:11], s49, v12
                                        ; implicit-def: $sgpr42_sgpr43
                                        ; implicit-def: $vgpr12_vgpr13
	s_and_saveexec_b64 s[12:13], s[10:11]
	s_xor_b64 s[12:13], exec, s[12:13]
; %bb.52:                               ;   in Loop: Header=BB303_4 Depth=1
	v_cmp_nle_f32_e64 s[42:43], |v14|, s50
	v_cmp_nle_f32_e64 s[44:45], |v15|, s50
	s_or_b64 vcc, s[44:45], s[42:43]
	v_pk_mul_f32 v[12:13], v[14:15], 4.0 op_sel_hi:[1,0]
	s_xor_b64 s[42:43], vcc, -1
	v_cndmask_b32_e32 v13, v13, v15, vcc
	v_cndmask_b32_e32 v12, v12, v14, vcc
	s_and_b64 s[42:43], s[42:43], exec
                                        ; implicit-def: $vgpr14_vgpr15
; %bb.53:                               ;   in Loop: Header=BB303_4 Depth=1
	s_andn2_saveexec_b64 s[12:13], s[12:13]
; %bb.54:                               ;   in Loop: Header=BB303_4 Depth=1
	v_pk_mul_f32 v[12:13], v[14:15], s[26:27] op_sel_hi:[1,0]
	s_andn2_b64 s[42:43], s[42:43], exec
; %bb.55:                               ;   in Loop: Header=BB303_4 Depth=1
	s_or_b64 exec, exec, s[12:13]
	v_max_f32_e64 v14, |v13|, |v13|
	v_max_f32_e64 v15, |v12|, |v12|
	v_max_f32_e32 v16, v15, v14
	v_cvt_f64_f32_e32 v[14:15], v16
	v_frexp_exp_i32_f64_e32 v14, v[14:15]
	v_sub_u32_e32 v15, 0, v14
	v_ldexp_f32 v17, |v12|, v15
	v_ldexp_f32 v15, |v13|, v15
	v_mul_f32_e32 v15, v15, v15
	v_fmac_f32_e32 v15, v17, v17
	v_sqrt_f32_e32 v15, v15
	v_cmp_neq_f32_e64 s[12:13], s48, v16
	v_cmp_le_f32_e32 vcc, 0, v12
                                        ; implicit-def: $vgpr16_vgpr17
	v_ldexp_f32 v14, v15, v14
	v_cndmask_b32_e64 v14, v24, v14, s[12:13]
	s_and_saveexec_b64 s[12:13], vcc
	s_xor_b64 s[44:45], exec, s[12:13]
	s_cbranch_execz .LBB303_58
; %bb.56:                               ;   in Loop: Header=BB303_4 Depth=1
	v_add_f32_e32 v12, v12, v14
	v_mul_f32_e32 v12, 0.5, v12
	v_mul_f32_e32 v14, 0x4f800000, v12
	v_cmp_gt_f32_e32 vcc, s51, v12
	v_cndmask_b32_e32 v12, v12, v14, vcc
	v_sqrt_f32_e32 v14, v12
	v_add_u32_e32 v15, -1, v14
	v_fma_f32 v17, -v15, v14, v12
	v_add_u32_e32 v16, 1, v14
	v_cmp_ge_f32_e64 s[12:13], 0, v17
	v_cndmask_b32_e64 v15, v14, v15, s[12:13]
	v_fma_f32 v14, -v16, v14, v12
	v_cmp_lt_f32_e64 s[12:13], 0, v14
	v_cndmask_b32_e64 v14, v15, v16, s[12:13]
	v_mul_f32_e32 v15, 0x37800000, v14
	v_cndmask_b32_e32 v14, v14, v15, vcc
	v_cmp_class_f32_e32 vcc, v12, v23
	v_cndmask_b32_e32 v16, v14, v12, vcc
	v_add_f32_e32 v12, v16, v16
	v_div_scale_f32 v14, s[12:13], v12, v12, v13
	v_rcp_f32_e32 v15, v14
	v_fma_f32 v17, -v14, v15, 1.0
	v_fmac_f32_e32 v15, v17, v15
	v_div_scale_f32 v17, vcc, v13, v12, v13
	v_mul_f32_e32 v25, v17, v15
	v_fma_f32 v26, -v14, v25, v17
	v_fmac_f32_e32 v25, v26, v15
	v_fma_f32 v14, -v14, v25, v17
	v_div_fmas_f32 v14, v14, v15, v25
	v_div_fixup_f32 v17, v14, v12, v13
                                        ; implicit-def: $vgpr14
                                        ; implicit-def: $vgpr12_vgpr13
	s_andn2_saveexec_b64 s[44:45], s[44:45]
	s_cbranch_execz .LBB303_60
	s_branch .LBB303_59
.LBB303_57:                             ;   in Loop: Header=BB303_4 Depth=1
	s_or_b64 exec, exec, s[10:11]
	s_andn2_saveexec_b64 s[10:11], s[38:39]
	s_cbranch_execnz .LBB303_36
	s_branch .LBB303_37
.LBB303_58:                             ;   in Loop: Header=BB303_4 Depth=1
	s_andn2_saveexec_b64 s[44:45], s[44:45]
	s_cbranch_execz .LBB303_60
.LBB303_59:                             ;   in Loop: Header=BB303_4 Depth=1
	v_sub_f32_e32 v12, v14, v12
	v_mul_f32_e32 v12, 0.5, v12
	v_mul_f32_e32 v14, 0x4f800000, v12
	v_cmp_gt_f32_e32 vcc, s51, v12
	v_cndmask_b32_e32 v12, v12, v14, vcc
	v_sqrt_f32_e32 v14, v12
	v_add_u32_e32 v15, -1, v14
	v_fma_f32 v17, -v15, v14, v12
	v_add_u32_e32 v16, 1, v14
	v_cmp_ge_f32_e64 s[12:13], 0, v17
	v_cndmask_b32_e64 v15, v14, v15, s[12:13]
	v_fma_f32 v14, -v16, v14, v12
	v_cmp_lt_f32_e64 s[12:13], 0, v14
	v_cndmask_b32_e64 v14, v15, v16, s[12:13]
	v_mul_f32_e32 v15, 0x37800000, v14
	v_cndmask_b32_e32 v14, v14, v15, vcc
	v_cmp_class_f32_e32 vcc, v12, v23
	v_cndmask_b32_e32 v12, v14, v12, vcc
	v_add_f32_e32 v14, v12, v12
	v_and_b32_e32 v15, 0x7fffffff, v13
	v_div_scale_f32 v16, s[12:13], v14, v14, v15
	v_rcp_f32_e32 v17, v16
	v_div_scale_f32 v15, vcc, v15, v14, v15
	v_fma_f32 v25, -v16, v17, 1.0
	v_fmac_f32_e32 v17, v25, v17
	v_mul_f32_e32 v25, v15, v17
	v_fma_f32 v26, -v16, v25, v15
	v_fmac_f32_e32 v25, v26, v17
	v_fma_f32 v15, -v16, v25, v15
	v_div_fmas_f32 v15, v15, v17, v25
	v_div_fixup_f32 v16, v15, v14, |v13|
	v_bfi_b32 v17, s52, v12, v13
.LBB303_60:                             ;   in Loop: Header=BB303_4 Depth=1
	s_or_b64 exec, exec, s[44:45]
                                        ; implicit-def: $vgpr15
	s_and_saveexec_b64 s[12:13], s[10:11]
	s_xor_b64 s[10:11], exec, s[12:13]
	s_cbranch_execz .LBB303_62
; %bb.61:                               ;   in Loop: Header=BB303_4 Depth=1
	v_pk_mul_f32 v[12:13], v[16:17], 0.5 op_sel_hi:[1,0]
	v_cndmask_b32_e64 v14, v16, v12, s[42:43]
	v_cndmask_b32_e64 v15, v17, v13, s[42:43]
                                        ; implicit-def: $vgpr16_vgpr17
	s_andn2_saveexec_b64 s[10:11], s[10:11]
	s_cbranch_execnz .LBB303_63
	s_branch .LBB303_64
.LBB303_62:                             ;   in Loop: Header=BB303_4 Depth=1
	s_andn2_saveexec_b64 s[10:11], s[10:11]
.LBB303_63:                             ;   in Loop: Header=BB303_4 Depth=1
	v_pk_add_f32 v[14:15], v[16:17], v[16:17]
.LBB303_64:                             ;   in Loop: Header=BB303_4 Depth=1
	s_or_b64 exec, exec, s[10:11]
.LBB303_65:                             ;   in Loop: Header=BB303_4 Depth=1
	s_andn2_saveexec_b64 s[10:11], s[40:41]
	s_cbranch_execz .LBB303_71
; %bb.66:                               ;   in Loop: Header=BB303_4 Depth=1
	v_cmp_lt_i32_e32 vcc, -1, v14
	v_sub_f32_e32 v12, v15, v15
	s_and_saveexec_b64 s[12:13], vcc
	s_xor_b64 s[12:13], exec, s[12:13]
; %bb.67:                               ;   in Loop: Header=BB303_4 Depth=1
	v_bfi_b32 v15, s52, v12, v15
                                        ; implicit-def: $vgpr12
; %bb.68:                               ;   in Loop: Header=BB303_4 Depth=1
	s_andn2_saveexec_b64 s[12:13], s[12:13]
; %bb.69:                               ;   in Loop: Header=BB303_4 Depth=1
	v_and_b32_e32 v12, 0x7fffffff, v12
	v_bfi_b32 v15, s52, v14, v15
	v_mov_b32_e32 v14, v12
; %bb.70:                               ;   in Loop: Header=BB303_4 Depth=1
	s_or_b64 exec, exec, s[12:13]
.LBB303_71:                             ;   in Loop: Header=BB303_4 Depth=1
	s_or_b64 exec, exec, s[10:11]
.LBB303_72:                             ;   in Loop: Header=BB303_4 Depth=1
	s_andn2_saveexec_b64 s[10:11], s[38:39]
; %bb.73:                               ;   in Loop: Header=BB303_4 Depth=1
	v_sub_f32_e32 v12, v15, v15
	v_div_scale_f32 v13, vcc, v12, v12, v12
	v_rcp_f32_e32 v15, v13
	v_fma_f32 v16, -v13, v15, 1.0
	v_fmac_f32_e32 v15, v16, v15
	v_mul_f32_e32 v16, v13, v15
	v_fma_f32 v17, -v13, v16, v13
	v_fmac_f32_e32 v16, v17, v15
	v_fma_f32 v13, -v13, v16, v13
	v_div_fmas_f32 v13, v13, v15, v16
	v_div_fixup_f32 v15, v13, v12, v12
; %bb.74:                               ;   in Loop: Header=BB303_4 Depth=1
	s_or_b64 exec, exec, s[10:11]
	v_mov_b32_e32 v16, v14
.LBB303_75:                             ;   in Loop: Header=BB303_4 Depth=1
	s_or_b64 exec, exec, s[36:37]
.LBB303_76:                             ;   in Loop: Header=BB303_4 Depth=1
	s_or_b64 exec, exec, s[34:35]
	v_cmp_gt_f32_e32 vcc, 0, v15
	v_cndmask_b32_e64 v17, v15, -v15, vcc
	v_cmp_gt_f32_e32 vcc, 0, v16
	v_cndmask_b32_e64 v14, v16, -v16, vcc
	v_cmp_ge_f32_e32 vcc, v14, v17
                                        ; implicit-def: $vgpr12_vgpr13
	s_and_saveexec_b64 s[10:11], vcc
	s_xor_b64 s[12:13], exec, s[10:11]
	s_cbranch_execz .LBB303_82
; %bb.77:                               ;   in Loop: Header=BB303_4 Depth=1
	v_cmp_neq_f32_e32 vcc, 0, v16
	v_cmp_neq_f32_e64 s[10:11], 0, v15
	s_or_b64 s[10:11], vcc, s[10:11]
                                        ; implicit-def: $vgpr12_vgpr13
	s_and_saveexec_b64 s[34:35], s[10:11]
	s_xor_b64 s[10:11], exec, s[34:35]
	s_cbranch_execz .LBB303_79
; %bb.78:                               ;   in Loop: Header=BB303_4 Depth=1
	v_div_scale_f32 v12, s[34:35], v16, v16, v15
	v_rcp_f32_e32 v13, v12
	v_div_scale_f32 v14, vcc, v15, v16, v15
	v_fma_f32 v17, -v12, v13, 1.0
	v_fmac_f32_e32 v13, v17, v13
	v_mul_f32_e32 v17, v14, v13
	v_fma_f32 v25, -v12, v17, v14
	v_fmac_f32_e32 v17, v25, v13
	v_fma_f32 v12, -v12, v17, v14
	v_div_fmas_f32 v12, v12, v13, v17
	v_div_fixup_f32 v13, v12, v16, v15
	v_fmac_f32_e32 v16, v15, v13
	v_div_scale_f32 v12, s[34:35], v16, v16, 1.0
	v_rcp_f32_e32 v14, v12
	v_fma_f32 v15, -v12, v14, 1.0
	v_fmac_f32_e32 v14, v15, v14
	v_div_scale_f32 v15, vcc, 1.0, v16, 1.0
	v_mul_f32_e32 v17, v15, v14
	v_fma_f32 v25, -v12, v17, v15
	v_fmac_f32_e32 v17, v25, v14
	v_fma_f32 v12, -v12, v17, v15
	v_div_fmas_f32 v12, v12, v14, v17
	v_div_fixup_f32 v14, v12, v16, 1.0
	v_mul_f32_e32 v12, 0, v13
	v_pk_add_f32 v[16:17], v[12:13], s[28:29]
	v_pk_add_f32 v[12:13], v[12:13], s[20:21] neg_lo:[1,0] neg_hi:[1,0]
	v_mov_b32_e32 v17, v13
	v_pk_mul_f32 v[12:13], v[16:17], v[14:15] op_sel_hi:[1,0]
                                        ; implicit-def: $vgpr17
                                        ; implicit-def: $vgpr14
.LBB303_79:                             ;   in Loop: Header=BB303_4 Depth=1
	s_andn2_saveexec_b64 s[10:11], s[10:11]
	s_cbranch_execz .LBB303_81
; %bb.80:                               ;   in Loop: Header=BB303_4 Depth=1
	v_div_scale_f32 v12, s[34:35], v17, v17, 0
	v_rcp_f32_e32 v13, v12
	v_div_scale_f32 v15, vcc, 0, v17, 0
	v_fma_f32 v16, -v12, v13, 1.0
	v_fmac_f32_e32 v13, v16, v13
	v_mul_f32_e32 v16, v15, v13
	v_fma_f32 v25, -v12, v16, v15
	v_fmac_f32_e32 v16, v25, v13
	v_fma_f32 v12, -v12, v16, v15
	v_div_scale_f32 v15, s[34:35], v14, v14, 1.0
	v_rcp_f32_e32 v25, v15
	v_div_fmas_f32 v12, v12, v13, v16
	v_div_fixup_f32 v13, v12, v17, 0
	v_fma_f32 v12, -v15, v25, 1.0
	v_fmac_f32_e32 v25, v12, v25
	v_div_scale_f32 v12, vcc, 1.0, v14, 1.0
	v_mul_f32_e32 v16, v12, v25
	v_fma_f32 v17, -v15, v16, v12
	v_fmac_f32_e32 v16, v17, v25
	v_fma_f32 v12, -v15, v16, v12
	v_div_fmas_f32 v12, v12, v25, v16
	v_div_fixup_f32 v12, v12, v14, 1.0
.LBB303_81:                             ;   in Loop: Header=BB303_4 Depth=1
	s_or_b64 exec, exec, s[10:11]
                                        ; implicit-def: $vgpr15
                                        ; implicit-def: $vgpr16
.LBB303_82:                             ;   in Loop: Header=BB303_4 Depth=1
	s_andn2_saveexec_b64 s[10:11], s[12:13]
	s_cbranch_execz .LBB303_84
; %bb.83:                               ;   in Loop: Header=BB303_4 Depth=1
	v_div_scale_f32 v12, s[12:13], v15, v15, v16
	v_rcp_f32_e32 v13, v12
	v_div_scale_f32 v14, vcc, v16, v15, v16
	s_mov_b32 s30, s21
	v_fma_f32 v17, -v12, v13, 1.0
	v_fmac_f32_e32 v13, v17, v13
	v_mul_f32_e32 v17, v14, v13
	v_fma_f32 v25, -v12, v17, v14
	v_fmac_f32_e32 v17, v25, v13
	v_fma_f32 v12, -v12, v17, v14
	v_div_fmas_f32 v12, v12, v13, v17
	v_div_fixup_f32 v12, v12, v15, v16
	v_fmac_f32_e32 v15, v16, v12
	v_div_scale_f32 v13, s[12:13], v15, v15, 1.0
	v_rcp_f32_e32 v14, v13
	v_fma_f32 v16, -v13, v14, 1.0
	v_fmac_f32_e32 v14, v16, v14
	v_div_scale_f32 v16, vcc, 1.0, v15, 1.0
	v_mul_f32_e32 v17, v16, v14
	v_fma_f32 v25, -v13, v17, v16
	v_fmac_f32_e32 v17, v25, v14
	v_fma_f32 v13, -v13, v17, v16
	v_div_fmas_f32 v13, v13, v14, v17
	v_div_fixup_f32 v14, v13, v15, 1.0
	v_mul_f32_e32 v13, 0, v12
	v_pk_add_f32 v[12:13], v[12:13], s[30:31]
	v_pk_mul_f32 v[12:13], v[12:13], v[14:15] op_sel_hi:[1,0]
.LBB303_84:                             ;   in Loop: Header=BB303_4 Depth=1
	s_or_b64 exec, exec, s[10:11]
	v_cmp_neq_f32_e32 vcc, 0, v10
	v_cmp_neq_f32_e64 s[10:11], 0, v11
	s_or_b64 s[10:11], vcc, s[10:11]
	v_mov_b32_e32 v16, 0
	s_and_saveexec_b64 s[34:35], s[10:11]
	s_cbranch_execz .LBB303_112
; %bb.85:                               ;   in Loop: Header=BB303_4 Depth=1
	v_cmp_neq_f32_e64 s[10:11], |v11|, s48
	v_mov_b32_e32 v16, 0x7f800000
	s_and_saveexec_b64 s[36:37], s[10:11]
	s_cbranch_execz .LBB303_111
; %bb.86:                               ;   in Loop: Header=BB303_4 Depth=1
	v_cmp_o_f32_e32 vcc, v10, v10
	s_and_saveexec_b64 s[10:11], vcc
	s_xor_b64 s[38:39], exec, s[10:11]
	s_cbranch_execz .LBB303_108
; %bb.87:                               ;   in Loop: Header=BB303_4 Depth=1
	v_cmp_neq_f32_e64 s[10:11], |v10|, s48
	s_and_saveexec_b64 s[12:13], s[10:11]
	s_xor_b64 s[40:41], exec, s[12:13]
	s_cbranch_execz .LBB303_101
; %bb.88:                               ;   in Loop: Header=BB303_4 Depth=1
	v_max_f32_e64 v14, |v10|, |v10|
	v_max_f32_e64 v15, |v11|, |v11|
	v_max_f32_e32 v14, v15, v14
	v_cmp_nle_f32_e64 s[10:11], s49, v14
                                        ; implicit-def: $sgpr42_sgpr43
                                        ; implicit-def: $vgpr14_vgpr15
	s_and_saveexec_b64 s[12:13], s[10:11]
	s_xor_b64 s[12:13], exec, s[12:13]
; %bb.89:                               ;   in Loop: Header=BB303_4 Depth=1
	v_cmp_nle_f32_e64 s[42:43], |v10|, s50
	v_cmp_nle_f32_e64 s[44:45], |v11|, s50
	s_or_b64 vcc, s[44:45], s[42:43]
	v_pk_mul_f32 v[14:15], v[10:11], 4.0 op_sel_hi:[1,0]
	s_xor_b64 s[42:43], vcc, -1
	v_cndmask_b32_e32 v15, v15, v11, vcc
	v_cndmask_b32_e32 v14, v14, v10, vcc
	s_and_b64 s[42:43], s[42:43], exec
                                        ; implicit-def: $vgpr10_vgpr11
; %bb.90:                               ;   in Loop: Header=BB303_4 Depth=1
	s_andn2_saveexec_b64 s[12:13], s[12:13]
; %bb.91:                               ;   in Loop: Header=BB303_4 Depth=1
	v_pk_mul_f32 v[14:15], v[10:11], s[26:27] op_sel_hi:[1,0]
	s_andn2_b64 s[42:43], s[42:43], exec
; %bb.92:                               ;   in Loop: Header=BB303_4 Depth=1
	s_or_b64 exec, exec, s[12:13]
	v_max_f32_e64 v10, |v15|, |v15|
	v_max_f32_e64 v11, |v14|, |v14|
	v_max_f32_e32 v16, v11, v10
	v_cvt_f64_f32_e32 v[10:11], v16
	v_frexp_exp_i32_f64_e32 v10, v[10:11]
	v_sub_u32_e32 v11, 0, v10
	v_ldexp_f32 v17, |v14|, v11
	v_ldexp_f32 v11, |v15|, v11
	v_mul_f32_e32 v11, v11, v11
	v_fmac_f32_e32 v11, v17, v17
	v_sqrt_f32_e32 v11, v11
	v_cmp_neq_f32_e64 s[12:13], s48, v16
	v_cmp_le_f32_e32 vcc, 0, v14
                                        ; implicit-def: $vgpr16_vgpr17
	v_ldexp_f32 v10, v11, v10
	v_cndmask_b32_e64 v10, v24, v10, s[12:13]
	s_and_saveexec_b64 s[12:13], vcc
	s_xor_b64 s[44:45], exec, s[12:13]
	s_cbranch_execz .LBB303_94
; %bb.93:                               ;   in Loop: Header=BB303_4 Depth=1
	v_add_f32_e32 v10, v14, v10
	v_mul_f32_e32 v10, 0.5, v10
	v_mul_f32_e32 v11, 0x4f800000, v10
	v_cmp_gt_f32_e32 vcc, s51, v10
	v_cndmask_b32_e32 v10, v10, v11, vcc
	v_sqrt_f32_e32 v11, v10
	v_add_u32_e32 v14, -1, v11
	v_fma_f32 v17, -v14, v11, v10
	v_add_u32_e32 v16, 1, v11
	v_cmp_ge_f32_e64 s[12:13], 0, v17
	v_cndmask_b32_e64 v14, v11, v14, s[12:13]
	v_fma_f32 v11, -v16, v11, v10
	v_cmp_lt_f32_e64 s[12:13], 0, v11
	v_cndmask_b32_e64 v11, v14, v16, s[12:13]
	v_mul_f32_e32 v14, 0x37800000, v11
	v_cndmask_b32_e32 v11, v11, v14, vcc
	v_cmp_class_f32_e32 vcc, v10, v23
	v_cndmask_b32_e32 v16, v11, v10, vcc
	v_add_f32_e32 v10, v16, v16
	v_div_scale_f32 v11, s[12:13], v10, v10, v15
	v_rcp_f32_e32 v14, v11
	v_fma_f32 v17, -v11, v14, 1.0
	v_fmac_f32_e32 v14, v17, v14
	v_div_scale_f32 v17, vcc, v15, v10, v15
	v_mul_f32_e32 v25, v17, v14
	v_fma_f32 v26, -v11, v25, v17
	v_fmac_f32_e32 v25, v26, v14
	v_fma_f32 v11, -v11, v25, v17
	v_div_fmas_f32 v11, v11, v14, v25
	v_div_fixup_f32 v17, v11, v10, v15
                                        ; implicit-def: $vgpr10
                                        ; implicit-def: $vgpr14_vgpr15
	s_andn2_saveexec_b64 s[44:45], s[44:45]
	s_cbranch_execz .LBB303_96
	s_branch .LBB303_95
.LBB303_94:                             ;   in Loop: Header=BB303_4 Depth=1
	s_andn2_saveexec_b64 s[44:45], s[44:45]
	s_cbranch_execz .LBB303_96
.LBB303_95:                             ;   in Loop: Header=BB303_4 Depth=1
	v_sub_f32_e32 v10, v10, v14
	v_mul_f32_e32 v10, 0.5, v10
	v_mul_f32_e32 v11, 0x4f800000, v10
	v_cmp_gt_f32_e32 vcc, s51, v10
	v_cndmask_b32_e32 v10, v10, v11, vcc
	v_sqrt_f32_e32 v11, v10
	v_add_u32_e32 v14, -1, v11
	v_fma_f32 v17, -v14, v11, v10
	v_add_u32_e32 v16, 1, v11
	v_cmp_ge_f32_e64 s[12:13], 0, v17
	v_cndmask_b32_e64 v14, v11, v14, s[12:13]
	v_fma_f32 v11, -v16, v11, v10
	v_cmp_lt_f32_e64 s[12:13], 0, v11
	v_cndmask_b32_e64 v11, v14, v16, s[12:13]
	v_mul_f32_e32 v14, 0x37800000, v11
	v_cndmask_b32_e32 v11, v11, v14, vcc
	v_cmp_class_f32_e32 vcc, v10, v23
	v_cndmask_b32_e32 v10, v11, v10, vcc
	v_add_f32_e32 v11, v10, v10
	v_and_b32_e32 v14, 0x7fffffff, v15
	v_div_scale_f32 v16, s[12:13], v11, v11, v14
	v_rcp_f32_e32 v17, v16
	v_div_scale_f32 v14, vcc, v14, v11, v14
	v_fma_f32 v25, -v16, v17, 1.0
	v_fmac_f32_e32 v17, v25, v17
	v_mul_f32_e32 v25, v14, v17
	v_fma_f32 v26, -v16, v25, v14
	v_fmac_f32_e32 v25, v26, v17
	v_fma_f32 v14, -v16, v25, v14
	v_div_fmas_f32 v14, v14, v17, v25
	v_div_fixup_f32 v16, v14, v11, |v15|
	v_bfi_b32 v17, s52, v10, v15
.LBB303_96:                             ;   in Loop: Header=BB303_4 Depth=1
	s_or_b64 exec, exec, s[44:45]
                                        ; implicit-def: $vgpr11
	s_and_saveexec_b64 s[12:13], s[10:11]
	s_xor_b64 s[10:11], exec, s[12:13]
	s_cbranch_execz .LBB303_98
; %bb.97:                               ;   in Loop: Header=BB303_4 Depth=1
	v_pk_mul_f32 v[10:11], v[16:17], 0.5 op_sel_hi:[1,0]
	v_cndmask_b32_e64 v10, v16, v10, s[42:43]
	v_cndmask_b32_e64 v11, v17, v11, s[42:43]
                                        ; implicit-def: $vgpr16_vgpr17
	s_andn2_saveexec_b64 s[10:11], s[10:11]
	s_cbranch_execnz .LBB303_99
	s_branch .LBB303_100
.LBB303_98:                             ;   in Loop: Header=BB303_4 Depth=1
	s_andn2_saveexec_b64 s[10:11], s[10:11]
.LBB303_99:                             ;   in Loop: Header=BB303_4 Depth=1
	v_pk_add_f32 v[10:11], v[16:17], v[16:17]
.LBB303_100:                            ;   in Loop: Header=BB303_4 Depth=1
	s_or_b64 exec, exec, s[10:11]
.LBB303_101:                            ;   in Loop: Header=BB303_4 Depth=1
	s_andn2_saveexec_b64 s[10:11], s[40:41]
	s_cbranch_execz .LBB303_107
; %bb.102:                              ;   in Loop: Header=BB303_4 Depth=1
	v_cmp_lt_i32_e32 vcc, -1, v10
	v_sub_f32_e32 v14, v11, v11
	s_and_saveexec_b64 s[12:13], vcc
	s_xor_b64 s[12:13], exec, s[12:13]
; %bb.103:                              ;   in Loop: Header=BB303_4 Depth=1
	v_bfi_b32 v11, s52, v14, v11
                                        ; implicit-def: $vgpr14
; %bb.104:                              ;   in Loop: Header=BB303_4 Depth=1
	s_andn2_saveexec_b64 s[12:13], s[12:13]
; %bb.105:                              ;   in Loop: Header=BB303_4 Depth=1
	v_and_b32_e32 v14, 0x7fffffff, v14
	v_bfi_b32 v11, s52, v10, v11
	v_mov_b32_e32 v10, v14
; %bb.106:                              ;   in Loop: Header=BB303_4 Depth=1
	s_or_b64 exec, exec, s[12:13]
.LBB303_107:                            ;   in Loop: Header=BB303_4 Depth=1
	s_or_b64 exec, exec, s[10:11]
.LBB303_108:                            ;   in Loop: Header=BB303_4 Depth=1
	s_andn2_saveexec_b64 s[10:11], s[38:39]
; %bb.109:                              ;   in Loop: Header=BB303_4 Depth=1
	v_sub_f32_e32 v11, v11, v11
	v_div_scale_f32 v14, vcc, v11, v11, v11
	v_rcp_f32_e32 v15, v14
	v_fma_f32 v16, -v14, v15, 1.0
	v_fmac_f32_e32 v15, v16, v15
	v_mul_f32_e32 v16, v14, v15
	v_fma_f32 v17, -v14, v16, v14
	v_fmac_f32_e32 v16, v17, v15
	v_fma_f32 v14, -v14, v16, v14
	v_div_fmas_f32 v14, v14, v15, v16
	v_div_fixup_f32 v11, v14, v11, v11
; %bb.110:                              ;   in Loop: Header=BB303_4 Depth=1
	s_or_b64 exec, exec, s[10:11]
	v_mov_b32_e32 v16, v10
.LBB303_111:                            ;   in Loop: Header=BB303_4 Depth=1
	s_or_b64 exec, exec, s[36:37]
.LBB303_112:                            ;   in Loop: Header=BB303_4 Depth=1
	s_or_b64 exec, exec, s[34:35]
	v_cmp_gt_f32_e32 vcc, 0, v11
	v_cndmask_b32_e64 v17, v11, -v11, vcc
	v_cmp_gt_f32_e32 vcc, 0, v16
	v_cndmask_b32_e64 v10, v16, -v16, vcc
	v_cmp_ge_f32_e32 vcc, v10, v17
                                        ; implicit-def: $vgpr14_vgpr15
	s_and_saveexec_b64 s[10:11], vcc
	s_xor_b64 s[12:13], exec, s[10:11]
	s_cbranch_execz .LBB303_118
; %bb.113:                              ;   in Loop: Header=BB303_4 Depth=1
	v_cmp_neq_f32_e32 vcc, 0, v16
	v_cmp_neq_f32_e64 s[10:11], 0, v11
	s_or_b64 s[10:11], vcc, s[10:11]
                                        ; implicit-def: $vgpr14_vgpr15
	s_and_saveexec_b64 s[34:35], s[10:11]
	s_xor_b64 s[10:11], exec, s[34:35]
	s_cbranch_execz .LBB303_115
; %bb.114:                              ;   in Loop: Header=BB303_4 Depth=1
	v_div_scale_f32 v10, s[34:35], v16, v16, v11
	v_rcp_f32_e32 v14, v10
	v_div_scale_f32 v15, vcc, v11, v16, v11
	v_fma_f32 v17, -v10, v14, 1.0
	v_fmac_f32_e32 v14, v17, v14
	v_mul_f32_e32 v17, v15, v14
	v_fma_f32 v25, -v10, v17, v15
	v_fmac_f32_e32 v17, v25, v14
	v_fma_f32 v10, -v10, v17, v15
	v_div_fmas_f32 v10, v10, v14, v17
	v_div_fixup_f32 v15, v10, v16, v11
	v_fmac_f32_e32 v16, v11, v15
	v_div_scale_f32 v10, s[34:35], v16, v16, 1.0
	v_rcp_f32_e32 v11, v10
	v_fma_f32 v14, -v10, v11, 1.0
	v_fmac_f32_e32 v11, v14, v11
	v_div_scale_f32 v14, vcc, 1.0, v16, 1.0
	v_mul_f32_e32 v17, v14, v11
	v_fma_f32 v25, -v10, v17, v14
	v_fmac_f32_e32 v17, v25, v11
	v_fma_f32 v10, -v10, v17, v14
	v_div_fmas_f32 v10, v10, v11, v17
	v_mul_f32_e32 v14, 0, v15
	v_div_fixup_f32 v10, v10, v16, 1.0
	v_pk_add_f32 v[16:17], v[14:15], s[28:29]
	v_pk_add_f32 v[14:15], v[14:15], s[20:21] neg_lo:[1,0] neg_hi:[1,0]
	v_mov_b32_e32 v17, v15
	v_pk_mul_f32 v[14:15], v[16:17], v[10:11] op_sel_hi:[1,0]
                                        ; implicit-def: $vgpr17
                                        ; implicit-def: $vgpr10
.LBB303_115:                            ;   in Loop: Header=BB303_4 Depth=1
	s_andn2_saveexec_b64 s[10:11], s[10:11]
	s_cbranch_execz .LBB303_117
; %bb.116:                              ;   in Loop: Header=BB303_4 Depth=1
	v_div_scale_f32 v11, s[34:35], v17, v17, 0
	v_rcp_f32_e32 v14, v11
	v_div_scale_f32 v15, vcc, 0, v17, 0
	v_fma_f32 v16, -v11, v14, 1.0
	v_fmac_f32_e32 v14, v16, v14
	v_mul_f32_e32 v16, v15, v14
	v_fma_f32 v25, -v11, v16, v15
	v_fmac_f32_e32 v16, v25, v14
	v_div_scale_f32 v25, s[34:35], v10, v10, 1.0
	v_rcp_f32_e32 v26, v25
	v_fma_f32 v11, -v11, v16, v15
	v_div_fmas_f32 v11, v11, v14, v16
	v_div_fixup_f32 v15, v11, v17, 0
	v_fma_f32 v11, -v25, v26, 1.0
	v_fmac_f32_e32 v26, v11, v26
	v_div_scale_f32 v11, vcc, 1.0, v10, 1.0
	v_mul_f32_e32 v14, v11, v26
	v_fma_f32 v16, -v25, v14, v11
	v_fmac_f32_e32 v14, v16, v26
	v_fma_f32 v11, -v25, v14, v11
	v_div_fmas_f32 v11, v11, v26, v14
	v_div_fixup_f32 v14, v11, v10, 1.0
.LBB303_117:                            ;   in Loop: Header=BB303_4 Depth=1
	s_or_b64 exec, exec, s[10:11]
                                        ; implicit-def: $vgpr11
                                        ; implicit-def: $vgpr16
.LBB303_118:                            ;   in Loop: Header=BB303_4 Depth=1
	s_andn2_saveexec_b64 s[10:11], s[12:13]
	s_cbranch_execz .LBB303_120
; %bb.119:                              ;   in Loop: Header=BB303_4 Depth=1
	v_div_scale_f32 v10, s[12:13], v11, v11, v16
	v_rcp_f32_e32 v14, v10
	v_div_scale_f32 v15, vcc, v16, v11, v16
	s_mov_b32 s30, s21
	v_fma_f32 v17, -v10, v14, 1.0
	v_fmac_f32_e32 v14, v17, v14
	v_mul_f32_e32 v17, v15, v14
	v_fma_f32 v25, -v10, v17, v15
	v_fmac_f32_e32 v17, v25, v14
	v_fma_f32 v10, -v10, v17, v15
	v_div_fmas_f32 v10, v10, v14, v17
	v_div_fixup_f32 v10, v10, v11, v16
	v_fmac_f32_e32 v11, v16, v10
	v_div_scale_f32 v14, s[12:13], v11, v11, 1.0
	v_rcp_f32_e32 v15, v14
	v_fma_f32 v16, -v14, v15, 1.0
	v_fmac_f32_e32 v15, v16, v15
	v_div_scale_f32 v16, vcc, 1.0, v11, 1.0
	v_mul_f32_e32 v17, v16, v15
	v_fma_f32 v25, -v14, v17, v16
	v_fmac_f32_e32 v17, v25, v15
	v_fma_f32 v14, -v14, v17, v16
	v_div_fmas_f32 v14, v14, v15, v17
	v_div_fixup_f32 v14, v14, v11, 1.0
	v_mul_f32_e32 v11, 0, v10
	v_pk_add_f32 v[10:11], v[10:11], s[30:31]
	v_pk_mul_f32 v[14:15], v[10:11], v[14:15] op_sel_hi:[1,0]
.LBB303_120:                            ;   in Loop: Header=BB303_4 Depth=1
	s_or_b64 exec, exec, s[10:11]
	v_cmp_neq_f32_e32 vcc, 0, v6
	v_cmp_neq_f32_e64 s[10:11], 0, v7
	s_or_b64 s[10:11], vcc, s[10:11]
	v_mov_b32_e32 v16, 0
	s_and_saveexec_b64 s[34:35], s[10:11]
	s_cbranch_execz .LBB303_148
; %bb.121:                              ;   in Loop: Header=BB303_4 Depth=1
	v_cmp_neq_f32_e64 s[10:11], |v7|, s48
	v_mov_b32_e32 v16, 0x7f800000
	s_and_saveexec_b64 s[36:37], s[10:11]
	s_cbranch_execz .LBB303_147
; %bb.122:                              ;   in Loop: Header=BB303_4 Depth=1
	v_cmp_o_f32_e32 vcc, v6, v6
	s_and_saveexec_b64 s[10:11], vcc
	s_xor_b64 s[38:39], exec, s[10:11]
	s_cbranch_execz .LBB303_144
; %bb.123:                              ;   in Loop: Header=BB303_4 Depth=1
	v_cmp_neq_f32_e64 s[10:11], |v6|, s48
	s_and_saveexec_b64 s[12:13], s[10:11]
	s_xor_b64 s[40:41], exec, s[12:13]
	s_cbranch_execz .LBB303_137
; %bb.124:                              ;   in Loop: Header=BB303_4 Depth=1
	v_max_f32_e64 v10, |v6|, |v6|
	v_max_f32_e64 v11, |v7|, |v7|
	v_max_f32_e32 v10, v11, v10
	v_cmp_nle_f32_e64 s[10:11], s49, v10
                                        ; implicit-def: $sgpr42_sgpr43
                                        ; implicit-def: $vgpr10_vgpr11
	s_and_saveexec_b64 s[12:13], s[10:11]
	s_xor_b64 s[12:13], exec, s[12:13]
; %bb.125:                              ;   in Loop: Header=BB303_4 Depth=1
	v_cmp_nle_f32_e64 s[42:43], |v6|, s50
	v_cmp_nle_f32_e64 s[44:45], |v7|, s50
	s_or_b64 vcc, s[44:45], s[42:43]
	v_pk_mul_f32 v[10:11], v[6:7], 4.0 op_sel_hi:[1,0]
	s_xor_b64 s[42:43], vcc, -1
	v_cndmask_b32_e32 v11, v11, v7, vcc
	v_cndmask_b32_e32 v10, v10, v6, vcc
	s_and_b64 s[42:43], s[42:43], exec
                                        ; implicit-def: $vgpr6_vgpr7
; %bb.126:                              ;   in Loop: Header=BB303_4 Depth=1
	s_andn2_saveexec_b64 s[12:13], s[12:13]
; %bb.127:                              ;   in Loop: Header=BB303_4 Depth=1
	v_pk_mul_f32 v[10:11], v[6:7], s[26:27] op_sel_hi:[1,0]
	s_andn2_b64 s[42:43], s[42:43], exec
; %bb.128:                              ;   in Loop: Header=BB303_4 Depth=1
	s_or_b64 exec, exec, s[12:13]
	v_max_f32_e64 v6, |v11|, |v11|
	v_max_f32_e64 v7, |v10|, |v10|
	v_max_f32_e32 v16, v7, v6
	v_cvt_f64_f32_e32 v[6:7], v16
	v_frexp_exp_i32_f64_e32 v6, v[6:7]
	v_sub_u32_e32 v7, 0, v6
	v_ldexp_f32 v17, |v10|, v7
	v_ldexp_f32 v7, |v11|, v7
	v_mul_f32_e32 v7, v7, v7
	v_fmac_f32_e32 v7, v17, v17
	v_sqrt_f32_e32 v7, v7
	v_cmp_neq_f32_e64 s[12:13], s48, v16
	v_cmp_le_f32_e32 vcc, 0, v10
                                        ; implicit-def: $vgpr16_vgpr17
	v_ldexp_f32 v6, v7, v6
	v_cndmask_b32_e64 v6, v24, v6, s[12:13]
	s_and_saveexec_b64 s[12:13], vcc
	s_xor_b64 s[44:45], exec, s[12:13]
	s_cbranch_execz .LBB303_130
; %bb.129:                              ;   in Loop: Header=BB303_4 Depth=1
	v_add_f32_e32 v6, v10, v6
	v_mul_f32_e32 v6, 0.5, v6
	v_mul_f32_e32 v7, 0x4f800000, v6
	v_cmp_gt_f32_e32 vcc, s51, v6
	v_cndmask_b32_e32 v6, v6, v7, vcc
	v_sqrt_f32_e32 v7, v6
	v_add_u32_e32 v10, -1, v7
	v_fma_f32 v17, -v10, v7, v6
	v_add_u32_e32 v16, 1, v7
	v_cmp_ge_f32_e64 s[12:13], 0, v17
	v_cndmask_b32_e64 v10, v7, v10, s[12:13]
	v_fma_f32 v7, -v16, v7, v6
	v_cmp_lt_f32_e64 s[12:13], 0, v7
	v_cndmask_b32_e64 v7, v10, v16, s[12:13]
	v_mul_f32_e32 v10, 0x37800000, v7
	v_cndmask_b32_e32 v7, v7, v10, vcc
	v_cmp_class_f32_e32 vcc, v6, v23
	v_cndmask_b32_e32 v16, v7, v6, vcc
	v_add_f32_e32 v6, v16, v16
	v_div_scale_f32 v7, s[12:13], v6, v6, v11
	v_rcp_f32_e32 v10, v7
	v_fma_f32 v17, -v7, v10, 1.0
	v_fmac_f32_e32 v10, v17, v10
	v_div_scale_f32 v17, vcc, v11, v6, v11
	v_mul_f32_e32 v25, v17, v10
	v_fma_f32 v26, -v7, v25, v17
	v_fmac_f32_e32 v25, v26, v10
	v_fma_f32 v7, -v7, v25, v17
	v_div_fmas_f32 v7, v7, v10, v25
	v_div_fixup_f32 v17, v7, v6, v11
                                        ; implicit-def: $vgpr6
                                        ; implicit-def: $vgpr10_vgpr11
	s_andn2_saveexec_b64 s[44:45], s[44:45]
	s_cbranch_execz .LBB303_132
	s_branch .LBB303_131
.LBB303_130:                            ;   in Loop: Header=BB303_4 Depth=1
	s_andn2_saveexec_b64 s[44:45], s[44:45]
	s_cbranch_execz .LBB303_132
.LBB303_131:                            ;   in Loop: Header=BB303_4 Depth=1
	v_sub_f32_e32 v6, v6, v10
	v_mul_f32_e32 v6, 0.5, v6
	v_mul_f32_e32 v7, 0x4f800000, v6
	v_cmp_gt_f32_e32 vcc, s51, v6
	v_cndmask_b32_e32 v6, v6, v7, vcc
	v_sqrt_f32_e32 v7, v6
	v_add_u32_e32 v10, -1, v7
	v_fma_f32 v17, -v10, v7, v6
	v_add_u32_e32 v16, 1, v7
	v_cmp_ge_f32_e64 s[12:13], 0, v17
	v_cndmask_b32_e64 v10, v7, v10, s[12:13]
	v_fma_f32 v7, -v16, v7, v6
	v_cmp_lt_f32_e64 s[12:13], 0, v7
	v_cndmask_b32_e64 v7, v10, v16, s[12:13]
	v_mul_f32_e32 v10, 0x37800000, v7
	v_cndmask_b32_e32 v7, v7, v10, vcc
	v_cmp_class_f32_e32 vcc, v6, v23
	v_cndmask_b32_e32 v6, v7, v6, vcc
	v_add_f32_e32 v7, v6, v6
	v_and_b32_e32 v10, 0x7fffffff, v11
	v_div_scale_f32 v16, s[12:13], v7, v7, v10
	v_rcp_f32_e32 v17, v16
	v_div_scale_f32 v10, vcc, v10, v7, v10
	v_fma_f32 v25, -v16, v17, 1.0
	v_fmac_f32_e32 v17, v25, v17
	v_mul_f32_e32 v25, v10, v17
	v_fma_f32 v26, -v16, v25, v10
	v_fmac_f32_e32 v25, v26, v17
	v_fma_f32 v10, -v16, v25, v10
	v_div_fmas_f32 v10, v10, v17, v25
	v_div_fixup_f32 v16, v10, v7, |v11|
	v_bfi_b32 v17, s52, v6, v11
.LBB303_132:                            ;   in Loop: Header=BB303_4 Depth=1
	s_or_b64 exec, exec, s[44:45]
                                        ; implicit-def: $vgpr7
	s_and_saveexec_b64 s[12:13], s[10:11]
	s_xor_b64 s[10:11], exec, s[12:13]
	s_cbranch_execz .LBB303_134
; %bb.133:                              ;   in Loop: Header=BB303_4 Depth=1
	v_pk_mul_f32 v[6:7], v[16:17], 0.5 op_sel_hi:[1,0]
	v_cndmask_b32_e64 v6, v16, v6, s[42:43]
	v_cndmask_b32_e64 v7, v17, v7, s[42:43]
                                        ; implicit-def: $vgpr16_vgpr17
	s_andn2_saveexec_b64 s[10:11], s[10:11]
	s_cbranch_execnz .LBB303_135
	s_branch .LBB303_136
.LBB303_134:                            ;   in Loop: Header=BB303_4 Depth=1
	s_andn2_saveexec_b64 s[10:11], s[10:11]
.LBB303_135:                            ;   in Loop: Header=BB303_4 Depth=1
	v_pk_add_f32 v[6:7], v[16:17], v[16:17]
.LBB303_136:                            ;   in Loop: Header=BB303_4 Depth=1
	s_or_b64 exec, exec, s[10:11]
.LBB303_137:                            ;   in Loop: Header=BB303_4 Depth=1
	s_andn2_saveexec_b64 s[10:11], s[40:41]
	s_cbranch_execz .LBB303_143
; %bb.138:                              ;   in Loop: Header=BB303_4 Depth=1
	v_cmp_lt_i32_e32 vcc, -1, v6
	v_sub_f32_e32 v10, v7, v7
	s_and_saveexec_b64 s[12:13], vcc
	s_xor_b64 s[12:13], exec, s[12:13]
; %bb.139:                              ;   in Loop: Header=BB303_4 Depth=1
	v_bfi_b32 v7, s52, v10, v7
                                        ; implicit-def: $vgpr10
; %bb.140:                              ;   in Loop: Header=BB303_4 Depth=1
	s_andn2_saveexec_b64 s[12:13], s[12:13]
; %bb.141:                              ;   in Loop: Header=BB303_4 Depth=1
	v_and_b32_e32 v10, 0x7fffffff, v10
	v_bfi_b32 v7, s52, v6, v7
	v_mov_b32_e32 v6, v10
; %bb.142:                              ;   in Loop: Header=BB303_4 Depth=1
	s_or_b64 exec, exec, s[12:13]
.LBB303_143:                            ;   in Loop: Header=BB303_4 Depth=1
	s_or_b64 exec, exec, s[10:11]
.LBB303_144:                            ;   in Loop: Header=BB303_4 Depth=1
	s_andn2_saveexec_b64 s[10:11], s[38:39]
; %bb.145:                              ;   in Loop: Header=BB303_4 Depth=1
	v_sub_f32_e32 v7, v7, v7
	v_div_scale_f32 v10, vcc, v7, v7, v7
	v_rcp_f32_e32 v11, v10
	v_fma_f32 v16, -v10, v11, 1.0
	v_fmac_f32_e32 v11, v16, v11
	v_mul_f32_e32 v16, v10, v11
	v_fma_f32 v17, -v10, v16, v10
	v_fmac_f32_e32 v16, v17, v11
	v_fma_f32 v10, -v10, v16, v10
	v_div_fmas_f32 v10, v10, v11, v16
	v_div_fixup_f32 v7, v10, v7, v7
; %bb.146:                              ;   in Loop: Header=BB303_4 Depth=1
	s_or_b64 exec, exec, s[10:11]
	v_mov_b32_e32 v16, v6
.LBB303_147:                            ;   in Loop: Header=BB303_4 Depth=1
	s_or_b64 exec, exec, s[36:37]
.LBB303_148:                            ;   in Loop: Header=BB303_4 Depth=1
	s_or_b64 exec, exec, s[34:35]
	v_cmp_gt_f32_e32 vcc, 0, v7
	v_cndmask_b32_e64 v17, v7, -v7, vcc
	v_cmp_gt_f32_e32 vcc, 0, v16
	v_cndmask_b32_e64 v6, v16, -v16, vcc
	v_cmp_ge_f32_e32 vcc, v6, v17
                                        ; implicit-def: $vgpr10_vgpr11
	s_and_saveexec_b64 s[10:11], vcc
	s_xor_b64 s[12:13], exec, s[10:11]
	s_cbranch_execz .LBB303_158
; %bb.149:                              ;   in Loop: Header=BB303_4 Depth=1
	v_cmp_neq_f32_e32 vcc, 0, v16
	v_cmp_neq_f32_e64 s[10:11], 0, v7
	s_or_b64 s[10:11], vcc, s[10:11]
                                        ; implicit-def: $vgpr10_vgpr11
	s_and_saveexec_b64 s[34:35], s[10:11]
	s_xor_b64 s[10:11], exec, s[34:35]
	s_cbranch_execz .LBB303_151
; %bb.150:                              ;   in Loop: Header=BB303_4 Depth=1
	v_div_scale_f32 v6, s[34:35], v16, v16, v7
	v_rcp_f32_e32 v10, v6
	v_div_scale_f32 v11, vcc, v7, v16, v7
	v_fma_f32 v17, -v6, v10, 1.0
	v_fmac_f32_e32 v10, v17, v10
	v_mul_f32_e32 v17, v11, v10
	v_fma_f32 v25, -v6, v17, v11
	v_fmac_f32_e32 v17, v25, v10
	v_fma_f32 v6, -v6, v17, v11
	v_div_fmas_f32 v6, v6, v10, v17
	v_div_fixup_f32 v11, v6, v16, v7
	v_fmac_f32_e32 v16, v7, v11
	v_div_scale_f32 v6, s[34:35], v16, v16, 1.0
	v_rcp_f32_e32 v7, v6
	v_fma_f32 v10, -v6, v7, 1.0
	v_fmac_f32_e32 v7, v10, v7
	v_div_scale_f32 v10, vcc, 1.0, v16, 1.0
	v_mul_f32_e32 v17, v10, v7
	v_fma_f32 v25, -v6, v17, v10
	v_fmac_f32_e32 v17, v25, v7
	v_fma_f32 v6, -v6, v17, v10
	v_div_fmas_f32 v6, v6, v7, v17
	v_mul_f32_e32 v10, 0, v11
	v_div_fixup_f32 v6, v6, v16, 1.0
	v_pk_add_f32 v[16:17], v[10:11], s[28:29]
	v_pk_add_f32 v[10:11], v[10:11], s[20:21] neg_lo:[1,0] neg_hi:[1,0]
	v_mov_b32_e32 v17, v11
	v_pk_mul_f32 v[10:11], v[16:17], v[6:7] op_sel_hi:[1,0]
                                        ; implicit-def: $vgpr17
                                        ; implicit-def: $vgpr6
.LBB303_151:                            ;   in Loop: Header=BB303_4 Depth=1
	s_andn2_saveexec_b64 s[10:11], s[10:11]
	s_cbranch_execz .LBB303_153
; %bb.152:                              ;   in Loop: Header=BB303_4 Depth=1
	v_div_scale_f32 v7, s[34:35], v17, v17, 0
	v_rcp_f32_e32 v10, v7
	v_div_scale_f32 v11, vcc, 0, v17, 0
	v_fma_f32 v16, -v7, v10, 1.0
	v_fmac_f32_e32 v10, v16, v10
	v_mul_f32_e32 v16, v11, v10
	v_fma_f32 v25, -v7, v16, v11
	v_fmac_f32_e32 v16, v25, v10
	v_div_scale_f32 v25, s[34:35], v6, v6, 1.0
	v_rcp_f32_e32 v26, v25
	v_fma_f32 v7, -v7, v16, v11
	v_div_fmas_f32 v7, v7, v10, v16
	v_div_fixup_f32 v11, v7, v17, 0
	v_fma_f32 v7, -v25, v26, 1.0
	v_fmac_f32_e32 v26, v7, v26
	v_div_scale_f32 v7, vcc, 1.0, v6, 1.0
	v_mul_f32_e32 v10, v7, v26
	v_fma_f32 v16, -v25, v10, v7
	v_fmac_f32_e32 v10, v16, v26
	v_fma_f32 v7, -v25, v10, v7
	v_div_fmas_f32 v7, v7, v26, v10
	v_div_fixup_f32 v10, v7, v6, 1.0
.LBB303_153:                            ;   in Loop: Header=BB303_4 Depth=1
	s_or_b64 exec, exec, s[10:11]
                                        ; implicit-def: $vgpr7
                                        ; implicit-def: $vgpr16
	s_andn2_saveexec_b64 s[10:11], s[12:13]
	s_cbranch_execnz .LBB303_159
.LBB303_154:                            ;   in Loop: Header=BB303_4 Depth=1
	s_or_b64 exec, exec, s[10:11]
	s_and_saveexec_b64 s[10:11], s[0:1]
	s_xor_b64 s[0:1], exec, s[10:11]
	s_cbranch_execz .LBB303_160
.LBB303_155:                            ;   in Loop: Header=BB303_4 Depth=1
	global_store_dwordx2 v[2:3], v[8:9], off
	s_or_b64 exec, exec, s[0:1]
	s_and_saveexec_b64 s[0:1], s[2:3]
	s_cbranch_execnz .LBB303_161
.LBB303_156:                            ;   in Loop: Header=BB303_4 Depth=1
	s_or_b64 exec, exec, s[0:1]
	s_and_saveexec_b64 s[0:1], s[6:7]
	s_cbranch_execz .LBB303_162
.LBB303_157:                            ;   in Loop: Header=BB303_4 Depth=1
	v_mov_b32_e32 v7, s47
	v_add_co_u32_e32 v6, vcc, s46, v2
	v_addc_co_u32_e32 v7, vcc, v3, v7, vcc
	global_store_dwordx2 v[6:7], v[14:15], off
	s_or_b64 exec, exec, s[0:1]
	s_and_saveexec_b64 s[0:1], s[8:9]
	s_cbranch_execz .LBB303_3
	s_branch .LBB303_163
.LBB303_158:                            ;   in Loop: Header=BB303_4 Depth=1
	s_andn2_saveexec_b64 s[10:11], s[12:13]
	s_cbranch_execz .LBB303_154
.LBB303_159:                            ;   in Loop: Header=BB303_4 Depth=1
	v_div_scale_f32 v6, s[12:13], v7, v7, v16
	v_rcp_f32_e32 v10, v6
	v_div_scale_f32 v11, vcc, v16, v7, v16
	s_mov_b32 s30, s21
	v_fma_f32 v17, -v6, v10, 1.0
	v_fmac_f32_e32 v10, v17, v10
	v_mul_f32_e32 v17, v11, v10
	v_fma_f32 v25, -v6, v17, v11
	v_fmac_f32_e32 v17, v25, v10
	v_fma_f32 v6, -v6, v17, v11
	v_div_fmas_f32 v6, v6, v10, v17
	v_div_fixup_f32 v6, v6, v7, v16
	v_fmac_f32_e32 v7, v16, v6
	v_div_scale_f32 v10, s[12:13], v7, v7, 1.0
	v_rcp_f32_e32 v11, v10
	v_fma_f32 v16, -v10, v11, 1.0
	v_fmac_f32_e32 v11, v16, v11
	v_div_scale_f32 v16, vcc, 1.0, v7, 1.0
	v_mul_f32_e32 v17, v16, v11
	v_fma_f32 v25, -v10, v17, v16
	v_fmac_f32_e32 v17, v25, v11
	v_fma_f32 v10, -v10, v17, v16
	v_div_fmas_f32 v10, v10, v11, v17
	v_div_fixup_f32 v10, v10, v7, 1.0
	v_mul_f32_e32 v7, 0, v6
	v_pk_add_f32 v[6:7], v[6:7], s[30:31]
	v_pk_mul_f32 v[10:11], v[6:7], v[10:11] op_sel_hi:[1,0]
	s_or_b64 exec, exec, s[10:11]
	s_and_saveexec_b64 s[10:11], s[0:1]
	s_xor_b64 s[0:1], exec, s[10:11]
	s_cbranch_execnz .LBB303_155
.LBB303_160:                            ;   in Loop: Header=BB303_4 Depth=1
	s_or_b64 exec, exec, s[0:1]
	s_and_saveexec_b64 s[0:1], s[2:3]
	s_cbranch_execz .LBB303_156
.LBB303_161:                            ;   in Loop: Header=BB303_4 Depth=1
	global_store_dwordx2 v[4:5], v[12:13], off
	s_or_b64 exec, exec, s[0:1]
	s_and_saveexec_b64 s[0:1], s[6:7]
	s_cbranch_execnz .LBB303_157
.LBB303_162:                            ;   in Loop: Header=BB303_4 Depth=1
	s_or_b64 exec, exec, s[0:1]
	s_and_saveexec_b64 s[0:1], s[8:9]
	s_cbranch_execz .LBB303_3
.LBB303_163:                            ;   in Loop: Header=BB303_4 Depth=1
	v_mov_b32_e32 v7, s33
	v_add_co_u32_e32 v6, vcc, s29, v2
	v_addc_co_u32_e32 v7, vcc, v3, v7, vcc
	global_store_dwordx2 v[6:7], v[10:11], off
	s_branch .LBB303_3
.LBB303_164:
	s_cbranch_execz .LBB303_166
	s_branch .LBB303_313
.LBB303_165:
.LBB303_166:
	v_mov_b32_e32 v13, 0
	v_lshlrev_b32_e32 v12, 2, v0
	s_mov_b32 s7, 0
	v_cmp_gt_i64_e32 vcc, s[14:15], v[12:13]
	s_and_saveexec_b64 s[0:1], vcc
	s_cbranch_execz .LBB303_313
; %bb.167:
	s_load_dword s0, s[4:5], 0xd3c
	v_lshlrev_b32_e32 v1, 5, v0
	s_mov_b32 s11, s7
	s_mov_b64 s[4:5], 0
	s_mov_b32 s30, 0x7f800000
	s_waitcnt lgkmcnt(0)
	s_and_b32 s0, s0, 0xffff
	s_lshl_b32 s6, s0, 2
	s_add_u32 s1, s16, s18
	s_addc_u32 s2, s17, s19
	v_add_lshl_u32 v12, v0, s0, 2
	v_mov_b32_e32 v0, s2
	v_add_co_u32_e32 v1, vcc, s1, v1
	v_addc_co_u32_e32 v0, vcc, 0, v0, vcc
	v_add_co_u32_e32 v14, vcc, 16, v1
	v_addc_co_u32_e32 v15, vcc, 0, v0, vcc
	s_lshl_b32 s9, s0, 5
	s_mov_b32 s31, 0x7ed413cb
	s_mov_b32 s33, 0x1000000
	;; [unrolled: 1-line block ×4, first 2 shown]
	v_mov_b32_e32 v18, 0x260
	s_mov_b32 s10, 1.0
	s_brev_b32 s35, -2
	s_mov_b32 s13, -1.0
	s_mov_b64 s[16:17], 0xffff
	v_mov_b32_e32 v19, 0x7f800000
	s_branch .LBB303_169
.LBB303_168:                            ;   in Loop: Header=BB303_169 Depth=1
	s_or_b64 exec, exec, s[0:1]
	v_cmp_le_i64_e32 vcc, s[14:15], v[12:13]
	v_cmp_lt_u64_e64 s[0:1], s[16:17], v[12:13]
	s_or_b64 s[0:1], vcc, s[0:1]
	v_mov_b32_e32 v0, s7
	v_add_co_u32_e32 v12, vcc, s6, v12
	v_addc_co_u32_e32 v13, vcc, v13, v0, vcc
	global_store_dwordx4 v[14:15], v[4:7], off offset:-16
	global_store_dwordx4 v[14:15], v[8:11], off
	v_mov_b32_e32 v0, s11
	s_and_b64 s[0:1], exec, s[0:1]
	v_add_co_u32_e32 v14, vcc, s9, v14
	s_or_b64 s[4:5], s[0:1], s[4:5]
	v_addc_co_u32_e32 v15, vcc, v15, v0, vcc
	s_andn2_b64 exec, exec, s[4:5]
	s_cbranch_execz .LBB303_313
.LBB303_169:                            ; =>This Inner Loop Header: Depth=1
	global_load_dwordx4 v[6:9], v[14:15], off offset:-16
	global_load_dwordx4 v[0:3], v[14:15], off
	v_mov_b32_e32 v10, 0
	s_waitcnt vmcnt(1)
	v_cmp_neq_f32_e32 vcc, 0, v6
	v_cmp_neq_f32_e64 s[0:1], 0, v7
	s_or_b64 s[0:1], vcc, s[0:1]
	s_and_saveexec_b64 s[18:19], s[0:1]
	s_cbranch_execz .LBB303_196
; %bb.170:                              ;   in Loop: Header=BB303_169 Depth=1
	v_cmp_neq_f32_e64 s[0:1], |v7|, s30
	v_mov_b32_e32 v10, 0x7f800000
	s_and_saveexec_b64 s[20:21], s[0:1]
	s_cbranch_execz .LBB303_195
; %bb.171:                              ;   in Loop: Header=BB303_169 Depth=1
	v_cmp_o_f32_e32 vcc, v6, v6
                                        ; implicit-def: $vgpr11
	s_and_saveexec_b64 s[0:1], vcc
	s_xor_b64 s[22:23], exec, s[0:1]
	s_cbranch_execz .LBB303_192
; %bb.172:                              ;   in Loop: Header=BB303_169 Depth=1
	v_cmp_neq_f32_e64 s[0:1], |v6|, s30
                                        ; implicit-def: $vgpr11
	s_and_saveexec_b64 s[2:3], s[0:1]
	s_xor_b64 s[24:25], exec, s[2:3]
	s_cbranch_execz .LBB303_186
; %bb.173:                              ;   in Loop: Header=BB303_169 Depth=1
	v_max_f32_e64 v4, |v7|, |v7|
	v_max_f32_e64 v5, |v6|, |v6|
	v_max_f32_e32 v4, v5, v4
	v_cmp_nle_f32_e64 s[0:1], s31, v4
                                        ; implicit-def: $sgpr26_sgpr27
                                        ; implicit-def: $vgpr4_vgpr5
	s_and_saveexec_b64 s[2:3], s[0:1]
	s_xor_b64 s[2:3], exec, s[2:3]
; %bb.174:                              ;   in Loop: Header=BB303_169 Depth=1
	v_cmp_nle_f32_e64 s[26:27], |v6|, s33
	v_cmp_nle_f32_e64 s[28:29], |v7|, s33
	s_or_b64 vcc, s[26:27], s[28:29]
	v_pk_mul_f32 v[4:5], v[6:7], 4.0 op_sel_hi:[1,0]
	s_xor_b64 s[26:27], vcc, -1
	v_cndmask_b32_e32 v5, v5, v7, vcc
	v_cndmask_b32_e32 v4, v4, v6, vcc
	s_and_b64 s[26:27], s[26:27], exec
; %bb.175:                              ;   in Loop: Header=BB303_169 Depth=1
	s_andn2_saveexec_b64 s[2:3], s[2:3]
; %bb.176:                              ;   in Loop: Header=BB303_169 Depth=1
	v_pk_mul_f32 v[4:5], v[6:7], s[8:9] op_sel_hi:[1,0]
	s_andn2_b64 s[26:27], s[26:27], exec
; %bb.177:                              ;   in Loop: Header=BB303_169 Depth=1
	s_or_b64 exec, exec, s[2:3]
	v_max_f32_e64 v10, |v5|, |v5|
	v_max_f32_e64 v11, |v4|, |v4|
	v_max_f32_e32 v16, v11, v10
	v_cvt_f64_f32_e32 v[10:11], v16
	v_frexp_exp_i32_f64_e32 v10, v[10:11]
	v_sub_u32_e32 v11, 0, v10
	v_ldexp_f32 v17, |v4|, v11
	v_ldexp_f32 v11, |v5|, v11
	v_mul_f32_e32 v11, v11, v11
	v_fmac_f32_e32 v11, v17, v17
	v_sqrt_f32_e32 v11, v11
	v_cmp_neq_f32_e64 s[2:3], s30, v16
	v_cmp_le_f32_e32 vcc, 0, v4
                                        ; implicit-def: $vgpr16_vgpr17
	v_ldexp_f32 v10, v11, v10
	v_cndmask_b32_e64 v10, v19, v10, s[2:3]
	s_and_saveexec_b64 s[2:3], vcc
	s_xor_b64 s[28:29], exec, s[2:3]
	s_cbranch_execz .LBB303_179
; %bb.178:                              ;   in Loop: Header=BB303_169 Depth=1
	v_add_f32_e32 v4, v4, v10
	v_mul_f32_e32 v4, 0.5, v4
	v_mul_f32_e32 v10, 0x4f800000, v4
	v_cmp_gt_f32_e32 vcc, s34, v4
	v_cndmask_b32_e32 v4, v4, v10, vcc
	v_sqrt_f32_e32 v10, v4
	v_add_u32_e32 v11, -1, v10
	v_fma_f32 v17, -v11, v10, v4
	v_add_u32_e32 v16, 1, v10
	v_cmp_ge_f32_e64 s[2:3], 0, v17
	v_cndmask_b32_e64 v11, v10, v11, s[2:3]
	v_fma_f32 v10, -v16, v10, v4
	v_cmp_lt_f32_e64 s[2:3], 0, v10
	v_cndmask_b32_e64 v10, v11, v16, s[2:3]
	v_mul_f32_e32 v11, 0x37800000, v10
	v_cndmask_b32_e32 v10, v10, v11, vcc
	v_cmp_class_f32_e32 vcc, v4, v18
	v_cndmask_b32_e32 v16, v10, v4, vcc
	v_add_f32_e32 v4, v16, v16
	v_div_scale_f32 v10, s[2:3], v4, v4, v5
	v_rcp_f32_e32 v11, v10
	v_fma_f32 v17, -v10, v11, 1.0
	v_fmac_f32_e32 v11, v17, v11
	v_div_scale_f32 v17, vcc, v5, v4, v5
	v_mul_f32_e32 v20, v17, v11
	v_fma_f32 v21, -v10, v20, v17
	v_fmac_f32_e32 v20, v21, v11
	v_fma_f32 v10, -v10, v20, v17
	v_div_fmas_f32 v10, v10, v11, v20
	v_div_fixup_f32 v17, v10, v4, v5
                                        ; implicit-def: $vgpr10
                                        ; implicit-def: $vgpr4_vgpr5
	s_andn2_saveexec_b64 s[28:29], s[28:29]
	s_cbranch_execz .LBB303_181
	s_branch .LBB303_180
.LBB303_179:                            ;   in Loop: Header=BB303_169 Depth=1
	s_andn2_saveexec_b64 s[28:29], s[28:29]
	s_cbranch_execz .LBB303_181
.LBB303_180:                            ;   in Loop: Header=BB303_169 Depth=1
	v_sub_f32_e32 v4, v10, v4
	v_mul_f32_e32 v4, 0.5, v4
	v_mul_f32_e32 v10, 0x4f800000, v4
	v_cmp_gt_f32_e32 vcc, s34, v4
	v_cndmask_b32_e32 v4, v4, v10, vcc
	v_sqrt_f32_e32 v10, v4
	v_add_u32_e32 v11, -1, v10
	v_fma_f32 v17, -v11, v10, v4
	v_add_u32_e32 v16, 1, v10
	v_cmp_ge_f32_e64 s[2:3], 0, v17
	v_cndmask_b32_e64 v11, v10, v11, s[2:3]
	v_fma_f32 v10, -v16, v10, v4
	v_cmp_lt_f32_e64 s[2:3], 0, v10
	v_cndmask_b32_e64 v10, v11, v16, s[2:3]
	v_mul_f32_e32 v11, 0x37800000, v10
	v_cndmask_b32_e32 v10, v10, v11, vcc
	v_cmp_class_f32_e32 vcc, v4, v18
	v_cndmask_b32_e32 v4, v10, v4, vcc
	v_add_f32_e32 v10, v4, v4
	v_and_b32_e32 v11, 0x7fffffff, v5
	v_div_scale_f32 v16, s[2:3], v10, v10, v11
	v_rcp_f32_e32 v17, v16
	v_div_scale_f32 v11, vcc, v11, v10, v11
	v_fma_f32 v20, -v16, v17, 1.0
	v_fmac_f32_e32 v17, v20, v17
	v_mul_f32_e32 v20, v11, v17
	v_fma_f32 v21, -v16, v20, v11
	v_fmac_f32_e32 v20, v21, v17
	v_fma_f32 v11, -v16, v20, v11
	v_div_fmas_f32 v11, v11, v17, v20
	v_div_fixup_f32 v16, v11, v10, |v5|
	v_bfi_b32 v17, s35, v4, v5
.LBB303_181:                            ;   in Loop: Header=BB303_169 Depth=1
	s_or_b64 exec, exec, s[28:29]
                                        ; implicit-def: $vgpr11
	s_and_saveexec_b64 s[2:3], s[0:1]
	s_xor_b64 s[0:1], exec, s[2:3]
	s_cbranch_execz .LBB303_183
; %bb.182:                              ;   in Loop: Header=BB303_169 Depth=1
	v_pk_mul_f32 v[4:5], v[16:17], 0.5 op_sel_hi:[1,0]
	v_cndmask_b32_e64 v10, v16, v4, s[26:27]
	v_cndmask_b32_e64 v11, v17, v5, s[26:27]
                                        ; implicit-def: $vgpr16_vgpr17
	s_andn2_saveexec_b64 s[0:1], s[0:1]
	s_cbranch_execnz .LBB303_184
	s_branch .LBB303_185
.LBB303_183:                            ;   in Loop: Header=BB303_169 Depth=1
	s_andn2_saveexec_b64 s[0:1], s[0:1]
.LBB303_184:                            ;   in Loop: Header=BB303_169 Depth=1
	v_pk_add_f32 v[10:11], v[16:17], v[16:17]
.LBB303_185:                            ;   in Loop: Header=BB303_169 Depth=1
	s_or_b64 exec, exec, s[0:1]
.LBB303_186:                            ;   in Loop: Header=BB303_169 Depth=1
	s_andn2_saveexec_b64 s[0:1], s[24:25]
	s_cbranch_execz .LBB303_214
; %bb.187:                              ;   in Loop: Header=BB303_169 Depth=1
	v_cmp_lt_i32_e32 vcc, -1, v6
	v_sub_f32_e32 v4, v7, v7
                                        ; implicit-def: $vgpr11
	s_and_saveexec_b64 s[2:3], vcc
	s_xor_b64 s[2:3], exec, s[2:3]
; %bb.188:                              ;   in Loop: Header=BB303_169 Depth=1
	v_bfi_b32 v11, s35, v4, v7
	v_mov_b32_e32 v10, v6
                                        ; implicit-def: $vgpr4
; %bb.189:                              ;   in Loop: Header=BB303_169 Depth=1
	s_andn2_saveexec_b64 s[2:3], s[2:3]
; %bb.190:                              ;   in Loop: Header=BB303_169 Depth=1
	v_and_b32_e32 v10, 0x7fffffff, v4
	v_bfi_b32 v11, s35, v6, v7
; %bb.191:                              ;   in Loop: Header=BB303_169 Depth=1
	s_or_b64 exec, exec, s[2:3]
	s_or_b64 exec, exec, s[0:1]
.LBB303_192:                            ;   in Loop: Header=BB303_169 Depth=1
	s_andn2_saveexec_b64 s[0:1], s[22:23]
	s_cbranch_execz .LBB303_194
.LBB303_193:                            ;   in Loop: Header=BB303_169 Depth=1
	v_sub_f32_e32 v4, v7, v7
	v_div_scale_f32 v5, vcc, v4, v4, v4
	v_rcp_f32_e32 v7, v5
	v_fma_f32 v10, -v5, v7, 1.0
	v_fmac_f32_e32 v7, v10, v7
	v_mul_f32_e32 v10, v5, v7
	v_fma_f32 v11, -v5, v10, v5
	v_fmac_f32_e32 v10, v11, v7
	v_fma_f32 v5, -v5, v10, v5
	v_div_fmas_f32 v5, v5, v7, v10
	v_div_fixup_f32 v11, v5, v4, v4
	v_mov_b32_e32 v10, v6
.LBB303_194:                            ;   in Loop: Header=BB303_169 Depth=1
	s_or_b64 exec, exec, s[0:1]
	v_mov_b32_e32 v7, v11
.LBB303_195:                            ;   in Loop: Header=BB303_169 Depth=1
	s_or_b64 exec, exec, s[20:21]
.LBB303_196:                            ;   in Loop: Header=BB303_169 Depth=1
	s_or_b64 exec, exec, s[18:19]
	v_cmp_gt_f32_e32 vcc, 0, v7
	v_cndmask_b32_e64 v11, v7, -v7, vcc
	v_cmp_gt_f32_e32 vcc, 0, v10
	v_cndmask_b32_e64 v6, v10, -v10, vcc
	v_cmp_ge_f32_e32 vcc, v6, v11
                                        ; implicit-def: $vgpr4_vgpr5
	s_and_saveexec_b64 s[0:1], vcc
	s_xor_b64 s[2:3], exec, s[0:1]
	s_cbranch_execz .LBB303_202
; %bb.197:                              ;   in Loop: Header=BB303_169 Depth=1
	v_cmp_neq_f32_e32 vcc, 0, v10
	v_cmp_neq_f32_e64 s[0:1], 0, v7
	s_or_b64 s[0:1], vcc, s[0:1]
                                        ; implicit-def: $vgpr4_vgpr5
	s_and_saveexec_b64 s[18:19], s[0:1]
	s_xor_b64 s[0:1], exec, s[18:19]
	s_cbranch_execz .LBB303_199
; %bb.198:                              ;   in Loop: Header=BB303_169 Depth=1
	v_div_scale_f32 v4, s[18:19], v10, v10, v7
	v_rcp_f32_e32 v5, v4
	v_div_scale_f32 v6, vcc, v7, v10, v7
	v_fma_f32 v11, -v4, v5, 1.0
	v_fmac_f32_e32 v5, v11, v5
	v_mul_f32_e32 v11, v6, v5
	v_fma_f32 v16, -v4, v11, v6
	v_fmac_f32_e32 v11, v16, v5
	v_fma_f32 v4, -v4, v11, v6
	v_div_fmas_f32 v4, v4, v5, v11
	v_div_fixup_f32 v5, v4, v10, v7
	v_fmac_f32_e32 v10, v7, v5
	v_div_scale_f32 v4, s[18:19], v10, v10, 1.0
	v_rcp_f32_e32 v6, v4
	v_fma_f32 v7, -v4, v6, 1.0
	v_fmac_f32_e32 v6, v7, v6
	v_div_scale_f32 v7, vcc, 1.0, v10, 1.0
	v_mul_f32_e32 v11, v7, v6
	v_fma_f32 v16, -v4, v11, v7
	v_fmac_f32_e32 v11, v16, v6
	v_fma_f32 v4, -v4, v11, v7
	v_div_fmas_f32 v4, v4, v6, v11
	v_div_fixup_f32 v6, v4, v10, 1.0
	v_mul_f32_e32 v4, 0, v5
	v_pk_add_f32 v[10:11], v[4:5], s[10:11]
	v_pk_add_f32 v[4:5], v[4:5], s[6:7] neg_lo:[1,0] neg_hi:[1,0]
	v_mov_b32_e32 v11, v5
	v_pk_mul_f32 v[4:5], v[10:11], v[6:7] op_sel_hi:[1,0]
                                        ; implicit-def: $vgpr11
                                        ; implicit-def: $vgpr6
.LBB303_199:                            ;   in Loop: Header=BB303_169 Depth=1
	s_andn2_saveexec_b64 s[0:1], s[0:1]
	s_cbranch_execz .LBB303_201
; %bb.200:                              ;   in Loop: Header=BB303_169 Depth=1
	v_div_scale_f32 v4, s[18:19], v11, v11, 0
	v_rcp_f32_e32 v5, v4
	v_div_scale_f32 v7, vcc, 0, v11, 0
	v_fma_f32 v10, -v4, v5, 1.0
	v_fmac_f32_e32 v5, v10, v5
	v_mul_f32_e32 v10, v7, v5
	v_fma_f32 v16, -v4, v10, v7
	v_fmac_f32_e32 v10, v16, v5
	v_fma_f32 v4, -v4, v10, v7
	v_div_scale_f32 v7, s[18:19], v6, v6, 1.0
	v_rcp_f32_e32 v16, v7
	v_div_fmas_f32 v4, v4, v5, v10
	v_div_fixup_f32 v5, v4, v11, 0
	v_fma_f32 v4, -v7, v16, 1.0
	v_fmac_f32_e32 v16, v4, v16
	v_div_scale_f32 v4, vcc, 1.0, v6, 1.0
	v_mul_f32_e32 v10, v4, v16
	v_fma_f32 v11, -v7, v10, v4
	v_fmac_f32_e32 v10, v11, v16
	v_fma_f32 v4, -v7, v10, v4
	v_div_fmas_f32 v4, v4, v16, v10
	v_div_fixup_f32 v4, v4, v6, 1.0
.LBB303_201:                            ;   in Loop: Header=BB303_169 Depth=1
	s_or_b64 exec, exec, s[0:1]
                                        ; implicit-def: $vgpr10
.LBB303_202:                            ;   in Loop: Header=BB303_169 Depth=1
	s_andn2_saveexec_b64 s[0:1], s[2:3]
	s_cbranch_execz .LBB303_204
; %bb.203:                              ;   in Loop: Header=BB303_169 Depth=1
	v_div_scale_f32 v4, s[2:3], v7, v7, v10
	v_rcp_f32_e32 v5, v4
	v_div_scale_f32 v6, vcc, v10, v7, v10
	s_mov_b32 s12, s7
	v_fma_f32 v11, -v4, v5, 1.0
	v_fmac_f32_e32 v5, v11, v5
	v_mul_f32_e32 v11, v6, v5
	v_fma_f32 v16, -v4, v11, v6
	v_fmac_f32_e32 v11, v16, v5
	v_fma_f32 v4, -v4, v11, v6
	v_div_fmas_f32 v4, v4, v5, v11
	v_div_fixup_f32 v4, v4, v7, v10
	v_fmac_f32_e32 v7, v10, v4
	v_div_scale_f32 v5, s[2:3], v7, v7, 1.0
	v_rcp_f32_e32 v6, v5
	v_fma_f32 v10, -v5, v6, 1.0
	v_fmac_f32_e32 v6, v10, v6
	v_div_scale_f32 v10, vcc, 1.0, v7, 1.0
	v_mul_f32_e32 v11, v10, v6
	v_fma_f32 v16, -v5, v11, v10
	v_fmac_f32_e32 v11, v16, v6
	v_fma_f32 v5, -v5, v11, v10
	v_div_fmas_f32 v5, v5, v6, v11
	v_div_fixup_f32 v6, v5, v7, 1.0
	v_mul_f32_e32 v5, 0, v4
	v_pk_add_f32 v[4:5], v[4:5], s[12:13]
	v_pk_mul_f32 v[4:5], v[4:5], v[6:7] op_sel_hi:[1,0]
.LBB303_204:                            ;   in Loop: Header=BB303_169 Depth=1
	s_or_b64 exec, exec, s[0:1]
	v_cmp_neq_f32_e32 vcc, 0, v8
	v_cmp_neq_f32_e64 s[0:1], 0, v9
	s_or_b64 s[0:1], vcc, s[0:1]
	v_mov_b32_e32 v16, 0
	s_and_saveexec_b64 s[18:19], s[0:1]
	s_cbranch_execz .LBB303_233
; %bb.205:                              ;   in Loop: Header=BB303_169 Depth=1
	v_cmp_neq_f32_e64 s[0:1], |v9|, s30
	v_mov_b32_e32 v16, 0x7f800000
	s_and_saveexec_b64 s[20:21], s[0:1]
	s_cbranch_execz .LBB303_232
; %bb.206:                              ;   in Loop: Header=BB303_169 Depth=1
	v_cmp_o_f32_e32 vcc, v8, v8
                                        ; implicit-def: $vgpr16
	s_and_saveexec_b64 s[0:1], vcc
	s_xor_b64 s[22:23], exec, s[0:1]
	s_cbranch_execz .LBB303_229
; %bb.207:                              ;   in Loop: Header=BB303_169 Depth=1
	v_cmp_neq_f32_e64 s[0:1], |v8|, s30
                                        ; implicit-def: $vgpr16
	s_and_saveexec_b64 s[2:3], s[0:1]
	s_xor_b64 s[24:25], exec, s[2:3]
	s_cbranch_execz .LBB303_222
; %bb.208:                              ;   in Loop: Header=BB303_169 Depth=1
	v_max_f32_e64 v6, |v9|, |v9|
	v_max_f32_e64 v7, |v8|, |v8|
	v_max_f32_e32 v6, v7, v6
	v_cmp_nle_f32_e64 s[0:1], s31, v6
                                        ; implicit-def: $sgpr26_sgpr27
                                        ; implicit-def: $vgpr6_vgpr7
	s_and_saveexec_b64 s[2:3], s[0:1]
	s_xor_b64 s[2:3], exec, s[2:3]
; %bb.209:                              ;   in Loop: Header=BB303_169 Depth=1
	v_cmp_nle_f32_e64 s[26:27], |v8|, s33
	v_cmp_nle_f32_e64 s[28:29], |v9|, s33
	s_or_b64 vcc, s[26:27], s[28:29]
	v_pk_mul_f32 v[6:7], v[8:9], 4.0 op_sel_hi:[1,0]
	s_xor_b64 s[26:27], vcc, -1
	v_cndmask_b32_e32 v7, v7, v9, vcc
	v_cndmask_b32_e32 v6, v6, v8, vcc
	s_and_b64 s[26:27], s[26:27], exec
                                        ; implicit-def: $vgpr8_vgpr9
; %bb.210:                              ;   in Loop: Header=BB303_169 Depth=1
	s_andn2_saveexec_b64 s[2:3], s[2:3]
; %bb.211:                              ;   in Loop: Header=BB303_169 Depth=1
	v_pk_mul_f32 v[6:7], v[8:9], s[8:9] op_sel_hi:[1,0]
	s_andn2_b64 s[26:27], s[26:27], exec
; %bb.212:                              ;   in Loop: Header=BB303_169 Depth=1
	s_or_b64 exec, exec, s[2:3]
	v_max_f32_e64 v8, |v7|, |v7|
	v_max_f32_e64 v9, |v6|, |v6|
	v_max_f32_e32 v10, v9, v8
	v_cvt_f64_f32_e32 v[8:9], v10
	v_frexp_exp_i32_f64_e32 v8, v[8:9]
	v_sub_u32_e32 v9, 0, v8
	v_ldexp_f32 v11, |v6|, v9
	v_ldexp_f32 v9, |v7|, v9
	v_mul_f32_e32 v9, v9, v9
	v_fmac_f32_e32 v9, v11, v11
	v_sqrt_f32_e32 v9, v9
	v_cmp_neq_f32_e64 s[2:3], s30, v10
	v_cmp_le_f32_e32 vcc, 0, v6
                                        ; implicit-def: $vgpr10_vgpr11
	v_ldexp_f32 v8, v9, v8
	v_cndmask_b32_e64 v8, v19, v8, s[2:3]
	s_and_saveexec_b64 s[2:3], vcc
	s_xor_b64 s[28:29], exec, s[2:3]
	s_cbranch_execz .LBB303_215
; %bb.213:                              ;   in Loop: Header=BB303_169 Depth=1
	v_add_f32_e32 v6, v6, v8
	v_mul_f32_e32 v6, 0.5, v6
	v_mul_f32_e32 v8, 0x4f800000, v6
	v_cmp_gt_f32_e32 vcc, s34, v6
	v_cndmask_b32_e32 v6, v6, v8, vcc
	v_sqrt_f32_e32 v8, v6
	v_add_u32_e32 v9, -1, v8
	v_fma_f32 v11, -v9, v8, v6
	v_add_u32_e32 v10, 1, v8
	v_cmp_ge_f32_e64 s[2:3], 0, v11
	v_cndmask_b32_e64 v9, v8, v9, s[2:3]
	v_fma_f32 v8, -v10, v8, v6
	v_cmp_lt_f32_e64 s[2:3], 0, v8
	v_cndmask_b32_e64 v8, v9, v10, s[2:3]
	v_mul_f32_e32 v9, 0x37800000, v8
	v_cndmask_b32_e32 v8, v8, v9, vcc
	v_cmp_class_f32_e32 vcc, v6, v18
	v_cndmask_b32_e32 v10, v8, v6, vcc
	v_add_f32_e32 v6, v10, v10
	v_div_scale_f32 v8, s[2:3], v6, v6, v7
	v_rcp_f32_e32 v9, v8
	v_fma_f32 v11, -v8, v9, 1.0
	v_fmac_f32_e32 v9, v11, v9
	v_div_scale_f32 v11, vcc, v7, v6, v7
	v_mul_f32_e32 v16, v11, v9
	v_fma_f32 v17, -v8, v16, v11
	v_fmac_f32_e32 v16, v17, v9
	v_fma_f32 v8, -v8, v16, v11
	v_div_fmas_f32 v8, v8, v9, v16
	v_div_fixup_f32 v11, v8, v6, v7
                                        ; implicit-def: $vgpr8
                                        ; implicit-def: $vgpr6_vgpr7
	s_andn2_saveexec_b64 s[28:29], s[28:29]
	s_cbranch_execz .LBB303_217
	s_branch .LBB303_216
.LBB303_214:                            ;   in Loop: Header=BB303_169 Depth=1
	s_or_b64 exec, exec, s[0:1]
	s_andn2_saveexec_b64 s[0:1], s[22:23]
	s_cbranch_execnz .LBB303_193
	s_branch .LBB303_194
.LBB303_215:                            ;   in Loop: Header=BB303_169 Depth=1
	s_andn2_saveexec_b64 s[28:29], s[28:29]
	s_cbranch_execz .LBB303_217
.LBB303_216:                            ;   in Loop: Header=BB303_169 Depth=1
	v_sub_f32_e32 v6, v8, v6
	v_mul_f32_e32 v6, 0.5, v6
	v_mul_f32_e32 v8, 0x4f800000, v6
	v_cmp_gt_f32_e32 vcc, s34, v6
	v_cndmask_b32_e32 v6, v6, v8, vcc
	v_sqrt_f32_e32 v8, v6
	v_add_u32_e32 v9, -1, v8
	v_fma_f32 v11, -v9, v8, v6
	v_add_u32_e32 v10, 1, v8
	v_cmp_ge_f32_e64 s[2:3], 0, v11
	v_cndmask_b32_e64 v9, v8, v9, s[2:3]
	v_fma_f32 v8, -v10, v8, v6
	v_cmp_lt_f32_e64 s[2:3], 0, v8
	v_cndmask_b32_e64 v8, v9, v10, s[2:3]
	v_mul_f32_e32 v9, 0x37800000, v8
	v_cndmask_b32_e32 v8, v8, v9, vcc
	v_cmp_class_f32_e32 vcc, v6, v18
	v_cndmask_b32_e32 v6, v8, v6, vcc
	v_add_f32_e32 v8, v6, v6
	v_and_b32_e32 v9, 0x7fffffff, v7
	v_div_scale_f32 v10, s[2:3], v8, v8, v9
	v_rcp_f32_e32 v11, v10
	v_div_scale_f32 v9, vcc, v9, v8, v9
	v_fma_f32 v16, -v10, v11, 1.0
	v_fmac_f32_e32 v11, v16, v11
	v_mul_f32_e32 v16, v9, v11
	v_fma_f32 v17, -v10, v16, v9
	v_fmac_f32_e32 v16, v17, v11
	v_fma_f32 v9, -v10, v16, v9
	v_div_fmas_f32 v9, v9, v11, v16
	v_div_fixup_f32 v10, v9, v8, |v7|
	v_bfi_b32 v11, s35, v6, v7
.LBB303_217:                            ;   in Loop: Header=BB303_169 Depth=1
	s_or_b64 exec, exec, s[28:29]
                                        ; implicit-def: $vgpr9
                                        ; implicit-def: $vgpr16
	s_and_saveexec_b64 s[2:3], s[0:1]
	s_xor_b64 s[0:1], exec, s[2:3]
	s_cbranch_execz .LBB303_219
; %bb.218:                              ;   in Loop: Header=BB303_169 Depth=1
	v_pk_mul_f32 v[6:7], v[10:11], 0.5 op_sel_hi:[1,0]
	v_cndmask_b32_e64 v16, v10, v6, s[26:27]
	v_cndmask_b32_e64 v9, v11, v7, s[26:27]
                                        ; implicit-def: $vgpr10_vgpr11
	s_andn2_saveexec_b64 s[0:1], s[0:1]
	s_cbranch_execnz .LBB303_220
	s_branch .LBB303_221
.LBB303_219:                            ;   in Loop: Header=BB303_169 Depth=1
	s_andn2_saveexec_b64 s[0:1], s[0:1]
.LBB303_220:                            ;   in Loop: Header=BB303_169 Depth=1
	v_pk_add_f32 v[8:9], v[10:11], v[10:11]
	v_mov_b32_e32 v16, v8
.LBB303_221:                            ;   in Loop: Header=BB303_169 Depth=1
	s_or_b64 exec, exec, s[0:1]
.LBB303_222:                            ;   in Loop: Header=BB303_169 Depth=1
	s_andn2_saveexec_b64 s[0:1], s[24:25]
	s_cbranch_execz .LBB303_228
; %bb.223:                              ;   in Loop: Header=BB303_169 Depth=1
	v_cmp_lt_i32_e32 vcc, -1, v8
	v_sub_f32_e32 v6, v9, v9
                                        ; implicit-def: $vgpr16
	s_and_saveexec_b64 s[2:3], vcc
	s_xor_b64 s[2:3], exec, s[2:3]
; %bb.224:                              ;   in Loop: Header=BB303_169 Depth=1
	v_bfi_b32 v9, s35, v6, v9
	v_mov_b32_e32 v16, v8
                                        ; implicit-def: $vgpr6
; %bb.225:                              ;   in Loop: Header=BB303_169 Depth=1
	s_andn2_saveexec_b64 s[2:3], s[2:3]
; %bb.226:                              ;   in Loop: Header=BB303_169 Depth=1
	v_and_b32_e32 v16, 0x7fffffff, v6
	v_bfi_b32 v9, s35, v8, v9
; %bb.227:                              ;   in Loop: Header=BB303_169 Depth=1
	s_or_b64 exec, exec, s[2:3]
.LBB303_228:                            ;   in Loop: Header=BB303_169 Depth=1
	s_or_b64 exec, exec, s[0:1]
.LBB303_229:                            ;   in Loop: Header=BB303_169 Depth=1
	s_andn2_saveexec_b64 s[0:1], s[22:23]
	s_cbranch_execz .LBB303_231
; %bb.230:                              ;   in Loop: Header=BB303_169 Depth=1
	v_sub_f32_e32 v6, v9, v9
	v_div_scale_f32 v7, vcc, v6, v6, v6
	v_rcp_f32_e32 v9, v7
	v_mov_b32_e32 v16, v8
	v_fma_f32 v10, -v7, v9, 1.0
	v_fmac_f32_e32 v9, v10, v9
	v_mul_f32_e32 v10, v7, v9
	v_fma_f32 v11, -v7, v10, v7
	v_fmac_f32_e32 v10, v11, v9
	v_fma_f32 v7, -v7, v10, v7
	v_div_fmas_f32 v7, v7, v9, v10
	v_div_fixup_f32 v9, v7, v6, v6
.LBB303_231:                            ;   in Loop: Header=BB303_169 Depth=1
	s_or_b64 exec, exec, s[0:1]
.LBB303_232:                            ;   in Loop: Header=BB303_169 Depth=1
	s_or_b64 exec, exec, s[20:21]
.LBB303_233:                            ;   in Loop: Header=BB303_169 Depth=1
	s_or_b64 exec, exec, s[18:19]
	v_cmp_gt_f32_e32 vcc, 0, v9
	v_cndmask_b32_e64 v10, v9, -v9, vcc
	v_cmp_gt_f32_e32 vcc, 0, v16
	v_cndmask_b32_e64 v8, v16, -v16, vcc
	v_cmp_ge_f32_e32 vcc, v8, v10
	s_and_saveexec_b64 s[0:1], vcc
	s_xor_b64 s[2:3], exec, s[0:1]
	s_cbranch_execz .LBB303_239
; %bb.234:                              ;   in Loop: Header=BB303_169 Depth=1
	v_cmp_neq_f32_e32 vcc, 0, v16
	v_cmp_neq_f32_e64 s[0:1], 0, v9
	s_or_b64 s[0:1], vcc, s[0:1]
	s_and_saveexec_b64 s[18:19], s[0:1]
	s_xor_b64 s[0:1], exec, s[18:19]
	s_cbranch_execz .LBB303_236
; %bb.235:                              ;   in Loop: Header=BB303_169 Depth=1
	v_div_scale_f32 v6, s[18:19], v16, v16, v9
	v_rcp_f32_e32 v7, v6
	v_div_scale_f32 v8, vcc, v9, v16, v9
	v_fma_f32 v10, -v6, v7, 1.0
	v_fmac_f32_e32 v7, v10, v7
	v_mul_f32_e32 v10, v8, v7
	v_fma_f32 v11, -v6, v10, v8
	v_fmac_f32_e32 v10, v11, v7
	v_fma_f32 v6, -v6, v10, v8
	v_div_fmas_f32 v6, v6, v7, v10
	v_div_fixup_f32 v7, v6, v16, v9
	v_fmac_f32_e32 v16, v9, v7
	v_div_scale_f32 v6, s[18:19], v16, v16, 1.0
	v_rcp_f32_e32 v8, v6
	v_fma_f32 v9, -v6, v8, 1.0
	v_fmac_f32_e32 v8, v9, v8
	v_div_scale_f32 v9, vcc, 1.0, v16, 1.0
	v_mul_f32_e32 v10, v9, v8
	v_fma_f32 v11, -v6, v10, v9
	v_fmac_f32_e32 v10, v11, v8
	v_fma_f32 v6, -v6, v10, v9
	v_div_fmas_f32 v6, v6, v8, v10
	v_div_fixup_f32 v8, v6, v16, 1.0
	v_mul_f32_e32 v6, 0, v7
	v_pk_add_f32 v[10:11], v[6:7], s[10:11]
	v_pk_add_f32 v[6:7], v[6:7], s[6:7] neg_lo:[1,0] neg_hi:[1,0]
	v_mov_b32_e32 v11, v7
	v_pk_mul_f32 v[6:7], v[10:11], v[8:9] op_sel_hi:[1,0]
                                        ; implicit-def: $vgpr10
                                        ; implicit-def: $vgpr8
.LBB303_236:                            ;   in Loop: Header=BB303_169 Depth=1
	s_andn2_saveexec_b64 s[0:1], s[0:1]
	s_cbranch_execz .LBB303_238
; %bb.237:                              ;   in Loop: Header=BB303_169 Depth=1
	v_div_scale_f32 v6, s[18:19], v10, v10, 0
	v_rcp_f32_e32 v7, v6
	v_div_scale_f32 v9, vcc, 0, v10, 0
	v_fma_f32 v11, -v6, v7, 1.0
	v_fmac_f32_e32 v7, v11, v7
	v_mul_f32_e32 v11, v9, v7
	v_fma_f32 v16, -v6, v11, v9
	v_fmac_f32_e32 v11, v16, v7
	v_fma_f32 v6, -v6, v11, v9
	v_div_scale_f32 v9, s[18:19], v8, v8, 1.0
	v_rcp_f32_e32 v16, v9
	v_div_fmas_f32 v6, v6, v7, v11
	v_div_fixup_f32 v7, v6, v10, 0
	v_fma_f32 v6, -v9, v16, 1.0
	v_fmac_f32_e32 v16, v6, v16
	v_div_scale_f32 v6, vcc, 1.0, v8, 1.0
	v_mul_f32_e32 v10, v6, v16
	v_fma_f32 v11, -v9, v10, v6
	v_fmac_f32_e32 v10, v11, v16
	v_fma_f32 v6, -v9, v10, v6
	v_div_fmas_f32 v6, v6, v16, v10
	v_div_fixup_f32 v6, v6, v8, 1.0
.LBB303_238:                            ;   in Loop: Header=BB303_169 Depth=1
	s_or_b64 exec, exec, s[0:1]
                                        ; implicit-def: $vgpr9
                                        ; implicit-def: $vgpr16
.LBB303_239:                            ;   in Loop: Header=BB303_169 Depth=1
	s_andn2_saveexec_b64 s[0:1], s[2:3]
	s_cbranch_execz .LBB303_241
; %bb.240:                              ;   in Loop: Header=BB303_169 Depth=1
	v_div_scale_f32 v6, s[2:3], v9, v9, v16
	v_rcp_f32_e32 v7, v6
	v_div_scale_f32 v8, vcc, v16, v9, v16
	s_mov_b32 s12, s7
	v_fma_f32 v10, -v6, v7, 1.0
	v_fmac_f32_e32 v7, v10, v7
	v_mul_f32_e32 v10, v8, v7
	v_fma_f32 v11, -v6, v10, v8
	v_fmac_f32_e32 v10, v11, v7
	v_fma_f32 v6, -v6, v10, v8
	v_div_fmas_f32 v6, v6, v7, v10
	v_div_fixup_f32 v6, v6, v9, v16
	v_fmac_f32_e32 v9, v16, v6
	v_div_scale_f32 v7, s[2:3], v9, v9, 1.0
	v_rcp_f32_e32 v8, v7
	v_fma_f32 v10, -v7, v8, 1.0
	v_fmac_f32_e32 v8, v10, v8
	v_div_scale_f32 v10, vcc, 1.0, v9, 1.0
	v_mul_f32_e32 v11, v10, v8
	v_fma_f32 v16, -v7, v11, v10
	v_fmac_f32_e32 v11, v16, v8
	v_fma_f32 v7, -v7, v11, v10
	v_div_fmas_f32 v7, v7, v8, v11
	v_div_fixup_f32 v8, v7, v9, 1.0
	v_mul_f32_e32 v7, 0, v6
	v_pk_add_f32 v[6:7], v[6:7], s[12:13]
	v_pk_mul_f32 v[6:7], v[6:7], v[8:9] op_sel_hi:[1,0]
.LBB303_241:                            ;   in Loop: Header=BB303_169 Depth=1
	s_or_b64 exec, exec, s[0:1]
	s_waitcnt vmcnt(0)
	v_cmp_neq_f32_e32 vcc, 0, v0
	v_cmp_neq_f32_e64 s[0:1], 0, v1
	s_or_b64 s[0:1], vcc, s[0:1]
	v_mov_b32_e32 v10, 0
	s_and_saveexec_b64 s[18:19], s[0:1]
	s_cbranch_execz .LBB303_269
; %bb.242:                              ;   in Loop: Header=BB303_169 Depth=1
	v_cmp_neq_f32_e64 s[0:1], |v1|, s30
	v_mov_b32_e32 v10, 0x7f800000
	s_and_saveexec_b64 s[20:21], s[0:1]
	s_cbranch_execz .LBB303_268
; %bb.243:                              ;   in Loop: Header=BB303_169 Depth=1
	v_cmp_o_f32_e32 vcc, v0, v0
                                        ; implicit-def: $vgpr11
	s_and_saveexec_b64 s[0:1], vcc
	s_xor_b64 s[22:23], exec, s[0:1]
	s_cbranch_execz .LBB303_265
; %bb.244:                              ;   in Loop: Header=BB303_169 Depth=1
	v_cmp_neq_f32_e64 s[0:1], |v0|, s30
                                        ; implicit-def: $vgpr11
	s_and_saveexec_b64 s[2:3], s[0:1]
	s_xor_b64 s[24:25], exec, s[2:3]
	s_cbranch_execz .LBB303_258
; %bb.245:                              ;   in Loop: Header=BB303_169 Depth=1
	v_max_f32_e64 v8, |v1|, |v1|
	v_max_f32_e64 v9, |v0|, |v0|
	v_max_f32_e32 v8, v9, v8
	v_cmp_nle_f32_e64 s[0:1], s31, v8
                                        ; implicit-def: $sgpr26_sgpr27
                                        ; implicit-def: $vgpr8_vgpr9
	s_and_saveexec_b64 s[2:3], s[0:1]
	s_xor_b64 s[2:3], exec, s[2:3]
; %bb.246:                              ;   in Loop: Header=BB303_169 Depth=1
	v_cmp_nle_f32_e64 s[26:27], |v0|, s33
	v_cmp_nle_f32_e64 s[28:29], |v1|, s33
	s_or_b64 vcc, s[26:27], s[28:29]
	v_pk_mul_f32 v[8:9], v[0:1], 4.0 op_sel_hi:[1,0]
	s_xor_b64 s[26:27], vcc, -1
	v_cndmask_b32_e32 v9, v9, v1, vcc
	v_cndmask_b32_e32 v8, v8, v0, vcc
	s_and_b64 s[26:27], s[26:27], exec
; %bb.247:                              ;   in Loop: Header=BB303_169 Depth=1
	s_andn2_saveexec_b64 s[2:3], s[2:3]
; %bb.248:                              ;   in Loop: Header=BB303_169 Depth=1
	v_pk_mul_f32 v[8:9], v[0:1], s[8:9] op_sel_hi:[1,0]
	s_andn2_b64 s[26:27], s[26:27], exec
; %bb.249:                              ;   in Loop: Header=BB303_169 Depth=1
	s_or_b64 exec, exec, s[2:3]
	v_max_f32_e64 v10, |v9|, |v9|
	v_max_f32_e64 v11, |v8|, |v8|
	v_max_f32_e32 v16, v11, v10
	v_cvt_f64_f32_e32 v[10:11], v16
	v_frexp_exp_i32_f64_e32 v10, v[10:11]
	v_sub_u32_e32 v11, 0, v10
	v_ldexp_f32 v17, |v8|, v11
	v_ldexp_f32 v11, |v9|, v11
	v_mul_f32_e32 v11, v11, v11
	v_fmac_f32_e32 v11, v17, v17
	v_sqrt_f32_e32 v11, v11
	v_cmp_neq_f32_e64 s[2:3], s30, v16
	v_cmp_le_f32_e32 vcc, 0, v8
                                        ; implicit-def: $vgpr16_vgpr17
	v_ldexp_f32 v10, v11, v10
	v_cndmask_b32_e64 v10, v19, v10, s[2:3]
	s_and_saveexec_b64 s[2:3], vcc
	s_xor_b64 s[28:29], exec, s[2:3]
	s_cbranch_execz .LBB303_251
; %bb.250:                              ;   in Loop: Header=BB303_169 Depth=1
	v_add_f32_e32 v8, v8, v10
	v_mul_f32_e32 v8, 0.5, v8
	v_mul_f32_e32 v10, 0x4f800000, v8
	v_cmp_gt_f32_e32 vcc, s34, v8
	v_cndmask_b32_e32 v8, v8, v10, vcc
	v_sqrt_f32_e32 v10, v8
	v_add_u32_e32 v11, -1, v10
	v_fma_f32 v17, -v11, v10, v8
	v_add_u32_e32 v16, 1, v10
	v_cmp_ge_f32_e64 s[2:3], 0, v17
	v_cndmask_b32_e64 v11, v10, v11, s[2:3]
	v_fma_f32 v10, -v16, v10, v8
	v_cmp_lt_f32_e64 s[2:3], 0, v10
	v_cndmask_b32_e64 v10, v11, v16, s[2:3]
	v_mul_f32_e32 v11, 0x37800000, v10
	v_cndmask_b32_e32 v10, v10, v11, vcc
	v_cmp_class_f32_e32 vcc, v8, v18
	v_cndmask_b32_e32 v16, v10, v8, vcc
	v_add_f32_e32 v8, v16, v16
	v_div_scale_f32 v10, s[2:3], v8, v8, v9
	v_rcp_f32_e32 v11, v10
	v_fma_f32 v17, -v10, v11, 1.0
	v_fmac_f32_e32 v11, v17, v11
	v_div_scale_f32 v17, vcc, v9, v8, v9
	v_mul_f32_e32 v20, v17, v11
	v_fma_f32 v21, -v10, v20, v17
	v_fmac_f32_e32 v20, v21, v11
	v_fma_f32 v10, -v10, v20, v17
	v_div_fmas_f32 v10, v10, v11, v20
	v_div_fixup_f32 v17, v10, v8, v9
                                        ; implicit-def: $vgpr10
                                        ; implicit-def: $vgpr8_vgpr9
	s_andn2_saveexec_b64 s[28:29], s[28:29]
	s_cbranch_execz .LBB303_253
	s_branch .LBB303_252
.LBB303_251:                            ;   in Loop: Header=BB303_169 Depth=1
	s_andn2_saveexec_b64 s[28:29], s[28:29]
	s_cbranch_execz .LBB303_253
.LBB303_252:                            ;   in Loop: Header=BB303_169 Depth=1
	v_sub_f32_e32 v8, v10, v8
	v_mul_f32_e32 v8, 0.5, v8
	v_mul_f32_e32 v10, 0x4f800000, v8
	v_cmp_gt_f32_e32 vcc, s34, v8
	v_cndmask_b32_e32 v8, v8, v10, vcc
	v_sqrt_f32_e32 v10, v8
	v_add_u32_e32 v11, -1, v10
	v_fma_f32 v17, -v11, v10, v8
	v_add_u32_e32 v16, 1, v10
	v_cmp_ge_f32_e64 s[2:3], 0, v17
	v_cndmask_b32_e64 v11, v10, v11, s[2:3]
	v_fma_f32 v10, -v16, v10, v8
	v_cmp_lt_f32_e64 s[2:3], 0, v10
	v_cndmask_b32_e64 v10, v11, v16, s[2:3]
	v_mul_f32_e32 v11, 0x37800000, v10
	v_cndmask_b32_e32 v10, v10, v11, vcc
	v_cmp_class_f32_e32 vcc, v8, v18
	v_cndmask_b32_e32 v8, v10, v8, vcc
	v_add_f32_e32 v10, v8, v8
	v_and_b32_e32 v11, 0x7fffffff, v9
	v_div_scale_f32 v16, s[2:3], v10, v10, v11
	v_rcp_f32_e32 v17, v16
	v_div_scale_f32 v11, vcc, v11, v10, v11
	v_fma_f32 v20, -v16, v17, 1.0
	v_fmac_f32_e32 v17, v20, v17
	v_mul_f32_e32 v20, v11, v17
	v_fma_f32 v21, -v16, v20, v11
	v_fmac_f32_e32 v20, v21, v17
	v_fma_f32 v11, -v16, v20, v11
	v_div_fmas_f32 v11, v11, v17, v20
	v_div_fixup_f32 v16, v11, v10, |v9|
	v_bfi_b32 v17, s35, v8, v9
.LBB303_253:                            ;   in Loop: Header=BB303_169 Depth=1
	s_or_b64 exec, exec, s[28:29]
                                        ; implicit-def: $vgpr11
	s_and_saveexec_b64 s[2:3], s[0:1]
	s_xor_b64 s[0:1], exec, s[2:3]
	s_cbranch_execz .LBB303_255
; %bb.254:                              ;   in Loop: Header=BB303_169 Depth=1
	v_pk_mul_f32 v[8:9], v[16:17], 0.5 op_sel_hi:[1,0]
	v_cndmask_b32_e64 v10, v16, v8, s[26:27]
	v_cndmask_b32_e64 v11, v17, v9, s[26:27]
                                        ; implicit-def: $vgpr16_vgpr17
	s_andn2_saveexec_b64 s[0:1], s[0:1]
	s_cbranch_execnz .LBB303_256
	s_branch .LBB303_257
.LBB303_255:                            ;   in Loop: Header=BB303_169 Depth=1
	s_andn2_saveexec_b64 s[0:1], s[0:1]
.LBB303_256:                            ;   in Loop: Header=BB303_169 Depth=1
	v_pk_add_f32 v[10:11], v[16:17], v[16:17]
.LBB303_257:                            ;   in Loop: Header=BB303_169 Depth=1
	s_or_b64 exec, exec, s[0:1]
.LBB303_258:                            ;   in Loop: Header=BB303_169 Depth=1
	s_andn2_saveexec_b64 s[0:1], s[24:25]
	s_cbranch_execz .LBB303_264
; %bb.259:                              ;   in Loop: Header=BB303_169 Depth=1
	v_cmp_lt_i32_e32 vcc, -1, v0
	v_sub_f32_e32 v8, v1, v1
                                        ; implicit-def: $vgpr11
	s_and_saveexec_b64 s[2:3], vcc
	s_xor_b64 s[2:3], exec, s[2:3]
; %bb.260:                              ;   in Loop: Header=BB303_169 Depth=1
	v_bfi_b32 v11, s35, v8, v1
	v_mov_b32_e32 v10, v0
                                        ; implicit-def: $vgpr8
; %bb.261:                              ;   in Loop: Header=BB303_169 Depth=1
	s_andn2_saveexec_b64 s[2:3], s[2:3]
; %bb.262:                              ;   in Loop: Header=BB303_169 Depth=1
	v_and_b32_e32 v10, 0x7fffffff, v8
	v_bfi_b32 v11, s35, v0, v1
; %bb.263:                              ;   in Loop: Header=BB303_169 Depth=1
	s_or_b64 exec, exec, s[2:3]
.LBB303_264:                            ;   in Loop: Header=BB303_169 Depth=1
	s_or_b64 exec, exec, s[0:1]
.LBB303_265:                            ;   in Loop: Header=BB303_169 Depth=1
	s_andn2_saveexec_b64 s[0:1], s[22:23]
	s_cbranch_execz .LBB303_267
; %bb.266:                              ;   in Loop: Header=BB303_169 Depth=1
	v_sub_f32_e32 v1, v1, v1
	v_div_scale_f32 v8, vcc, v1, v1, v1
	v_rcp_f32_e32 v9, v8
	v_fma_f32 v10, -v8, v9, 1.0
	v_fmac_f32_e32 v9, v10, v9
	v_mul_f32_e32 v10, v8, v9
	v_fma_f32 v11, -v8, v10, v8
	v_fmac_f32_e32 v10, v11, v9
	v_fma_f32 v8, -v8, v10, v8
	v_div_fmas_f32 v8, v8, v9, v10
	v_div_fixup_f32 v11, v8, v1, v1
	v_mov_b32_e32 v10, v0
.LBB303_267:                            ;   in Loop: Header=BB303_169 Depth=1
	s_or_b64 exec, exec, s[0:1]
	v_mov_b32_e32 v1, v11
.LBB303_268:                            ;   in Loop: Header=BB303_169 Depth=1
	s_or_b64 exec, exec, s[20:21]
.LBB303_269:                            ;   in Loop: Header=BB303_169 Depth=1
	s_or_b64 exec, exec, s[18:19]
	v_cmp_gt_f32_e32 vcc, 0, v1
	v_cndmask_b32_e64 v11, v1, -v1, vcc
	v_cmp_gt_f32_e32 vcc, 0, v10
	v_cndmask_b32_e64 v0, v10, -v10, vcc
	v_cmp_ge_f32_e32 vcc, v0, v11
                                        ; implicit-def: $vgpr8_vgpr9
	s_and_saveexec_b64 s[0:1], vcc
	s_xor_b64 s[2:3], exec, s[0:1]
	s_cbranch_execz .LBB303_275
; %bb.270:                              ;   in Loop: Header=BB303_169 Depth=1
	v_cmp_neq_f32_e32 vcc, 0, v10
	v_cmp_neq_f32_e64 s[0:1], 0, v1
	s_or_b64 s[0:1], vcc, s[0:1]
                                        ; implicit-def: $vgpr8_vgpr9
	s_and_saveexec_b64 s[18:19], s[0:1]
	s_xor_b64 s[0:1], exec, s[18:19]
	s_cbranch_execz .LBB303_272
; %bb.271:                              ;   in Loop: Header=BB303_169 Depth=1
	v_div_scale_f32 v0, s[18:19], v10, v10, v1
	v_rcp_f32_e32 v8, v0
	v_div_scale_f32 v9, vcc, v1, v10, v1
	v_fma_f32 v11, -v0, v8, 1.0
	v_fmac_f32_e32 v8, v11, v8
	v_mul_f32_e32 v11, v9, v8
	v_fma_f32 v16, -v0, v11, v9
	v_fmac_f32_e32 v11, v16, v8
	v_fma_f32 v0, -v0, v11, v9
	v_div_fmas_f32 v0, v0, v8, v11
	v_div_fixup_f32 v9, v0, v10, v1
	v_fmac_f32_e32 v10, v1, v9
	v_div_scale_f32 v0, s[18:19], v10, v10, 1.0
	v_rcp_f32_e32 v1, v0
	v_fma_f32 v8, -v0, v1, 1.0
	v_fmac_f32_e32 v1, v8, v1
	v_div_scale_f32 v8, vcc, 1.0, v10, 1.0
	v_mul_f32_e32 v11, v8, v1
	v_fma_f32 v16, -v0, v11, v8
	v_fmac_f32_e32 v11, v16, v1
	v_fma_f32 v0, -v0, v11, v8
	v_div_fmas_f32 v0, v0, v1, v11
	v_mul_f32_e32 v8, 0, v9
	v_div_fixup_f32 v0, v0, v10, 1.0
	v_pk_add_f32 v[10:11], v[8:9], s[10:11]
	v_pk_add_f32 v[8:9], v[8:9], s[6:7] neg_lo:[1,0] neg_hi:[1,0]
	v_mov_b32_e32 v11, v9
	v_pk_mul_f32 v[8:9], v[10:11], v[0:1] op_sel_hi:[1,0]
                                        ; implicit-def: $vgpr11
                                        ; implicit-def: $vgpr0
.LBB303_272:                            ;   in Loop: Header=BB303_169 Depth=1
	s_andn2_saveexec_b64 s[0:1], s[0:1]
	s_cbranch_execz .LBB303_274
; %bb.273:                              ;   in Loop: Header=BB303_169 Depth=1
	v_div_scale_f32 v1, s[18:19], v11, v11, 0
	v_rcp_f32_e32 v8, v1
	v_div_scale_f32 v9, vcc, 0, v11, 0
	v_fma_f32 v10, -v1, v8, 1.0
	v_fmac_f32_e32 v8, v10, v8
	v_mul_f32_e32 v10, v9, v8
	v_fma_f32 v16, -v1, v10, v9
	v_fmac_f32_e32 v10, v16, v8
	v_div_scale_f32 v16, s[18:19], v0, v0, 1.0
	v_rcp_f32_e32 v17, v16
	v_fma_f32 v1, -v1, v10, v9
	v_div_fmas_f32 v1, v1, v8, v10
	v_div_fixup_f32 v9, v1, v11, 0
	v_fma_f32 v1, -v16, v17, 1.0
	v_fmac_f32_e32 v17, v1, v17
	v_div_scale_f32 v1, vcc, 1.0, v0, 1.0
	v_mul_f32_e32 v8, v1, v17
	v_fma_f32 v10, -v16, v8, v1
	v_fmac_f32_e32 v8, v10, v17
	v_fma_f32 v1, -v16, v8, v1
	v_div_fmas_f32 v1, v1, v17, v8
	v_div_fixup_f32 v8, v1, v0, 1.0
.LBB303_274:                            ;   in Loop: Header=BB303_169 Depth=1
	s_or_b64 exec, exec, s[0:1]
                                        ; implicit-def: $vgpr10
.LBB303_275:                            ;   in Loop: Header=BB303_169 Depth=1
	s_andn2_saveexec_b64 s[0:1], s[2:3]
	s_cbranch_execz .LBB303_277
; %bb.276:                              ;   in Loop: Header=BB303_169 Depth=1
	v_div_scale_f32 v0, s[2:3], v1, v1, v10
	v_rcp_f32_e32 v8, v0
	v_div_scale_f32 v9, vcc, v10, v1, v10
	s_mov_b32 s12, s7
	v_fma_f32 v11, -v0, v8, 1.0
	v_fmac_f32_e32 v8, v11, v8
	v_mul_f32_e32 v11, v9, v8
	v_fma_f32 v16, -v0, v11, v9
	v_fmac_f32_e32 v11, v16, v8
	v_fma_f32 v0, -v0, v11, v9
	v_div_fmas_f32 v0, v0, v8, v11
	v_div_fixup_f32 v0, v0, v1, v10
	v_fmac_f32_e32 v1, v10, v0
	v_div_scale_f32 v8, s[2:3], v1, v1, 1.0
	v_rcp_f32_e32 v9, v8
	v_fma_f32 v10, -v8, v9, 1.0
	v_fmac_f32_e32 v9, v10, v9
	v_div_scale_f32 v10, vcc, 1.0, v1, 1.0
	v_mul_f32_e32 v11, v10, v9
	v_fma_f32 v16, -v8, v11, v10
	v_fmac_f32_e32 v11, v16, v9
	v_fma_f32 v8, -v8, v11, v10
	v_div_fmas_f32 v8, v8, v9, v11
	v_div_fixup_f32 v8, v8, v1, 1.0
	v_mul_f32_e32 v1, 0, v0
	v_pk_add_f32 v[0:1], v[0:1], s[12:13]
	v_pk_mul_f32 v[8:9], v[0:1], v[8:9] op_sel_hi:[1,0]
.LBB303_277:                            ;   in Loop: Header=BB303_169 Depth=1
	s_or_b64 exec, exec, s[0:1]
	v_cmp_neq_f32_e32 vcc, 0, v2
	v_cmp_neq_f32_e64 s[0:1], 0, v3
	s_or_b64 s[0:1], vcc, s[0:1]
	v_mov_b32_e32 v0, 0
	s_and_saveexec_b64 s[18:19], s[0:1]
	s_cbranch_execz .LBB303_305
; %bb.278:                              ;   in Loop: Header=BB303_169 Depth=1
	v_cmp_neq_f32_e64 s[0:1], |v3|, s30
	v_mov_b32_e32 v0, 0x7f800000
	s_and_saveexec_b64 s[20:21], s[0:1]
	s_cbranch_execz .LBB303_304
; %bb.279:                              ;   in Loop: Header=BB303_169 Depth=1
	v_cmp_o_f32_e32 vcc, v2, v2
                                        ; implicit-def: $vgpr0
	s_and_saveexec_b64 s[0:1], vcc
	s_xor_b64 s[22:23], exec, s[0:1]
	s_cbranch_execz .LBB303_301
; %bb.280:                              ;   in Loop: Header=BB303_169 Depth=1
	v_cmp_neq_f32_e64 s[0:1], |v2|, s30
                                        ; implicit-def: $vgpr0
	s_and_saveexec_b64 s[2:3], s[0:1]
	s_xor_b64 s[24:25], exec, s[2:3]
	s_cbranch_execz .LBB303_294
; %bb.281:                              ;   in Loop: Header=BB303_169 Depth=1
	v_max_f32_e64 v0, |v3|, |v3|
	v_max_f32_e64 v1, |v2|, |v2|
	v_max_f32_e32 v0, v1, v0
	v_cmp_nle_f32_e64 s[0:1], s31, v0
                                        ; implicit-def: $sgpr26_sgpr27
                                        ; implicit-def: $vgpr0_vgpr1
	s_and_saveexec_b64 s[2:3], s[0:1]
	s_xor_b64 s[2:3], exec, s[2:3]
; %bb.282:                              ;   in Loop: Header=BB303_169 Depth=1
	v_cmp_nle_f32_e64 s[26:27], |v2|, s33
	v_cmp_nle_f32_e64 s[28:29], |v3|, s33
	s_or_b64 vcc, s[26:27], s[28:29]
	v_pk_mul_f32 v[0:1], v[2:3], 4.0 op_sel_hi:[1,0]
	s_xor_b64 s[26:27], vcc, -1
	v_cndmask_b32_e32 v1, v1, v3, vcc
	v_cndmask_b32_e32 v0, v0, v2, vcc
	s_and_b64 s[26:27], s[26:27], exec
                                        ; implicit-def: $vgpr2_vgpr3
; %bb.283:                              ;   in Loop: Header=BB303_169 Depth=1
	s_andn2_saveexec_b64 s[2:3], s[2:3]
; %bb.284:                              ;   in Loop: Header=BB303_169 Depth=1
	v_pk_mul_f32 v[0:1], v[2:3], s[8:9] op_sel_hi:[1,0]
	s_andn2_b64 s[26:27], s[26:27], exec
; %bb.285:                              ;   in Loop: Header=BB303_169 Depth=1
	s_or_b64 exec, exec, s[2:3]
	v_max_f32_e64 v2, |v1|, |v1|
	v_max_f32_e64 v3, |v0|, |v0|
	v_max_f32_e32 v10, v3, v2
	v_cvt_f64_f32_e32 v[2:3], v10
	v_frexp_exp_i32_f64_e32 v2, v[2:3]
	v_sub_u32_e32 v3, 0, v2
	v_ldexp_f32 v11, |v0|, v3
	v_ldexp_f32 v3, |v1|, v3
	v_mul_f32_e32 v3, v3, v3
	v_fmac_f32_e32 v3, v11, v11
	v_sqrt_f32_e32 v3, v3
	v_cmp_neq_f32_e64 s[2:3], s30, v10
	v_cmp_le_f32_e32 vcc, 0, v0
                                        ; implicit-def: $vgpr10_vgpr11
	v_ldexp_f32 v2, v3, v2
	v_cndmask_b32_e64 v2, v19, v2, s[2:3]
	s_and_saveexec_b64 s[2:3], vcc
	s_xor_b64 s[28:29], exec, s[2:3]
	s_cbranch_execz .LBB303_287
; %bb.286:                              ;   in Loop: Header=BB303_169 Depth=1
	v_add_f32_e32 v0, v0, v2
	v_mul_f32_e32 v0, 0.5, v0
	v_mul_f32_e32 v2, 0x4f800000, v0
	v_cmp_gt_f32_e32 vcc, s34, v0
	v_cndmask_b32_e32 v0, v0, v2, vcc
	v_sqrt_f32_e32 v2, v0
	v_add_u32_e32 v3, -1, v2
	v_fma_f32 v11, -v3, v2, v0
	v_add_u32_e32 v10, 1, v2
	v_cmp_ge_f32_e64 s[2:3], 0, v11
	v_cndmask_b32_e64 v3, v2, v3, s[2:3]
	v_fma_f32 v2, -v10, v2, v0
	v_cmp_lt_f32_e64 s[2:3], 0, v2
	v_cndmask_b32_e64 v2, v3, v10, s[2:3]
	v_mul_f32_e32 v3, 0x37800000, v2
	v_cndmask_b32_e32 v2, v2, v3, vcc
	v_cmp_class_f32_e32 vcc, v0, v18
	v_cndmask_b32_e32 v10, v2, v0, vcc
	v_add_f32_e32 v0, v10, v10
	v_div_scale_f32 v2, s[2:3], v0, v0, v1
	v_rcp_f32_e32 v3, v2
	v_fma_f32 v11, -v2, v3, 1.0
	v_fmac_f32_e32 v3, v11, v3
	v_div_scale_f32 v11, vcc, v1, v0, v1
	v_mul_f32_e32 v16, v11, v3
	v_fma_f32 v17, -v2, v16, v11
	v_fmac_f32_e32 v16, v17, v3
	v_fma_f32 v2, -v2, v16, v11
	v_div_fmas_f32 v2, v2, v3, v16
	v_div_fixup_f32 v11, v2, v0, v1
                                        ; implicit-def: $vgpr2
                                        ; implicit-def: $vgpr0_vgpr1
	s_andn2_saveexec_b64 s[28:29], s[28:29]
	s_cbranch_execz .LBB303_289
	s_branch .LBB303_288
.LBB303_287:                            ;   in Loop: Header=BB303_169 Depth=1
	s_andn2_saveexec_b64 s[28:29], s[28:29]
	s_cbranch_execz .LBB303_289
.LBB303_288:                            ;   in Loop: Header=BB303_169 Depth=1
	v_sub_f32_e32 v0, v2, v0
	v_mul_f32_e32 v0, 0.5, v0
	v_mul_f32_e32 v2, 0x4f800000, v0
	v_cmp_gt_f32_e32 vcc, s34, v0
	v_cndmask_b32_e32 v0, v0, v2, vcc
	v_sqrt_f32_e32 v2, v0
	v_add_u32_e32 v3, -1, v2
	v_fma_f32 v11, -v3, v2, v0
	v_add_u32_e32 v10, 1, v2
	v_cmp_ge_f32_e64 s[2:3], 0, v11
	v_cndmask_b32_e64 v3, v2, v3, s[2:3]
	v_fma_f32 v2, -v10, v2, v0
	v_cmp_lt_f32_e64 s[2:3], 0, v2
	v_cndmask_b32_e64 v2, v3, v10, s[2:3]
	v_mul_f32_e32 v3, 0x37800000, v2
	v_cndmask_b32_e32 v2, v2, v3, vcc
	v_cmp_class_f32_e32 vcc, v0, v18
	v_cndmask_b32_e32 v0, v2, v0, vcc
	v_add_f32_e32 v2, v0, v0
	v_and_b32_e32 v3, 0x7fffffff, v1
	v_div_scale_f32 v10, s[2:3], v2, v2, v3
	v_rcp_f32_e32 v11, v10
	v_div_scale_f32 v3, vcc, v3, v2, v3
	v_fma_f32 v16, -v10, v11, 1.0
	v_fmac_f32_e32 v11, v16, v11
	v_mul_f32_e32 v16, v3, v11
	v_fma_f32 v17, -v10, v16, v3
	v_fmac_f32_e32 v16, v17, v11
	v_fma_f32 v3, -v10, v16, v3
	v_div_fmas_f32 v3, v3, v11, v16
	v_div_fixup_f32 v10, v3, v2, |v1|
	v_bfi_b32 v11, s35, v0, v1
.LBB303_289:                            ;   in Loop: Header=BB303_169 Depth=1
	s_or_b64 exec, exec, s[28:29]
                                        ; implicit-def: $vgpr3
                                        ; implicit-def: $vgpr0
	s_and_saveexec_b64 s[2:3], s[0:1]
	s_xor_b64 s[0:1], exec, s[2:3]
	s_cbranch_execz .LBB303_291
; %bb.290:                              ;   in Loop: Header=BB303_169 Depth=1
	v_pk_mul_f32 v[0:1], v[10:11], 0.5 op_sel_hi:[1,0]
	v_cndmask_b32_e64 v0, v10, v0, s[26:27]
	v_cndmask_b32_e64 v3, v11, v1, s[26:27]
                                        ; implicit-def: $vgpr10_vgpr11
	s_andn2_saveexec_b64 s[0:1], s[0:1]
	s_cbranch_execnz .LBB303_292
	s_branch .LBB303_293
.LBB303_291:                            ;   in Loop: Header=BB303_169 Depth=1
	s_andn2_saveexec_b64 s[0:1], s[0:1]
.LBB303_292:                            ;   in Loop: Header=BB303_169 Depth=1
	v_pk_add_f32 v[2:3], v[10:11], v[10:11]
	v_mov_b32_e32 v0, v2
.LBB303_293:                            ;   in Loop: Header=BB303_169 Depth=1
	s_or_b64 exec, exec, s[0:1]
.LBB303_294:                            ;   in Loop: Header=BB303_169 Depth=1
	s_andn2_saveexec_b64 s[0:1], s[24:25]
	s_cbranch_execz .LBB303_300
; %bb.295:                              ;   in Loop: Header=BB303_169 Depth=1
	v_cmp_lt_i32_e32 vcc, -1, v2
	v_sub_f32_e32 v1, v3, v3
                                        ; implicit-def: $vgpr0
	s_and_saveexec_b64 s[2:3], vcc
	s_xor_b64 s[2:3], exec, s[2:3]
; %bb.296:                              ;   in Loop: Header=BB303_169 Depth=1
	v_bfi_b32 v3, s35, v1, v3
	v_mov_b32_e32 v0, v2
                                        ; implicit-def: $vgpr1
; %bb.297:                              ;   in Loop: Header=BB303_169 Depth=1
	s_andn2_saveexec_b64 s[2:3], s[2:3]
; %bb.298:                              ;   in Loop: Header=BB303_169 Depth=1
	v_and_b32_e32 v0, 0x7fffffff, v1
	v_bfi_b32 v3, s35, v2, v3
; %bb.299:                              ;   in Loop: Header=BB303_169 Depth=1
	s_or_b64 exec, exec, s[2:3]
.LBB303_300:                            ;   in Loop: Header=BB303_169 Depth=1
	s_or_b64 exec, exec, s[0:1]
.LBB303_301:                            ;   in Loop: Header=BB303_169 Depth=1
	s_andn2_saveexec_b64 s[0:1], s[22:23]
	s_cbranch_execz .LBB303_303
; %bb.302:                              ;   in Loop: Header=BB303_169 Depth=1
	v_sub_f32_e32 v0, v3, v3
	v_div_scale_f32 v1, vcc, v0, v0, v0
	v_rcp_f32_e32 v3, v1
	v_fma_f32 v10, -v1, v3, 1.0
	v_fmac_f32_e32 v3, v10, v3
	v_mul_f32_e32 v10, v1, v3
	v_fma_f32 v11, -v1, v10, v1
	v_fmac_f32_e32 v10, v11, v3
	v_fma_f32 v1, -v1, v10, v1
	v_div_fmas_f32 v1, v1, v3, v10
	v_div_fixup_f32 v3, v1, v0, v0
	v_mov_b32_e32 v0, v2
.LBB303_303:                            ;   in Loop: Header=BB303_169 Depth=1
	s_or_b64 exec, exec, s[0:1]
.LBB303_304:                            ;   in Loop: Header=BB303_169 Depth=1
	s_or_b64 exec, exec, s[20:21]
.LBB303_305:                            ;   in Loop: Header=BB303_169 Depth=1
	s_or_b64 exec, exec, s[18:19]
	v_cmp_gt_f32_e32 vcc, 0, v3
	v_cndmask_b32_e64 v2, v3, -v3, vcc
	v_cmp_gt_f32_e32 vcc, 0, v0
	v_cndmask_b32_e64 v1, v0, -v0, vcc
	v_cmp_ge_f32_e32 vcc, v1, v2
	s_and_saveexec_b64 s[0:1], vcc
	s_xor_b64 s[2:3], exec, s[0:1]
	s_cbranch_execz .LBB303_311
; %bb.306:                              ;   in Loop: Header=BB303_169 Depth=1
	v_cmp_neq_f32_e32 vcc, 0, v0
	v_cmp_neq_f32_e64 s[0:1], 0, v3
	s_or_b64 s[0:1], vcc, s[0:1]
	s_and_saveexec_b64 s[18:19], s[0:1]
	s_xor_b64 s[0:1], exec, s[18:19]
	s_cbranch_execz .LBB303_308
; %bb.307:                              ;   in Loop: Header=BB303_169 Depth=1
	v_div_scale_f32 v1, s[18:19], v0, v0, v3
	v_rcp_f32_e32 v2, v1
	v_div_scale_f32 v10, vcc, v3, v0, v3
	v_fma_f32 v11, -v1, v2, 1.0
	v_fmac_f32_e32 v2, v11, v2
	v_mul_f32_e32 v11, v10, v2
	v_fma_f32 v16, -v1, v11, v10
	v_fmac_f32_e32 v11, v16, v2
	v_fma_f32 v1, -v1, v11, v10
	v_div_fmas_f32 v1, v1, v2, v11
	v_div_fixup_f32 v1, v1, v0, v3
	v_fmac_f32_e32 v0, v3, v1
	v_div_scale_f32 v2, s[18:19], v0, v0, 1.0
	v_rcp_f32_e32 v3, v2
	v_fma_f32 v10, -v2, v3, 1.0
	v_fmac_f32_e32 v3, v10, v3
	v_div_scale_f32 v10, vcc, 1.0, v0, 1.0
	v_mul_f32_e32 v11, v10, v3
	v_fma_f32 v16, -v2, v11, v10
	v_fmac_f32_e32 v11, v16, v3
	v_fma_f32 v2, -v2, v11, v10
	v_div_fmas_f32 v2, v2, v3, v11
	v_div_fixup_f32 v2, v2, v0, 1.0
	v_mul_f32_e32 v0, 0, v1
	v_pk_add_f32 v[10:11], v[0:1], s[10:11]
	v_pk_add_f32 v[0:1], v[0:1], s[6:7] neg_lo:[1,0] neg_hi:[1,0]
	v_mov_b32_e32 v11, v1
	v_pk_mul_f32 v[10:11], v[10:11], v[2:3] op_sel_hi:[1,0]
                                        ; implicit-def: $vgpr2
                                        ; implicit-def: $vgpr1
.LBB303_308:                            ;   in Loop: Header=BB303_169 Depth=1
	s_andn2_saveexec_b64 s[0:1], s[0:1]
	s_cbranch_execz .LBB303_310
; %bb.309:                              ;   in Loop: Header=BB303_169 Depth=1
	v_div_scale_f32 v0, s[18:19], v2, v2, 0
	v_rcp_f32_e32 v3, v0
	v_div_scale_f32 v10, vcc, 0, v2, 0
	v_fma_f32 v11, -v0, v3, 1.0
	v_fmac_f32_e32 v3, v11, v3
	v_mul_f32_e32 v11, v10, v3
	v_fma_f32 v16, -v0, v11, v10
	v_fmac_f32_e32 v11, v16, v3
	v_fma_f32 v0, -v0, v11, v10
	v_div_scale_f32 v10, s[18:19], v1, v1, 1.0
	v_rcp_f32_e32 v16, v10
	v_div_fmas_f32 v0, v0, v3, v11
	v_div_fixup_f32 v11, v0, v2, 0
	v_fma_f32 v0, -v10, v16, 1.0
	v_fmac_f32_e32 v16, v0, v16
	v_div_scale_f32 v0, vcc, 1.0, v1, 1.0
	v_mul_f32_e32 v2, v0, v16
	v_fma_f32 v3, -v10, v2, v0
	v_fmac_f32_e32 v2, v3, v16
	v_fma_f32 v0, -v10, v2, v0
	v_div_fmas_f32 v0, v0, v16, v2
	v_div_fixup_f32 v10, v0, v1, 1.0
.LBB303_310:                            ;   in Loop: Header=BB303_169 Depth=1
	s_or_b64 exec, exec, s[0:1]
                                        ; implicit-def: $vgpr3
                                        ; implicit-def: $vgpr0
.LBB303_311:                            ;   in Loop: Header=BB303_169 Depth=1
	s_andn2_saveexec_b64 s[0:1], s[2:3]
	s_cbranch_execz .LBB303_168
; %bb.312:                              ;   in Loop: Header=BB303_169 Depth=1
	v_div_scale_f32 v1, s[2:3], v3, v3, v0
	v_rcp_f32_e32 v2, v1
	v_div_scale_f32 v10, vcc, v0, v3, v0
	s_mov_b32 s12, s7
	v_fma_f32 v11, -v1, v2, 1.0
	v_fmac_f32_e32 v2, v11, v2
	v_mul_f32_e32 v11, v10, v2
	v_fma_f32 v16, -v1, v11, v10
	v_fmac_f32_e32 v11, v16, v2
	v_fma_f32 v1, -v1, v11, v10
	v_div_fmas_f32 v1, v1, v2, v11
	v_div_fixup_f32 v2, v1, v3, v0
	v_fmac_f32_e32 v3, v0, v2
	v_div_scale_f32 v0, s[2:3], v3, v3, 1.0
	v_rcp_f32_e32 v1, v0
	v_fma_f32 v10, -v0, v1, 1.0
	v_fmac_f32_e32 v1, v10, v1
	v_div_scale_f32 v10, vcc, 1.0, v3, 1.0
	v_mul_f32_e32 v11, v10, v1
	v_fma_f32 v16, -v0, v11, v10
	v_fmac_f32_e32 v11, v16, v1
	v_fma_f32 v0, -v0, v11, v10
	v_div_fmas_f32 v0, v0, v1, v11
	v_div_fixup_f32 v0, v0, v3, 1.0
	v_mul_f32_e32 v3, 0, v2
	v_pk_add_f32 v[2:3], v[2:3], s[12:13]
	v_pk_mul_f32 v[10:11], v[2:3], v[0:1] op_sel_hi:[1,0]
	s_branch .LBB303_168
.LBB303_313:
	s_endpgm
	.section	.rodata,"a",@progbits
	.p2align	6, 0x0
	.amdhsa_kernel _ZN2at6native12_GLOBAL__N_125multi_tensor_apply_kernelINS1_18TensorListMetadataILi1EEENS1_14UnaryOpFunctorIN3c107complexIfEELi1ELi1ELi0EEEJNS0_5RsqrtIS8_EEEEEvT_T0_DpT1_
		.amdhsa_group_segment_fixed_size 0
		.amdhsa_private_segment_fixed_size 0
		.amdhsa_kernarg_size 3632
		.amdhsa_user_sgpr_count 6
		.amdhsa_user_sgpr_private_segment_buffer 1
		.amdhsa_user_sgpr_dispatch_ptr 0
		.amdhsa_user_sgpr_queue_ptr 0
		.amdhsa_user_sgpr_kernarg_segment_ptr 1
		.amdhsa_user_sgpr_dispatch_id 0
		.amdhsa_user_sgpr_flat_scratch_init 0
		.amdhsa_user_sgpr_kernarg_preload_length 0
		.amdhsa_user_sgpr_kernarg_preload_offset 0
		.amdhsa_user_sgpr_private_segment_size 0
		.amdhsa_uses_dynamic_stack 0
		.amdhsa_system_sgpr_private_segment_wavefront_offset 0
		.amdhsa_system_sgpr_workgroup_id_x 1
		.amdhsa_system_sgpr_workgroup_id_y 0
		.amdhsa_system_sgpr_workgroup_id_z 0
		.amdhsa_system_sgpr_workgroup_info 0
		.amdhsa_system_vgpr_workitem_id 0
		.amdhsa_next_free_vgpr 27
		.amdhsa_next_free_sgpr 53
		.amdhsa_accum_offset 28
		.amdhsa_reserve_vcc 1
		.amdhsa_reserve_flat_scratch 0
		.amdhsa_float_round_mode_32 0
		.amdhsa_float_round_mode_16_64 0
		.amdhsa_float_denorm_mode_32 3
		.amdhsa_float_denorm_mode_16_64 3
		.amdhsa_dx10_clamp 1
		.amdhsa_ieee_mode 1
		.amdhsa_fp16_overflow 0
		.amdhsa_tg_split 0
		.amdhsa_exception_fp_ieee_invalid_op 0
		.amdhsa_exception_fp_denorm_src 0
		.amdhsa_exception_fp_ieee_div_zero 0
		.amdhsa_exception_fp_ieee_overflow 0
		.amdhsa_exception_fp_ieee_underflow 0
		.amdhsa_exception_fp_ieee_inexact 0
		.amdhsa_exception_int_div_zero 0
	.end_amdhsa_kernel
	.section	.text._ZN2at6native12_GLOBAL__N_125multi_tensor_apply_kernelINS1_18TensorListMetadataILi1EEENS1_14UnaryOpFunctorIN3c107complexIfEELi1ELi1ELi0EEEJNS0_5RsqrtIS8_EEEEEvT_T0_DpT1_,"axG",@progbits,_ZN2at6native12_GLOBAL__N_125multi_tensor_apply_kernelINS1_18TensorListMetadataILi1EEENS1_14UnaryOpFunctorIN3c107complexIfEELi1ELi1ELi0EEEJNS0_5RsqrtIS8_EEEEEvT_T0_DpT1_,comdat
.Lfunc_end303:
	.size	_ZN2at6native12_GLOBAL__N_125multi_tensor_apply_kernelINS1_18TensorListMetadataILi1EEENS1_14UnaryOpFunctorIN3c107complexIfEELi1ELi1ELi0EEEJNS0_5RsqrtIS8_EEEEEvT_T0_DpT1_, .Lfunc_end303-_ZN2at6native12_GLOBAL__N_125multi_tensor_apply_kernelINS1_18TensorListMetadataILi1EEENS1_14UnaryOpFunctorIN3c107complexIfEELi1ELi1ELi0EEEJNS0_5RsqrtIS8_EEEEEvT_T0_DpT1_
                                        ; -- End function
	.section	.AMDGPU.csdata,"",@progbits
; Kernel info:
; codeLenInByte = 13140
; NumSgprs: 57
; NumVgprs: 27
; NumAgprs: 0
; TotalNumVgprs: 27
; ScratchSize: 0
; MemoryBound: 0
; FloatMode: 240
; IeeeMode: 1
; LDSByteSize: 0 bytes/workgroup (compile time only)
; SGPRBlocks: 7
; VGPRBlocks: 3
; NumSGPRsForWavesPerEU: 57
; NumVGPRsForWavesPerEU: 27
; AccumOffset: 28
; Occupancy: 8
; WaveLimiterHint : 0
; COMPUTE_PGM_RSRC2:SCRATCH_EN: 0
; COMPUTE_PGM_RSRC2:USER_SGPR: 6
; COMPUTE_PGM_RSRC2:TRAP_HANDLER: 0
; COMPUTE_PGM_RSRC2:TGID_X_EN: 1
; COMPUTE_PGM_RSRC2:TGID_Y_EN: 0
; COMPUTE_PGM_RSRC2:TGID_Z_EN: 0
; COMPUTE_PGM_RSRC2:TIDIG_COMP_CNT: 0
; COMPUTE_PGM_RSRC3_GFX90A:ACCUM_OFFSET: 6
; COMPUTE_PGM_RSRC3_GFX90A:TG_SPLIT: 0
	.section	.text._ZN2at6native12_GLOBAL__N_125multi_tensor_apply_kernelINS1_18TensorListMetadataILi1EEENS1_14UnaryOpFunctorIN3c104HalfELi1ELi1ELi0EEEJNS0_5RsqrtIfEEEEEvT_T0_DpT1_,"axG",@progbits,_ZN2at6native12_GLOBAL__N_125multi_tensor_apply_kernelINS1_18TensorListMetadataILi1EEENS1_14UnaryOpFunctorIN3c104HalfELi1ELi1ELi0EEEJNS0_5RsqrtIfEEEEEvT_T0_DpT1_,comdat
	.globl	_ZN2at6native12_GLOBAL__N_125multi_tensor_apply_kernelINS1_18TensorListMetadataILi1EEENS1_14UnaryOpFunctorIN3c104HalfELi1ELi1ELi0EEEJNS0_5RsqrtIfEEEEEvT_T0_DpT1_ ; -- Begin function _ZN2at6native12_GLOBAL__N_125multi_tensor_apply_kernelINS1_18TensorListMetadataILi1EEENS1_14UnaryOpFunctorIN3c104HalfELi1ELi1ELi0EEEJNS0_5RsqrtIfEEEEEvT_T0_DpT1_
	.p2align	8
	.type	_ZN2at6native12_GLOBAL__N_125multi_tensor_apply_kernelINS1_18TensorListMetadataILi1EEENS1_14UnaryOpFunctorIN3c104HalfELi1ELi1ELi0EEEJNS0_5RsqrtIfEEEEEvT_T0_DpT1_,@function
_ZN2at6native12_GLOBAL__N_125multi_tensor_apply_kernelINS1_18TensorListMetadataILi1EEENS1_14UnaryOpFunctorIN3c104HalfELi1ELi1ELi0EEEJNS0_5RsqrtIfEEEEEvT_T0_DpT1_: ; @_ZN2at6native12_GLOBAL__N_125multi_tensor_apply_kernelINS1_18TensorListMetadataILi1EEENS1_14UnaryOpFunctorIN3c104HalfELi1ELi1ELi0EEEJNS0_5RsqrtIfEEEEEvT_T0_DpT1_
; %bb.0:
	v_mov_b32_e32 v1, s6
	global_load_ubyte v1, v1, s[4:5] offset:1760
	s_add_u32 s0, s4, s6
	s_mul_hi_u32 s1, s6, 3
	s_mul_i32 s6, s6, 3
	s_addc_u32 s2, s5, 0
	s_add_u32 s0, s0, s6
	s_addc_u32 s1, s2, s1
	s_load_dword s0, s[0:1], 0x820
	s_mov_b32 s7, 0
	s_waitcnt vmcnt(0)
	v_readfirstlane_b32 s2, v1
	s_lshl_b32 s1, s2, 3
	s_load_dwordx2 s[2:3], s[4:5], s1 offset:0x370
	s_load_dwordx2 s[12:13], s[4:5], s1 offset:0x0
	s_waitcnt lgkmcnt(0)
	s_ashr_i32 s1, s0, 31
	s_lshl_b64 s[14:15], s[0:1], 17
	s_lshl_b64 s[0:1], s[0:1], 16
	s_and_b32 s6, s12, 7
	s_sub_u32 s10, s2, s0
	s_subb_u32 s11, s3, s1
	s_and_b32 s0, s2, 3
	s_mov_b32 s1, s7
	s_or_b64 s[0:1], s[6:7], s[0:1]
	s_cmp_eq_u64 s[0:1], 0
	s_cbranch_scc1 .LBB304_21
; %bb.1:
	v_cmp_lt_i64_e64 s[0:1], s[10:11], 1
	s_and_b64 vcc, exec, s[0:1]
	s_cbranch_vccnz .LBB304_20
; %bb.2:
	s_load_dword s0, s[4:5], 0xd3c
	v_mov_b32_e32 v2, 0x10000
	v_mov_b32_e32 v3, 0
	v_cmp_lt_u64_e32 vcc, s[10:11], v[2:3]
	v_lshlrev_b32_e32 v1, 1, v0
	s_waitcnt lgkmcnt(0)
	s_and_b32 s2, s0, 0xffff
	s_and_b64 s[0:1], vcc, exec
	s_cselect_b32 s17, s11, 0
	s_cselect_b32 s16, s10, 0x10000
	s_lshl_b32 s3, s2, 1
	s_lshl_b32 s23, s2, 2
	s_add_u32 s6, s12, s14
	s_addc_u32 s7, s13, s15
	v_mov_b32_e32 v5, s7
	v_add_co_u32_e32 v4, vcc, s6, v1
	s_mul_i32 s0, s2, 3
	v_addc_co_u32_e32 v5, vcc, 0, v5, vcc
	v_add_co_u32_e32 v1, vcc, s0, v0
	v_addc_co_u32_e64 v10, s[0:1], 0, 0, vcc
	v_add_co_u32_e32 v11, vcc, s3, v0
	v_addc_co_u32_e64 v12, s[0:1], 0, 0, vcc
	v_add_co_u32_e32 v13, vcc, s2, v0
	v_lshlrev_b32_e32 v6, 1, v13
	s_mov_b32 s22, 0
	v_addc_co_u32_e64 v14, s[0:1], 0, 0, vcc
	v_mov_b32_e32 v7, s7
	v_add_co_u32_e32 v6, vcc, s6, v6
	s_lshl_b32 s24, s2, 3
	s_mul_i32 s25, s2, 6
	s_mov_b32 s26, s22
	v_addc_co_u32_e32 v7, vcc, 0, v7, vcc
	s_mov_b64 s[18:19], 0
	s_mov_b32 s27, 0x800000
	v_pk_mov_b32 v[8:9], s[10:11], s[10:11] op_sel:[0,1]
	v_mov_b32_e32 v15, s22
	s_branch .LBB304_4
.LBB304_3:                              ;   in Loop: Header=BB304_4 Depth=1
	s_or_b64 exec, exec, s[0:1]
	s_add_u32 s18, s18, s23
	s_addc_u32 s19, s19, 0
	v_cmp_lt_i64_e32 vcc, s[18:19], v[8:9]
	v_cmp_lt_u64_e64 s[0:1], s[18:19], v[2:3]
	s_and_b64 s[0:1], vcc, s[0:1]
	v_add_co_u32_e32 v4, vcc, s24, v4
	v_addc_co_u32_e32 v5, vcc, v5, v15, vcc
	v_add_co_u32_e32 v6, vcc, s24, v6
	v_addc_co_u32_e32 v7, vcc, v7, v15, vcc
	s_and_b64 vcc, exec, s[0:1]
	s_cbranch_vccz .LBB304_20
.LBB304_4:                              ; =>This Inner Loop Header: Depth=1
	s_waitcnt vmcnt(0)
	v_mov_b32_e32 v17, s19
	v_add_co_u32_e32 v16, vcc, s18, v0
	v_addc_co_u32_e32 v17, vcc, 0, v17, vcc
	v_cmp_gt_u64_e32 vcc, s[16:17], v[16:17]
	v_mov_b32_e32 v17, 0
	s_and_saveexec_b64 s[0:1], vcc
	s_cbranch_execz .LBB304_6
; %bb.5:                                ;   in Loop: Header=BB304_4 Depth=1
	global_load_ushort v17, v[4:5], off
.LBB304_6:                              ;   in Loop: Header=BB304_4 Depth=1
	s_or_b64 exec, exec, s[0:1]
	v_mov_b32_e32 v16, s19
	v_add_co_u32_e64 v18, s[0:1], s18, v13
	v_addc_co_u32_e64 v19, s[0:1], v14, v16, s[0:1]
	v_cmp_gt_u64_e64 s[0:1], s[16:17], v[18:19]
	v_mov_b32_e32 v18, 0
	s_and_saveexec_b64 s[2:3], s[0:1]
	s_cbranch_execz .LBB304_8
; %bb.7:                                ;   in Loop: Header=BB304_4 Depth=1
	global_load_ushort v18, v[6:7], off
.LBB304_8:                              ;   in Loop: Header=BB304_4 Depth=1
	s_or_b64 exec, exec, s[2:3]
	v_mov_b32_e32 v16, s19
	v_add_co_u32_e64 v20, s[2:3], s18, v11
	v_addc_co_u32_e64 v21, s[2:3], v12, v16, s[2:3]
	v_cmp_gt_u64_e64 s[6:7], s[16:17], v[20:21]
	v_mov_b32_e32 v16, 0
	v_mov_b32_e32 v19, 0
	s_and_saveexec_b64 s[8:9], s[6:7]
	s_cbranch_execz .LBB304_10
; %bb.9:                                ;   in Loop: Header=BB304_4 Depth=1
	v_mov_b32_e32 v19, s22
	v_add_co_u32_e64 v20, s[2:3], s23, v4
	v_addc_co_u32_e64 v21, s[2:3], v5, v19, s[2:3]
	global_load_ushort v19, v[20:21], off
.LBB304_10:                             ;   in Loop: Header=BB304_4 Depth=1
	s_or_b64 exec, exec, s[8:9]
	v_mov_b32_e32 v21, s19
	v_add_co_u32_e64 v20, s[2:3], s18, v1
	v_addc_co_u32_e64 v21, s[2:3], v10, v21, s[2:3]
	v_cmp_gt_u64_e64 s[2:3], s[16:17], v[20:21]
	s_and_saveexec_b64 s[20:21], s[2:3]
	s_cbranch_execnz .LBB304_15
; %bb.11:                               ;   in Loop: Header=BB304_4 Depth=1
	s_or_b64 exec, exec, s[20:21]
	s_and_saveexec_b64 s[8:9], vcc
	s_cbranch_execnz .LBB304_16
.LBB304_12:                             ;   in Loop: Header=BB304_4 Depth=1
	s_or_b64 exec, exec, s[8:9]
	s_and_saveexec_b64 s[8:9], s[0:1]
	s_cbranch_execnz .LBB304_17
.LBB304_13:                             ;   in Loop: Header=BB304_4 Depth=1
	s_or_b64 exec, exec, s[8:9]
	s_and_saveexec_b64 s[0:1], s[6:7]
	s_cbranch_execnz .LBB304_18
.LBB304_14:                             ;   in Loop: Header=BB304_4 Depth=1
	s_or_b64 exec, exec, s[0:1]
	s_and_saveexec_b64 s[0:1], s[2:3]
	s_cbranch_execz .LBB304_3
	s_branch .LBB304_19
.LBB304_15:                             ;   in Loop: Header=BB304_4 Depth=1
	v_mov_b32_e32 v16, s26
	v_add_co_u32_e64 v20, s[8:9], s25, v4
	v_addc_co_u32_e64 v21, s[8:9], v5, v16, s[8:9]
	global_load_ushort v16, v[20:21], off
	s_or_b64 exec, exec, s[20:21]
	s_and_saveexec_b64 s[8:9], vcc
	s_cbranch_execz .LBB304_12
.LBB304_16:                             ;   in Loop: Header=BB304_4 Depth=1
	s_waitcnt vmcnt(0)
	v_cvt_f32_f16_e32 v17, v17
	v_mul_f32_e32 v20, 0x4b800000, v17
	v_cmp_gt_f32_e32 vcc, s27, v17
	v_cndmask_b32_e32 v17, v17, v20, vcc
	v_rsq_f32_e32 v17, v17
	v_mul_f32_e32 v20, 0x45800000, v17
	v_cndmask_b32_e32 v17, v17, v20, vcc
	v_cvt_f16_f32_e32 v17, v17
	global_store_short v[4:5], v17, off
	s_or_b64 exec, exec, s[8:9]
	s_and_saveexec_b64 s[8:9], s[0:1]
	s_cbranch_execz .LBB304_13
.LBB304_17:                             ;   in Loop: Header=BB304_4 Depth=1
	s_waitcnt vmcnt(0)
	v_cvt_f32_f16_e32 v17, v18
	v_mul_f32_e32 v18, 0x4b800000, v17
	v_cmp_gt_f32_e32 vcc, s27, v17
	v_cndmask_b32_e32 v17, v17, v18, vcc
	v_rsq_f32_e32 v17, v17
	v_mul_f32_e32 v18, 0x45800000, v17
	v_cndmask_b32_e32 v17, v17, v18, vcc
	v_cvt_f16_f32_e32 v17, v17
	global_store_short v[6:7], v17, off
	s_or_b64 exec, exec, s[8:9]
	s_and_saveexec_b64 s[0:1], s[6:7]
	s_cbranch_execz .LBB304_14
.LBB304_18:                             ;   in Loop: Header=BB304_4 Depth=1
	s_waitcnt vmcnt(0)
	v_cvt_f32_f16_e32 v17, v19
	v_mov_b32_e32 v19, s22
	v_mul_f32_e32 v18, 0x4b800000, v17
	v_cmp_gt_f32_e32 vcc, s27, v17
	v_cndmask_b32_e32 v17, v17, v18, vcc
	v_rsq_f32_e32 v17, v17
	v_mul_f32_e32 v18, 0x45800000, v17
	v_cndmask_b32_e32 v17, v17, v18, vcc
	v_cvt_f16_f32_e32 v17, v17
	v_add_co_u32_e32 v18, vcc, s23, v4
	v_addc_co_u32_e32 v19, vcc, v5, v19, vcc
	global_store_short v[18:19], v17, off
	s_or_b64 exec, exec, s[0:1]
	s_and_saveexec_b64 s[0:1], s[2:3]
	s_cbranch_execz .LBB304_3
.LBB304_19:                             ;   in Loop: Header=BB304_4 Depth=1
	s_waitcnt vmcnt(0)
	v_cvt_f32_f16_e32 v16, v16
	v_mul_f32_e32 v17, 0x4b800000, v16
	v_cmp_gt_f32_e32 vcc, s27, v16
	v_cndmask_b32_e32 v16, v16, v17, vcc
	v_rsq_f32_e32 v16, v16
	v_mov_b32_e32 v17, s26
	v_mul_f32_e32 v18, 0x45800000, v16
	v_cndmask_b32_e32 v16, v16, v18, vcc
	v_cvt_f16_f32_e32 v18, v16
	v_add_co_u32_e32 v16, vcc, s25, v4
	v_addc_co_u32_e32 v17, vcc, v5, v17, vcc
	global_store_short v[16:17], v18, off
	s_branch .LBB304_3
.LBB304_20:
	s_cbranch_execz .LBB304_22
	s_branch .LBB304_25
.LBB304_21:
.LBB304_22:
	v_mov_b32_e32 v3, 0
	v_lshlrev_b32_e32 v2, 2, v0
	s_mov_b32 s0, 0
	v_cmp_gt_i64_e32 vcc, s[10:11], v[2:3]
	s_and_saveexec_b64 s[2:3], vcc
	s_cbranch_execz .LBB304_25
; %bb.23:
	s_load_dword s1, s[4:5], 0xd3c
	v_lshlrev_b32_e32 v1, 3, v0
	s_mov_b64 s[6:7], 0
	s_mov_b64 s[8:9], 0xffff
	v_mov_b32_e32 v5, s0
	s_waitcnt lgkmcnt(0)
	s_and_b32 s1, s1, 0xffff
	s_lshl_b32 s16, s1, 2
	s_add_u32 s2, s12, s14
	s_addc_u32 s3, s13, s15
	v_add_lshl_u32 v2, v0, s1, 2
	v_mov_b32_e32 v0, s3
	v_add_co_u32_e32 v1, vcc, s2, v1
	v_addc_co_u32_e32 v4, vcc, 0, v0, vcc
	v_add_co_u32_e32 v0, vcc, 4, v1
	v_addc_co_u32_e32 v1, vcc, 0, v4, vcc
	s_lshl_b32 s12, s1, 3
	s_mov_b32 s13, 0x800000
	v_mov_b32_e32 v4, s0
.LBB304_24:                             ; =>This Inner Loop Header: Depth=1
	global_load_dwordx2 v[6:7], v[0:1], off offset:-4
	v_cmp_le_i64_e32 vcc, s[10:11], v[2:3]
	v_cmp_lt_u64_e64 s[0:1], s[8:9], v[2:3]
	v_add_co_u32_e64 v2, s[2:3], s16, v2
	v_addc_co_u32_e64 v3, s[2:3], v3, v4, s[2:3]
	s_or_b64 s[14:15], vcc, s[0:1]
	s_waitcnt vmcnt(0)
	v_cvt_f32_f16_e32 v8, v6
	v_cvt_f32_f16_sdwa v6, v6 dst_sel:DWORD dst_unused:UNUSED_PAD src0_sel:WORD_1
	v_cvt_f32_f16_e32 v9, v7
	v_cvt_f32_f16_sdwa v7, v7 dst_sel:DWORD dst_unused:UNUSED_PAD src0_sel:WORD_1
	v_mul_f32_e32 v10, 0x4b800000, v8
	v_mul_f32_e32 v11, 0x4b800000, v6
	;; [unrolled: 1-line block ×4, first 2 shown]
	v_cmp_gt_f32_e32 vcc, s13, v8
	v_cmp_gt_f32_e64 s[0:1], s13, v6
	v_cmp_gt_f32_e64 s[2:3], s13, v9
	;; [unrolled: 1-line block ×3, first 2 shown]
	v_cndmask_b32_e32 v8, v8, v10, vcc
	v_cndmask_b32_e64 v6, v6, v11, s[0:1]
	v_cndmask_b32_e64 v9, v9, v12, s[2:3]
	;; [unrolled: 1-line block ×3, first 2 shown]
	v_rsq_f32_e32 v8, v8
	v_rsq_f32_e32 v6, v6
	;; [unrolled: 1-line block ×4, first 2 shown]
	v_mul_f32_e32 v10, 0x45800000, v8
	v_mul_f32_e32 v11, 0x45800000, v6
	;; [unrolled: 1-line block ×4, first 2 shown]
	v_cndmask_b32_e32 v8, v8, v10, vcc
	v_cndmask_b32_e64 v6, v6, v11, s[0:1]
	v_cndmask_b32_e64 v9, v9, v12, s[2:3]
	;; [unrolled: 1-line block ×3, first 2 shown]
	v_cvt_f16_f32_e32 v8, v8
	v_cvt_f16_f32_e32 v9, v9
	;; [unrolled: 1-line block ×4, first 2 shown]
	s_and_b64 s[0:1], exec, s[14:15]
	s_or_b64 s[6:7], s[0:1], s[6:7]
	v_pack_b32_f16 v7, v9, v7
	v_pack_b32_f16 v6, v8, v6
	global_store_dwordx2 v[0:1], v[6:7], off offset:-4
	v_add_co_u32_e32 v0, vcc, s12, v0
	v_addc_co_u32_e32 v1, vcc, v1, v5, vcc
	s_andn2_b64 exec, exec, s[6:7]
	s_cbranch_execnz .LBB304_24
.LBB304_25:
	s_endpgm
	.section	.rodata,"a",@progbits
	.p2align	6, 0x0
	.amdhsa_kernel _ZN2at6native12_GLOBAL__N_125multi_tensor_apply_kernelINS1_18TensorListMetadataILi1EEENS1_14UnaryOpFunctorIN3c104HalfELi1ELi1ELi0EEEJNS0_5RsqrtIfEEEEEvT_T0_DpT1_
		.amdhsa_group_segment_fixed_size 0
		.amdhsa_private_segment_fixed_size 0
		.amdhsa_kernarg_size 3632
		.amdhsa_user_sgpr_count 6
		.amdhsa_user_sgpr_private_segment_buffer 1
		.amdhsa_user_sgpr_dispatch_ptr 0
		.amdhsa_user_sgpr_queue_ptr 0
		.amdhsa_user_sgpr_kernarg_segment_ptr 1
		.amdhsa_user_sgpr_dispatch_id 0
		.amdhsa_user_sgpr_flat_scratch_init 0
		.amdhsa_user_sgpr_kernarg_preload_length 0
		.amdhsa_user_sgpr_kernarg_preload_offset 0
		.amdhsa_user_sgpr_private_segment_size 0
		.amdhsa_uses_dynamic_stack 0
		.amdhsa_system_sgpr_private_segment_wavefront_offset 0
		.amdhsa_system_sgpr_workgroup_id_x 1
		.amdhsa_system_sgpr_workgroup_id_y 0
		.amdhsa_system_sgpr_workgroup_id_z 0
		.amdhsa_system_sgpr_workgroup_info 0
		.amdhsa_system_vgpr_workitem_id 0
		.amdhsa_next_free_vgpr 22
		.amdhsa_next_free_sgpr 28
		.amdhsa_accum_offset 24
		.amdhsa_reserve_vcc 1
		.amdhsa_reserve_flat_scratch 0
		.amdhsa_float_round_mode_32 0
		.amdhsa_float_round_mode_16_64 0
		.amdhsa_float_denorm_mode_32 3
		.amdhsa_float_denorm_mode_16_64 3
		.amdhsa_dx10_clamp 1
		.amdhsa_ieee_mode 1
		.amdhsa_fp16_overflow 0
		.amdhsa_tg_split 0
		.amdhsa_exception_fp_ieee_invalid_op 0
		.amdhsa_exception_fp_denorm_src 0
		.amdhsa_exception_fp_ieee_div_zero 0
		.amdhsa_exception_fp_ieee_overflow 0
		.amdhsa_exception_fp_ieee_underflow 0
		.amdhsa_exception_fp_ieee_inexact 0
		.amdhsa_exception_int_div_zero 0
	.end_amdhsa_kernel
	.section	.text._ZN2at6native12_GLOBAL__N_125multi_tensor_apply_kernelINS1_18TensorListMetadataILi1EEENS1_14UnaryOpFunctorIN3c104HalfELi1ELi1ELi0EEEJNS0_5RsqrtIfEEEEEvT_T0_DpT1_,"axG",@progbits,_ZN2at6native12_GLOBAL__N_125multi_tensor_apply_kernelINS1_18TensorListMetadataILi1EEENS1_14UnaryOpFunctorIN3c104HalfELi1ELi1ELi0EEEJNS0_5RsqrtIfEEEEEvT_T0_DpT1_,comdat
.Lfunc_end304:
	.size	_ZN2at6native12_GLOBAL__N_125multi_tensor_apply_kernelINS1_18TensorListMetadataILi1EEENS1_14UnaryOpFunctorIN3c104HalfELi1ELi1ELi0EEEJNS0_5RsqrtIfEEEEEvT_T0_DpT1_, .Lfunc_end304-_ZN2at6native12_GLOBAL__N_125multi_tensor_apply_kernelINS1_18TensorListMetadataILi1EEENS1_14UnaryOpFunctorIN3c104HalfELi1ELi1ELi0EEEJNS0_5RsqrtIfEEEEEvT_T0_DpT1_
                                        ; -- End function
	.section	.AMDGPU.csdata,"",@progbits
; Kernel info:
; codeLenInByte = 1376
; NumSgprs: 32
; NumVgprs: 22
; NumAgprs: 0
; TotalNumVgprs: 22
; ScratchSize: 0
; MemoryBound: 0
; FloatMode: 240
; IeeeMode: 1
; LDSByteSize: 0 bytes/workgroup (compile time only)
; SGPRBlocks: 3
; VGPRBlocks: 2
; NumSGPRsForWavesPerEU: 32
; NumVGPRsForWavesPerEU: 22
; AccumOffset: 24
; Occupancy: 8
; WaveLimiterHint : 0
; COMPUTE_PGM_RSRC2:SCRATCH_EN: 0
; COMPUTE_PGM_RSRC2:USER_SGPR: 6
; COMPUTE_PGM_RSRC2:TRAP_HANDLER: 0
; COMPUTE_PGM_RSRC2:TGID_X_EN: 1
; COMPUTE_PGM_RSRC2:TGID_Y_EN: 0
; COMPUTE_PGM_RSRC2:TGID_Z_EN: 0
; COMPUTE_PGM_RSRC2:TIDIG_COMP_CNT: 0
; COMPUTE_PGM_RSRC3_GFX90A:ACCUM_OFFSET: 5
; COMPUTE_PGM_RSRC3_GFX90A:TG_SPLIT: 0
	.section	.text._ZN2at6native12_GLOBAL__N_125multi_tensor_apply_kernelINS1_18TensorListMetadataILi1EEENS1_14UnaryOpFunctorIN3c108BFloat16ELi1ELi1ELi0EEEJNS0_5RsqrtIfEEEEEvT_T0_DpT1_,"axG",@progbits,_ZN2at6native12_GLOBAL__N_125multi_tensor_apply_kernelINS1_18TensorListMetadataILi1EEENS1_14UnaryOpFunctorIN3c108BFloat16ELi1ELi1ELi0EEEJNS0_5RsqrtIfEEEEEvT_T0_DpT1_,comdat
	.globl	_ZN2at6native12_GLOBAL__N_125multi_tensor_apply_kernelINS1_18TensorListMetadataILi1EEENS1_14UnaryOpFunctorIN3c108BFloat16ELi1ELi1ELi0EEEJNS0_5RsqrtIfEEEEEvT_T0_DpT1_ ; -- Begin function _ZN2at6native12_GLOBAL__N_125multi_tensor_apply_kernelINS1_18TensorListMetadataILi1EEENS1_14UnaryOpFunctorIN3c108BFloat16ELi1ELi1ELi0EEEJNS0_5RsqrtIfEEEEEvT_T0_DpT1_
	.p2align	8
	.type	_ZN2at6native12_GLOBAL__N_125multi_tensor_apply_kernelINS1_18TensorListMetadataILi1EEENS1_14UnaryOpFunctorIN3c108BFloat16ELi1ELi1ELi0EEEJNS0_5RsqrtIfEEEEEvT_T0_DpT1_,@function
_ZN2at6native12_GLOBAL__N_125multi_tensor_apply_kernelINS1_18TensorListMetadataILi1EEENS1_14UnaryOpFunctorIN3c108BFloat16ELi1ELi1ELi0EEEJNS0_5RsqrtIfEEEEEvT_T0_DpT1_: ; @_ZN2at6native12_GLOBAL__N_125multi_tensor_apply_kernelINS1_18TensorListMetadataILi1EEENS1_14UnaryOpFunctorIN3c108BFloat16ELi1ELi1ELi0EEEJNS0_5RsqrtIfEEEEEvT_T0_DpT1_
; %bb.0:
	v_mov_b32_e32 v1, s6
	global_load_ubyte v1, v1, s[4:5] offset:1760
	s_add_u32 s0, s4, s6
	s_mul_hi_u32 s1, s6, 3
	s_mul_i32 s6, s6, 3
	s_addc_u32 s2, s5, 0
	s_add_u32 s0, s0, s6
	s_addc_u32 s1, s2, s1
	s_load_dword s0, s[0:1], 0x820
	s_mov_b32 s7, 0
	s_waitcnt vmcnt(0)
	v_readfirstlane_b32 s2, v1
	s_lshl_b32 s1, s2, 3
	s_load_dwordx2 s[2:3], s[4:5], s1 offset:0x370
	s_load_dwordx2 s[12:13], s[4:5], s1 offset:0x0
	s_waitcnt lgkmcnt(0)
	s_ashr_i32 s1, s0, 31
	s_lshl_b64 s[14:15], s[0:1], 17
	s_lshl_b64 s[0:1], s[0:1], 16
	s_and_b32 s6, s12, 7
	s_sub_u32 s10, s2, s0
	s_subb_u32 s11, s3, s1
	s_and_b32 s0, s2, 3
	s_mov_b32 s1, s7
	s_or_b64 s[0:1], s[6:7], s[0:1]
	s_cmp_eq_u64 s[0:1], 0
	s_cbranch_scc1 .LBB305_21
; %bb.1:
	v_cmp_lt_i64_e64 s[0:1], s[10:11], 1
	s_and_b64 vcc, exec, s[0:1]
	s_cbranch_vccnz .LBB305_20
; %bb.2:
	s_load_dword s0, s[4:5], 0xd3c
	v_mov_b32_e32 v2, 0x10000
	v_mov_b32_e32 v3, 0
	v_cmp_lt_u64_e32 vcc, s[10:11], v[2:3]
	v_lshlrev_b32_e32 v1, 1, v0
	s_waitcnt lgkmcnt(0)
	s_and_b32 s2, s0, 0xffff
	s_and_b64 s[0:1], vcc, exec
	s_cselect_b32 s17, s11, 0
	s_cselect_b32 s16, s10, 0x10000
	s_lshl_b32 s3, s2, 1
	s_lshl_b32 s23, s2, 2
	s_add_u32 s6, s12, s14
	s_addc_u32 s7, s13, s15
	v_mov_b32_e32 v5, s7
	v_add_co_u32_e32 v4, vcc, s6, v1
	s_mul_i32 s0, s2, 3
	v_addc_co_u32_e32 v5, vcc, 0, v5, vcc
	v_add_co_u32_e32 v1, vcc, s0, v0
	v_addc_co_u32_e64 v10, s[0:1], 0, 0, vcc
	v_add_co_u32_e32 v11, vcc, s3, v0
	v_addc_co_u32_e64 v12, s[0:1], 0, 0, vcc
	v_add_co_u32_e32 v13, vcc, s2, v0
	v_lshlrev_b32_e32 v6, 1, v13
	s_mov_b32 s22, 0
	v_addc_co_u32_e64 v14, s[0:1], 0, 0, vcc
	v_mov_b32_e32 v7, s7
	v_add_co_u32_e32 v6, vcc, s6, v6
	s_lshl_b32 s24, s2, 3
	s_mul_i32 s25, s2, 6
	s_mov_b32 s26, s22
	v_addc_co_u32_e32 v7, vcc, 0, v7, vcc
	s_mov_b64 s[18:19], 0
	s_mov_b32 s27, 0x800000
	s_movk_i32 s28, 0x7fff
	v_pk_mov_b32 v[8:9], s[10:11], s[10:11] op_sel:[0,1]
	v_mov_b32_e32 v15, s22
	v_mov_b32_e32 v16, 0x7fc0
	s_branch .LBB305_4
.LBB305_3:                              ;   in Loop: Header=BB305_4 Depth=1
	s_or_b64 exec, exec, s[0:1]
	s_add_u32 s18, s18, s23
	s_addc_u32 s19, s19, 0
	v_cmp_lt_i64_e32 vcc, s[18:19], v[8:9]
	v_cmp_lt_u64_e64 s[0:1], s[18:19], v[2:3]
	s_and_b64 s[0:1], vcc, s[0:1]
	v_add_co_u32_e32 v4, vcc, s24, v4
	v_addc_co_u32_e32 v5, vcc, v5, v15, vcc
	v_add_co_u32_e32 v6, vcc, s24, v6
	v_addc_co_u32_e32 v7, vcc, v7, v15, vcc
	s_and_b64 vcc, exec, s[0:1]
	s_cbranch_vccz .LBB305_20
.LBB305_4:                              ; =>This Inner Loop Header: Depth=1
	s_waitcnt vmcnt(0)
	v_mov_b32_e32 v17, s19
	v_add_co_u32_e32 v18, vcc, s18, v0
	v_addc_co_u32_e32 v19, vcc, 0, v17, vcc
	v_cmp_gt_u64_e64 s[6:7], s[16:17], v[18:19]
	v_mov_b32_e32 v19, 0
	s_and_saveexec_b64 s[0:1], s[6:7]
	s_cbranch_execz .LBB305_6
; %bb.5:                                ;   in Loop: Header=BB305_4 Depth=1
	global_load_ushort v19, v[4:5], off
.LBB305_6:                              ;   in Loop: Header=BB305_4 Depth=1
	s_or_b64 exec, exec, s[0:1]
	v_mov_b32_e32 v17, s19
	v_add_co_u32_e32 v20, vcc, s18, v13
	v_addc_co_u32_e32 v21, vcc, v14, v17, vcc
	v_cmp_gt_u64_e64 s[2:3], s[16:17], v[20:21]
	v_mov_b32_e32 v18, 0
	s_and_saveexec_b64 s[0:1], s[2:3]
	s_cbranch_execz .LBB305_8
; %bb.7:                                ;   in Loop: Header=BB305_4 Depth=1
	global_load_ushort v18, v[6:7], off
.LBB305_8:                              ;   in Loop: Header=BB305_4 Depth=1
	s_or_b64 exec, exec, s[0:1]
	v_mov_b32_e32 v17, s19
	v_add_co_u32_e32 v20, vcc, s18, v11
	v_addc_co_u32_e32 v21, vcc, v12, v17, vcc
	v_cmp_gt_u64_e64 s[0:1], s[16:17], v[20:21]
	v_mov_b32_e32 v17, 0
	v_mov_b32_e32 v20, 0
	s_and_saveexec_b64 s[8:9], s[0:1]
	s_cbranch_execz .LBB305_10
; %bb.9:                                ;   in Loop: Header=BB305_4 Depth=1
	v_mov_b32_e32 v21, s22
	v_add_co_u32_e32 v20, vcc, s23, v4
	v_addc_co_u32_e32 v21, vcc, v5, v21, vcc
	global_load_ushort v20, v[20:21], off
.LBB305_10:                             ;   in Loop: Header=BB305_4 Depth=1
	s_or_b64 exec, exec, s[8:9]
	v_mov_b32_e32 v21, s19
	v_add_co_u32_e32 v22, vcc, s18, v1
	v_addc_co_u32_e32 v23, vcc, v10, v21, vcc
	v_cmp_gt_u64_e32 vcc, s[16:17], v[22:23]
	s_and_saveexec_b64 s[20:21], vcc
	s_cbranch_execnz .LBB305_15
; %bb.11:                               ;   in Loop: Header=BB305_4 Depth=1
	s_or_b64 exec, exec, s[20:21]
	s_and_saveexec_b64 s[8:9], s[6:7]
	s_cbranch_execnz .LBB305_16
.LBB305_12:                             ;   in Loop: Header=BB305_4 Depth=1
	s_or_b64 exec, exec, s[8:9]
	s_and_saveexec_b64 s[6:7], s[2:3]
	s_cbranch_execnz .LBB305_17
.LBB305_13:                             ;   in Loop: Header=BB305_4 Depth=1
	s_or_b64 exec, exec, s[6:7]
	s_and_saveexec_b64 s[2:3], s[0:1]
	s_cbranch_execnz .LBB305_18
.LBB305_14:                             ;   in Loop: Header=BB305_4 Depth=1
	s_or_b64 exec, exec, s[2:3]
	s_and_saveexec_b64 s[0:1], vcc
	s_cbranch_execz .LBB305_3
	s_branch .LBB305_19
.LBB305_15:                             ;   in Loop: Header=BB305_4 Depth=1
	v_mov_b32_e32 v17, s26
	v_add_co_u32_e64 v22, s[8:9], s25, v4
	v_addc_co_u32_e64 v23, s[8:9], v5, v17, s[8:9]
	global_load_ushort v17, v[22:23], off
	s_or_b64 exec, exec, s[20:21]
	s_and_saveexec_b64 s[8:9], s[6:7]
	s_cbranch_execz .LBB305_12
.LBB305_16:                             ;   in Loop: Header=BB305_4 Depth=1
	s_waitcnt vmcnt(0)
	v_lshlrev_b32_e32 v19, 16, v19
	v_mul_f32_e32 v21, 0x4b800000, v19
	v_cmp_gt_f32_e64 s[6:7], s27, v19
	v_cndmask_b32_e64 v19, v19, v21, s[6:7]
	v_rsq_f32_e32 v19, v19
	v_mul_f32_e32 v21, 0x45800000, v19
	v_cndmask_b32_e64 v19, v19, v21, s[6:7]
	v_bfe_u32 v21, v19, 16, 1
	v_add3_u32 v21, v19, v21, s28
	v_lshrrev_b32_e32 v21, 16, v21
	v_cmp_o_f32_e64 s[6:7], v19, v19
	v_cndmask_b32_e64 v19, v16, v21, s[6:7]
	global_store_short v[4:5], v19, off
	s_or_b64 exec, exec, s[8:9]
	s_and_saveexec_b64 s[6:7], s[2:3]
	s_cbranch_execz .LBB305_13
.LBB305_17:                             ;   in Loop: Header=BB305_4 Depth=1
	s_waitcnt vmcnt(0)
	v_lshlrev_b32_e32 v18, 16, v18
	v_mul_f32_e32 v19, 0x4b800000, v18
	v_cmp_gt_f32_e64 s[2:3], s27, v18
	v_cndmask_b32_e64 v18, v18, v19, s[2:3]
	v_rsq_f32_e32 v18, v18
	v_mul_f32_e32 v19, 0x45800000, v18
	v_cndmask_b32_e64 v18, v18, v19, s[2:3]
	v_bfe_u32 v19, v18, 16, 1
	v_add3_u32 v19, v18, v19, s28
	v_lshrrev_b32_e32 v19, 16, v19
	v_cmp_o_f32_e64 s[2:3], v18, v18
	v_cndmask_b32_e64 v18, v16, v19, s[2:3]
	global_store_short v[6:7], v18, off
	s_or_b64 exec, exec, s[6:7]
	s_and_saveexec_b64 s[2:3], s[0:1]
	s_cbranch_execz .LBB305_14
.LBB305_18:                             ;   in Loop: Header=BB305_4 Depth=1
	s_waitcnt vmcnt(0)
	v_lshlrev_b32_e32 v18, 16, v20
	v_mul_f32_e32 v19, 0x4b800000, v18
	v_cmp_gt_f32_e64 s[0:1], s27, v18
	v_cndmask_b32_e64 v18, v18, v19, s[0:1]
	v_rsq_f32_e32 v18, v18
	v_mov_b32_e32 v19, s22
	v_mul_f32_e32 v20, 0x45800000, v18
	v_cndmask_b32_e64 v18, v18, v20, s[0:1]
	v_bfe_u32 v20, v18, 16, 1
	v_add3_u32 v20, v18, v20, s28
	v_lshrrev_b32_e32 v20, 16, v20
	v_cmp_o_f32_e64 s[0:1], v18, v18
	v_cndmask_b32_e64 v20, v16, v20, s[0:1]
	v_add_co_u32_e64 v18, s[0:1], s23, v4
	v_addc_co_u32_e64 v19, s[0:1], v5, v19, s[0:1]
	global_store_short v[18:19], v20, off
	s_or_b64 exec, exec, s[2:3]
	s_and_saveexec_b64 s[0:1], vcc
	s_cbranch_execz .LBB305_3
.LBB305_19:                             ;   in Loop: Header=BB305_4 Depth=1
	s_waitcnt vmcnt(0)
	v_lshlrev_b32_e32 v17, 16, v17
	v_mul_f32_e32 v18, 0x4b800000, v17
	v_cmp_gt_f32_e32 vcc, s27, v17
	v_cndmask_b32_e32 v17, v17, v18, vcc
	v_rsq_f32_e32 v17, v17
	v_mov_b32_e32 v19, s26
	v_mul_f32_e32 v18, 0x45800000, v17
	v_cndmask_b32_e32 v17, v17, v18, vcc
	v_bfe_u32 v18, v17, 16, 1
	v_add3_u32 v18, v17, v18, s28
	v_lshrrev_b32_e32 v18, 16, v18
	v_cmp_o_f32_e32 vcc, v17, v17
	v_cndmask_b32_e32 v17, v16, v18, vcc
	v_add_co_u32_e32 v18, vcc, s25, v4
	v_addc_co_u32_e32 v19, vcc, v5, v19, vcc
	global_store_short v[18:19], v17, off
	s_branch .LBB305_3
.LBB305_20:
	s_cbranch_execz .LBB305_22
	s_branch .LBB305_25
.LBB305_21:
.LBB305_22:
	v_mov_b32_e32 v3, 0
	v_lshlrev_b32_e32 v2, 2, v0
	s_mov_b32 s0, 0
	v_cmp_gt_i64_e32 vcc, s[10:11], v[2:3]
	s_and_saveexec_b64 s[2:3], vcc
	s_cbranch_execz .LBB305_25
; %bb.23:
	s_load_dword s1, s[4:5], 0xd3c
	v_lshlrev_b32_e32 v1, 3, v0
	s_mov_b64 s[6:7], 0
	s_mov_b64 s[8:9], 0xffff
	v_mov_b32_e32 v6, s0
	s_waitcnt lgkmcnt(0)
	s_and_b32 s1, s1, 0xffff
	s_add_u32 s2, s12, s14
	s_addc_u32 s3, s13, s15
	v_mov_b32_e32 v2, s3
	v_add_co_u32_e32 v4, vcc, s2, v1
	v_addc_co_u32_e32 v5, vcc, 0, v2, vcc
	s_lshl_b32 s12, s1, 3
	v_add_lshl_u32 v2, v0, s1, 2
	s_lshl_b32 s13, s1, 2
	s_mov_b32 s14, 0x800000
	s_movk_i32 s15, 0x7fff
	v_mov_b32_e32 v0, 0x7fc00000
	v_mov_b32_e32 v1, 0x7fc0
	;; [unrolled: 1-line block ×3, first 2 shown]
.LBB305_24:                             ; =>This Inner Loop Header: Depth=1
	global_load_dwordx2 v[8:9], v[4:5], off
	v_cmp_le_i64_e32 vcc, s[10:11], v[2:3]
	v_cmp_lt_u64_e64 s[0:1], s[8:9], v[2:3]
	s_or_b64 s[0:1], vcc, s[0:1]
	s_and_b64 s[0:1], exec, s[0:1]
	s_or_b64 s[6:7], s[0:1], s[6:7]
	s_waitcnt vmcnt(0)
	v_and_b32_e32 v10, 0xffff0000, v8
	v_lshlrev_b32_e32 v11, 16, v8
	v_alignbit_b32 v8, v9, v8, 16
	v_and_b32_e32 v9, 0xffff0000, v9
	v_mul_f32_e32 v12, 0x4b800000, v11
	v_and_b32_e32 v8, 0xffff0000, v8
	v_mul_f32_e32 v14, 0x4b800000, v9
	v_cmp_gt_f32_e32 vcc, s14, v11
	v_cmp_gt_f32_e64 s[2:3], s14, v9
	v_mul_f32_e32 v13, 0x4b800000, v10
	v_cndmask_b32_e32 v11, v11, v12, vcc
	v_cmp_gt_f32_e64 s[0:1], s14, v10
	v_mul_f32_e32 v12, 0x4b800000, v8
	v_cndmask_b32_e64 v9, v9, v14, s[2:3]
	v_cmp_gt_f32_e64 s[4:5], s14, v8
	v_cndmask_b32_e64 v10, v10, v13, s[0:1]
	v_rsq_f32_e32 v11, v11
	v_cndmask_b32_e64 v8, v8, v12, s[4:5]
	v_rsq_f32_e32 v9, v9
	v_rsq_f32_e32 v10, v10
	v_rsq_f32_e32 v8, v8
	v_mul_f32_e32 v12, 0x45800000, v11
	v_mul_f32_e32 v14, 0x45800000, v9
	v_mul_f32_e32 v13, 0x45800000, v10
	v_cndmask_b32_e32 v11, v11, v12, vcc
	v_mul_f32_e32 v12, 0x45800000, v8
	v_cndmask_b32_e64 v9, v9, v14, s[2:3]
	v_cndmask_b32_e64 v10, v10, v13, s[0:1]
	;; [unrolled: 1-line block ×3, first 2 shown]
	v_bfe_u32 v12, v9, 16, 1
	v_bfe_u32 v14, v10, 16, 1
	v_add3_u32 v12, v9, v12, s15
	v_bfe_u32 v13, v11, 16, 1
	v_add3_u32 v14, v10, v14, s15
	v_and_b32_e32 v12, 0xffff0000, v12
	v_cmp_o_f32_e32 vcc, v9, v9
	v_add3_u32 v13, v11, v13, s15
	v_bfe_u32 v15, v8, 16, 1
	v_and_b32_e32 v14, 0xffff0000, v14
	v_cndmask_b32_e32 v9, v0, v12, vcc
	v_cmp_o_f32_e32 vcc, v10, v10
	v_lshrrev_b32_e32 v13, 16, v13
	v_add3_u32 v15, v8, v15, s15
	v_cndmask_b32_e32 v10, v0, v14, vcc
	v_cmp_o_f32_e32 vcc, v11, v11
	v_lshrrev_b32_e32 v15, 16, v15
	v_cndmask_b32_e32 v11, v1, v13, vcc
	v_cmp_o_f32_e32 vcc, v8, v8
	v_cndmask_b32_e32 v8, v1, v15, vcc
	v_or_b32_e32 v10, v11, v10
	v_or3_b32 v9, 0, v8, v9
	v_or3_b32 v8, v10, 0, 0
	global_store_dwordx2 v[4:5], v[8:9], off
	v_add_co_u32_e32 v4, vcc, s12, v4
	v_addc_co_u32_e32 v5, vcc, v5, v6, vcc
	v_add_co_u32_e32 v2, vcc, s13, v2
	v_addc_co_u32_e32 v3, vcc, v3, v7, vcc
	s_andn2_b64 exec, exec, s[6:7]
	s_cbranch_execnz .LBB305_24
.LBB305_25:
	s_endpgm
	.section	.rodata,"a",@progbits
	.p2align	6, 0x0
	.amdhsa_kernel _ZN2at6native12_GLOBAL__N_125multi_tensor_apply_kernelINS1_18TensorListMetadataILi1EEENS1_14UnaryOpFunctorIN3c108BFloat16ELi1ELi1ELi0EEEJNS0_5RsqrtIfEEEEEvT_T0_DpT1_
		.amdhsa_group_segment_fixed_size 0
		.amdhsa_private_segment_fixed_size 0
		.amdhsa_kernarg_size 3632
		.amdhsa_user_sgpr_count 6
		.amdhsa_user_sgpr_private_segment_buffer 1
		.amdhsa_user_sgpr_dispatch_ptr 0
		.amdhsa_user_sgpr_queue_ptr 0
		.amdhsa_user_sgpr_kernarg_segment_ptr 1
		.amdhsa_user_sgpr_dispatch_id 0
		.amdhsa_user_sgpr_flat_scratch_init 0
		.amdhsa_user_sgpr_kernarg_preload_length 0
		.amdhsa_user_sgpr_kernarg_preload_offset 0
		.amdhsa_user_sgpr_private_segment_size 0
		.amdhsa_uses_dynamic_stack 0
		.amdhsa_system_sgpr_private_segment_wavefront_offset 0
		.amdhsa_system_sgpr_workgroup_id_x 1
		.amdhsa_system_sgpr_workgroup_id_y 0
		.amdhsa_system_sgpr_workgroup_id_z 0
		.amdhsa_system_sgpr_workgroup_info 0
		.amdhsa_system_vgpr_workitem_id 0
		.amdhsa_next_free_vgpr 24
		.amdhsa_next_free_sgpr 29
		.amdhsa_accum_offset 24
		.amdhsa_reserve_vcc 1
		.amdhsa_reserve_flat_scratch 0
		.amdhsa_float_round_mode_32 0
		.amdhsa_float_round_mode_16_64 0
		.amdhsa_float_denorm_mode_32 3
		.amdhsa_float_denorm_mode_16_64 3
		.amdhsa_dx10_clamp 1
		.amdhsa_ieee_mode 1
		.amdhsa_fp16_overflow 0
		.amdhsa_tg_split 0
		.amdhsa_exception_fp_ieee_invalid_op 0
		.amdhsa_exception_fp_denorm_src 0
		.amdhsa_exception_fp_ieee_div_zero 0
		.amdhsa_exception_fp_ieee_overflow 0
		.amdhsa_exception_fp_ieee_underflow 0
		.amdhsa_exception_fp_ieee_inexact 0
		.amdhsa_exception_int_div_zero 0
	.end_amdhsa_kernel
	.section	.text._ZN2at6native12_GLOBAL__N_125multi_tensor_apply_kernelINS1_18TensorListMetadataILi1EEENS1_14UnaryOpFunctorIN3c108BFloat16ELi1ELi1ELi0EEEJNS0_5RsqrtIfEEEEEvT_T0_DpT1_,"axG",@progbits,_ZN2at6native12_GLOBAL__N_125multi_tensor_apply_kernelINS1_18TensorListMetadataILi1EEENS1_14UnaryOpFunctorIN3c108BFloat16ELi1ELi1ELi0EEEJNS0_5RsqrtIfEEEEEvT_T0_DpT1_,comdat
.Lfunc_end305:
	.size	_ZN2at6native12_GLOBAL__N_125multi_tensor_apply_kernelINS1_18TensorListMetadataILi1EEENS1_14UnaryOpFunctorIN3c108BFloat16ELi1ELi1ELi0EEEJNS0_5RsqrtIfEEEEEvT_T0_DpT1_, .Lfunc_end305-_ZN2at6native12_GLOBAL__N_125multi_tensor_apply_kernelINS1_18TensorListMetadataILi1EEENS1_14UnaryOpFunctorIN3c108BFloat16ELi1ELi1ELi0EEEJNS0_5RsqrtIfEEEEEvT_T0_DpT1_
                                        ; -- End function
	.section	.AMDGPU.csdata,"",@progbits
; Kernel info:
; codeLenInByte = 1644
; NumSgprs: 33
; NumVgprs: 24
; NumAgprs: 0
; TotalNumVgprs: 24
; ScratchSize: 0
; MemoryBound: 0
; FloatMode: 240
; IeeeMode: 1
; LDSByteSize: 0 bytes/workgroup (compile time only)
; SGPRBlocks: 4
; VGPRBlocks: 2
; NumSGPRsForWavesPerEU: 33
; NumVGPRsForWavesPerEU: 24
; AccumOffset: 24
; Occupancy: 8
; WaveLimiterHint : 0
; COMPUTE_PGM_RSRC2:SCRATCH_EN: 0
; COMPUTE_PGM_RSRC2:USER_SGPR: 6
; COMPUTE_PGM_RSRC2:TRAP_HANDLER: 0
; COMPUTE_PGM_RSRC2:TGID_X_EN: 1
; COMPUTE_PGM_RSRC2:TGID_Y_EN: 0
; COMPUTE_PGM_RSRC2:TGID_Z_EN: 0
; COMPUTE_PGM_RSRC2:TIDIG_COMP_CNT: 0
; COMPUTE_PGM_RSRC3_GFX90A:ACCUM_OFFSET: 5
; COMPUTE_PGM_RSRC3_GFX90A:TG_SPLIT: 0
	.section	.text._ZN2at6native12_GLOBAL__N_125multi_tensor_apply_kernelINS1_18TensorListMetadataILi2EEENS1_14UnaryOpFunctorIhLi2ELi1ELi1EEEJSt6negateIhEEEEvT_T0_DpT1_,"axG",@progbits,_ZN2at6native12_GLOBAL__N_125multi_tensor_apply_kernelINS1_18TensorListMetadataILi2EEENS1_14UnaryOpFunctorIhLi2ELi1ELi1EEEJSt6negateIhEEEEvT_T0_DpT1_,comdat
	.globl	_ZN2at6native12_GLOBAL__N_125multi_tensor_apply_kernelINS1_18TensorListMetadataILi2EEENS1_14UnaryOpFunctorIhLi2ELi1ELi1EEEJSt6negateIhEEEEvT_T0_DpT1_ ; -- Begin function _ZN2at6native12_GLOBAL__N_125multi_tensor_apply_kernelINS1_18TensorListMetadataILi2EEENS1_14UnaryOpFunctorIhLi2ELi1ELi1EEEJSt6negateIhEEEEvT_T0_DpT1_
	.p2align	8
	.type	_ZN2at6native12_GLOBAL__N_125multi_tensor_apply_kernelINS1_18TensorListMetadataILi2EEENS1_14UnaryOpFunctorIhLi2ELi1ELi1EEEJSt6negateIhEEEEvT_T0_DpT1_,@function
_ZN2at6native12_GLOBAL__N_125multi_tensor_apply_kernelINS1_18TensorListMetadataILi2EEENS1_14UnaryOpFunctorIhLi2ELi1ELi1EEEJSt6negateIhEEEEvT_T0_DpT1_: ; @_ZN2at6native12_GLOBAL__N_125multi_tensor_apply_kernelINS1_18TensorListMetadataILi2EEENS1_14UnaryOpFunctorIhLi2ELi1ELi1EEEJSt6negateIhEEEEvT_T0_DpT1_
; %bb.0:
	v_mov_b32_e32 v1, s6
	global_load_ubyte v1, v1, s[4:5] offset:1536
	s_add_u32 s0, s4, s6
	s_mul_hi_u32 s1, s6, 3
	s_mul_i32 s6, s6, 3
	s_addc_u32 s2, s5, 0
	s_add_u32 s0, s0, s6
	s_addc_u32 s1, s2, s1
	s_load_dword s0, s[0:1], 0x740
	s_waitcnt vmcnt(0)
	v_readfirstlane_b32 s2, v1
	s_lshl_b32 s1, s2, 3
	s_load_dwordx2 s[2:3], s[4:5], s1 offset:0x0
	s_load_dwordx2 s[12:13], s[4:5], s1 offset:0x400
	;; [unrolled: 1-line block ×3, first 2 shown]
	s_waitcnt lgkmcnt(0)
	s_ashr_i32 s1, s0, 31
	s_lshl_b64 s[10:11], s[0:1], 16
	s_add_u32 s8, s2, s10
	s_addc_u32 s9, s3, s11
	s_add_u32 s20, s6, s10
	s_addc_u32 s18, s7, s11
	s_or_b64 s[0:1], s[12:13], s[8:9]
	s_or_b32 s0, s20, s0
	s_and_b32 s0, s0, 3
	s_sub_u32 s12, s12, s10
	s_subb_u32 s13, s13, s11
	s_cmp_eq_u32 s0, 0
	s_mov_b64 s[0:1], -1
	s_cbranch_scc0 .LBB306_5
; %bb.1:
	v_lshlrev_b32_e32 v2, 2, v0
	v_mov_b32_e32 v3, 0
	v_cmp_gt_i64_e32 vcc, s[12:13], v[2:3]
	s_and_saveexec_b64 s[14:15], vcc
	s_cbranch_execz .LBB306_4
; %bb.2:
	s_load_dword s0, s[4:5], 0xc5c
	s_mov_b32 s1, 0
	s_mov_b64 s[16:17], 0
	v_mov_b32_e32 v1, s9
	v_mov_b32_e32 v4, s18
	s_waitcnt lgkmcnt(0)
	s_and_b32 s0, s0, 0xffff
	s_lshl_b32 s9, s0, 2
	v_mov_b32_e32 v5, s1
	s_mov_b64 s[18:19], 0xffff
.LBB306_3:                              ; =>This Inner Loop Header: Depth=1
	v_add_co_u32_e32 v6, vcc, s8, v2
	v_addc_co_u32_e32 v7, vcc, v1, v3, vcc
	global_load_dword v8, v[6:7], off
	v_add_co_u32_e32 v6, vcc, s20, v2
	v_addc_co_u32_e32 v7, vcc, v4, v3, vcc
	v_add_co_u32_e32 v2, vcc, s9, v2
	v_addc_co_u32_e32 v3, vcc, v5, v3, vcc
	v_cmp_le_i64_e32 vcc, s[12:13], v[2:3]
	v_cmp_lt_u64_e64 s[0:1], s[18:19], v[2:3]
	s_or_b64 s[0:1], vcc, s[0:1]
	s_and_b64 s[0:1], exec, s[0:1]
	s_or_b64 s[16:17], s[0:1], s[16:17]
	s_waitcnt vmcnt(0)
	v_and_b32_e32 v10, 0xff0000, v8
	v_and_b32_e32 v9, 0xff00, v8
	v_sub_u32_e32 v10, 0, v10
	v_and_b32_e32 v11, 0xff000000, v8
	v_sub_u32_e32 v8, 0, v8
	v_sub_u32_e32 v9, 0, v9
	v_and_b32_e32 v10, 0xff0000, v10
	v_and_b32_e32 v8, 0xff, v8
	;; [unrolled: 1-line block ×3, first 2 shown]
	v_sub_u32_e32 v10, v10, v11
	v_or3_b32 v8, v10, v9, v8
	global_store_dword v[6:7], v8, off
	s_andn2_b64 exec, exec, s[16:17]
	s_cbranch_execnz .LBB306_3
.LBB306_4:
	s_or_b64 exec, exec, s[14:15]
	s_mov_b64 s[0:1], 0
.LBB306_5:
	s_andn2_b64 vcc, exec, s[0:1]
	s_cbranch_vccnz .LBB306_25
; %bb.6:
	v_cmp_lt_i64_e64 s[0:1], s[12:13], 1
	s_and_b64 vcc, exec, s[0:1]
	s_cbranch_vccnz .LBB306_25
; %bb.7:
	s_load_dword s0, s[4:5], 0xc5c
	v_mov_b32_e32 v2, 0x10000
	v_mov_b32_e32 v3, 0
	v_cmp_lt_u64_e32 vcc, s[12:13], v[2:3]
	v_mov_b32_e32 v1, s11
	s_waitcnt lgkmcnt(0)
	s_and_b32 s4, s0, 0xffff
	s_and_b64 s[0:1], vcc, exec
	v_add_co_u32_e32 v2, vcc, s10, v0
	v_addc_co_u32_e32 v3, vcc, 0, v1, vcc
	v_mov_b32_e32 v20, s3
	v_add_co_u32_e32 v1, vcc, s2, v2
	s_cselect_b32 s9, s13, 0
	s_cselect_b32 s8, s12, 0x10000
	s_lshl_b32 s5, s4, 1
	s_mul_i32 s0, s4, 3
	s_lshl_b32 s14, s4, 2
	v_addc_co_u32_e32 v4, vcc, v20, v3, vcc
	v_mov_b32_e32 v22, s7
	v_add_co_u32_e32 v5, vcc, s6, v2
	s_add_u32 s1, s10, s0
	v_addc_co_u32_e32 v6, vcc, v22, v3, vcc
	s_addc_u32 s3, s11, 0
	v_mov_b32_e32 v7, s3
	v_add_co_u32_e32 v9, vcc, s1, v0
	v_addc_co_u32_e32 v10, vcc, 0, v7, vcc
	v_add_co_u32_e32 v7, vcc, s2, v9
	v_addc_co_u32_e32 v8, vcc, v20, v10, vcc
	;; [unrolled: 2-line block ×3, first 2 shown]
	v_add_co_u32_e32 v11, vcc, s0, v0
	v_addc_co_u32_e64 v12, s[0:1], 0, 0, vcc
	s_add_u32 s0, s10, s5
	s_addc_u32 s1, s11, 0
	v_mov_b32_e32 v13, s1
	v_add_co_u32_e32 v15, vcc, s0, v0
	v_addc_co_u32_e32 v16, vcc, 0, v13, vcc
	v_add_co_u32_e32 v13, vcc, s2, v15
	v_addc_co_u32_e32 v14, vcc, v20, v16, vcc
	;; [unrolled: 2-line block ×3, first 2 shown]
	v_add_co_u32_e32 v17, vcc, s5, v0
	v_addc_co_u32_e64 v18, s[0:1], 0, 0, vcc
	v_add_co_u32_e32 v2, vcc, s4, v2
	v_addc_co_u32_e32 v3, vcc, 0, v3, vcc
	v_add_co_u32_e32 v19, vcc, s2, v2
	v_addc_co_u32_e32 v20, vcc, v20, v3, vcc
	;; [unrolled: 2-line block ×3, first 2 shown]
	v_add_co_u32_e32 v23, vcc, s4, v0
	v_addc_co_u32_e64 v24, s[0:1], 0, 0, vcc
	s_mov_b64 s[10:11], 0
	v_pk_mov_b32 v[2:3], s[12:13], s[12:13] op_sel:[0,1]
	s_branch .LBB306_9
.LBB306_8:                              ;   in Loop: Header=BB306_9 Depth=1
	s_or_b64 exec, exec, s[0:1]
	s_add_u32 s10, s10, s14
	s_waitcnt vmcnt(0)
	v_mov_b32_e32 v26, 0xffff
	s_addc_u32 s11, s11, 0
	v_mov_b32_e32 v27, 0
	v_cmp_ge_i64_e32 vcc, s[10:11], v[2:3]
	v_cmp_gt_u64_e64 s[0:1], s[10:11], v[26:27]
	s_or_b64 s[0:1], vcc, s[0:1]
	s_and_b64 vcc, exec, s[0:1]
	s_cbranch_vccnz .LBB306_25
.LBB306_9:                              ; =>This Inner Loop Header: Depth=1
	v_mov_b32_e32 v25, s11
	v_add_co_u32_e32 v26, vcc, s10, v0
	v_addc_co_u32_e32 v27, vcc, 0, v25, vcc
	v_cmp_gt_u64_e32 vcc, s[8:9], v[26:27]
	v_mov_b32_e32 v25, 0
	s_and_saveexec_b64 s[2:3], vcc
	s_cbranch_execz .LBB306_11
; %bb.10:                               ;   in Loop: Header=BB306_9 Depth=1
	v_mov_b32_e32 v25, s11
	v_add_co_u32_e64 v26, s[0:1], s10, v1
	v_addc_co_u32_e64 v27, s[0:1], v4, v25, s[0:1]
	global_load_ubyte v25, v[26:27], off
.LBB306_11:                             ;   in Loop: Header=BB306_9 Depth=1
	s_or_b64 exec, exec, s[2:3]
	v_mov_b32_e32 v27, s11
	v_add_co_u32_e64 v26, s[0:1], s10, v23
	v_addc_co_u32_e64 v27, s[0:1], v24, v27, s[0:1]
	v_cmp_gt_u64_e64 s[0:1], s[8:9], v[26:27]
	v_mov_b32_e32 v27, 0
	s_and_saveexec_b64 s[4:5], s[0:1]
	s_cbranch_execz .LBB306_13
; %bb.12:                               ;   in Loop: Header=BB306_9 Depth=1
	v_mov_b32_e32 v27, s11
	v_add_co_u32_e64 v26, s[2:3], s10, v19
	v_addc_co_u32_e64 v27, s[2:3], v20, v27, s[2:3]
	global_load_ubyte v27, v[26:27], off
.LBB306_13:                             ;   in Loop: Header=BB306_9 Depth=1
	s_or_b64 exec, exec, s[4:5]
	v_mov_b32_e32 v26, s11
	v_add_co_u32_e64 v28, s[2:3], s10, v17
	v_addc_co_u32_e64 v29, s[2:3], v18, v26, s[2:3]
	v_cmp_gt_u64_e64 s[2:3], s[8:9], v[28:29]
	v_mov_b32_e32 v26, 0
	v_mov_b32_e32 v28, 0
	s_and_saveexec_b64 s[6:7], s[2:3]
	s_cbranch_execz .LBB306_15
; %bb.14:                               ;   in Loop: Header=BB306_9 Depth=1
	v_mov_b32_e32 v29, s11
	v_add_co_u32_e64 v28, s[4:5], s10, v13
	v_addc_co_u32_e64 v29, s[4:5], v14, v29, s[4:5]
	global_load_ubyte v28, v[28:29], off
.LBB306_15:                             ;   in Loop: Header=BB306_9 Depth=1
	s_or_b64 exec, exec, s[6:7]
	v_mov_b32_e32 v29, s11
	v_add_co_u32_e64 v30, s[4:5], s10, v11
	v_addc_co_u32_e64 v31, s[4:5], v12, v29, s[4:5]
	v_cmp_gt_u64_e64 s[4:5], s[8:9], v[30:31]
	s_and_saveexec_b64 s[12:13], s[4:5]
	s_cbranch_execnz .LBB306_20
; %bb.16:                               ;   in Loop: Header=BB306_9 Depth=1
	s_or_b64 exec, exec, s[12:13]
	s_and_saveexec_b64 s[6:7], vcc
	s_cbranch_execnz .LBB306_21
.LBB306_17:                             ;   in Loop: Header=BB306_9 Depth=1
	s_or_b64 exec, exec, s[6:7]
	s_and_saveexec_b64 s[6:7], s[0:1]
	s_cbranch_execnz .LBB306_22
.LBB306_18:                             ;   in Loop: Header=BB306_9 Depth=1
	s_or_b64 exec, exec, s[6:7]
	s_and_saveexec_b64 s[0:1], s[2:3]
	s_cbranch_execnz .LBB306_23
.LBB306_19:                             ;   in Loop: Header=BB306_9 Depth=1
	s_or_b64 exec, exec, s[0:1]
	s_and_saveexec_b64 s[0:1], s[4:5]
	s_cbranch_execz .LBB306_8
	s_branch .LBB306_24
.LBB306_20:                             ;   in Loop: Header=BB306_9 Depth=1
	v_mov_b32_e32 v26, s11
	v_add_co_u32_e64 v30, s[6:7], s10, v7
	v_addc_co_u32_e64 v31, s[6:7], v8, v26, s[6:7]
	global_load_ubyte v26, v[30:31], off
	s_or_b64 exec, exec, s[12:13]
	s_and_saveexec_b64 s[6:7], vcc
	s_cbranch_execz .LBB306_17
.LBB306_21:                             ;   in Loop: Header=BB306_9 Depth=1
	v_mov_b32_e32 v29, s11
	v_add_co_u32_e32 v30, vcc, s10, v5
	v_addc_co_u32_e32 v31, vcc, v6, v29, vcc
	s_waitcnt vmcnt(0)
	v_sub_u16_e32 v25, 0, v25
	global_store_byte v[30:31], v25, off
	s_or_b64 exec, exec, s[6:7]
	s_and_saveexec_b64 s[6:7], s[0:1]
	s_cbranch_execz .LBB306_18
.LBB306_22:                             ;   in Loop: Header=BB306_9 Depth=1
	s_waitcnt vmcnt(0)
	v_sub_u16_e32 v25, 0, v27
	v_mov_b32_e32 v27, s11
	v_add_co_u32_e32 v30, vcc, s10, v21
	v_addc_co_u32_e32 v31, vcc, v22, v27, vcc
	global_store_byte v[30:31], v25, off
	s_or_b64 exec, exec, s[6:7]
	s_and_saveexec_b64 s[0:1], s[2:3]
	s_cbranch_execz .LBB306_19
.LBB306_23:                             ;   in Loop: Header=BB306_9 Depth=1
	s_waitcnt vmcnt(0)
	v_sub_u16_e32 v25, 0, v28
	v_mov_b32_e32 v27, s11
	v_add_co_u32_e32 v28, vcc, s10, v15
	v_addc_co_u32_e32 v29, vcc, v16, v27, vcc
	global_store_byte v[28:29], v25, off
	s_or_b64 exec, exec, s[0:1]
	s_and_saveexec_b64 s[0:1], s[4:5]
	s_cbranch_execz .LBB306_8
.LBB306_24:                             ;   in Loop: Header=BB306_9 Depth=1
	s_waitcnt vmcnt(0)
	v_sub_u16_e32 v25, 0, v26
	v_mov_b32_e32 v27, s11
	v_add_co_u32_e32 v26, vcc, s10, v9
	v_addc_co_u32_e32 v27, vcc, v10, v27, vcc
	global_store_byte v[26:27], v25, off
	s_branch .LBB306_8
.LBB306_25:
	s_endpgm
	.section	.rodata,"a",@progbits
	.p2align	6, 0x0
	.amdhsa_kernel _ZN2at6native12_GLOBAL__N_125multi_tensor_apply_kernelINS1_18TensorListMetadataILi2EEENS1_14UnaryOpFunctorIhLi2ELi1ELi1EEEJSt6negateIhEEEEvT_T0_DpT1_
		.amdhsa_group_segment_fixed_size 0
		.amdhsa_private_segment_fixed_size 0
		.amdhsa_kernarg_size 3408
		.amdhsa_user_sgpr_count 6
		.amdhsa_user_sgpr_private_segment_buffer 1
		.amdhsa_user_sgpr_dispatch_ptr 0
		.amdhsa_user_sgpr_queue_ptr 0
		.amdhsa_user_sgpr_kernarg_segment_ptr 1
		.amdhsa_user_sgpr_dispatch_id 0
		.amdhsa_user_sgpr_flat_scratch_init 0
		.amdhsa_user_sgpr_kernarg_preload_length 0
		.amdhsa_user_sgpr_kernarg_preload_offset 0
		.amdhsa_user_sgpr_private_segment_size 0
		.amdhsa_uses_dynamic_stack 0
		.amdhsa_system_sgpr_private_segment_wavefront_offset 0
		.amdhsa_system_sgpr_workgroup_id_x 1
		.amdhsa_system_sgpr_workgroup_id_y 0
		.amdhsa_system_sgpr_workgroup_id_z 0
		.amdhsa_system_sgpr_workgroup_info 0
		.amdhsa_system_vgpr_workitem_id 0
		.amdhsa_next_free_vgpr 32
		.amdhsa_next_free_sgpr 21
		.amdhsa_accum_offset 32
		.amdhsa_reserve_vcc 1
		.amdhsa_reserve_flat_scratch 0
		.amdhsa_float_round_mode_32 0
		.amdhsa_float_round_mode_16_64 0
		.amdhsa_float_denorm_mode_32 3
		.amdhsa_float_denorm_mode_16_64 3
		.amdhsa_dx10_clamp 1
		.amdhsa_ieee_mode 1
		.amdhsa_fp16_overflow 0
		.amdhsa_tg_split 0
		.amdhsa_exception_fp_ieee_invalid_op 0
		.amdhsa_exception_fp_denorm_src 0
		.amdhsa_exception_fp_ieee_div_zero 0
		.amdhsa_exception_fp_ieee_overflow 0
		.amdhsa_exception_fp_ieee_underflow 0
		.amdhsa_exception_fp_ieee_inexact 0
		.amdhsa_exception_int_div_zero 0
	.end_amdhsa_kernel
	.section	.text._ZN2at6native12_GLOBAL__N_125multi_tensor_apply_kernelINS1_18TensorListMetadataILi2EEENS1_14UnaryOpFunctorIhLi2ELi1ELi1EEEJSt6negateIhEEEEvT_T0_DpT1_,"axG",@progbits,_ZN2at6native12_GLOBAL__N_125multi_tensor_apply_kernelINS1_18TensorListMetadataILi2EEENS1_14UnaryOpFunctorIhLi2ELi1ELi1EEEJSt6negateIhEEEEvT_T0_DpT1_,comdat
.Lfunc_end306:
	.size	_ZN2at6native12_GLOBAL__N_125multi_tensor_apply_kernelINS1_18TensorListMetadataILi2EEENS1_14UnaryOpFunctorIhLi2ELi1ELi1EEEJSt6negateIhEEEEvT_T0_DpT1_, .Lfunc_end306-_ZN2at6native12_GLOBAL__N_125multi_tensor_apply_kernelINS1_18TensorListMetadataILi2EEENS1_14UnaryOpFunctorIhLi2ELi1ELi1EEEJSt6negateIhEEEEvT_T0_DpT1_
                                        ; -- End function
	.section	.AMDGPU.csdata,"",@progbits
; Kernel info:
; codeLenInByte = 1184
; NumSgprs: 25
; NumVgprs: 32
; NumAgprs: 0
; TotalNumVgprs: 32
; ScratchSize: 0
; MemoryBound: 0
; FloatMode: 240
; IeeeMode: 1
; LDSByteSize: 0 bytes/workgroup (compile time only)
; SGPRBlocks: 3
; VGPRBlocks: 3
; NumSGPRsForWavesPerEU: 25
; NumVGPRsForWavesPerEU: 32
; AccumOffset: 32
; Occupancy: 8
; WaveLimiterHint : 0
; COMPUTE_PGM_RSRC2:SCRATCH_EN: 0
; COMPUTE_PGM_RSRC2:USER_SGPR: 6
; COMPUTE_PGM_RSRC2:TRAP_HANDLER: 0
; COMPUTE_PGM_RSRC2:TGID_X_EN: 1
; COMPUTE_PGM_RSRC2:TGID_Y_EN: 0
; COMPUTE_PGM_RSRC2:TGID_Z_EN: 0
; COMPUTE_PGM_RSRC2:TIDIG_COMP_CNT: 0
; COMPUTE_PGM_RSRC3_GFX90A:ACCUM_OFFSET: 7
; COMPUTE_PGM_RSRC3_GFX90A:TG_SPLIT: 0
	.section	.text._ZN2at6native12_GLOBAL__N_125multi_tensor_apply_kernelINS1_18TensorListMetadataILi2EEENS1_14UnaryOpFunctorIaLi2ELi1ELi1EEEJSt6negateIaEEEEvT_T0_DpT1_,"axG",@progbits,_ZN2at6native12_GLOBAL__N_125multi_tensor_apply_kernelINS1_18TensorListMetadataILi2EEENS1_14UnaryOpFunctorIaLi2ELi1ELi1EEEJSt6negateIaEEEEvT_T0_DpT1_,comdat
	.globl	_ZN2at6native12_GLOBAL__N_125multi_tensor_apply_kernelINS1_18TensorListMetadataILi2EEENS1_14UnaryOpFunctorIaLi2ELi1ELi1EEEJSt6negateIaEEEEvT_T0_DpT1_ ; -- Begin function _ZN2at6native12_GLOBAL__N_125multi_tensor_apply_kernelINS1_18TensorListMetadataILi2EEENS1_14UnaryOpFunctorIaLi2ELi1ELi1EEEJSt6negateIaEEEEvT_T0_DpT1_
	.p2align	8
	.type	_ZN2at6native12_GLOBAL__N_125multi_tensor_apply_kernelINS1_18TensorListMetadataILi2EEENS1_14UnaryOpFunctorIaLi2ELi1ELi1EEEJSt6negateIaEEEEvT_T0_DpT1_,@function
_ZN2at6native12_GLOBAL__N_125multi_tensor_apply_kernelINS1_18TensorListMetadataILi2EEENS1_14UnaryOpFunctorIaLi2ELi1ELi1EEEJSt6negateIaEEEEvT_T0_DpT1_: ; @_ZN2at6native12_GLOBAL__N_125multi_tensor_apply_kernelINS1_18TensorListMetadataILi2EEENS1_14UnaryOpFunctorIaLi2ELi1ELi1EEEJSt6negateIaEEEEvT_T0_DpT1_
; %bb.0:
	v_mov_b32_e32 v1, s6
	global_load_ubyte v1, v1, s[4:5] offset:1536
	s_add_u32 s0, s4, s6
	s_mul_hi_u32 s1, s6, 3
	s_mul_i32 s6, s6, 3
	s_addc_u32 s2, s5, 0
	s_add_u32 s0, s0, s6
	s_addc_u32 s1, s2, s1
	s_load_dword s0, s[0:1], 0x740
	s_waitcnt vmcnt(0)
	v_readfirstlane_b32 s2, v1
	s_lshl_b32 s1, s2, 3
	s_load_dwordx2 s[2:3], s[4:5], s1 offset:0x0
	s_load_dwordx2 s[12:13], s[4:5], s1 offset:0x400
	;; [unrolled: 1-line block ×3, first 2 shown]
	s_waitcnt lgkmcnt(0)
	s_ashr_i32 s1, s0, 31
	s_lshl_b64 s[10:11], s[0:1], 16
	s_add_u32 s8, s2, s10
	s_addc_u32 s9, s3, s11
	s_add_u32 s20, s6, s10
	s_addc_u32 s18, s7, s11
	s_or_b64 s[0:1], s[12:13], s[8:9]
	s_or_b32 s0, s20, s0
	s_and_b32 s0, s0, 3
	s_sub_u32 s12, s12, s10
	s_subb_u32 s13, s13, s11
	s_cmp_eq_u32 s0, 0
	s_mov_b64 s[0:1], -1
	s_cbranch_scc0 .LBB307_5
; %bb.1:
	v_lshlrev_b32_e32 v2, 2, v0
	v_mov_b32_e32 v3, 0
	v_cmp_gt_i64_e32 vcc, s[12:13], v[2:3]
	s_and_saveexec_b64 s[14:15], vcc
	s_cbranch_execz .LBB307_4
; %bb.2:
	s_load_dword s0, s[4:5], 0xc5c
	s_mov_b32 s1, 0
	s_mov_b64 s[16:17], 0
	v_mov_b32_e32 v1, s9
	v_mov_b32_e32 v4, s18
	s_waitcnt lgkmcnt(0)
	s_and_b32 s0, s0, 0xffff
	s_lshl_b32 s9, s0, 2
	v_mov_b32_e32 v5, s1
	s_mov_b64 s[18:19], 0xffff
.LBB307_3:                              ; =>This Inner Loop Header: Depth=1
	v_add_co_u32_e32 v6, vcc, s8, v2
	v_addc_co_u32_e32 v7, vcc, v1, v3, vcc
	global_load_dword v8, v[6:7], off
	v_add_co_u32_e32 v6, vcc, s20, v2
	v_addc_co_u32_e32 v7, vcc, v4, v3, vcc
	v_add_co_u32_e32 v2, vcc, s9, v2
	v_addc_co_u32_e32 v3, vcc, v5, v3, vcc
	v_cmp_le_i64_e32 vcc, s[12:13], v[2:3]
	v_cmp_lt_u64_e64 s[0:1], s[18:19], v[2:3]
	s_or_b64 s[0:1], vcc, s[0:1]
	s_and_b64 s[0:1], exec, s[0:1]
	s_or_b64 s[16:17], s[0:1], s[16:17]
	s_waitcnt vmcnt(0)
	v_and_b32_e32 v10, 0xff0000, v8
	v_and_b32_e32 v9, 0xff00, v8
	v_sub_u32_e32 v10, 0, v10
	v_and_b32_e32 v11, 0xff000000, v8
	v_sub_u32_e32 v8, 0, v8
	v_sub_u32_e32 v9, 0, v9
	v_and_b32_e32 v10, 0xff0000, v10
	v_and_b32_e32 v8, 0xff, v8
	;; [unrolled: 1-line block ×3, first 2 shown]
	v_sub_u32_e32 v10, v10, v11
	v_or3_b32 v8, v10, v9, v8
	global_store_dword v[6:7], v8, off
	s_andn2_b64 exec, exec, s[16:17]
	s_cbranch_execnz .LBB307_3
.LBB307_4:
	s_or_b64 exec, exec, s[14:15]
	s_mov_b64 s[0:1], 0
.LBB307_5:
	s_andn2_b64 vcc, exec, s[0:1]
	s_cbranch_vccnz .LBB307_25
; %bb.6:
	v_cmp_lt_i64_e64 s[0:1], s[12:13], 1
	s_and_b64 vcc, exec, s[0:1]
	s_cbranch_vccnz .LBB307_25
; %bb.7:
	s_load_dword s0, s[4:5], 0xc5c
	v_mov_b32_e32 v2, 0x10000
	v_mov_b32_e32 v3, 0
	v_cmp_lt_u64_e32 vcc, s[12:13], v[2:3]
	v_mov_b32_e32 v1, s11
	s_waitcnt lgkmcnt(0)
	s_and_b32 s4, s0, 0xffff
	s_and_b64 s[0:1], vcc, exec
	v_add_co_u32_e32 v2, vcc, s10, v0
	v_addc_co_u32_e32 v3, vcc, 0, v1, vcc
	v_mov_b32_e32 v20, s3
	v_add_co_u32_e32 v1, vcc, s2, v2
	s_cselect_b32 s9, s13, 0
	s_cselect_b32 s8, s12, 0x10000
	s_lshl_b32 s5, s4, 1
	s_mul_i32 s0, s4, 3
	s_lshl_b32 s14, s4, 2
	v_addc_co_u32_e32 v4, vcc, v20, v3, vcc
	v_mov_b32_e32 v22, s7
	v_add_co_u32_e32 v5, vcc, s6, v2
	s_add_u32 s1, s10, s0
	v_addc_co_u32_e32 v6, vcc, v22, v3, vcc
	s_addc_u32 s3, s11, 0
	v_mov_b32_e32 v7, s3
	v_add_co_u32_e32 v9, vcc, s1, v0
	v_addc_co_u32_e32 v10, vcc, 0, v7, vcc
	v_add_co_u32_e32 v7, vcc, s2, v9
	v_addc_co_u32_e32 v8, vcc, v20, v10, vcc
	;; [unrolled: 2-line block ×3, first 2 shown]
	v_add_co_u32_e32 v11, vcc, s0, v0
	v_addc_co_u32_e64 v12, s[0:1], 0, 0, vcc
	s_add_u32 s0, s10, s5
	s_addc_u32 s1, s11, 0
	v_mov_b32_e32 v13, s1
	v_add_co_u32_e32 v15, vcc, s0, v0
	v_addc_co_u32_e32 v16, vcc, 0, v13, vcc
	v_add_co_u32_e32 v13, vcc, s2, v15
	v_addc_co_u32_e32 v14, vcc, v20, v16, vcc
	;; [unrolled: 2-line block ×3, first 2 shown]
	v_add_co_u32_e32 v17, vcc, s5, v0
	v_addc_co_u32_e64 v18, s[0:1], 0, 0, vcc
	v_add_co_u32_e32 v2, vcc, s4, v2
	v_addc_co_u32_e32 v3, vcc, 0, v3, vcc
	v_add_co_u32_e32 v19, vcc, s2, v2
	v_addc_co_u32_e32 v20, vcc, v20, v3, vcc
	;; [unrolled: 2-line block ×3, first 2 shown]
	v_add_co_u32_e32 v23, vcc, s4, v0
	v_addc_co_u32_e64 v24, s[0:1], 0, 0, vcc
	s_mov_b64 s[10:11], 0
	v_pk_mov_b32 v[2:3], s[12:13], s[12:13] op_sel:[0,1]
	s_branch .LBB307_9
.LBB307_8:                              ;   in Loop: Header=BB307_9 Depth=1
	s_or_b64 exec, exec, s[0:1]
	s_add_u32 s10, s10, s14
	s_waitcnt vmcnt(0)
	v_mov_b32_e32 v26, 0xffff
	s_addc_u32 s11, s11, 0
	v_mov_b32_e32 v27, 0
	v_cmp_ge_i64_e32 vcc, s[10:11], v[2:3]
	v_cmp_gt_u64_e64 s[0:1], s[10:11], v[26:27]
	s_or_b64 s[0:1], vcc, s[0:1]
	s_and_b64 vcc, exec, s[0:1]
	s_cbranch_vccnz .LBB307_25
.LBB307_9:                              ; =>This Inner Loop Header: Depth=1
	v_mov_b32_e32 v25, s11
	v_add_co_u32_e32 v26, vcc, s10, v0
	v_addc_co_u32_e32 v27, vcc, 0, v25, vcc
	v_cmp_gt_u64_e32 vcc, s[8:9], v[26:27]
	v_mov_b32_e32 v25, 0
	s_and_saveexec_b64 s[2:3], vcc
	s_cbranch_execz .LBB307_11
; %bb.10:                               ;   in Loop: Header=BB307_9 Depth=1
	v_mov_b32_e32 v25, s11
	v_add_co_u32_e64 v26, s[0:1], s10, v1
	v_addc_co_u32_e64 v27, s[0:1], v4, v25, s[0:1]
	global_load_ubyte v25, v[26:27], off
.LBB307_11:                             ;   in Loop: Header=BB307_9 Depth=1
	s_or_b64 exec, exec, s[2:3]
	v_mov_b32_e32 v27, s11
	v_add_co_u32_e64 v26, s[0:1], s10, v23
	v_addc_co_u32_e64 v27, s[0:1], v24, v27, s[0:1]
	v_cmp_gt_u64_e64 s[0:1], s[8:9], v[26:27]
	v_mov_b32_e32 v27, 0
	s_and_saveexec_b64 s[4:5], s[0:1]
	s_cbranch_execz .LBB307_13
; %bb.12:                               ;   in Loop: Header=BB307_9 Depth=1
	v_mov_b32_e32 v27, s11
	v_add_co_u32_e64 v26, s[2:3], s10, v19
	v_addc_co_u32_e64 v27, s[2:3], v20, v27, s[2:3]
	global_load_ubyte v27, v[26:27], off
.LBB307_13:                             ;   in Loop: Header=BB307_9 Depth=1
	s_or_b64 exec, exec, s[4:5]
	v_mov_b32_e32 v26, s11
	v_add_co_u32_e64 v28, s[2:3], s10, v17
	v_addc_co_u32_e64 v29, s[2:3], v18, v26, s[2:3]
	v_cmp_gt_u64_e64 s[2:3], s[8:9], v[28:29]
	v_mov_b32_e32 v26, 0
	v_mov_b32_e32 v28, 0
	s_and_saveexec_b64 s[6:7], s[2:3]
	s_cbranch_execz .LBB307_15
; %bb.14:                               ;   in Loop: Header=BB307_9 Depth=1
	v_mov_b32_e32 v29, s11
	v_add_co_u32_e64 v28, s[4:5], s10, v13
	v_addc_co_u32_e64 v29, s[4:5], v14, v29, s[4:5]
	global_load_ubyte v28, v[28:29], off
.LBB307_15:                             ;   in Loop: Header=BB307_9 Depth=1
	s_or_b64 exec, exec, s[6:7]
	v_mov_b32_e32 v29, s11
	v_add_co_u32_e64 v30, s[4:5], s10, v11
	v_addc_co_u32_e64 v31, s[4:5], v12, v29, s[4:5]
	v_cmp_gt_u64_e64 s[4:5], s[8:9], v[30:31]
	s_and_saveexec_b64 s[12:13], s[4:5]
	s_cbranch_execnz .LBB307_20
; %bb.16:                               ;   in Loop: Header=BB307_9 Depth=1
	s_or_b64 exec, exec, s[12:13]
	s_and_saveexec_b64 s[6:7], vcc
	s_cbranch_execnz .LBB307_21
.LBB307_17:                             ;   in Loop: Header=BB307_9 Depth=1
	s_or_b64 exec, exec, s[6:7]
	s_and_saveexec_b64 s[6:7], s[0:1]
	s_cbranch_execnz .LBB307_22
.LBB307_18:                             ;   in Loop: Header=BB307_9 Depth=1
	s_or_b64 exec, exec, s[6:7]
	s_and_saveexec_b64 s[0:1], s[2:3]
	s_cbranch_execnz .LBB307_23
.LBB307_19:                             ;   in Loop: Header=BB307_9 Depth=1
	s_or_b64 exec, exec, s[0:1]
	s_and_saveexec_b64 s[0:1], s[4:5]
	s_cbranch_execz .LBB307_8
	s_branch .LBB307_24
.LBB307_20:                             ;   in Loop: Header=BB307_9 Depth=1
	v_mov_b32_e32 v26, s11
	v_add_co_u32_e64 v30, s[6:7], s10, v7
	v_addc_co_u32_e64 v31, s[6:7], v8, v26, s[6:7]
	global_load_ubyte v26, v[30:31], off
	s_or_b64 exec, exec, s[12:13]
	s_and_saveexec_b64 s[6:7], vcc
	s_cbranch_execz .LBB307_17
.LBB307_21:                             ;   in Loop: Header=BB307_9 Depth=1
	v_mov_b32_e32 v29, s11
	v_add_co_u32_e32 v30, vcc, s10, v5
	v_addc_co_u32_e32 v31, vcc, v6, v29, vcc
	s_waitcnt vmcnt(0)
	v_sub_u16_e32 v25, 0, v25
	global_store_byte v[30:31], v25, off
	s_or_b64 exec, exec, s[6:7]
	s_and_saveexec_b64 s[6:7], s[0:1]
	s_cbranch_execz .LBB307_18
.LBB307_22:                             ;   in Loop: Header=BB307_9 Depth=1
	s_waitcnt vmcnt(0)
	v_sub_u16_e32 v25, 0, v27
	v_mov_b32_e32 v27, s11
	v_add_co_u32_e32 v30, vcc, s10, v21
	v_addc_co_u32_e32 v31, vcc, v22, v27, vcc
	global_store_byte v[30:31], v25, off
	s_or_b64 exec, exec, s[6:7]
	s_and_saveexec_b64 s[0:1], s[2:3]
	s_cbranch_execz .LBB307_19
.LBB307_23:                             ;   in Loop: Header=BB307_9 Depth=1
	s_waitcnt vmcnt(0)
	v_sub_u16_e32 v25, 0, v28
	v_mov_b32_e32 v27, s11
	v_add_co_u32_e32 v28, vcc, s10, v15
	v_addc_co_u32_e32 v29, vcc, v16, v27, vcc
	global_store_byte v[28:29], v25, off
	s_or_b64 exec, exec, s[0:1]
	s_and_saveexec_b64 s[0:1], s[4:5]
	s_cbranch_execz .LBB307_8
.LBB307_24:                             ;   in Loop: Header=BB307_9 Depth=1
	s_waitcnt vmcnt(0)
	v_sub_u16_e32 v25, 0, v26
	v_mov_b32_e32 v27, s11
	v_add_co_u32_e32 v26, vcc, s10, v9
	v_addc_co_u32_e32 v27, vcc, v10, v27, vcc
	global_store_byte v[26:27], v25, off
	s_branch .LBB307_8
.LBB307_25:
	s_endpgm
	.section	.rodata,"a",@progbits
	.p2align	6, 0x0
	.amdhsa_kernel _ZN2at6native12_GLOBAL__N_125multi_tensor_apply_kernelINS1_18TensorListMetadataILi2EEENS1_14UnaryOpFunctorIaLi2ELi1ELi1EEEJSt6negateIaEEEEvT_T0_DpT1_
		.amdhsa_group_segment_fixed_size 0
		.amdhsa_private_segment_fixed_size 0
		.amdhsa_kernarg_size 3408
		.amdhsa_user_sgpr_count 6
		.amdhsa_user_sgpr_private_segment_buffer 1
		.amdhsa_user_sgpr_dispatch_ptr 0
		.amdhsa_user_sgpr_queue_ptr 0
		.amdhsa_user_sgpr_kernarg_segment_ptr 1
		.amdhsa_user_sgpr_dispatch_id 0
		.amdhsa_user_sgpr_flat_scratch_init 0
		.amdhsa_user_sgpr_kernarg_preload_length 0
		.amdhsa_user_sgpr_kernarg_preload_offset 0
		.amdhsa_user_sgpr_private_segment_size 0
		.amdhsa_uses_dynamic_stack 0
		.amdhsa_system_sgpr_private_segment_wavefront_offset 0
		.amdhsa_system_sgpr_workgroup_id_x 1
		.amdhsa_system_sgpr_workgroup_id_y 0
		.amdhsa_system_sgpr_workgroup_id_z 0
		.amdhsa_system_sgpr_workgroup_info 0
		.amdhsa_system_vgpr_workitem_id 0
		.amdhsa_next_free_vgpr 32
		.amdhsa_next_free_sgpr 21
		.amdhsa_accum_offset 32
		.amdhsa_reserve_vcc 1
		.amdhsa_reserve_flat_scratch 0
		.amdhsa_float_round_mode_32 0
		.amdhsa_float_round_mode_16_64 0
		.amdhsa_float_denorm_mode_32 3
		.amdhsa_float_denorm_mode_16_64 3
		.amdhsa_dx10_clamp 1
		.amdhsa_ieee_mode 1
		.amdhsa_fp16_overflow 0
		.amdhsa_tg_split 0
		.amdhsa_exception_fp_ieee_invalid_op 0
		.amdhsa_exception_fp_denorm_src 0
		.amdhsa_exception_fp_ieee_div_zero 0
		.amdhsa_exception_fp_ieee_overflow 0
		.amdhsa_exception_fp_ieee_underflow 0
		.amdhsa_exception_fp_ieee_inexact 0
		.amdhsa_exception_int_div_zero 0
	.end_amdhsa_kernel
	.section	.text._ZN2at6native12_GLOBAL__N_125multi_tensor_apply_kernelINS1_18TensorListMetadataILi2EEENS1_14UnaryOpFunctorIaLi2ELi1ELi1EEEJSt6negateIaEEEEvT_T0_DpT1_,"axG",@progbits,_ZN2at6native12_GLOBAL__N_125multi_tensor_apply_kernelINS1_18TensorListMetadataILi2EEENS1_14UnaryOpFunctorIaLi2ELi1ELi1EEEJSt6negateIaEEEEvT_T0_DpT1_,comdat
.Lfunc_end307:
	.size	_ZN2at6native12_GLOBAL__N_125multi_tensor_apply_kernelINS1_18TensorListMetadataILi2EEENS1_14UnaryOpFunctorIaLi2ELi1ELi1EEEJSt6negateIaEEEEvT_T0_DpT1_, .Lfunc_end307-_ZN2at6native12_GLOBAL__N_125multi_tensor_apply_kernelINS1_18TensorListMetadataILi2EEENS1_14UnaryOpFunctorIaLi2ELi1ELi1EEEJSt6negateIaEEEEvT_T0_DpT1_
                                        ; -- End function
	.section	.AMDGPU.csdata,"",@progbits
; Kernel info:
; codeLenInByte = 1184
; NumSgprs: 25
; NumVgprs: 32
; NumAgprs: 0
; TotalNumVgprs: 32
; ScratchSize: 0
; MemoryBound: 0
; FloatMode: 240
; IeeeMode: 1
; LDSByteSize: 0 bytes/workgroup (compile time only)
; SGPRBlocks: 3
; VGPRBlocks: 3
; NumSGPRsForWavesPerEU: 25
; NumVGPRsForWavesPerEU: 32
; AccumOffset: 32
; Occupancy: 8
; WaveLimiterHint : 0
; COMPUTE_PGM_RSRC2:SCRATCH_EN: 0
; COMPUTE_PGM_RSRC2:USER_SGPR: 6
; COMPUTE_PGM_RSRC2:TRAP_HANDLER: 0
; COMPUTE_PGM_RSRC2:TGID_X_EN: 1
; COMPUTE_PGM_RSRC2:TGID_Y_EN: 0
; COMPUTE_PGM_RSRC2:TGID_Z_EN: 0
; COMPUTE_PGM_RSRC2:TIDIG_COMP_CNT: 0
; COMPUTE_PGM_RSRC3_GFX90A:ACCUM_OFFSET: 7
; COMPUTE_PGM_RSRC3_GFX90A:TG_SPLIT: 0
	.section	.text._ZN2at6native12_GLOBAL__N_125multi_tensor_apply_kernelINS1_18TensorListMetadataILi2EEENS1_14UnaryOpFunctorIiLi2ELi1ELi1EEEJSt6negateIiEEEEvT_T0_DpT1_,"axG",@progbits,_ZN2at6native12_GLOBAL__N_125multi_tensor_apply_kernelINS1_18TensorListMetadataILi2EEENS1_14UnaryOpFunctorIiLi2ELi1ELi1EEEJSt6negateIiEEEEvT_T0_DpT1_,comdat
	.globl	_ZN2at6native12_GLOBAL__N_125multi_tensor_apply_kernelINS1_18TensorListMetadataILi2EEENS1_14UnaryOpFunctorIiLi2ELi1ELi1EEEJSt6negateIiEEEEvT_T0_DpT1_ ; -- Begin function _ZN2at6native12_GLOBAL__N_125multi_tensor_apply_kernelINS1_18TensorListMetadataILi2EEENS1_14UnaryOpFunctorIiLi2ELi1ELi1EEEJSt6negateIiEEEEvT_T0_DpT1_
	.p2align	8
	.type	_ZN2at6native12_GLOBAL__N_125multi_tensor_apply_kernelINS1_18TensorListMetadataILi2EEENS1_14UnaryOpFunctorIiLi2ELi1ELi1EEEJSt6negateIiEEEEvT_T0_DpT1_,@function
_ZN2at6native12_GLOBAL__N_125multi_tensor_apply_kernelINS1_18TensorListMetadataILi2EEENS1_14UnaryOpFunctorIiLi2ELi1ELi1EEEJSt6negateIiEEEEvT_T0_DpT1_: ; @_ZN2at6native12_GLOBAL__N_125multi_tensor_apply_kernelINS1_18TensorListMetadataILi2EEENS1_14UnaryOpFunctorIiLi2ELi1ELi1EEEJSt6negateIiEEEEvT_T0_DpT1_
; %bb.0:
	v_mov_b32_e32 v1, s6
	global_load_ubyte v1, v1, s[4:5] offset:1536
	s_add_u32 s0, s4, s6
	s_mul_hi_u32 s2, s6, 3
	s_mul_i32 s6, s6, 3
	s_addc_u32 s7, s5, 0
	s_add_u32 s8, s0, s6
	s_addc_u32 s9, s7, s2
	s_mov_b32 s1, 0
	s_mov_b32 s17, s1
	;; [unrolled: 1-line block ×3, first 2 shown]
	s_waitcnt vmcnt(0)
	v_readfirstlane_b32 s0, v1
	s_lshl_b32 s0, s0, 3
	s_load_dword s10, s[8:9], 0x740
	s_load_dwordx2 s[14:15], s[4:5], s0 offset:0x0
	s_load_dwordx2 s[12:13], s[4:5], s0 offset:0x400
	;; [unrolled: 1-line block ×3, first 2 shown]
	s_waitcnt lgkmcnt(0)
	s_ashr_i32 s11, s10, 31
	s_and_b32 s0, s14, 15
	s_and_b32 s16, s12, 3
	;; [unrolled: 1-line block ×3, first 2 shown]
	s_or_b64 s[16:17], s[0:1], s[16:17]
	s_lshl_b64 s[8:9], s[10:11], 18
	s_or_b64 s[2:3], s[2:3], s[16:17]
	s_lshl_b64 s[10:11], s[10:11], 16
	s_sub_u32 s10, s12, s10
	s_subb_u32 s11, s13, s11
	s_cmp_eq_u64 s[2:3], 0
	s_mov_b64 s[2:3], -1
	s_cbranch_scc0 .LBB308_5
; %bb.1:
	v_mov_b32_e32 v3, 0
	v_lshlrev_b32_e32 v2, 2, v0
	v_cmp_gt_i64_e32 vcc, s[10:11], v[2:3]
	s_and_saveexec_b64 s[12:13], vcc
	s_cbranch_execz .LBB308_4
; %bb.2:
	s_load_dword s0, s[4:5], 0xc5c
	v_lshlrev_b32_e32 v1, 4, v0
	v_mov_b32_e32 v4, s9
	v_add_co_u32_e32 v1, vcc, s8, v1
	v_addc_co_u32_e32 v5, vcc, 0, v4, vcc
	s_waitcnt lgkmcnt(0)
	s_and_b32 s0, s0, 0xffff
	v_add_co_u32_e32 v4, vcc, 8, v1
	v_add_lshl_u32 v2, v0, s0, 2
	s_lshl_b32 s20, s0, 2
	v_addc_co_u32_e32 v1, vcc, 0, v5, vcc
	s_lshl_b32 s21, s0, 4
	s_mov_b64 s[16:17], 0
	v_mov_b32_e32 v5, s15
	v_mov_b32_e32 v6, s7
	s_mov_b64 s[18:19], 0xffff
	v_mov_b32_e32 v7, s1
	v_mov_b32_e32 v8, s1
.LBB308_3:                              ; =>This Inner Loop Header: Depth=1
	v_add_co_u32_e32 v10, vcc, s14, v4
	v_addc_co_u32_e32 v11, vcc, v5, v1, vcc
	global_load_dwordx4 v[10:13], v[10:11], off offset:-8
	v_add_co_u32_e32 v14, vcc, s6, v4
	v_addc_co_u32_e32 v15, vcc, v6, v1, vcc
	v_cmp_le_i64_e32 vcc, s[10:11], v[2:3]
	v_cmp_lt_u64_e64 s[0:1], s[18:19], v[2:3]
	v_add_co_u32_e64 v2, s[2:3], s20, v2
	v_addc_co_u32_e64 v3, s[2:3], v3, v7, s[2:3]
	s_or_b64 s[0:1], vcc, s[0:1]
	v_add_co_u32_e64 v4, s[2:3], s21, v4
	s_and_b64 s[0:1], exec, s[0:1]
	v_addc_co_u32_e64 v1, s[2:3], v1, v8, s[2:3]
	s_or_b64 s[16:17], s[0:1], s[16:17]
	s_waitcnt vmcnt(0)
	v_sub_u32_e32 v11, 0, v11
	v_sub_u32_e32 v10, 0, v10
	;; [unrolled: 1-line block ×4, first 2 shown]
	global_store_dwordx4 v[14:15], v[10:13], off offset:-8
	s_andn2_b64 exec, exec, s[16:17]
	s_cbranch_execnz .LBB308_3
.LBB308_4:
	s_or_b64 exec, exec, s[12:13]
	s_mov_b64 s[2:3], 0
.LBB308_5:
	s_andn2_b64 vcc, exec, s[2:3]
	s_cbranch_vccnz .LBB308_25
; %bb.6:
	v_cmp_lt_i64_e64 s[0:1], s[10:11], 1
	s_and_b64 vcc, exec, s[0:1]
	s_cbranch_vccnz .LBB308_25
; %bb.7:
	s_load_dword s0, s[4:5], 0xc5c
	v_mov_b32_e32 v2, 0x10000
	v_mov_b32_e32 v3, 0
	v_cmp_lt_u64_e32 vcc, s[10:11], v[2:3]
	v_lshlrev_b32_e32 v10, 2, v0
	s_waitcnt lgkmcnt(0)
	s_and_b32 s2, s0, 0xffff
	s_and_b64 s[0:1], vcc, exec
	v_mov_b32_e32 v13, s15
	v_add_co_u32_e32 v2, vcc, s14, v10
	v_addc_co_u32_e32 v1, vcc, 0, v13, vcc
	v_mov_b32_e32 v11, 0
	v_mov_b32_e32 v15, s7
	v_add_co_u32_e32 v4, vcc, s6, v10
	v_addc_co_u32_e32 v3, vcc, 0, v15, vcc
	v_mad_u64_u32 v[8:9], s[0:1], s2, 12, v[10:11]
	v_add_co_u32_e32 v6, vcc, s14, v8
	v_addc_co_u32_e32 v5, vcc, v13, v9, vcc
	v_add_co_u32_e32 v8, vcc, s6, v8
	s_mul_i32 s4, s2, 3
	v_addc_co_u32_e32 v7, vcc, v15, v9, vcc
	v_add_co_u32_e32 v17, vcc, s4, v0
	v_addc_co_u32_e64 v18, s[0:1], 0, 0, vcc
	s_cselect_b32 s13, s11, 0
	s_cselect_b32 s12, s10, 0x10000
	s_lshl_b32 s0, s2, 3
	v_add_co_u32_e32 v11, vcc, s0, v10
	v_addc_co_u32_e64 v14, s[0:1], 0, 0, vcc
	v_add_co_u32_e32 v10, vcc, s14, v11
	v_addc_co_u32_e32 v9, vcc, v13, v14, vcc
	v_add_co_u32_e32 v12, vcc, s6, v11
	s_lshl_b32 s3, s2, 1
	v_addc_co_u32_e32 v11, vcc, v15, v14, vcc
	v_add_co_u32_e32 v19, vcc, s3, v0
	v_addc_co_u32_e64 v20, s[0:1], 0, 0, vcc
	v_add_co_u32_e32 v21, vcc, s2, v0
	v_lshlrev_b32_e32 v16, 2, v21
	v_addc_co_u32_e64 v22, s[0:1], 0, 0, vcc
	v_add_co_u32_e32 v14, vcc, s14, v16
	v_addc_co_u32_e32 v13, vcc, 0, v13, vcc
	v_add_co_u32_e32 v16, vcc, s6, v16
	s_mov_b32 s18, 0
	s_lshl_b32 s19, s2, 2
	s_lshl_b32 s20, s2, 4
	v_addc_co_u32_e32 v15, vcc, 0, v15, vcc
	s_mov_b64 s[14:15], 0
	s_branch .LBB308_9
.LBB308_8:                              ;   in Loop: Header=BB308_9 Depth=1
	s_or_b64 exec, exec, s[0:1]
	s_add_u32 s14, s14, s19
	s_addc_u32 s15, s15, 0
	s_waitcnt vmcnt(0)
	v_pk_mov_b32 v[24:25], s[10:11], s[10:11] op_sel:[0,1]
	v_cmp_ge_i64_e32 vcc, s[14:15], v[24:25]
	v_mov_b32_e32 v24, 0xffff
	v_mov_b32_e32 v25, 0
	v_cmp_gt_u64_e64 s[0:1], s[14:15], v[24:25]
	s_or_b64 s[0:1], vcc, s[0:1]
	v_mov_b32_e32 v23, s18
	v_add_co_u32_e32 v2, vcc, s20, v2
	v_addc_co_u32_e32 v1, vcc, v1, v23, vcc
	v_add_co_u32_e32 v4, vcc, s20, v4
	v_addc_co_u32_e32 v3, vcc, v3, v23, vcc
	;; [unrolled: 2-line block ×8, first 2 shown]
	s_and_b64 vcc, exec, s[0:1]
	s_cbranch_vccnz .LBB308_25
.LBB308_9:                              ; =>This Inner Loop Header: Depth=1
	v_mov_b32_e32 v23, s15
	v_add_co_u32_e32 v24, vcc, s14, v0
	v_addc_co_u32_e32 v25, vcc, 0, v23, vcc
	v_cmp_gt_u64_e32 vcc, s[12:13], v[24:25]
	v_mov_b32_e32 v23, 0
	s_and_saveexec_b64 s[2:3], vcc
	s_cbranch_execz .LBB308_11
; %bb.10:                               ;   in Loop: Header=BB308_9 Depth=1
	v_mov_b32_e32 v23, s9
	v_add_co_u32_e64 v24, s[0:1], s8, v2
	v_addc_co_u32_e64 v25, s[0:1], v1, v23, s[0:1]
	global_load_dword v23, v[24:25], off
.LBB308_11:                             ;   in Loop: Header=BB308_9 Depth=1
	s_or_b64 exec, exec, s[2:3]
	v_mov_b32_e32 v25, s15
	v_add_co_u32_e64 v24, s[0:1], s14, v21
	v_addc_co_u32_e64 v25, s[0:1], v22, v25, s[0:1]
	v_cmp_gt_u64_e64 s[0:1], s[12:13], v[24:25]
	v_mov_b32_e32 v25, 0
	s_and_saveexec_b64 s[4:5], s[0:1]
	s_cbranch_execz .LBB308_13
; %bb.12:                               ;   in Loop: Header=BB308_9 Depth=1
	v_mov_b32_e32 v25, s9
	v_add_co_u32_e64 v24, s[2:3], s8, v14
	v_addc_co_u32_e64 v25, s[2:3], v13, v25, s[2:3]
	global_load_dword v25, v[24:25], off
.LBB308_13:                             ;   in Loop: Header=BB308_9 Depth=1
	s_or_b64 exec, exec, s[4:5]
	v_mov_b32_e32 v24, s15
	v_add_co_u32_e64 v26, s[2:3], s14, v19
	v_addc_co_u32_e64 v27, s[2:3], v20, v24, s[2:3]
	v_cmp_gt_u64_e64 s[2:3], s[12:13], v[26:27]
	v_mov_b32_e32 v24, 0
	v_mov_b32_e32 v26, 0
	s_and_saveexec_b64 s[6:7], s[2:3]
	s_cbranch_execz .LBB308_15
; %bb.14:                               ;   in Loop: Header=BB308_9 Depth=1
	v_mov_b32_e32 v27, s9
	v_add_co_u32_e64 v26, s[4:5], s8, v10
	v_addc_co_u32_e64 v27, s[4:5], v9, v27, s[4:5]
	global_load_dword v26, v[26:27], off
.LBB308_15:                             ;   in Loop: Header=BB308_9 Depth=1
	s_or_b64 exec, exec, s[6:7]
	v_mov_b32_e32 v27, s15
	v_add_co_u32_e64 v28, s[4:5], s14, v17
	v_addc_co_u32_e64 v29, s[4:5], v18, v27, s[4:5]
	v_cmp_gt_u64_e64 s[4:5], s[12:13], v[28:29]
	s_and_saveexec_b64 s[16:17], s[4:5]
	s_cbranch_execnz .LBB308_20
; %bb.16:                               ;   in Loop: Header=BB308_9 Depth=1
	s_or_b64 exec, exec, s[16:17]
	s_and_saveexec_b64 s[6:7], vcc
	s_cbranch_execnz .LBB308_21
.LBB308_17:                             ;   in Loop: Header=BB308_9 Depth=1
	s_or_b64 exec, exec, s[6:7]
	s_and_saveexec_b64 s[6:7], s[0:1]
	s_cbranch_execnz .LBB308_22
.LBB308_18:                             ;   in Loop: Header=BB308_9 Depth=1
	s_or_b64 exec, exec, s[6:7]
	s_and_saveexec_b64 s[0:1], s[2:3]
	s_cbranch_execnz .LBB308_23
.LBB308_19:                             ;   in Loop: Header=BB308_9 Depth=1
	s_or_b64 exec, exec, s[0:1]
	s_and_saveexec_b64 s[0:1], s[4:5]
	s_cbranch_execz .LBB308_8
	s_branch .LBB308_24
.LBB308_20:                             ;   in Loop: Header=BB308_9 Depth=1
	v_mov_b32_e32 v24, s9
	v_add_co_u32_e64 v28, s[6:7], s8, v6
	v_addc_co_u32_e64 v29, s[6:7], v5, v24, s[6:7]
	global_load_dword v24, v[28:29], off
	s_or_b64 exec, exec, s[16:17]
	s_and_saveexec_b64 s[6:7], vcc
	s_cbranch_execz .LBB308_17
.LBB308_21:                             ;   in Loop: Header=BB308_9 Depth=1
	v_mov_b32_e32 v27, s9
	v_add_co_u32_e32 v28, vcc, s8, v4
	v_addc_co_u32_e32 v29, vcc, v3, v27, vcc
	s_waitcnt vmcnt(0)
	v_sub_u32_e32 v23, 0, v23
	global_store_dword v[28:29], v23, off
	s_or_b64 exec, exec, s[6:7]
	s_and_saveexec_b64 s[6:7], s[0:1]
	s_cbranch_execz .LBB308_18
.LBB308_22:                             ;   in Loop: Header=BB308_9 Depth=1
	s_waitcnt vmcnt(0)
	v_sub_u32_e32 v23, 0, v25
	v_mov_b32_e32 v25, s9
	v_add_co_u32_e32 v28, vcc, s8, v16
	v_addc_co_u32_e32 v29, vcc, v15, v25, vcc
	global_store_dword v[28:29], v23, off
	s_or_b64 exec, exec, s[6:7]
	s_and_saveexec_b64 s[0:1], s[2:3]
	s_cbranch_execz .LBB308_19
.LBB308_23:                             ;   in Loop: Header=BB308_9 Depth=1
	s_waitcnt vmcnt(0)
	v_sub_u32_e32 v23, 0, v26
	v_mov_b32_e32 v25, s9
	v_add_co_u32_e32 v26, vcc, s8, v12
	v_addc_co_u32_e32 v27, vcc, v11, v25, vcc
	global_store_dword v[26:27], v23, off
	s_or_b64 exec, exec, s[0:1]
	s_and_saveexec_b64 s[0:1], s[4:5]
	s_cbranch_execz .LBB308_8
.LBB308_24:                             ;   in Loop: Header=BB308_9 Depth=1
	s_waitcnt vmcnt(0)
	v_sub_u32_e32 v23, 0, v24
	v_mov_b32_e32 v25, s9
	v_add_co_u32_e32 v24, vcc, s8, v8
	v_addc_co_u32_e32 v25, vcc, v7, v25, vcc
	global_store_dword v[24:25], v23, off
	s_branch .LBB308_8
.LBB308_25:
	s_endpgm
	.section	.rodata,"a",@progbits
	.p2align	6, 0x0
	.amdhsa_kernel _ZN2at6native12_GLOBAL__N_125multi_tensor_apply_kernelINS1_18TensorListMetadataILi2EEENS1_14UnaryOpFunctorIiLi2ELi1ELi1EEEJSt6negateIiEEEEvT_T0_DpT1_
		.amdhsa_group_segment_fixed_size 0
		.amdhsa_private_segment_fixed_size 0
		.amdhsa_kernarg_size 3408
		.amdhsa_user_sgpr_count 6
		.amdhsa_user_sgpr_private_segment_buffer 1
		.amdhsa_user_sgpr_dispatch_ptr 0
		.amdhsa_user_sgpr_queue_ptr 0
		.amdhsa_user_sgpr_kernarg_segment_ptr 1
		.amdhsa_user_sgpr_dispatch_id 0
		.amdhsa_user_sgpr_flat_scratch_init 0
		.amdhsa_user_sgpr_kernarg_preload_length 0
		.amdhsa_user_sgpr_kernarg_preload_offset 0
		.amdhsa_user_sgpr_private_segment_size 0
		.amdhsa_uses_dynamic_stack 0
		.amdhsa_system_sgpr_private_segment_wavefront_offset 0
		.amdhsa_system_sgpr_workgroup_id_x 1
		.amdhsa_system_sgpr_workgroup_id_y 0
		.amdhsa_system_sgpr_workgroup_id_z 0
		.amdhsa_system_sgpr_workgroup_info 0
		.amdhsa_system_vgpr_workitem_id 0
		.amdhsa_next_free_vgpr 30
		.amdhsa_next_free_sgpr 22
		.amdhsa_accum_offset 32
		.amdhsa_reserve_vcc 1
		.amdhsa_reserve_flat_scratch 0
		.amdhsa_float_round_mode_32 0
		.amdhsa_float_round_mode_16_64 0
		.amdhsa_float_denorm_mode_32 3
		.amdhsa_float_denorm_mode_16_64 3
		.amdhsa_dx10_clamp 1
		.amdhsa_ieee_mode 1
		.amdhsa_fp16_overflow 0
		.amdhsa_tg_split 0
		.amdhsa_exception_fp_ieee_invalid_op 0
		.amdhsa_exception_fp_denorm_src 0
		.amdhsa_exception_fp_ieee_div_zero 0
		.amdhsa_exception_fp_ieee_overflow 0
		.amdhsa_exception_fp_ieee_underflow 0
		.amdhsa_exception_fp_ieee_inexact 0
		.amdhsa_exception_int_div_zero 0
	.end_amdhsa_kernel
	.section	.text._ZN2at6native12_GLOBAL__N_125multi_tensor_apply_kernelINS1_18TensorListMetadataILi2EEENS1_14UnaryOpFunctorIiLi2ELi1ELi1EEEJSt6negateIiEEEEvT_T0_DpT1_,"axG",@progbits,_ZN2at6native12_GLOBAL__N_125multi_tensor_apply_kernelINS1_18TensorListMetadataILi2EEENS1_14UnaryOpFunctorIiLi2ELi1ELi1EEEJSt6negateIiEEEEvT_T0_DpT1_,comdat
.Lfunc_end308:
	.size	_ZN2at6native12_GLOBAL__N_125multi_tensor_apply_kernelINS1_18TensorListMetadataILi2EEENS1_14UnaryOpFunctorIiLi2ELi1ELi1EEEJSt6negateIiEEEEvT_T0_DpT1_, .Lfunc_end308-_ZN2at6native12_GLOBAL__N_125multi_tensor_apply_kernelINS1_18TensorListMetadataILi2EEENS1_14UnaryOpFunctorIiLi2ELi1ELi1EEEJSt6negateIiEEEEvT_T0_DpT1_
                                        ; -- End function
	.section	.AMDGPU.csdata,"",@progbits
; Kernel info:
; codeLenInByte = 1248
; NumSgprs: 26
; NumVgprs: 30
; NumAgprs: 0
; TotalNumVgprs: 30
; ScratchSize: 0
; MemoryBound: 0
; FloatMode: 240
; IeeeMode: 1
; LDSByteSize: 0 bytes/workgroup (compile time only)
; SGPRBlocks: 3
; VGPRBlocks: 3
; NumSGPRsForWavesPerEU: 26
; NumVGPRsForWavesPerEU: 30
; AccumOffset: 32
; Occupancy: 8
; WaveLimiterHint : 0
; COMPUTE_PGM_RSRC2:SCRATCH_EN: 0
; COMPUTE_PGM_RSRC2:USER_SGPR: 6
; COMPUTE_PGM_RSRC2:TRAP_HANDLER: 0
; COMPUTE_PGM_RSRC2:TGID_X_EN: 1
; COMPUTE_PGM_RSRC2:TGID_Y_EN: 0
; COMPUTE_PGM_RSRC2:TGID_Z_EN: 0
; COMPUTE_PGM_RSRC2:TIDIG_COMP_CNT: 0
; COMPUTE_PGM_RSRC3_GFX90A:ACCUM_OFFSET: 7
; COMPUTE_PGM_RSRC3_GFX90A:TG_SPLIT: 0
	.section	.text._ZN2at6native12_GLOBAL__N_125multi_tensor_apply_kernelINS1_18TensorListMetadataILi2EEENS1_14UnaryOpFunctorIlLi2ELi1ELi1EEEJSt6negateIlEEEEvT_T0_DpT1_,"axG",@progbits,_ZN2at6native12_GLOBAL__N_125multi_tensor_apply_kernelINS1_18TensorListMetadataILi2EEENS1_14UnaryOpFunctorIlLi2ELi1ELi1EEEJSt6negateIlEEEEvT_T0_DpT1_,comdat
	.globl	_ZN2at6native12_GLOBAL__N_125multi_tensor_apply_kernelINS1_18TensorListMetadataILi2EEENS1_14UnaryOpFunctorIlLi2ELi1ELi1EEEJSt6negateIlEEEEvT_T0_DpT1_ ; -- Begin function _ZN2at6native12_GLOBAL__N_125multi_tensor_apply_kernelINS1_18TensorListMetadataILi2EEENS1_14UnaryOpFunctorIlLi2ELi1ELi1EEEJSt6negateIlEEEEvT_T0_DpT1_
	.p2align	8
	.type	_ZN2at6native12_GLOBAL__N_125multi_tensor_apply_kernelINS1_18TensorListMetadataILi2EEENS1_14UnaryOpFunctorIlLi2ELi1ELi1EEEJSt6negateIlEEEEvT_T0_DpT1_,@function
_ZN2at6native12_GLOBAL__N_125multi_tensor_apply_kernelINS1_18TensorListMetadataILi2EEENS1_14UnaryOpFunctorIlLi2ELi1ELi1EEEJSt6negateIlEEEEvT_T0_DpT1_: ; @_ZN2at6native12_GLOBAL__N_125multi_tensor_apply_kernelINS1_18TensorListMetadataILi2EEENS1_14UnaryOpFunctorIlLi2ELi1ELi1EEEJSt6negateIlEEEEvT_T0_DpT1_
; %bb.0:
	v_mov_b32_e32 v1, s6
	global_load_ubyte v1, v1, s[4:5] offset:1536
	s_add_u32 s0, s4, s6
	s_mul_hi_u32 s2, s6, 3
	s_mul_i32 s6, s6, 3
	s_addc_u32 s7, s5, 0
	s_add_u32 s6, s0, s6
	s_addc_u32 s7, s7, s2
	s_load_dword s12, s[6:7], 0x740
	s_mov_b32 s1, 0
	s_mov_b32 s11, s1
	;; [unrolled: 1-line block ×3, first 2 shown]
	s_waitcnt lgkmcnt(0)
	s_ashr_i32 s13, s12, 31
	s_lshl_b64 s[8:9], s[12:13], 19
	s_waitcnt vmcnt(0)
	v_readfirstlane_b32 s0, v1
	s_lshl_b32 s0, s0, 3
	s_load_dwordx2 s[14:15], s[4:5], s0 offset:0x0
	s_load_dwordx2 s[16:17], s[4:5], s0 offset:0x400
	;; [unrolled: 1-line block ×3, first 2 shown]
	s_waitcnt lgkmcnt(0)
	s_add_u32 s20, s14, s8
	s_addc_u32 s21, s15, s9
	s_and_b32 s0, s20, 31
	s_add_u32 s22, s6, s8
	s_addc_u32 s23, s7, s9
	s_and_b32 s10, s16, 3
	s_and_b32 s2, s22, 31
	s_or_b64 s[10:11], s[0:1], s[10:11]
	s_or_b64 s[2:3], s[2:3], s[10:11]
	s_lshl_b64 s[10:11], s[12:13], 16
	s_sub_u32 s10, s16, s10
	s_subb_u32 s11, s17, s11
	s_cmp_eq_u64 s[2:3], 0
	s_mov_b64 s[2:3], -1
	s_cbranch_scc0 .LBB309_5
; %bb.1:
	v_mov_b32_e32 v3, 0
	v_lshlrev_b32_e32 v2, 2, v0
	v_cmp_gt_i64_e32 vcc, s[10:11], v[2:3]
	s_and_saveexec_b64 s[12:13], vcc
	s_cbranch_execz .LBB309_4
; %bb.2:
	s_load_dword s0, s[4:5], 0xc5c
	v_lshlrev_b32_e32 v4, 5, v0
	s_mov_b64 s[16:17], 0
	s_mov_b64 s[18:19], 0xffff
	v_mov_b32_e32 v1, s1
	s_waitcnt lgkmcnt(0)
	s_and_b32 s0, s0, 0xffff
	v_add_lshl_u32 v2, v0, s0, 2
	s_lshl_b32 s24, s0, 2
	s_lshl_b32 s25, s0, 5
.LBB309_3:                              ; =>This Inner Loop Header: Depth=1
	v_mov_b32_e32 v5, s21
	v_add_co_u32_e32 v14, vcc, s20, v4
	v_addc_co_u32_e32 v15, vcc, 0, v5, vcc
	global_load_dwordx4 v[6:9], v[14:15], off
	global_load_dwordx4 v[10:13], v[14:15], off offset:16
	v_cmp_le_i64_e32 vcc, s[10:11], v[2:3]
	v_cmp_lt_u64_e64 s[0:1], s[18:19], v[2:3]
	s_or_b64 s[0:1], vcc, s[0:1]
	v_add_co_u32_e64 v2, s[2:3], s24, v2
	s_add_u32 s20, s20, s25
	v_addc_co_u32_e64 v3, s[2:3], v3, v1, s[2:3]
	s_addc_u32 s21, s21, 0
	v_add_co_u32_e64 v14, s[2:3], s22, v4
	s_add_u32 s22, s22, s25
	v_mov_b32_e32 v5, s23
	s_addc_u32 s23, s23, 0
	s_and_b64 s[0:1], exec, s[0:1]
	v_addc_co_u32_e64 v15, s[2:3], 0, v5, s[2:3]
	s_or_b64 s[16:17], s[0:1], s[16:17]
	s_waitcnt vmcnt(1)
	v_sub_co_u32_e32 v6, vcc, 0, v6
	v_subb_co_u32_e32 v7, vcc, 0, v7, vcc
	v_sub_co_u32_e32 v8, vcc, 0, v8
	v_subb_co_u32_e32 v9, vcc, 0, v9, vcc
	s_waitcnt vmcnt(0)
	v_sub_co_u32_e32 v10, vcc, 0, v10
	v_subb_co_u32_e32 v11, vcc, 0, v11, vcc
	v_sub_co_u32_e32 v12, vcc, 0, v12
	v_subb_co_u32_e32 v13, vcc, 0, v13, vcc
	global_store_dwordx4 v[14:15], v[6:9], off
	global_store_dwordx4 v[14:15], v[10:13], off offset:16
	s_andn2_b64 exec, exec, s[16:17]
	s_cbranch_execnz .LBB309_3
.LBB309_4:
	s_or_b64 exec, exec, s[12:13]
	s_mov_b64 s[2:3], 0
.LBB309_5:
	s_andn2_b64 vcc, exec, s[2:3]
	s_cbranch_vccnz .LBB309_25
; %bb.6:
	v_cmp_lt_i64_e64 s[0:1], s[10:11], 1
	s_and_b64 vcc, exec, s[0:1]
	s_cbranch_vccnz .LBB309_25
; %bb.7:
	s_load_dword s0, s[4:5], 0xc5c
	v_mov_b32_e32 v2, 0x10000
	v_mov_b32_e32 v3, 0
	v_cmp_lt_u64_e32 vcc, s[10:11], v[2:3]
	v_lshlrev_b32_e32 v10, 3, v0
	s_waitcnt lgkmcnt(0)
	s_and_b32 s2, s0, 0xffff
	s_and_b64 s[0:1], vcc, exec
	v_mov_b32_e32 v13, s15
	v_add_co_u32_e32 v2, vcc, s14, v10
	v_addc_co_u32_e32 v1, vcc, 0, v13, vcc
	v_mov_b32_e32 v11, 0
	v_mov_b32_e32 v15, s7
	v_add_co_u32_e32 v4, vcc, s6, v10
	v_addc_co_u32_e32 v3, vcc, 0, v15, vcc
	v_mad_u64_u32 v[8:9], s[0:1], s2, 24, v[10:11]
	v_add_co_u32_e32 v6, vcc, s14, v8
	v_addc_co_u32_e32 v5, vcc, v13, v9, vcc
	v_add_co_u32_e32 v8, vcc, s6, v8
	s_mul_i32 s4, s2, 3
	v_addc_co_u32_e32 v7, vcc, v15, v9, vcc
	v_add_co_u32_e32 v17, vcc, s4, v0
	v_addc_co_u32_e64 v26, s[0:1], 0, 0, vcc
	s_cselect_b32 s13, s11, 0
	s_cselect_b32 s12, s10, 0x10000
	s_lshl_b32 s0, s2, 4
	v_add_co_u32_e32 v11, vcc, s0, v10
	v_addc_co_u32_e64 v14, s[0:1], 0, 0, vcc
	v_add_co_u32_e32 v10, vcc, s14, v11
	v_addc_co_u32_e32 v9, vcc, v13, v14, vcc
	v_add_co_u32_e32 v12, vcc, s6, v11
	s_lshl_b32 s3, s2, 1
	v_addc_co_u32_e32 v11, vcc, v15, v14, vcc
	v_add_co_u32_e32 v27, vcc, s3, v0
	v_addc_co_u32_e64 v28, s[0:1], 0, 0, vcc
	v_add_co_u32_e32 v29, vcc, s2, v0
	v_lshlrev_b32_e32 v16, 3, v29
	v_addc_co_u32_e64 v30, s[0:1], 0, 0, vcc
	v_add_co_u32_e32 v14, vcc, s14, v16
	v_addc_co_u32_e32 v13, vcc, 0, v13, vcc
	v_add_co_u32_e32 v16, vcc, s6, v16
	s_mov_b32 s18, 0
	s_lshl_b32 s19, s2, 2
	s_lshl_b32 s20, s2, 5
	v_addc_co_u32_e32 v15, vcc, 0, v15, vcc
	s_mov_b64 s[14:15], 0
	s_branch .LBB309_9
.LBB309_8:                              ;   in Loop: Header=BB309_9 Depth=1
	s_or_b64 exec, exec, s[0:1]
	s_add_u32 s14, s14, s19
	s_addc_u32 s15, s15, 0
	s_waitcnt vmcnt(0)
	v_pk_mov_b32 v[18:19], s[10:11], s[10:11] op_sel:[0,1]
	v_cmp_ge_i64_e32 vcc, s[14:15], v[18:19]
	v_mov_b32_e32 v18, 0xffff
	v_mov_b32_e32 v19, 0
	v_cmp_gt_u64_e64 s[0:1], s[14:15], v[18:19]
	s_or_b64 s[0:1], vcc, s[0:1]
	v_mov_b32_e32 v18, s18
	v_add_co_u32_e32 v2, vcc, s20, v2
	v_addc_co_u32_e32 v1, vcc, v1, v18, vcc
	v_add_co_u32_e32 v4, vcc, s20, v4
	v_addc_co_u32_e32 v3, vcc, v3, v18, vcc
	;; [unrolled: 2-line block ×8, first 2 shown]
	s_and_b64 vcc, exec, s[0:1]
	s_cbranch_vccnz .LBB309_25
.LBB309_9:                              ; =>This Inner Loop Header: Depth=1
	v_mov_b32_e32 v19, s15
	v_add_co_u32_e32 v18, vcc, s14, v0
	v_addc_co_u32_e32 v19, vcc, 0, v19, vcc
	v_cmp_gt_u64_e32 vcc, s[12:13], v[18:19]
	v_pk_mov_b32 v[18:19], 0, 0
	v_pk_mov_b32 v[22:23], v[18:19], v[18:19] op_sel:[0,1]
	s_and_saveexec_b64 s[2:3], vcc
	s_cbranch_execz .LBB309_11
; %bb.10:                               ;   in Loop: Header=BB309_9 Depth=1
	v_mov_b32_e32 v21, s9
	v_add_co_u32_e64 v20, s[0:1], s8, v2
	v_addc_co_u32_e64 v21, s[0:1], v1, v21, s[0:1]
	global_load_dwordx2 v[22:23], v[20:21], off
.LBB309_11:                             ;   in Loop: Header=BB309_9 Depth=1
	s_or_b64 exec, exec, s[2:3]
	v_mov_b32_e32 v21, s15
	v_add_co_u32_e64 v20, s[0:1], s14, v29
	v_addc_co_u32_e64 v21, s[0:1], v30, v21, s[0:1]
	v_cmp_gt_u64_e64 s[0:1], s[12:13], v[20:21]
	s_and_saveexec_b64 s[4:5], s[0:1]
	s_cbranch_execz .LBB309_13
; %bb.12:                               ;   in Loop: Header=BB309_9 Depth=1
	v_mov_b32_e32 v19, s9
	v_add_co_u32_e64 v18, s[2:3], s8, v14
	v_addc_co_u32_e64 v19, s[2:3], v13, v19, s[2:3]
	global_load_dwordx2 v[18:19], v[18:19], off
.LBB309_13:                             ;   in Loop: Header=BB309_9 Depth=1
	s_or_b64 exec, exec, s[4:5]
	v_mov_b32_e32 v21, s15
	v_add_co_u32_e64 v20, s[2:3], s14, v27
	v_addc_co_u32_e64 v21, s[2:3], v28, v21, s[2:3]
	v_cmp_gt_u64_e64 s[2:3], s[12:13], v[20:21]
	v_pk_mov_b32 v[20:21], 0, 0
	v_pk_mov_b32 v[24:25], v[20:21], v[20:21] op_sel:[0,1]
	s_and_saveexec_b64 s[6:7], s[2:3]
	s_cbranch_execz .LBB309_15
; %bb.14:                               ;   in Loop: Header=BB309_9 Depth=1
	v_mov_b32_e32 v25, s9
	v_add_co_u32_e64 v24, s[4:5], s8, v10
	v_addc_co_u32_e64 v25, s[4:5], v9, v25, s[4:5]
	global_load_dwordx2 v[24:25], v[24:25], off
.LBB309_15:                             ;   in Loop: Header=BB309_9 Depth=1
	s_or_b64 exec, exec, s[6:7]
	v_mov_b32_e32 v31, s15
	v_add_co_u32_e64 v32, s[4:5], s14, v17
	v_addc_co_u32_e64 v33, s[4:5], v26, v31, s[4:5]
	v_cmp_gt_u64_e64 s[4:5], s[12:13], v[32:33]
	s_and_saveexec_b64 s[16:17], s[4:5]
	s_cbranch_execnz .LBB309_20
; %bb.16:                               ;   in Loop: Header=BB309_9 Depth=1
	s_or_b64 exec, exec, s[16:17]
	s_and_saveexec_b64 s[6:7], vcc
	s_cbranch_execnz .LBB309_21
.LBB309_17:                             ;   in Loop: Header=BB309_9 Depth=1
	s_or_b64 exec, exec, s[6:7]
	s_and_saveexec_b64 s[6:7], s[0:1]
	s_cbranch_execnz .LBB309_22
.LBB309_18:                             ;   in Loop: Header=BB309_9 Depth=1
	s_or_b64 exec, exec, s[6:7]
	s_and_saveexec_b64 s[0:1], s[2:3]
	s_cbranch_execnz .LBB309_23
.LBB309_19:                             ;   in Loop: Header=BB309_9 Depth=1
	s_or_b64 exec, exec, s[0:1]
	s_and_saveexec_b64 s[0:1], s[4:5]
	s_cbranch_execz .LBB309_8
	s_branch .LBB309_24
.LBB309_20:                             ;   in Loop: Header=BB309_9 Depth=1
	v_mov_b32_e32 v21, s9
	v_add_co_u32_e64 v20, s[6:7], s8, v6
	v_addc_co_u32_e64 v21, s[6:7], v5, v21, s[6:7]
	global_load_dwordx2 v[20:21], v[20:21], off
	s_or_b64 exec, exec, s[16:17]
	s_and_saveexec_b64 s[6:7], vcc
	s_cbranch_execz .LBB309_17
.LBB309_21:                             ;   in Loop: Header=BB309_9 Depth=1
	v_mov_b32_e32 v31, s9
	v_add_co_u32_e32 v32, vcc, s8, v4
	v_addc_co_u32_e32 v33, vcc, v3, v31, vcc
	s_waitcnt vmcnt(0)
	v_sub_co_u32_e32 v22, vcc, 0, v22
	v_subb_co_u32_e32 v23, vcc, 0, v23, vcc
	global_store_dwordx2 v[32:33], v[22:23], off
	s_or_b64 exec, exec, s[6:7]
	s_and_saveexec_b64 s[6:7], s[0:1]
	s_cbranch_execz .LBB309_18
.LBB309_22:                             ;   in Loop: Header=BB309_9 Depth=1
	s_waitcnt vmcnt(0)
	v_sub_co_u32_e32 v18, vcc, 0, v18
	v_subb_co_u32_e32 v19, vcc, 0, v19, vcc
	v_mov_b32_e32 v23, s9
	v_add_co_u32_e32 v22, vcc, s8, v16
	v_addc_co_u32_e32 v23, vcc, v15, v23, vcc
	global_store_dwordx2 v[22:23], v[18:19], off
	s_or_b64 exec, exec, s[6:7]
	s_and_saveexec_b64 s[0:1], s[2:3]
	s_cbranch_execz .LBB309_19
.LBB309_23:                             ;   in Loop: Header=BB309_9 Depth=1
	s_waitcnt vmcnt(0)
	v_sub_co_u32_e32 v18, vcc, 0, v24
	v_subb_co_u32_e32 v19, vcc, 0, v25, vcc
	v_mov_b32_e32 v23, s9
	v_add_co_u32_e32 v22, vcc, s8, v12
	v_addc_co_u32_e32 v23, vcc, v11, v23, vcc
	global_store_dwordx2 v[22:23], v[18:19], off
	s_or_b64 exec, exec, s[0:1]
	s_and_saveexec_b64 s[0:1], s[4:5]
	s_cbranch_execz .LBB309_8
.LBB309_24:                             ;   in Loop: Header=BB309_9 Depth=1
	s_waitcnt vmcnt(0)
	v_sub_co_u32_e32 v18, vcc, 0, v20
	v_subb_co_u32_e32 v19, vcc, 0, v21, vcc
	v_mov_b32_e32 v21, s9
	v_add_co_u32_e32 v20, vcc, s8, v8
	v_addc_co_u32_e32 v21, vcc, v7, v21, vcc
	global_store_dwordx2 v[20:21], v[18:19], off
	s_branch .LBB309_8
.LBB309_25:
	s_endpgm
	.section	.rodata,"a",@progbits
	.p2align	6, 0x0
	.amdhsa_kernel _ZN2at6native12_GLOBAL__N_125multi_tensor_apply_kernelINS1_18TensorListMetadataILi2EEENS1_14UnaryOpFunctorIlLi2ELi1ELi1EEEJSt6negateIlEEEEvT_T0_DpT1_
		.amdhsa_group_segment_fixed_size 0
		.amdhsa_private_segment_fixed_size 0
		.amdhsa_kernarg_size 3408
		.amdhsa_user_sgpr_count 6
		.amdhsa_user_sgpr_private_segment_buffer 1
		.amdhsa_user_sgpr_dispatch_ptr 0
		.amdhsa_user_sgpr_queue_ptr 0
		.amdhsa_user_sgpr_kernarg_segment_ptr 1
		.amdhsa_user_sgpr_dispatch_id 0
		.amdhsa_user_sgpr_flat_scratch_init 0
		.amdhsa_user_sgpr_kernarg_preload_length 0
		.amdhsa_user_sgpr_kernarg_preload_offset 0
		.amdhsa_user_sgpr_private_segment_size 0
		.amdhsa_uses_dynamic_stack 0
		.amdhsa_system_sgpr_private_segment_wavefront_offset 0
		.amdhsa_system_sgpr_workgroup_id_x 1
		.amdhsa_system_sgpr_workgroup_id_y 0
		.amdhsa_system_sgpr_workgroup_id_z 0
		.amdhsa_system_sgpr_workgroup_info 0
		.amdhsa_system_vgpr_workitem_id 0
		.amdhsa_next_free_vgpr 34
		.amdhsa_next_free_sgpr 26
		.amdhsa_accum_offset 36
		.amdhsa_reserve_vcc 1
		.amdhsa_reserve_flat_scratch 0
		.amdhsa_float_round_mode_32 0
		.amdhsa_float_round_mode_16_64 0
		.amdhsa_float_denorm_mode_32 3
		.amdhsa_float_denorm_mode_16_64 3
		.amdhsa_dx10_clamp 1
		.amdhsa_ieee_mode 1
		.amdhsa_fp16_overflow 0
		.amdhsa_tg_split 0
		.amdhsa_exception_fp_ieee_invalid_op 0
		.amdhsa_exception_fp_denorm_src 0
		.amdhsa_exception_fp_ieee_div_zero 0
		.amdhsa_exception_fp_ieee_overflow 0
		.amdhsa_exception_fp_ieee_underflow 0
		.amdhsa_exception_fp_ieee_inexact 0
		.amdhsa_exception_int_div_zero 0
	.end_amdhsa_kernel
	.section	.text._ZN2at6native12_GLOBAL__N_125multi_tensor_apply_kernelINS1_18TensorListMetadataILi2EEENS1_14UnaryOpFunctorIlLi2ELi1ELi1EEEJSt6negateIlEEEEvT_T0_DpT1_,"axG",@progbits,_ZN2at6native12_GLOBAL__N_125multi_tensor_apply_kernelINS1_18TensorListMetadataILi2EEENS1_14UnaryOpFunctorIlLi2ELi1ELi1EEEJSt6negateIlEEEEvT_T0_DpT1_,comdat
.Lfunc_end309:
	.size	_ZN2at6native12_GLOBAL__N_125multi_tensor_apply_kernelINS1_18TensorListMetadataILi2EEENS1_14UnaryOpFunctorIlLi2ELi1ELi1EEEJSt6negateIlEEEEvT_T0_DpT1_, .Lfunc_end309-_ZN2at6native12_GLOBAL__N_125multi_tensor_apply_kernelINS1_18TensorListMetadataILi2EEENS1_14UnaryOpFunctorIlLi2ELi1ELi1EEEJSt6negateIlEEEEvT_T0_DpT1_
                                        ; -- End function
	.section	.AMDGPU.csdata,"",@progbits
; Kernel info:
; codeLenInByte = 1320
; NumSgprs: 30
; NumVgprs: 34
; NumAgprs: 0
; TotalNumVgprs: 34
; ScratchSize: 0
; MemoryBound: 0
; FloatMode: 240
; IeeeMode: 1
; LDSByteSize: 0 bytes/workgroup (compile time only)
; SGPRBlocks: 3
; VGPRBlocks: 4
; NumSGPRsForWavesPerEU: 30
; NumVGPRsForWavesPerEU: 34
; AccumOffset: 36
; Occupancy: 8
; WaveLimiterHint : 0
; COMPUTE_PGM_RSRC2:SCRATCH_EN: 0
; COMPUTE_PGM_RSRC2:USER_SGPR: 6
; COMPUTE_PGM_RSRC2:TRAP_HANDLER: 0
; COMPUTE_PGM_RSRC2:TGID_X_EN: 1
; COMPUTE_PGM_RSRC2:TGID_Y_EN: 0
; COMPUTE_PGM_RSRC2:TGID_Z_EN: 0
; COMPUTE_PGM_RSRC2:TIDIG_COMP_CNT: 0
; COMPUTE_PGM_RSRC3_GFX90A:ACCUM_OFFSET: 8
; COMPUTE_PGM_RSRC3_GFX90A:TG_SPLIT: 0
	.section	.text._ZN2at6native12_GLOBAL__N_125multi_tensor_apply_kernelINS1_18TensorListMetadataILi2EEENS1_14UnaryOpFunctorIsLi2ELi1ELi1EEEJSt6negateIsEEEEvT_T0_DpT1_,"axG",@progbits,_ZN2at6native12_GLOBAL__N_125multi_tensor_apply_kernelINS1_18TensorListMetadataILi2EEENS1_14UnaryOpFunctorIsLi2ELi1ELi1EEEJSt6negateIsEEEEvT_T0_DpT1_,comdat
	.globl	_ZN2at6native12_GLOBAL__N_125multi_tensor_apply_kernelINS1_18TensorListMetadataILi2EEENS1_14UnaryOpFunctorIsLi2ELi1ELi1EEEJSt6negateIsEEEEvT_T0_DpT1_ ; -- Begin function _ZN2at6native12_GLOBAL__N_125multi_tensor_apply_kernelINS1_18TensorListMetadataILi2EEENS1_14UnaryOpFunctorIsLi2ELi1ELi1EEEJSt6negateIsEEEEvT_T0_DpT1_
	.p2align	8
	.type	_ZN2at6native12_GLOBAL__N_125multi_tensor_apply_kernelINS1_18TensorListMetadataILi2EEENS1_14UnaryOpFunctorIsLi2ELi1ELi1EEEJSt6negateIsEEEEvT_T0_DpT1_,@function
_ZN2at6native12_GLOBAL__N_125multi_tensor_apply_kernelINS1_18TensorListMetadataILi2EEENS1_14UnaryOpFunctorIsLi2ELi1ELi1EEEJSt6negateIsEEEEvT_T0_DpT1_: ; @_ZN2at6native12_GLOBAL__N_125multi_tensor_apply_kernelINS1_18TensorListMetadataILi2EEENS1_14UnaryOpFunctorIsLi2ELi1ELi1EEEJSt6negateIsEEEEvT_T0_DpT1_
; %bb.0:
	v_mov_b32_e32 v1, s6
	global_load_ubyte v1, v1, s[4:5] offset:1536
	s_add_u32 s0, s4, s6
	s_mul_hi_u32 s2, s6, 3
	s_mul_i32 s6, s6, 3
	s_addc_u32 s7, s5, 0
	s_add_u32 s6, s0, s6
	s_addc_u32 s7, s7, s2
	s_mov_b32 s1, 0
	s_mov_b32 s3, s1
	s_waitcnt vmcnt(0)
	v_readfirstlane_b32 s0, v1
	s_lshl_b32 s0, s0, 3
	s_load_dword s10, s[6:7], 0x740
	s_load_dwordx2 s[16:17], s[4:5], s0 offset:0x0
	s_load_dwordx2 s[12:13], s[4:5], s0 offset:0x400
	;; [unrolled: 1-line block ×3, first 2 shown]
	s_mov_b32 s7, s1
	s_waitcnt lgkmcnt(0)
	s_ashr_i32 s11, s10, 31
	s_and_b32 s0, s16, 7
	s_and_b32 s6, s12, 3
	;; [unrolled: 1-line block ×3, first 2 shown]
	s_or_b64 s[6:7], s[0:1], s[6:7]
	s_lshl_b64 s[8:9], s[10:11], 17
	s_or_b64 s[2:3], s[2:3], s[6:7]
	s_lshl_b64 s[6:7], s[10:11], 16
	s_sub_u32 s10, s12, s6
	s_subb_u32 s11, s13, s7
	s_cmp_eq_u64 s[2:3], 0
	s_mov_b64 s[2:3], -1
	s_cbranch_scc0 .LBB310_5
; %bb.1:
	v_mov_b32_e32 v3, 0
	v_lshlrev_b32_e32 v2, 2, v0
	v_cmp_gt_i64_e32 vcc, s[10:11], v[2:3]
	s_and_saveexec_b64 s[12:13], vcc
	s_cbranch_execz .LBB310_4
; %bb.2:
	s_load_dword s0, s[4:5], 0xc5c
	v_lshlrev_b32_e32 v1, 3, v0
	v_mov_b32_e32 v2, s9
	v_add_co_u32_e32 v4, vcc, s8, v1
	s_waitcnt lgkmcnt(0)
	s_and_b32 s0, s0, 0xffff
	v_addc_co_u32_e32 v1, vcc, 0, v2, vcc
	s_lshl_b32 s22, s0, 3
	v_add_lshl_u32 v2, v0, s0, 2
	s_lshl_b32 s23, s0, 2
	s_mov_b64 s[18:19], 0
	v_mov_b32_e32 v5, s17
	v_mov_b32_e32 v6, s15
	s_mov_b64 s[20:21], 0xffff
	v_mov_b32_e32 v7, s1
	v_mov_b32_e32 v8, s1
	v_sub_co_u32_e64 v9, vcc, 0, 0
.LBB310_3:                              ; =>This Inner Loop Header: Depth=1
	v_add_co_u32_e64 v10, s[0:1], s16, v4
	v_addc_co_u32_e64 v11, s[0:1], v5, v1, s[0:1]
	global_load_dwordx2 v[10:11], v[10:11], off
	v_add_co_u32_e64 v12, s[0:1], s14, v4
	v_addc_co_u32_e64 v13, s[0:1], v6, v1, s[0:1]
	v_cmp_le_i64_e64 s[0:1], s[10:11], v[2:3]
	v_cmp_lt_u64_e64 s[2:3], s[20:21], v[2:3]
	s_or_b64 s[0:1], s[0:1], s[2:3]
	v_add_co_u32_e64 v4, s[6:7], s22, v4
	s_and_b64 s[0:1], exec, s[0:1]
	v_addc_co_u32_e64 v1, s[6:7], v1, v7, s[6:7]
	s_or_b64 s[18:19], s[0:1], s[18:19]
	v_add_co_u32_e64 v2, s[6:7], s23, v2
	v_addc_co_u32_e64 v3, s[6:7], v3, v8, s[6:7]
	s_waitcnt vmcnt(0)
	v_and_b32_e32 v14, 0xffff, v11
	v_and_b32_e32 v9, 0xffff0000, v10
	v_sub_u32_e32 v10, 0, v10
	v_subb_co_u32_e64 v14, s[0:1], 0, v14, vcc
	v_and_b32_e32 v11, 0xffff0000, v11
	v_sub_u32_sdwa v10, v10, v9 dst_sel:DWORD dst_unused:UNUSED_PAD src0_sel:WORD_0 src1_sel:DWORD
	v_and_b32_e32 v9, 0xffff, v14
	v_subb_co_u32_e64 v11, s[0:1], v9, v11, vcc
	global_store_dwordx2 v[12:13], v[10:11], off
	s_andn2_b64 exec, exec, s[18:19]
	s_cbranch_execnz .LBB310_3
.LBB310_4:
	s_or_b64 exec, exec, s[12:13]
	s_mov_b64 s[2:3], 0
.LBB310_5:
	s_andn2_b64 vcc, exec, s[2:3]
	s_cbranch_vccnz .LBB310_25
; %bb.6:
	v_cmp_lt_i64_e64 s[0:1], s[10:11], 1
	s_and_b64 vcc, exec, s[0:1]
	s_cbranch_vccnz .LBB310_25
; %bb.7:
	s_load_dword s0, s[4:5], 0xc5c
	v_mov_b32_e32 v2, 0x10000
	v_mov_b32_e32 v3, 0
	v_cmp_lt_u64_e32 vcc, s[10:11], v[2:3]
	v_lshlrev_b32_e32 v10, 1, v0
	s_waitcnt lgkmcnt(0)
	s_and_b32 s2, s0, 0xffff
	s_and_b64 s[0:1], vcc, exec
	v_mov_b32_e32 v13, s17
	v_add_co_u32_e32 v2, vcc, s16, v10
	v_addc_co_u32_e32 v1, vcc, 0, v13, vcc
	v_mov_b32_e32 v11, 0
	v_mov_b32_e32 v15, s15
	v_add_co_u32_e32 v4, vcc, s14, v10
	v_addc_co_u32_e32 v3, vcc, 0, v15, vcc
	v_mad_u64_u32 v[8:9], s[0:1], s2, 6, v[10:11]
	v_add_co_u32_e32 v6, vcc, s16, v8
	v_addc_co_u32_e32 v5, vcc, v13, v9, vcc
	v_add_co_u32_e32 v8, vcc, s14, v8
	s_mul_i32 s4, s2, 3
	v_addc_co_u32_e32 v7, vcc, v15, v9, vcc
	s_cselect_b32 s13, s11, 0
	s_cselect_b32 s12, s10, 0x10000
	s_lshl_b32 s19, s2, 2
	v_add_co_u32_e32 v17, vcc, s4, v0
	v_addc_co_u32_e64 v18, s[0:1], 0, 0, vcc
	v_add_co_u32_e32 v11, vcc, s19, v10
	v_addc_co_u32_e64 v14, s[0:1], 0, 0, vcc
	v_add_co_u32_e32 v10, vcc, s16, v11
	v_addc_co_u32_e32 v9, vcc, v13, v14, vcc
	v_add_co_u32_e32 v12, vcc, s14, v11
	s_lshl_b32 s3, s2, 1
	v_addc_co_u32_e32 v11, vcc, v15, v14, vcc
	v_add_co_u32_e32 v19, vcc, s3, v0
	v_addc_co_u32_e64 v20, s[0:1], 0, 0, vcc
	v_add_co_u32_e32 v21, vcc, s2, v0
	v_lshlrev_b32_e32 v16, 1, v21
	v_addc_co_u32_e64 v22, s[0:1], 0, 0, vcc
	v_add_co_u32_e32 v14, vcc, s16, v16
	v_addc_co_u32_e32 v13, vcc, 0, v13, vcc
	v_add_co_u32_e32 v16, vcc, s14, v16
	s_mov_b32 s18, 0
	s_lshl_b32 s20, s2, 3
	v_addc_co_u32_e32 v15, vcc, 0, v15, vcc
	s_mov_b64 s[14:15], 0
	s_branch .LBB310_9
.LBB310_8:                              ;   in Loop: Header=BB310_9 Depth=1
	s_or_b64 exec, exec, s[0:1]
	s_add_u32 s14, s14, s19
	s_addc_u32 s15, s15, 0
	s_waitcnt vmcnt(0)
	v_pk_mov_b32 v[24:25], s[10:11], s[10:11] op_sel:[0,1]
	v_cmp_ge_i64_e32 vcc, s[14:15], v[24:25]
	v_mov_b32_e32 v24, 0xffff
	v_mov_b32_e32 v25, 0
	v_cmp_gt_u64_e64 s[0:1], s[14:15], v[24:25]
	s_or_b64 s[0:1], vcc, s[0:1]
	v_mov_b32_e32 v23, s18
	v_add_co_u32_e32 v2, vcc, s20, v2
	v_addc_co_u32_e32 v1, vcc, v1, v23, vcc
	v_add_co_u32_e32 v4, vcc, s20, v4
	v_addc_co_u32_e32 v3, vcc, v3, v23, vcc
	;; [unrolled: 2-line block ×8, first 2 shown]
	s_and_b64 vcc, exec, s[0:1]
	s_cbranch_vccnz .LBB310_25
.LBB310_9:                              ; =>This Inner Loop Header: Depth=1
	v_mov_b32_e32 v23, s15
	v_add_co_u32_e32 v24, vcc, s14, v0
	v_addc_co_u32_e32 v25, vcc, 0, v23, vcc
	v_cmp_gt_u64_e32 vcc, s[12:13], v[24:25]
	v_mov_b32_e32 v23, 0
	s_and_saveexec_b64 s[2:3], vcc
	s_cbranch_execz .LBB310_11
; %bb.10:                               ;   in Loop: Header=BB310_9 Depth=1
	v_mov_b32_e32 v23, s9
	v_add_co_u32_e64 v24, s[0:1], s8, v2
	v_addc_co_u32_e64 v25, s[0:1], v1, v23, s[0:1]
	global_load_ushort v23, v[24:25], off
.LBB310_11:                             ;   in Loop: Header=BB310_9 Depth=1
	s_or_b64 exec, exec, s[2:3]
	v_mov_b32_e32 v25, s15
	v_add_co_u32_e64 v24, s[0:1], s14, v21
	v_addc_co_u32_e64 v25, s[0:1], v22, v25, s[0:1]
	v_cmp_gt_u64_e64 s[0:1], s[12:13], v[24:25]
	v_mov_b32_e32 v25, 0
	s_and_saveexec_b64 s[4:5], s[0:1]
	s_cbranch_execz .LBB310_13
; %bb.12:                               ;   in Loop: Header=BB310_9 Depth=1
	v_mov_b32_e32 v25, s9
	v_add_co_u32_e64 v24, s[2:3], s8, v14
	v_addc_co_u32_e64 v25, s[2:3], v13, v25, s[2:3]
	global_load_ushort v25, v[24:25], off
.LBB310_13:                             ;   in Loop: Header=BB310_9 Depth=1
	s_or_b64 exec, exec, s[4:5]
	v_mov_b32_e32 v24, s15
	v_add_co_u32_e64 v26, s[2:3], s14, v19
	v_addc_co_u32_e64 v27, s[2:3], v20, v24, s[2:3]
	v_cmp_gt_u64_e64 s[2:3], s[12:13], v[26:27]
	v_mov_b32_e32 v24, 0
	v_mov_b32_e32 v26, 0
	s_and_saveexec_b64 s[6:7], s[2:3]
	s_cbranch_execz .LBB310_15
; %bb.14:                               ;   in Loop: Header=BB310_9 Depth=1
	v_mov_b32_e32 v27, s9
	v_add_co_u32_e64 v26, s[4:5], s8, v10
	v_addc_co_u32_e64 v27, s[4:5], v9, v27, s[4:5]
	global_load_ushort v26, v[26:27], off
.LBB310_15:                             ;   in Loop: Header=BB310_9 Depth=1
	s_or_b64 exec, exec, s[6:7]
	v_mov_b32_e32 v27, s15
	v_add_co_u32_e64 v28, s[4:5], s14, v17
	v_addc_co_u32_e64 v29, s[4:5], v18, v27, s[4:5]
	v_cmp_gt_u64_e64 s[4:5], s[12:13], v[28:29]
	s_and_saveexec_b64 s[16:17], s[4:5]
	s_cbranch_execnz .LBB310_20
; %bb.16:                               ;   in Loop: Header=BB310_9 Depth=1
	s_or_b64 exec, exec, s[16:17]
	s_and_saveexec_b64 s[6:7], vcc
	s_cbranch_execnz .LBB310_21
.LBB310_17:                             ;   in Loop: Header=BB310_9 Depth=1
	s_or_b64 exec, exec, s[6:7]
	s_and_saveexec_b64 s[6:7], s[0:1]
	s_cbranch_execnz .LBB310_22
.LBB310_18:                             ;   in Loop: Header=BB310_9 Depth=1
	s_or_b64 exec, exec, s[6:7]
	s_and_saveexec_b64 s[0:1], s[2:3]
	s_cbranch_execnz .LBB310_23
.LBB310_19:                             ;   in Loop: Header=BB310_9 Depth=1
	s_or_b64 exec, exec, s[0:1]
	s_and_saveexec_b64 s[0:1], s[4:5]
	s_cbranch_execz .LBB310_8
	s_branch .LBB310_24
.LBB310_20:                             ;   in Loop: Header=BB310_9 Depth=1
	v_mov_b32_e32 v24, s9
	v_add_co_u32_e64 v28, s[6:7], s8, v6
	v_addc_co_u32_e64 v29, s[6:7], v5, v24, s[6:7]
	global_load_ushort v24, v[28:29], off
	s_or_b64 exec, exec, s[16:17]
	s_and_saveexec_b64 s[6:7], vcc
	s_cbranch_execz .LBB310_17
.LBB310_21:                             ;   in Loop: Header=BB310_9 Depth=1
	v_mov_b32_e32 v27, s9
	v_add_co_u32_e32 v28, vcc, s8, v4
	v_addc_co_u32_e32 v29, vcc, v3, v27, vcc
	s_waitcnt vmcnt(0)
	v_sub_u16_e32 v23, 0, v23
	global_store_short v[28:29], v23, off
	s_or_b64 exec, exec, s[6:7]
	s_and_saveexec_b64 s[6:7], s[0:1]
	s_cbranch_execz .LBB310_18
.LBB310_22:                             ;   in Loop: Header=BB310_9 Depth=1
	s_waitcnt vmcnt(0)
	v_sub_u16_e32 v23, 0, v25
	v_mov_b32_e32 v25, s9
	v_add_co_u32_e32 v28, vcc, s8, v16
	v_addc_co_u32_e32 v29, vcc, v15, v25, vcc
	global_store_short v[28:29], v23, off
	s_or_b64 exec, exec, s[6:7]
	s_and_saveexec_b64 s[0:1], s[2:3]
	s_cbranch_execz .LBB310_19
.LBB310_23:                             ;   in Loop: Header=BB310_9 Depth=1
	s_waitcnt vmcnt(0)
	v_sub_u16_e32 v23, 0, v26
	v_mov_b32_e32 v25, s9
	v_add_co_u32_e32 v26, vcc, s8, v12
	v_addc_co_u32_e32 v27, vcc, v11, v25, vcc
	global_store_short v[26:27], v23, off
	s_or_b64 exec, exec, s[0:1]
	s_and_saveexec_b64 s[0:1], s[4:5]
	s_cbranch_execz .LBB310_8
.LBB310_24:                             ;   in Loop: Header=BB310_9 Depth=1
	s_waitcnt vmcnt(0)
	v_sub_u16_e32 v23, 0, v24
	v_mov_b32_e32 v25, s9
	v_add_co_u32_e32 v24, vcc, s8, v8
	v_addc_co_u32_e32 v25, vcc, v7, v25, vcc
	global_store_short v[24:25], v23, off
	s_branch .LBB310_8
.LBB310_25:
	s_endpgm
	.section	.rodata,"a",@progbits
	.p2align	6, 0x0
	.amdhsa_kernel _ZN2at6native12_GLOBAL__N_125multi_tensor_apply_kernelINS1_18TensorListMetadataILi2EEENS1_14UnaryOpFunctorIsLi2ELi1ELi1EEEJSt6negateIsEEEEvT_T0_DpT1_
		.amdhsa_group_segment_fixed_size 0
		.amdhsa_private_segment_fixed_size 0
		.amdhsa_kernarg_size 3408
		.amdhsa_user_sgpr_count 6
		.amdhsa_user_sgpr_private_segment_buffer 1
		.amdhsa_user_sgpr_dispatch_ptr 0
		.amdhsa_user_sgpr_queue_ptr 0
		.amdhsa_user_sgpr_kernarg_segment_ptr 1
		.amdhsa_user_sgpr_dispatch_id 0
		.amdhsa_user_sgpr_flat_scratch_init 0
		.amdhsa_user_sgpr_kernarg_preload_length 0
		.amdhsa_user_sgpr_kernarg_preload_offset 0
		.amdhsa_user_sgpr_private_segment_size 0
		.amdhsa_uses_dynamic_stack 0
		.amdhsa_system_sgpr_private_segment_wavefront_offset 0
		.amdhsa_system_sgpr_workgroup_id_x 1
		.amdhsa_system_sgpr_workgroup_id_y 0
		.amdhsa_system_sgpr_workgroup_id_z 0
		.amdhsa_system_sgpr_workgroup_info 0
		.amdhsa_system_vgpr_workitem_id 0
		.amdhsa_next_free_vgpr 30
		.amdhsa_next_free_sgpr 24
		.amdhsa_accum_offset 32
		.amdhsa_reserve_vcc 1
		.amdhsa_reserve_flat_scratch 0
		.amdhsa_float_round_mode_32 0
		.amdhsa_float_round_mode_16_64 0
		.amdhsa_float_denorm_mode_32 3
		.amdhsa_float_denorm_mode_16_64 3
		.amdhsa_dx10_clamp 1
		.amdhsa_ieee_mode 1
		.amdhsa_fp16_overflow 0
		.amdhsa_tg_split 0
		.amdhsa_exception_fp_ieee_invalid_op 0
		.amdhsa_exception_fp_denorm_src 0
		.amdhsa_exception_fp_ieee_div_zero 0
		.amdhsa_exception_fp_ieee_overflow 0
		.amdhsa_exception_fp_ieee_underflow 0
		.amdhsa_exception_fp_ieee_inexact 0
		.amdhsa_exception_int_div_zero 0
	.end_amdhsa_kernel
	.section	.text._ZN2at6native12_GLOBAL__N_125multi_tensor_apply_kernelINS1_18TensorListMetadataILi2EEENS1_14UnaryOpFunctorIsLi2ELi1ELi1EEEJSt6negateIsEEEEvT_T0_DpT1_,"axG",@progbits,_ZN2at6native12_GLOBAL__N_125multi_tensor_apply_kernelINS1_18TensorListMetadataILi2EEENS1_14UnaryOpFunctorIsLi2ELi1ELi1EEEJSt6negateIsEEEEvT_T0_DpT1_,comdat
.Lfunc_end310:
	.size	_ZN2at6native12_GLOBAL__N_125multi_tensor_apply_kernelINS1_18TensorListMetadataILi2EEENS1_14UnaryOpFunctorIsLi2ELi1ELi1EEEJSt6negateIsEEEEvT_T0_DpT1_, .Lfunc_end310-_ZN2at6native12_GLOBAL__N_125multi_tensor_apply_kernelINS1_18TensorListMetadataILi2EEENS1_14UnaryOpFunctorIsLi2ELi1ELi1EEEJSt6negateIsEEEEvT_T0_DpT1_
                                        ; -- End function
	.section	.AMDGPU.csdata,"",@progbits
; Kernel info:
; codeLenInByte = 1308
; NumSgprs: 28
; NumVgprs: 30
; NumAgprs: 0
; TotalNumVgprs: 30
; ScratchSize: 0
; MemoryBound: 0
; FloatMode: 240
; IeeeMode: 1
; LDSByteSize: 0 bytes/workgroup (compile time only)
; SGPRBlocks: 3
; VGPRBlocks: 3
; NumSGPRsForWavesPerEU: 28
; NumVGPRsForWavesPerEU: 30
; AccumOffset: 32
; Occupancy: 8
; WaveLimiterHint : 0
; COMPUTE_PGM_RSRC2:SCRATCH_EN: 0
; COMPUTE_PGM_RSRC2:USER_SGPR: 6
; COMPUTE_PGM_RSRC2:TRAP_HANDLER: 0
; COMPUTE_PGM_RSRC2:TGID_X_EN: 1
; COMPUTE_PGM_RSRC2:TGID_Y_EN: 0
; COMPUTE_PGM_RSRC2:TGID_Z_EN: 0
; COMPUTE_PGM_RSRC2:TIDIG_COMP_CNT: 0
; COMPUTE_PGM_RSRC3_GFX90A:ACCUM_OFFSET: 7
; COMPUTE_PGM_RSRC3_GFX90A:TG_SPLIT: 0
	.section	.text._ZN2at6native12_GLOBAL__N_125multi_tensor_apply_kernelINS1_18TensorListMetadataILi2EEENS1_14UnaryOpFunctorIdLi2ELi1ELi1EEEJSt6negateIdEEEEvT_T0_DpT1_,"axG",@progbits,_ZN2at6native12_GLOBAL__N_125multi_tensor_apply_kernelINS1_18TensorListMetadataILi2EEENS1_14UnaryOpFunctorIdLi2ELi1ELi1EEEJSt6negateIdEEEEvT_T0_DpT1_,comdat
	.globl	_ZN2at6native12_GLOBAL__N_125multi_tensor_apply_kernelINS1_18TensorListMetadataILi2EEENS1_14UnaryOpFunctorIdLi2ELi1ELi1EEEJSt6negateIdEEEEvT_T0_DpT1_ ; -- Begin function _ZN2at6native12_GLOBAL__N_125multi_tensor_apply_kernelINS1_18TensorListMetadataILi2EEENS1_14UnaryOpFunctorIdLi2ELi1ELi1EEEJSt6negateIdEEEEvT_T0_DpT1_
	.p2align	8
	.type	_ZN2at6native12_GLOBAL__N_125multi_tensor_apply_kernelINS1_18TensorListMetadataILi2EEENS1_14UnaryOpFunctorIdLi2ELi1ELi1EEEJSt6negateIdEEEEvT_T0_DpT1_,@function
_ZN2at6native12_GLOBAL__N_125multi_tensor_apply_kernelINS1_18TensorListMetadataILi2EEENS1_14UnaryOpFunctorIdLi2ELi1ELi1EEEJSt6negateIdEEEEvT_T0_DpT1_: ; @_ZN2at6native12_GLOBAL__N_125multi_tensor_apply_kernelINS1_18TensorListMetadataILi2EEENS1_14UnaryOpFunctorIdLi2ELi1ELi1EEEJSt6negateIdEEEEvT_T0_DpT1_
; %bb.0:
	v_mov_b32_e32 v1, s6
	global_load_ubyte v1, v1, s[4:5] offset:1536
	s_add_u32 s0, s4, s6
	s_mul_hi_u32 s2, s6, 3
	s_mul_i32 s6, s6, 3
	s_addc_u32 s7, s5, 0
	s_add_u32 s6, s0, s6
	s_addc_u32 s7, s7, s2
	s_load_dword s12, s[6:7], 0x740
	s_mov_b32 s1, 0
	s_mov_b32 s11, s1
	;; [unrolled: 1-line block ×3, first 2 shown]
	s_waitcnt lgkmcnt(0)
	s_ashr_i32 s13, s12, 31
	s_lshl_b64 s[8:9], s[12:13], 19
	s_waitcnt vmcnt(0)
	v_readfirstlane_b32 s0, v1
	s_lshl_b32 s0, s0, 3
	s_load_dwordx2 s[14:15], s[4:5], s0 offset:0x0
	s_load_dwordx2 s[16:17], s[4:5], s0 offset:0x400
	;; [unrolled: 1-line block ×3, first 2 shown]
	s_waitcnt lgkmcnt(0)
	s_add_u32 s20, s14, s8
	s_addc_u32 s21, s15, s9
	s_and_b32 s0, s20, 31
	s_add_u32 s22, s6, s8
	s_addc_u32 s23, s7, s9
	s_and_b32 s10, s16, 3
	s_and_b32 s2, s22, 31
	s_or_b64 s[10:11], s[0:1], s[10:11]
	s_or_b64 s[2:3], s[2:3], s[10:11]
	s_lshl_b64 s[10:11], s[12:13], 16
	s_sub_u32 s10, s16, s10
	s_subb_u32 s11, s17, s11
	s_cmp_eq_u64 s[2:3], 0
	s_mov_b64 s[2:3], -1
	s_cbranch_scc0 .LBB311_5
; %bb.1:
	v_mov_b32_e32 v3, 0
	v_lshlrev_b32_e32 v2, 2, v0
	v_cmp_gt_i64_e32 vcc, s[10:11], v[2:3]
	s_and_saveexec_b64 s[12:13], vcc
	s_cbranch_execz .LBB311_4
; %bb.2:
	s_load_dword s0, s[4:5], 0xc5c
	v_lshlrev_b32_e32 v4, 5, v0
	s_mov_b64 s[16:17], 0
	s_mov_b64 s[18:19], 0xffff
	v_mov_b32_e32 v1, s1
	s_waitcnt lgkmcnt(0)
	s_and_b32 s0, s0, 0xffff
	v_add_lshl_u32 v2, v0, s0, 2
	s_lshl_b32 s24, s0, 2
	s_lshl_b32 s25, s0, 5
.LBB311_3:                              ; =>This Inner Loop Header: Depth=1
	v_mov_b32_e32 v5, s21
	v_add_co_u32_e32 v14, vcc, s20, v4
	v_addc_co_u32_e32 v15, vcc, 0, v5, vcc
	global_load_dwordx4 v[6:9], v[14:15], off
	global_load_dwordx4 v[10:13], v[14:15], off offset:16
	v_cmp_le_i64_e32 vcc, s[10:11], v[2:3]
	v_cmp_lt_u64_e64 s[0:1], s[18:19], v[2:3]
	s_or_b64 s[0:1], vcc, s[0:1]
	v_add_co_u32_e64 v2, s[2:3], s24, v2
	s_add_u32 s20, s20, s25
	v_addc_co_u32_e64 v3, s[2:3], v3, v1, s[2:3]
	s_addc_u32 s21, s21, 0
	v_add_co_u32_e64 v14, s[2:3], s22, v4
	s_add_u32 s22, s22, s25
	v_mov_b32_e32 v5, s23
	s_addc_u32 s23, s23, 0
	s_and_b64 s[0:1], exec, s[0:1]
	v_addc_co_u32_e64 v15, s[2:3], 0, v5, s[2:3]
	s_or_b64 s[16:17], s[0:1], s[16:17]
	s_waitcnt vmcnt(1)
	v_xor_b32_e32 v7, 0x80000000, v7
	v_xor_b32_e32 v9, 0x80000000, v9
	s_waitcnt vmcnt(0)
	v_xor_b32_e32 v11, 0x80000000, v11
	v_xor_b32_e32 v13, 0x80000000, v13
	global_store_dwordx4 v[14:15], v[6:9], off
	global_store_dwordx4 v[14:15], v[10:13], off offset:16
	s_andn2_b64 exec, exec, s[16:17]
	s_cbranch_execnz .LBB311_3
.LBB311_4:
	s_or_b64 exec, exec, s[12:13]
	s_mov_b64 s[2:3], 0
.LBB311_5:
	s_andn2_b64 vcc, exec, s[2:3]
	s_cbranch_vccnz .LBB311_25
; %bb.6:
	v_cmp_lt_i64_e64 s[0:1], s[10:11], 1
	s_and_b64 vcc, exec, s[0:1]
	s_cbranch_vccnz .LBB311_25
; %bb.7:
	s_load_dword s0, s[4:5], 0xc5c
	v_mov_b32_e32 v2, 0x10000
	v_mov_b32_e32 v3, 0
	v_cmp_lt_u64_e32 vcc, s[10:11], v[2:3]
	v_lshlrev_b32_e32 v10, 3, v0
	s_waitcnt lgkmcnt(0)
	s_and_b32 s2, s0, 0xffff
	s_and_b64 s[0:1], vcc, exec
	v_mov_b32_e32 v13, s15
	v_add_co_u32_e32 v2, vcc, s14, v10
	v_addc_co_u32_e32 v1, vcc, 0, v13, vcc
	v_mov_b32_e32 v11, 0
	v_mov_b32_e32 v15, s7
	v_add_co_u32_e32 v4, vcc, s6, v10
	v_addc_co_u32_e32 v3, vcc, 0, v15, vcc
	v_mad_u64_u32 v[8:9], s[0:1], s2, 24, v[10:11]
	v_add_co_u32_e32 v6, vcc, s14, v8
	v_addc_co_u32_e32 v5, vcc, v13, v9, vcc
	v_add_co_u32_e32 v8, vcc, s6, v8
	s_mul_i32 s4, s2, 3
	v_addc_co_u32_e32 v7, vcc, v15, v9, vcc
	v_add_co_u32_e32 v17, vcc, s4, v0
	v_addc_co_u32_e64 v26, s[0:1], 0, 0, vcc
	s_cselect_b32 s13, s11, 0
	s_cselect_b32 s12, s10, 0x10000
	s_lshl_b32 s0, s2, 4
	v_add_co_u32_e32 v11, vcc, s0, v10
	v_addc_co_u32_e64 v14, s[0:1], 0, 0, vcc
	v_add_co_u32_e32 v10, vcc, s14, v11
	v_addc_co_u32_e32 v9, vcc, v13, v14, vcc
	v_add_co_u32_e32 v12, vcc, s6, v11
	s_lshl_b32 s3, s2, 1
	v_addc_co_u32_e32 v11, vcc, v15, v14, vcc
	v_add_co_u32_e32 v27, vcc, s3, v0
	v_addc_co_u32_e64 v28, s[0:1], 0, 0, vcc
	v_add_co_u32_e32 v29, vcc, s2, v0
	v_lshlrev_b32_e32 v16, 3, v29
	v_addc_co_u32_e64 v30, s[0:1], 0, 0, vcc
	v_add_co_u32_e32 v14, vcc, s14, v16
	v_addc_co_u32_e32 v13, vcc, 0, v13, vcc
	v_add_co_u32_e32 v16, vcc, s6, v16
	s_mov_b32 s18, 0
	s_lshl_b32 s19, s2, 2
	s_lshl_b32 s20, s2, 5
	v_addc_co_u32_e32 v15, vcc, 0, v15, vcc
	s_mov_b64 s[14:15], 0
	s_branch .LBB311_9
.LBB311_8:                              ;   in Loop: Header=BB311_9 Depth=1
	s_or_b64 exec, exec, s[0:1]
	s_add_u32 s14, s14, s19
	s_addc_u32 s15, s15, 0
	s_waitcnt vmcnt(0)
	v_pk_mov_b32 v[18:19], s[10:11], s[10:11] op_sel:[0,1]
	v_cmp_ge_i64_e32 vcc, s[14:15], v[18:19]
	v_mov_b32_e32 v18, 0xffff
	v_mov_b32_e32 v19, 0
	v_cmp_gt_u64_e64 s[0:1], s[14:15], v[18:19]
	s_or_b64 s[0:1], vcc, s[0:1]
	v_mov_b32_e32 v18, s18
	v_add_co_u32_e32 v2, vcc, s20, v2
	v_addc_co_u32_e32 v1, vcc, v1, v18, vcc
	v_add_co_u32_e32 v4, vcc, s20, v4
	v_addc_co_u32_e32 v3, vcc, v3, v18, vcc
	;; [unrolled: 2-line block ×8, first 2 shown]
	s_and_b64 vcc, exec, s[0:1]
	s_cbranch_vccnz .LBB311_25
.LBB311_9:                              ; =>This Inner Loop Header: Depth=1
	v_mov_b32_e32 v19, s15
	v_add_co_u32_e32 v18, vcc, s14, v0
	v_addc_co_u32_e32 v19, vcc, 0, v19, vcc
	v_cmp_gt_u64_e32 vcc, s[12:13], v[18:19]
	v_pk_mov_b32 v[18:19], 0, 0
	v_pk_mov_b32 v[22:23], v[18:19], v[18:19] op_sel:[0,1]
	s_and_saveexec_b64 s[2:3], vcc
	s_cbranch_execz .LBB311_11
; %bb.10:                               ;   in Loop: Header=BB311_9 Depth=1
	v_mov_b32_e32 v21, s9
	v_add_co_u32_e64 v20, s[0:1], s8, v2
	v_addc_co_u32_e64 v21, s[0:1], v1, v21, s[0:1]
	global_load_dwordx2 v[22:23], v[20:21], off
.LBB311_11:                             ;   in Loop: Header=BB311_9 Depth=1
	s_or_b64 exec, exec, s[2:3]
	v_mov_b32_e32 v21, s15
	v_add_co_u32_e64 v20, s[0:1], s14, v29
	v_addc_co_u32_e64 v21, s[0:1], v30, v21, s[0:1]
	v_cmp_gt_u64_e64 s[0:1], s[12:13], v[20:21]
	s_and_saveexec_b64 s[4:5], s[0:1]
	s_cbranch_execz .LBB311_13
; %bb.12:                               ;   in Loop: Header=BB311_9 Depth=1
	v_mov_b32_e32 v19, s9
	v_add_co_u32_e64 v18, s[2:3], s8, v14
	v_addc_co_u32_e64 v19, s[2:3], v13, v19, s[2:3]
	global_load_dwordx2 v[18:19], v[18:19], off
.LBB311_13:                             ;   in Loop: Header=BB311_9 Depth=1
	s_or_b64 exec, exec, s[4:5]
	v_mov_b32_e32 v21, s15
	v_add_co_u32_e64 v20, s[2:3], s14, v27
	v_addc_co_u32_e64 v21, s[2:3], v28, v21, s[2:3]
	v_cmp_gt_u64_e64 s[2:3], s[12:13], v[20:21]
	v_pk_mov_b32 v[20:21], 0, 0
	v_pk_mov_b32 v[24:25], v[20:21], v[20:21] op_sel:[0,1]
	s_and_saveexec_b64 s[6:7], s[2:3]
	s_cbranch_execz .LBB311_15
; %bb.14:                               ;   in Loop: Header=BB311_9 Depth=1
	v_mov_b32_e32 v25, s9
	v_add_co_u32_e64 v24, s[4:5], s8, v10
	v_addc_co_u32_e64 v25, s[4:5], v9, v25, s[4:5]
	global_load_dwordx2 v[24:25], v[24:25], off
.LBB311_15:                             ;   in Loop: Header=BB311_9 Depth=1
	s_or_b64 exec, exec, s[6:7]
	v_mov_b32_e32 v31, s15
	v_add_co_u32_e64 v32, s[4:5], s14, v17
	v_addc_co_u32_e64 v33, s[4:5], v26, v31, s[4:5]
	v_cmp_gt_u64_e64 s[4:5], s[12:13], v[32:33]
	s_and_saveexec_b64 s[16:17], s[4:5]
	s_cbranch_execnz .LBB311_20
; %bb.16:                               ;   in Loop: Header=BB311_9 Depth=1
	s_or_b64 exec, exec, s[16:17]
	s_and_saveexec_b64 s[6:7], vcc
	s_cbranch_execnz .LBB311_21
.LBB311_17:                             ;   in Loop: Header=BB311_9 Depth=1
	s_or_b64 exec, exec, s[6:7]
	s_and_saveexec_b64 s[6:7], s[0:1]
	s_cbranch_execnz .LBB311_22
.LBB311_18:                             ;   in Loop: Header=BB311_9 Depth=1
	s_or_b64 exec, exec, s[6:7]
	s_and_saveexec_b64 s[0:1], s[2:3]
	s_cbranch_execnz .LBB311_23
.LBB311_19:                             ;   in Loop: Header=BB311_9 Depth=1
	s_or_b64 exec, exec, s[0:1]
	s_and_saveexec_b64 s[0:1], s[4:5]
	s_cbranch_execz .LBB311_8
	s_branch .LBB311_24
.LBB311_20:                             ;   in Loop: Header=BB311_9 Depth=1
	v_mov_b32_e32 v21, s9
	v_add_co_u32_e64 v20, s[6:7], s8, v6
	v_addc_co_u32_e64 v21, s[6:7], v5, v21, s[6:7]
	global_load_dwordx2 v[20:21], v[20:21], off
	s_or_b64 exec, exec, s[16:17]
	s_and_saveexec_b64 s[6:7], vcc
	s_cbranch_execz .LBB311_17
.LBB311_21:                             ;   in Loop: Header=BB311_9 Depth=1
	v_mov_b32_e32 v31, s9
	v_add_co_u32_e32 v32, vcc, s8, v4
	v_addc_co_u32_e32 v33, vcc, v3, v31, vcc
	s_waitcnt vmcnt(0)
	v_xor_b32_e32 v23, 0x80000000, v23
	global_store_dwordx2 v[32:33], v[22:23], off
	s_or_b64 exec, exec, s[6:7]
	s_and_saveexec_b64 s[6:7], s[0:1]
	s_cbranch_execz .LBB311_18
.LBB311_22:                             ;   in Loop: Header=BB311_9 Depth=1
	s_waitcnt vmcnt(0)
	v_mov_b32_e32 v23, s9
	v_add_co_u32_e32 v22, vcc, s8, v16
	v_xor_b32_e32 v19, 0x80000000, v19
	v_addc_co_u32_e32 v23, vcc, v15, v23, vcc
	global_store_dwordx2 v[22:23], v[18:19], off
	s_or_b64 exec, exec, s[6:7]
	s_and_saveexec_b64 s[0:1], s[2:3]
	s_cbranch_execz .LBB311_19
.LBB311_23:                             ;   in Loop: Header=BB311_9 Depth=1
	s_waitcnt vmcnt(0)
	v_mov_b32_e32 v19, s9
	v_add_co_u32_e32 v18, vcc, s8, v12
	v_xor_b32_e32 v25, 0x80000000, v25
	v_addc_co_u32_e32 v19, vcc, v11, v19, vcc
	global_store_dwordx2 v[18:19], v[24:25], off
	s_or_b64 exec, exec, s[0:1]
	s_and_saveexec_b64 s[0:1], s[4:5]
	s_cbranch_execz .LBB311_8
.LBB311_24:                             ;   in Loop: Header=BB311_9 Depth=1
	s_waitcnt vmcnt(0)
	v_mov_b32_e32 v19, s9
	v_add_co_u32_e32 v18, vcc, s8, v8
	v_xor_b32_e32 v21, 0x80000000, v21
	v_addc_co_u32_e32 v19, vcc, v7, v19, vcc
	global_store_dwordx2 v[18:19], v[20:21], off
	s_branch .LBB311_8
.LBB311_25:
	s_endpgm
	.section	.rodata,"a",@progbits
	.p2align	6, 0x0
	.amdhsa_kernel _ZN2at6native12_GLOBAL__N_125multi_tensor_apply_kernelINS1_18TensorListMetadataILi2EEENS1_14UnaryOpFunctorIdLi2ELi1ELi1EEEJSt6negateIdEEEEvT_T0_DpT1_
		.amdhsa_group_segment_fixed_size 0
		.amdhsa_private_segment_fixed_size 0
		.amdhsa_kernarg_size 3408
		.amdhsa_user_sgpr_count 6
		.amdhsa_user_sgpr_private_segment_buffer 1
		.amdhsa_user_sgpr_dispatch_ptr 0
		.amdhsa_user_sgpr_queue_ptr 0
		.amdhsa_user_sgpr_kernarg_segment_ptr 1
		.amdhsa_user_sgpr_dispatch_id 0
		.amdhsa_user_sgpr_flat_scratch_init 0
		.amdhsa_user_sgpr_kernarg_preload_length 0
		.amdhsa_user_sgpr_kernarg_preload_offset 0
		.amdhsa_user_sgpr_private_segment_size 0
		.amdhsa_uses_dynamic_stack 0
		.amdhsa_system_sgpr_private_segment_wavefront_offset 0
		.amdhsa_system_sgpr_workgroup_id_x 1
		.amdhsa_system_sgpr_workgroup_id_y 0
		.amdhsa_system_sgpr_workgroup_id_z 0
		.amdhsa_system_sgpr_workgroup_info 0
		.amdhsa_system_vgpr_workitem_id 0
		.amdhsa_next_free_vgpr 34
		.amdhsa_next_free_sgpr 26
		.amdhsa_accum_offset 36
		.amdhsa_reserve_vcc 1
		.amdhsa_reserve_flat_scratch 0
		.amdhsa_float_round_mode_32 0
		.amdhsa_float_round_mode_16_64 0
		.amdhsa_float_denorm_mode_32 3
		.amdhsa_float_denorm_mode_16_64 3
		.amdhsa_dx10_clamp 1
		.amdhsa_ieee_mode 1
		.amdhsa_fp16_overflow 0
		.amdhsa_tg_split 0
		.amdhsa_exception_fp_ieee_invalid_op 0
		.amdhsa_exception_fp_denorm_src 0
		.amdhsa_exception_fp_ieee_div_zero 0
		.amdhsa_exception_fp_ieee_overflow 0
		.amdhsa_exception_fp_ieee_underflow 0
		.amdhsa_exception_fp_ieee_inexact 0
		.amdhsa_exception_int_div_zero 0
	.end_amdhsa_kernel
	.section	.text._ZN2at6native12_GLOBAL__N_125multi_tensor_apply_kernelINS1_18TensorListMetadataILi2EEENS1_14UnaryOpFunctorIdLi2ELi1ELi1EEEJSt6negateIdEEEEvT_T0_DpT1_,"axG",@progbits,_ZN2at6native12_GLOBAL__N_125multi_tensor_apply_kernelINS1_18TensorListMetadataILi2EEENS1_14UnaryOpFunctorIdLi2ELi1ELi1EEEJSt6negateIdEEEEvT_T0_DpT1_,comdat
.Lfunc_end311:
	.size	_ZN2at6native12_GLOBAL__N_125multi_tensor_apply_kernelINS1_18TensorListMetadataILi2EEENS1_14UnaryOpFunctorIdLi2ELi1ELi1EEEJSt6negateIdEEEEvT_T0_DpT1_, .Lfunc_end311-_ZN2at6native12_GLOBAL__N_125multi_tensor_apply_kernelINS1_18TensorListMetadataILi2EEENS1_14UnaryOpFunctorIdLi2ELi1ELi1EEEJSt6negateIdEEEEvT_T0_DpT1_
                                        ; -- End function
	.section	.AMDGPU.csdata,"",@progbits
; Kernel info:
; codeLenInByte = 1320
; NumSgprs: 30
; NumVgprs: 34
; NumAgprs: 0
; TotalNumVgprs: 34
; ScratchSize: 0
; MemoryBound: 0
; FloatMode: 240
; IeeeMode: 1
; LDSByteSize: 0 bytes/workgroup (compile time only)
; SGPRBlocks: 3
; VGPRBlocks: 4
; NumSGPRsForWavesPerEU: 30
; NumVGPRsForWavesPerEU: 34
; AccumOffset: 36
; Occupancy: 8
; WaveLimiterHint : 0
; COMPUTE_PGM_RSRC2:SCRATCH_EN: 0
; COMPUTE_PGM_RSRC2:USER_SGPR: 6
; COMPUTE_PGM_RSRC2:TRAP_HANDLER: 0
; COMPUTE_PGM_RSRC2:TGID_X_EN: 1
; COMPUTE_PGM_RSRC2:TGID_Y_EN: 0
; COMPUTE_PGM_RSRC2:TGID_Z_EN: 0
; COMPUTE_PGM_RSRC2:TIDIG_COMP_CNT: 0
; COMPUTE_PGM_RSRC3_GFX90A:ACCUM_OFFSET: 8
; COMPUTE_PGM_RSRC3_GFX90A:TG_SPLIT: 0
	.section	.text._ZN2at6native12_GLOBAL__N_125multi_tensor_apply_kernelINS1_18TensorListMetadataILi2EEENS1_14UnaryOpFunctorIfLi2ELi1ELi1EEEJSt6negateIfEEEEvT_T0_DpT1_,"axG",@progbits,_ZN2at6native12_GLOBAL__N_125multi_tensor_apply_kernelINS1_18TensorListMetadataILi2EEENS1_14UnaryOpFunctorIfLi2ELi1ELi1EEEJSt6negateIfEEEEvT_T0_DpT1_,comdat
	.globl	_ZN2at6native12_GLOBAL__N_125multi_tensor_apply_kernelINS1_18TensorListMetadataILi2EEENS1_14UnaryOpFunctorIfLi2ELi1ELi1EEEJSt6negateIfEEEEvT_T0_DpT1_ ; -- Begin function _ZN2at6native12_GLOBAL__N_125multi_tensor_apply_kernelINS1_18TensorListMetadataILi2EEENS1_14UnaryOpFunctorIfLi2ELi1ELi1EEEJSt6negateIfEEEEvT_T0_DpT1_
	.p2align	8
	.type	_ZN2at6native12_GLOBAL__N_125multi_tensor_apply_kernelINS1_18TensorListMetadataILi2EEENS1_14UnaryOpFunctorIfLi2ELi1ELi1EEEJSt6negateIfEEEEvT_T0_DpT1_,@function
_ZN2at6native12_GLOBAL__N_125multi_tensor_apply_kernelINS1_18TensorListMetadataILi2EEENS1_14UnaryOpFunctorIfLi2ELi1ELi1EEEJSt6negateIfEEEEvT_T0_DpT1_: ; @_ZN2at6native12_GLOBAL__N_125multi_tensor_apply_kernelINS1_18TensorListMetadataILi2EEENS1_14UnaryOpFunctorIfLi2ELi1ELi1EEEJSt6negateIfEEEEvT_T0_DpT1_
; %bb.0:
	v_mov_b32_e32 v1, s6
	global_load_ubyte v1, v1, s[4:5] offset:1536
	s_add_u32 s0, s4, s6
	s_mul_hi_u32 s2, s6, 3
	s_mul_i32 s6, s6, 3
	s_addc_u32 s7, s5, 0
	s_add_u32 s8, s0, s6
	s_addc_u32 s9, s7, s2
	s_mov_b32 s1, 0
	s_mov_b32 s17, s1
	;; [unrolled: 1-line block ×3, first 2 shown]
	s_waitcnt vmcnt(0)
	v_readfirstlane_b32 s0, v1
	s_lshl_b32 s0, s0, 3
	s_load_dword s10, s[8:9], 0x740
	s_load_dwordx2 s[14:15], s[4:5], s0 offset:0x0
	s_load_dwordx2 s[12:13], s[4:5], s0 offset:0x400
	s_load_dwordx2 s[6:7], s[4:5], s0 offset:0x200
	s_waitcnt lgkmcnt(0)
	s_ashr_i32 s11, s10, 31
	s_and_b32 s0, s14, 15
	s_and_b32 s16, s12, 3
	;; [unrolled: 1-line block ×3, first 2 shown]
	s_or_b64 s[16:17], s[0:1], s[16:17]
	s_lshl_b64 s[8:9], s[10:11], 18
	s_or_b64 s[2:3], s[2:3], s[16:17]
	s_lshl_b64 s[10:11], s[10:11], 16
	s_sub_u32 s10, s12, s10
	s_subb_u32 s11, s13, s11
	s_cmp_eq_u64 s[2:3], 0
	s_mov_b64 s[2:3], -1
	s_cbranch_scc0 .LBB312_5
; %bb.1:
	v_mov_b32_e32 v3, 0
	v_lshlrev_b32_e32 v2, 2, v0
	v_cmp_gt_i64_e32 vcc, s[10:11], v[2:3]
	s_and_saveexec_b64 s[12:13], vcc
	s_cbranch_execz .LBB312_4
; %bb.2:
	s_load_dword s0, s[4:5], 0xc5c
	v_lshlrev_b32_e32 v1, 4, v0
	v_mov_b32_e32 v4, s9
	v_add_co_u32_e32 v1, vcc, s8, v1
	v_addc_co_u32_e32 v5, vcc, 0, v4, vcc
	s_waitcnt lgkmcnt(0)
	s_and_b32 s0, s0, 0xffff
	v_add_co_u32_e32 v4, vcc, 8, v1
	v_add_lshl_u32 v2, v0, s0, 2
	s_lshl_b32 s20, s0, 2
	v_addc_co_u32_e32 v1, vcc, 0, v5, vcc
	s_lshl_b32 s21, s0, 4
	s_mov_b64 s[16:17], 0
	v_mov_b32_e32 v5, s15
	v_mov_b32_e32 v6, s7
	s_mov_b64 s[18:19], 0xffff
	v_mov_b32_e32 v7, s1
	v_mov_b32_e32 v8, s1
.LBB312_3:                              ; =>This Inner Loop Header: Depth=1
	v_add_co_u32_e32 v10, vcc, s14, v4
	v_addc_co_u32_e32 v11, vcc, v5, v1, vcc
	global_load_dwordx4 v[10:13], v[10:11], off offset:-8
	v_add_co_u32_e32 v14, vcc, s6, v4
	v_addc_co_u32_e32 v15, vcc, v6, v1, vcc
	v_cmp_le_i64_e32 vcc, s[10:11], v[2:3]
	v_cmp_lt_u64_e64 s[0:1], s[18:19], v[2:3]
	v_add_co_u32_e64 v2, s[2:3], s20, v2
	v_addc_co_u32_e64 v3, s[2:3], v3, v7, s[2:3]
	s_or_b64 s[0:1], vcc, s[0:1]
	v_add_co_u32_e64 v4, s[2:3], s21, v4
	s_and_b64 s[0:1], exec, s[0:1]
	v_addc_co_u32_e64 v1, s[2:3], v1, v8, s[2:3]
	s_or_b64 s[16:17], s[0:1], s[16:17]
	s_waitcnt vmcnt(0)
	v_xor_b32_e32 v11, 0x80000000, v11
	v_xor_b32_e32 v10, 0x80000000, v10
	;; [unrolled: 1-line block ×4, first 2 shown]
	global_store_dwordx4 v[14:15], v[10:13], off offset:-8
	s_andn2_b64 exec, exec, s[16:17]
	s_cbranch_execnz .LBB312_3
.LBB312_4:
	s_or_b64 exec, exec, s[12:13]
	s_mov_b64 s[2:3], 0
.LBB312_5:
	s_andn2_b64 vcc, exec, s[2:3]
	s_cbranch_vccnz .LBB312_25
; %bb.6:
	v_cmp_lt_i64_e64 s[0:1], s[10:11], 1
	s_and_b64 vcc, exec, s[0:1]
	s_cbranch_vccnz .LBB312_25
; %bb.7:
	s_load_dword s0, s[4:5], 0xc5c
	v_mov_b32_e32 v2, 0x10000
	v_mov_b32_e32 v3, 0
	v_cmp_lt_u64_e32 vcc, s[10:11], v[2:3]
	v_lshlrev_b32_e32 v10, 2, v0
	s_waitcnt lgkmcnt(0)
	s_and_b32 s2, s0, 0xffff
	s_and_b64 s[0:1], vcc, exec
	v_mov_b32_e32 v13, s15
	v_add_co_u32_e32 v2, vcc, s14, v10
	v_addc_co_u32_e32 v1, vcc, 0, v13, vcc
	v_mov_b32_e32 v11, 0
	v_mov_b32_e32 v15, s7
	v_add_co_u32_e32 v4, vcc, s6, v10
	v_addc_co_u32_e32 v3, vcc, 0, v15, vcc
	v_mad_u64_u32 v[8:9], s[0:1], s2, 12, v[10:11]
	v_add_co_u32_e32 v6, vcc, s14, v8
	v_addc_co_u32_e32 v5, vcc, v13, v9, vcc
	v_add_co_u32_e32 v8, vcc, s6, v8
	s_mul_i32 s4, s2, 3
	v_addc_co_u32_e32 v7, vcc, v15, v9, vcc
	v_add_co_u32_e32 v17, vcc, s4, v0
	v_addc_co_u32_e64 v18, s[0:1], 0, 0, vcc
	s_cselect_b32 s13, s11, 0
	s_cselect_b32 s12, s10, 0x10000
	s_lshl_b32 s0, s2, 3
	v_add_co_u32_e32 v11, vcc, s0, v10
	v_addc_co_u32_e64 v14, s[0:1], 0, 0, vcc
	v_add_co_u32_e32 v10, vcc, s14, v11
	v_addc_co_u32_e32 v9, vcc, v13, v14, vcc
	v_add_co_u32_e32 v12, vcc, s6, v11
	s_lshl_b32 s3, s2, 1
	v_addc_co_u32_e32 v11, vcc, v15, v14, vcc
	v_add_co_u32_e32 v19, vcc, s3, v0
	v_addc_co_u32_e64 v20, s[0:1], 0, 0, vcc
	v_add_co_u32_e32 v21, vcc, s2, v0
	v_lshlrev_b32_e32 v16, 2, v21
	v_addc_co_u32_e64 v22, s[0:1], 0, 0, vcc
	v_add_co_u32_e32 v14, vcc, s14, v16
	v_addc_co_u32_e32 v13, vcc, 0, v13, vcc
	v_add_co_u32_e32 v16, vcc, s6, v16
	s_mov_b32 s18, 0
	s_lshl_b32 s19, s2, 2
	s_lshl_b32 s20, s2, 4
	v_addc_co_u32_e32 v15, vcc, 0, v15, vcc
	s_mov_b64 s[14:15], 0
	s_branch .LBB312_9
.LBB312_8:                              ;   in Loop: Header=BB312_9 Depth=1
	s_or_b64 exec, exec, s[0:1]
	s_add_u32 s14, s14, s19
	s_addc_u32 s15, s15, 0
	s_waitcnt vmcnt(0)
	v_pk_mov_b32 v[24:25], s[10:11], s[10:11] op_sel:[0,1]
	v_cmp_ge_i64_e32 vcc, s[14:15], v[24:25]
	v_mov_b32_e32 v24, 0xffff
	v_mov_b32_e32 v25, 0
	v_cmp_gt_u64_e64 s[0:1], s[14:15], v[24:25]
	s_or_b64 s[0:1], vcc, s[0:1]
	v_mov_b32_e32 v23, s18
	v_add_co_u32_e32 v2, vcc, s20, v2
	v_addc_co_u32_e32 v1, vcc, v1, v23, vcc
	v_add_co_u32_e32 v4, vcc, s20, v4
	v_addc_co_u32_e32 v3, vcc, v3, v23, vcc
	;; [unrolled: 2-line block ×8, first 2 shown]
	s_and_b64 vcc, exec, s[0:1]
	s_cbranch_vccnz .LBB312_25
.LBB312_9:                              ; =>This Inner Loop Header: Depth=1
	v_mov_b32_e32 v23, s15
	v_add_co_u32_e32 v24, vcc, s14, v0
	v_addc_co_u32_e32 v25, vcc, 0, v23, vcc
	v_cmp_gt_u64_e32 vcc, s[12:13], v[24:25]
	v_mov_b32_e32 v23, 0
	s_and_saveexec_b64 s[2:3], vcc
	s_cbranch_execz .LBB312_11
; %bb.10:                               ;   in Loop: Header=BB312_9 Depth=1
	v_mov_b32_e32 v23, s9
	v_add_co_u32_e64 v24, s[0:1], s8, v2
	v_addc_co_u32_e64 v25, s[0:1], v1, v23, s[0:1]
	global_load_dword v23, v[24:25], off
.LBB312_11:                             ;   in Loop: Header=BB312_9 Depth=1
	s_or_b64 exec, exec, s[2:3]
	v_mov_b32_e32 v25, s15
	v_add_co_u32_e64 v24, s[0:1], s14, v21
	v_addc_co_u32_e64 v25, s[0:1], v22, v25, s[0:1]
	v_cmp_gt_u64_e64 s[0:1], s[12:13], v[24:25]
	v_mov_b32_e32 v25, 0
	s_and_saveexec_b64 s[4:5], s[0:1]
	s_cbranch_execz .LBB312_13
; %bb.12:                               ;   in Loop: Header=BB312_9 Depth=1
	v_mov_b32_e32 v25, s9
	v_add_co_u32_e64 v24, s[2:3], s8, v14
	v_addc_co_u32_e64 v25, s[2:3], v13, v25, s[2:3]
	global_load_dword v25, v[24:25], off
.LBB312_13:                             ;   in Loop: Header=BB312_9 Depth=1
	s_or_b64 exec, exec, s[4:5]
	v_mov_b32_e32 v24, s15
	v_add_co_u32_e64 v26, s[2:3], s14, v19
	v_addc_co_u32_e64 v27, s[2:3], v20, v24, s[2:3]
	v_cmp_gt_u64_e64 s[2:3], s[12:13], v[26:27]
	v_mov_b32_e32 v24, 0
	v_mov_b32_e32 v26, 0
	s_and_saveexec_b64 s[6:7], s[2:3]
	s_cbranch_execz .LBB312_15
; %bb.14:                               ;   in Loop: Header=BB312_9 Depth=1
	v_mov_b32_e32 v27, s9
	v_add_co_u32_e64 v26, s[4:5], s8, v10
	v_addc_co_u32_e64 v27, s[4:5], v9, v27, s[4:5]
	global_load_dword v26, v[26:27], off
.LBB312_15:                             ;   in Loop: Header=BB312_9 Depth=1
	s_or_b64 exec, exec, s[6:7]
	v_mov_b32_e32 v27, s15
	v_add_co_u32_e64 v28, s[4:5], s14, v17
	v_addc_co_u32_e64 v29, s[4:5], v18, v27, s[4:5]
	v_cmp_gt_u64_e64 s[4:5], s[12:13], v[28:29]
	s_and_saveexec_b64 s[16:17], s[4:5]
	s_cbranch_execnz .LBB312_20
; %bb.16:                               ;   in Loop: Header=BB312_9 Depth=1
	s_or_b64 exec, exec, s[16:17]
	s_and_saveexec_b64 s[6:7], vcc
	s_cbranch_execnz .LBB312_21
.LBB312_17:                             ;   in Loop: Header=BB312_9 Depth=1
	s_or_b64 exec, exec, s[6:7]
	s_and_saveexec_b64 s[6:7], s[0:1]
	s_cbranch_execnz .LBB312_22
.LBB312_18:                             ;   in Loop: Header=BB312_9 Depth=1
	s_or_b64 exec, exec, s[6:7]
	s_and_saveexec_b64 s[0:1], s[2:3]
	s_cbranch_execnz .LBB312_23
.LBB312_19:                             ;   in Loop: Header=BB312_9 Depth=1
	s_or_b64 exec, exec, s[0:1]
	s_and_saveexec_b64 s[0:1], s[4:5]
	s_cbranch_execz .LBB312_8
	s_branch .LBB312_24
.LBB312_20:                             ;   in Loop: Header=BB312_9 Depth=1
	v_mov_b32_e32 v24, s9
	v_add_co_u32_e64 v28, s[6:7], s8, v6
	v_addc_co_u32_e64 v29, s[6:7], v5, v24, s[6:7]
	global_load_dword v24, v[28:29], off
	s_or_b64 exec, exec, s[16:17]
	s_and_saveexec_b64 s[6:7], vcc
	s_cbranch_execz .LBB312_17
.LBB312_21:                             ;   in Loop: Header=BB312_9 Depth=1
	v_mov_b32_e32 v27, s9
	v_add_co_u32_e32 v28, vcc, s8, v4
	v_addc_co_u32_e32 v29, vcc, v3, v27, vcc
	s_waitcnt vmcnt(0)
	v_xor_b32_e32 v23, 0x80000000, v23
	global_store_dword v[28:29], v23, off
	s_or_b64 exec, exec, s[6:7]
	s_and_saveexec_b64 s[6:7], s[0:1]
	s_cbranch_execz .LBB312_18
.LBB312_22:                             ;   in Loop: Header=BB312_9 Depth=1
	s_waitcnt vmcnt(0)
	v_xor_b32_e32 v23, 0x80000000, v25
	v_mov_b32_e32 v25, s9
	v_add_co_u32_e32 v28, vcc, s8, v16
	v_addc_co_u32_e32 v29, vcc, v15, v25, vcc
	global_store_dword v[28:29], v23, off
	s_or_b64 exec, exec, s[6:7]
	s_and_saveexec_b64 s[0:1], s[2:3]
	s_cbranch_execz .LBB312_19
.LBB312_23:                             ;   in Loop: Header=BB312_9 Depth=1
	s_waitcnt vmcnt(0)
	v_xor_b32_e32 v23, 0x80000000, v26
	v_mov_b32_e32 v25, s9
	v_add_co_u32_e32 v26, vcc, s8, v12
	v_addc_co_u32_e32 v27, vcc, v11, v25, vcc
	global_store_dword v[26:27], v23, off
	s_or_b64 exec, exec, s[0:1]
	s_and_saveexec_b64 s[0:1], s[4:5]
	s_cbranch_execz .LBB312_8
.LBB312_24:                             ;   in Loop: Header=BB312_9 Depth=1
	s_waitcnt vmcnt(0)
	v_xor_b32_e32 v23, 0x80000000, v24
	v_mov_b32_e32 v25, s9
	v_add_co_u32_e32 v24, vcc, s8, v8
	v_addc_co_u32_e32 v25, vcc, v7, v25, vcc
	global_store_dword v[24:25], v23, off
	s_branch .LBB312_8
.LBB312_25:
	s_endpgm
	.section	.rodata,"a",@progbits
	.p2align	6, 0x0
	.amdhsa_kernel _ZN2at6native12_GLOBAL__N_125multi_tensor_apply_kernelINS1_18TensorListMetadataILi2EEENS1_14UnaryOpFunctorIfLi2ELi1ELi1EEEJSt6negateIfEEEEvT_T0_DpT1_
		.amdhsa_group_segment_fixed_size 0
		.amdhsa_private_segment_fixed_size 0
		.amdhsa_kernarg_size 3408
		.amdhsa_user_sgpr_count 6
		.amdhsa_user_sgpr_private_segment_buffer 1
		.amdhsa_user_sgpr_dispatch_ptr 0
		.amdhsa_user_sgpr_queue_ptr 0
		.amdhsa_user_sgpr_kernarg_segment_ptr 1
		.amdhsa_user_sgpr_dispatch_id 0
		.amdhsa_user_sgpr_flat_scratch_init 0
		.amdhsa_user_sgpr_kernarg_preload_length 0
		.amdhsa_user_sgpr_kernarg_preload_offset 0
		.amdhsa_user_sgpr_private_segment_size 0
		.amdhsa_uses_dynamic_stack 0
		.amdhsa_system_sgpr_private_segment_wavefront_offset 0
		.amdhsa_system_sgpr_workgroup_id_x 1
		.amdhsa_system_sgpr_workgroup_id_y 0
		.amdhsa_system_sgpr_workgroup_id_z 0
		.amdhsa_system_sgpr_workgroup_info 0
		.amdhsa_system_vgpr_workitem_id 0
		.amdhsa_next_free_vgpr 30
		.amdhsa_next_free_sgpr 22
		.amdhsa_accum_offset 32
		.amdhsa_reserve_vcc 1
		.amdhsa_reserve_flat_scratch 0
		.amdhsa_float_round_mode_32 0
		.amdhsa_float_round_mode_16_64 0
		.amdhsa_float_denorm_mode_32 3
		.amdhsa_float_denorm_mode_16_64 3
		.amdhsa_dx10_clamp 1
		.amdhsa_ieee_mode 1
		.amdhsa_fp16_overflow 0
		.amdhsa_tg_split 0
		.amdhsa_exception_fp_ieee_invalid_op 0
		.amdhsa_exception_fp_denorm_src 0
		.amdhsa_exception_fp_ieee_div_zero 0
		.amdhsa_exception_fp_ieee_overflow 0
		.amdhsa_exception_fp_ieee_underflow 0
		.amdhsa_exception_fp_ieee_inexact 0
		.amdhsa_exception_int_div_zero 0
	.end_amdhsa_kernel
	.section	.text._ZN2at6native12_GLOBAL__N_125multi_tensor_apply_kernelINS1_18TensorListMetadataILi2EEENS1_14UnaryOpFunctorIfLi2ELi1ELi1EEEJSt6negateIfEEEEvT_T0_DpT1_,"axG",@progbits,_ZN2at6native12_GLOBAL__N_125multi_tensor_apply_kernelINS1_18TensorListMetadataILi2EEENS1_14UnaryOpFunctorIfLi2ELi1ELi1EEEJSt6negateIfEEEEvT_T0_DpT1_,comdat
.Lfunc_end312:
	.size	_ZN2at6native12_GLOBAL__N_125multi_tensor_apply_kernelINS1_18TensorListMetadataILi2EEENS1_14UnaryOpFunctorIfLi2ELi1ELi1EEEJSt6negateIfEEEEvT_T0_DpT1_, .Lfunc_end312-_ZN2at6native12_GLOBAL__N_125multi_tensor_apply_kernelINS1_18TensorListMetadataILi2EEENS1_14UnaryOpFunctorIfLi2ELi1ELi1EEEJSt6negateIfEEEEvT_T0_DpT1_
                                        ; -- End function
	.section	.AMDGPU.csdata,"",@progbits
; Kernel info:
; codeLenInByte = 1280
; NumSgprs: 26
; NumVgprs: 30
; NumAgprs: 0
; TotalNumVgprs: 30
; ScratchSize: 0
; MemoryBound: 0
; FloatMode: 240
; IeeeMode: 1
; LDSByteSize: 0 bytes/workgroup (compile time only)
; SGPRBlocks: 3
; VGPRBlocks: 3
; NumSGPRsForWavesPerEU: 26
; NumVGPRsForWavesPerEU: 30
; AccumOffset: 32
; Occupancy: 8
; WaveLimiterHint : 0
; COMPUTE_PGM_RSRC2:SCRATCH_EN: 0
; COMPUTE_PGM_RSRC2:USER_SGPR: 6
; COMPUTE_PGM_RSRC2:TRAP_HANDLER: 0
; COMPUTE_PGM_RSRC2:TGID_X_EN: 1
; COMPUTE_PGM_RSRC2:TGID_Y_EN: 0
; COMPUTE_PGM_RSRC2:TGID_Z_EN: 0
; COMPUTE_PGM_RSRC2:TIDIG_COMP_CNT: 0
; COMPUTE_PGM_RSRC3_GFX90A:ACCUM_OFFSET: 7
; COMPUTE_PGM_RSRC3_GFX90A:TG_SPLIT: 0
	.section	.text._ZN2at6native12_GLOBAL__N_125multi_tensor_apply_kernelINS1_18TensorListMetadataILi2EEENS1_14UnaryOpFunctorIN3c107complexIdEELi2ELi1ELi1EEEJSt6negateIS8_EEEEvT_T0_DpT1_,"axG",@progbits,_ZN2at6native12_GLOBAL__N_125multi_tensor_apply_kernelINS1_18TensorListMetadataILi2EEENS1_14UnaryOpFunctorIN3c107complexIdEELi2ELi1ELi1EEEJSt6negateIS8_EEEEvT_T0_DpT1_,comdat
	.globl	_ZN2at6native12_GLOBAL__N_125multi_tensor_apply_kernelINS1_18TensorListMetadataILi2EEENS1_14UnaryOpFunctorIN3c107complexIdEELi2ELi1ELi1EEEJSt6negateIS8_EEEEvT_T0_DpT1_ ; -- Begin function _ZN2at6native12_GLOBAL__N_125multi_tensor_apply_kernelINS1_18TensorListMetadataILi2EEENS1_14UnaryOpFunctorIN3c107complexIdEELi2ELi1ELi1EEEJSt6negateIS8_EEEEvT_T0_DpT1_
	.p2align	8
	.type	_ZN2at6native12_GLOBAL__N_125multi_tensor_apply_kernelINS1_18TensorListMetadataILi2EEENS1_14UnaryOpFunctorIN3c107complexIdEELi2ELi1ELi1EEEJSt6negateIS8_EEEEvT_T0_DpT1_,@function
_ZN2at6native12_GLOBAL__N_125multi_tensor_apply_kernelINS1_18TensorListMetadataILi2EEENS1_14UnaryOpFunctorIN3c107complexIdEELi2ELi1ELi1EEEJSt6negateIS8_EEEEvT_T0_DpT1_: ; @_ZN2at6native12_GLOBAL__N_125multi_tensor_apply_kernelINS1_18TensorListMetadataILi2EEENS1_14UnaryOpFunctorIN3c107complexIdEELi2ELi1ELi1EEEJSt6negateIS8_EEEEvT_T0_DpT1_
; %bb.0:
	v_mov_b32_e32 v1, s6
	global_load_ubyte v1, v1, s[4:5] offset:1536
	s_add_u32 s0, s4, s6
	s_mul_hi_u32 s2, s6, 3
	s_mul_i32 s6, s6, 3
	s_addc_u32 s7, s5, 0
	s_add_u32 s6, s0, s6
	s_addc_u32 s7, s7, s2
	s_load_dword s10, s[6:7], 0x740
	s_mov_b32 s1, 0
	s_mov_b32 s3, s1
	;; [unrolled: 1-line block ×3, first 2 shown]
	s_waitcnt lgkmcnt(0)
	s_ashr_i32 s11, s10, 31
	s_lshl_b64 s[8:9], s[10:11], 20
	s_waitcnt vmcnt(0)
	v_readfirstlane_b32 s0, v1
	s_lshl_b32 s0, s0, 3
	s_load_dwordx2 s[16:17], s[4:5], s0 offset:0x0
	s_load_dwordx2 s[12:13], s[4:5], s0 offset:0x400
	;; [unrolled: 1-line block ×3, first 2 shown]
	s_waitcnt lgkmcnt(0)
	s_add_u32 s20, s16, s8
	s_addc_u32 s21, s17, s9
	s_add_u32 s22, s6, s8
	s_addc_u32 s23, s7, s9
	s_and_b32 s2, s20, 63
	s_and_b32 s14, s12, 3
	s_and_b32 s0, s22, 63
	s_or_b64 s[2:3], s[2:3], s[14:15]
	s_lshl_b64 s[10:11], s[10:11], 16
	s_or_b64 s[2:3], s[0:1], s[2:3]
	s_sub_u32 s10, s12, s10
	s_subb_u32 s11, s13, s11
	s_cmp_eq_u64 s[2:3], 0
	s_mov_b64 s[2:3], -1
	s_cbranch_scc0 .LBB313_5
; %bb.1:
	v_mov_b32_e32 v3, 0
	v_lshlrev_b32_e32 v2, 2, v0
	v_cmp_gt_i64_e32 vcc, s[10:11], v[2:3]
	s_and_saveexec_b64 s[12:13], vcc
	s_cbranch_execz .LBB313_4
; %bb.2:
	s_load_dword s0, s[4:5], 0xc5c
	v_lshlrev_b32_e32 v4, 6, v0
	s_mov_b64 s[14:15], 0
	s_mov_b64 s[18:19], 0xffff
	v_mov_b32_e32 v1, s1
	s_waitcnt lgkmcnt(0)
	s_and_b32 s0, s0, 0xffff
	v_add_lshl_u32 v2, v0, s0, 2
	s_lshl_b32 s24, s0, 2
	s_lshl_b32 s25, s0, 6
.LBB313_3:                              ; =>This Inner Loop Header: Depth=1
	v_mov_b32_e32 v5, s21
	v_add_co_u32_e32 v22, vcc, s20, v4
	v_addc_co_u32_e32 v23, vcc, 0, v5, vcc
	global_load_dwordx4 v[6:9], v[22:23], off
	global_load_dwordx4 v[10:13], v[22:23], off offset:16
	global_load_dwordx4 v[14:17], v[22:23], off offset:32
	;; [unrolled: 1-line block ×3, first 2 shown]
	v_cmp_le_i64_e32 vcc, s[10:11], v[2:3]
	v_cmp_lt_u64_e64 s[0:1], s[18:19], v[2:3]
	s_or_b64 s[0:1], vcc, s[0:1]
	v_add_co_u32_e64 v2, s[2:3], s24, v2
	s_add_u32 s20, s20, s25
	v_addc_co_u32_e64 v3, s[2:3], v3, v1, s[2:3]
	s_addc_u32 s21, s21, 0
	v_add_co_u32_e64 v22, s[2:3], s22, v4
	s_add_u32 s22, s22, s25
	v_mov_b32_e32 v5, s23
	s_addc_u32 s23, s23, 0
	s_and_b64 s[0:1], exec, s[0:1]
	v_addc_co_u32_e64 v23, s[2:3], 0, v5, s[2:3]
	s_or_b64 s[14:15], s[0:1], s[14:15]
	s_waitcnt vmcnt(3)
	v_xor_b32_e32 v7, 0x80000000, v7
	v_xor_b32_e32 v9, 0x80000000, v9
	s_waitcnt vmcnt(2)
	v_xor_b32_e32 v11, 0x80000000, v11
	v_xor_b32_e32 v13, 0x80000000, v13
	s_waitcnt vmcnt(1)
	v_xor_b32_e32 v15, 0x80000000, v15
	v_xor_b32_e32 v17, 0x80000000, v17
	s_waitcnt vmcnt(0)
	v_xor_b32_e32 v19, 0x80000000, v19
	v_xor_b32_e32 v21, 0x80000000, v21
	global_store_dwordx4 v[22:23], v[6:9], off
	global_store_dwordx4 v[22:23], v[10:13], off offset:16
	global_store_dwordx4 v[22:23], v[14:17], off offset:32
	;; [unrolled: 1-line block ×3, first 2 shown]
	s_andn2_b64 exec, exec, s[14:15]
	s_cbranch_execnz .LBB313_3
.LBB313_4:
	s_or_b64 exec, exec, s[12:13]
	s_mov_b64 s[2:3], 0
.LBB313_5:
	s_andn2_b64 vcc, exec, s[2:3]
	s_cbranch_vccnz .LBB313_25
; %bb.6:
	v_cmp_lt_i64_e64 s[0:1], s[10:11], 1
	s_and_b64 vcc, exec, s[0:1]
	s_cbranch_vccnz .LBB313_25
; %bb.7:
	s_load_dword s0, s[4:5], 0xc5c
	v_mov_b32_e32 v2, 0x10000
	v_mov_b32_e32 v3, 0
	v_cmp_lt_u64_e32 vcc, s[10:11], v[2:3]
	v_lshl_or_b32 v2, v0, 4, 8
	s_waitcnt lgkmcnt(0)
	s_and_b32 s21, s0, 0xffff
	s_and_b64 s[0:1], vcc, exec
	v_mov_b32_e32 v6, s17
	v_add_co_u32_e32 v18, vcc, s16, v2
	v_addc_co_u32_e32 v19, vcc, 0, v6, vcc
	v_mov_b32_e32 v7, s7
	v_add_co_u32_e32 v20, vcc, s6, v2
	v_mov_b32_e32 v1, 0
	v_addc_co_u32_e32 v21, vcc, 0, v7, vcc
	v_add_lshl_u32 v8, v0, s21, 4
	v_mov_b32_e32 v3, v1
	v_add_co_u32_e32 v22, vcc, s6, v8
	v_addc_co_u32_e32 v23, vcc, 0, v7, vcc
	v_mad_u64_u32 v[4:5], s[0:1], s21, 48, v[2:3]
	v_add_co_u32_e32 v24, vcc, s16, v4
	v_addc_co_u32_e32 v25, vcc, v6, v5, vcc
	v_add_co_u32_e32 v26, vcc, s16, v8
	v_addc_co_u32_e32 v27, vcc, 0, v6, vcc
	v_add_co_u32_e32 v28, vcc, s6, v4
	s_cselect_b32 s13, s11, 0
	s_cselect_b32 s12, s10, 0x10000
	v_addc_co_u32_e32 v29, vcc, v7, v5, vcc
	s_lshl_b32 s0, s21, 5
	v_add_co_u32_e32 v2, vcc, s0, v2
	v_addc_co_u32_e64 v3, s[0:1], 0, 0, vcc
	v_add_co_u32_e32 v30, vcc, s16, v2
	s_mov_b32 s20, 0
	v_addc_co_u32_e32 v31, vcc, v6, v3, vcc
	s_lshl_b32 s14, s21, 2
	s_mov_b32 s15, s20
	v_add_co_u32_e32 v32, vcc, s6, v2
	s_lshl_b32 s22, s21, 1
	s_mov_b32 s23, s20
	s_mul_i32 s24, s21, 3
	s_mov_b32 s25, s20
	s_lshl_b32 s26, s21, 6
	s_mov_b32 s27, s20
	v_addc_co_u32_e32 v33, vcc, v7, v3, vcc
	s_mov_b64 s[16:17], s[14:15]
	s_branch .LBB313_9
.LBB313_8:                              ;   in Loop: Header=BB313_9 Depth=1
	s_or_b64 exec, exec, s[0:1]
	s_waitcnt vmcnt(0)
	v_pk_mov_b32 v[2:3], s[10:11], s[10:11] op_sel:[0,1]
	v_cmp_ge_i64_e32 vcc, s[16:17], v[2:3]
	v_mov_b32_e32 v2, 0xffff
	v_mov_b32_e32 v3, 0
	v_cmp_gt_u64_e64 s[0:1], s[16:17], v[2:3]
	s_or_b64 s[0:1], vcc, s[0:1]
	v_mov_b32_e32 v2, s15
	v_add_co_u32_e32 v0, vcc, s14, v0
	v_addc_co_u32_e32 v1, vcc, v1, v2, vcc
	v_mov_b32_e32 v2, s27
	v_add_co_u32_e32 v18, vcc, s26, v18
	v_addc_co_u32_e32 v19, vcc, v19, v2, vcc
	v_add_co_u32_e32 v20, vcc, s26, v20
	v_addc_co_u32_e32 v21, vcc, v21, v2, vcc
	;; [unrolled: 2-line block ×7, first 2 shown]
	v_add_co_u32_e32 v32, vcc, s26, v32
	s_add_u32 s16, s16, s14
	v_addc_co_u32_e32 v33, vcc, v33, v2, vcc
	s_addc_u32 s17, s17, 0
	s_and_b64 vcc, exec, s[0:1]
	s_cbranch_vccnz .LBB313_25
.LBB313_9:                              ; =>This Inner Loop Header: Depth=1
	v_pk_mov_b32 v[4:5], 0, 0
	v_cmp_gt_u64_e32 vcc, s[12:13], v[0:1]
	v_pk_mov_b32 v[8:9], v[4:5], v[4:5] op_sel:[0,1]
	v_pk_mov_b32 v[6:7], v[4:5], v[4:5] op_sel:[0,1]
	s_and_saveexec_b64 s[2:3], vcc
	s_cbranch_execz .LBB313_11
; %bb.10:                               ;   in Loop: Header=BB313_9 Depth=1
	v_mov_b32_e32 v3, s9
	v_add_co_u32_e64 v2, s[0:1], s8, v18
	v_addc_co_u32_e64 v3, s[0:1], v19, v3, s[0:1]
	global_load_dwordx4 v[6:9], v[2:3], off offset:-8
.LBB313_11:                             ;   in Loop: Header=BB313_9 Depth=1
	s_or_b64 exec, exec, s[2:3]
	v_mov_b32_e32 v3, s20
	v_add_co_u32_e64 v2, s[0:1], s21, v0
	v_addc_co_u32_e64 v3, s[0:1], v3, v1, s[0:1]
	v_cmp_gt_u64_e64 s[0:1], s[12:13], v[2:3]
	v_pk_mov_b32 v[2:3], v[4:5], v[4:5] op_sel:[0,1]
	s_and_saveexec_b64 s[4:5], s[0:1]
	s_cbranch_execz .LBB313_13
; %bb.12:                               ;   in Loop: Header=BB313_9 Depth=1
	v_mov_b32_e32 v3, s9
	v_add_co_u32_e64 v2, s[2:3], s8, v26
	v_addc_co_u32_e64 v3, s[2:3], v27, v3, s[2:3]
	global_load_dwordx4 v[2:5], v[2:3], off
.LBB313_13:                             ;   in Loop: Header=BB313_9 Depth=1
	s_or_b64 exec, exec, s[4:5]
	v_mov_b32_e32 v11, s23
	v_add_co_u32_e64 v10, s[2:3], s22, v0
	v_addc_co_u32_e64 v11, s[2:3], v11, v1, s[2:3]
	v_pk_mov_b32 v[12:13], 0, 0
	v_cmp_gt_u64_e64 s[2:3], s[12:13], v[10:11]
	v_pk_mov_b32 v[16:17], v[12:13], v[12:13] op_sel:[0,1]
	v_pk_mov_b32 v[14:15], v[12:13], v[12:13] op_sel:[0,1]
	s_and_saveexec_b64 s[6:7], s[2:3]
	s_cbranch_execz .LBB313_15
; %bb.14:                               ;   in Loop: Header=BB313_9 Depth=1
	v_mov_b32_e32 v11, s9
	v_add_co_u32_e64 v10, s[4:5], s8, v30
	v_addc_co_u32_e64 v11, s[4:5], v31, v11, s[4:5]
	global_load_dwordx4 v[14:17], v[10:11], off offset:-8
.LBB313_15:                             ;   in Loop: Header=BB313_9 Depth=1
	s_or_b64 exec, exec, s[6:7]
	v_mov_b32_e32 v11, s25
	v_add_co_u32_e64 v10, s[4:5], s24, v0
	v_addc_co_u32_e64 v11, s[4:5], v11, v1, s[4:5]
	v_cmp_gt_u64_e64 s[4:5], s[12:13], v[10:11]
	v_pk_mov_b32 v[10:11], v[12:13], v[12:13] op_sel:[0,1]
	s_and_saveexec_b64 s[18:19], s[4:5]
	s_cbranch_execnz .LBB313_20
; %bb.16:                               ;   in Loop: Header=BB313_9 Depth=1
	s_or_b64 exec, exec, s[18:19]
	s_and_saveexec_b64 s[6:7], vcc
	s_cbranch_execnz .LBB313_21
.LBB313_17:                             ;   in Loop: Header=BB313_9 Depth=1
	s_or_b64 exec, exec, s[6:7]
	s_and_saveexec_b64 s[6:7], s[0:1]
	s_cbranch_execnz .LBB313_22
.LBB313_18:                             ;   in Loop: Header=BB313_9 Depth=1
	s_or_b64 exec, exec, s[6:7]
	s_and_saveexec_b64 s[0:1], s[2:3]
	s_cbranch_execnz .LBB313_23
.LBB313_19:                             ;   in Loop: Header=BB313_9 Depth=1
	s_or_b64 exec, exec, s[0:1]
	s_and_saveexec_b64 s[0:1], s[4:5]
	s_cbranch_execz .LBB313_8
	s_branch .LBB313_24
.LBB313_20:                             ;   in Loop: Header=BB313_9 Depth=1
	v_mov_b32_e32 v11, s9
	v_add_co_u32_e64 v10, s[6:7], s8, v24
	v_addc_co_u32_e64 v11, s[6:7], v25, v11, s[6:7]
	global_load_dwordx4 v[10:13], v[10:11], off offset:-8
	s_or_b64 exec, exec, s[18:19]
	s_and_saveexec_b64 s[6:7], vcc
	s_cbranch_execz .LBB313_17
.LBB313_21:                             ;   in Loop: Header=BB313_9 Depth=1
	v_mov_b32_e32 v35, s9
	v_add_co_u32_e32 v34, vcc, s8, v20
	v_addc_co_u32_e32 v35, vcc, v21, v35, vcc
	s_waitcnt vmcnt(0)
	v_xor_b32_e32 v7, 0x80000000, v7
	v_xor_b32_e32 v9, 0x80000000, v9
	global_store_dwordx4 v[34:35], v[6:9], off offset:-8
	s_or_b64 exec, exec, s[6:7]
	s_and_saveexec_b64 s[6:7], s[0:1]
	s_cbranch_execz .LBB313_18
.LBB313_22:                             ;   in Loop: Header=BB313_9 Depth=1
	s_waitcnt vmcnt(0)
	v_mov_b32_e32 v7, s9
	v_add_co_u32_e32 v6, vcc, s8, v22
	v_xor_b32_e32 v3, 0x80000000, v3
	v_xor_b32_e32 v5, 0x80000000, v5
	v_addc_co_u32_e32 v7, vcc, v23, v7, vcc
	global_store_dwordx4 v[6:7], v[2:5], off
	s_or_b64 exec, exec, s[6:7]
	s_and_saveexec_b64 s[0:1], s[2:3]
	s_cbranch_execz .LBB313_19
.LBB313_23:                             ;   in Loop: Header=BB313_9 Depth=1
	s_waitcnt vmcnt(0)
	v_mov_b32_e32 v3, s9
	v_add_co_u32_e32 v2, vcc, s8, v32
	v_xor_b32_e32 v15, 0x80000000, v15
	v_xor_b32_e32 v17, 0x80000000, v17
	v_addc_co_u32_e32 v3, vcc, v33, v3, vcc
	global_store_dwordx4 v[2:3], v[14:17], off offset:-8
	s_or_b64 exec, exec, s[0:1]
	s_and_saveexec_b64 s[0:1], s[4:5]
	s_cbranch_execz .LBB313_8
.LBB313_24:                             ;   in Loop: Header=BB313_9 Depth=1
	s_waitcnt vmcnt(0)
	v_mov_b32_e32 v3, s9
	v_add_co_u32_e32 v2, vcc, s8, v28
	v_xor_b32_e32 v11, 0x80000000, v11
	v_xor_b32_e32 v13, 0x80000000, v13
	v_addc_co_u32_e32 v3, vcc, v29, v3, vcc
	global_store_dwordx4 v[2:3], v[10:13], off offset:-8
	s_branch .LBB313_8
.LBB313_25:
	s_endpgm
	.section	.rodata,"a",@progbits
	.p2align	6, 0x0
	.amdhsa_kernel _ZN2at6native12_GLOBAL__N_125multi_tensor_apply_kernelINS1_18TensorListMetadataILi2EEENS1_14UnaryOpFunctorIN3c107complexIdEELi2ELi1ELi1EEEJSt6negateIS8_EEEEvT_T0_DpT1_
		.amdhsa_group_segment_fixed_size 0
		.amdhsa_private_segment_fixed_size 0
		.amdhsa_kernarg_size 3408
		.amdhsa_user_sgpr_count 6
		.amdhsa_user_sgpr_private_segment_buffer 1
		.amdhsa_user_sgpr_dispatch_ptr 0
		.amdhsa_user_sgpr_queue_ptr 0
		.amdhsa_user_sgpr_kernarg_segment_ptr 1
		.amdhsa_user_sgpr_dispatch_id 0
		.amdhsa_user_sgpr_flat_scratch_init 0
		.amdhsa_user_sgpr_kernarg_preload_length 0
		.amdhsa_user_sgpr_kernarg_preload_offset 0
		.amdhsa_user_sgpr_private_segment_size 0
		.amdhsa_uses_dynamic_stack 0
		.amdhsa_system_sgpr_private_segment_wavefront_offset 0
		.amdhsa_system_sgpr_workgroup_id_x 1
		.amdhsa_system_sgpr_workgroup_id_y 0
		.amdhsa_system_sgpr_workgroup_id_z 0
		.amdhsa_system_sgpr_workgroup_info 0
		.amdhsa_system_vgpr_workitem_id 0
		.amdhsa_next_free_vgpr 36
		.amdhsa_next_free_sgpr 28
		.amdhsa_accum_offset 36
		.amdhsa_reserve_vcc 1
		.amdhsa_reserve_flat_scratch 0
		.amdhsa_float_round_mode_32 0
		.amdhsa_float_round_mode_16_64 0
		.amdhsa_float_denorm_mode_32 3
		.amdhsa_float_denorm_mode_16_64 3
		.amdhsa_dx10_clamp 1
		.amdhsa_ieee_mode 1
		.amdhsa_fp16_overflow 0
		.amdhsa_tg_split 0
		.amdhsa_exception_fp_ieee_invalid_op 0
		.amdhsa_exception_fp_denorm_src 0
		.amdhsa_exception_fp_ieee_div_zero 0
		.amdhsa_exception_fp_ieee_overflow 0
		.amdhsa_exception_fp_ieee_underflow 0
		.amdhsa_exception_fp_ieee_inexact 0
		.amdhsa_exception_int_div_zero 0
	.end_amdhsa_kernel
	.section	.text._ZN2at6native12_GLOBAL__N_125multi_tensor_apply_kernelINS1_18TensorListMetadataILi2EEENS1_14UnaryOpFunctorIN3c107complexIdEELi2ELi1ELi1EEEJSt6negateIS8_EEEEvT_T0_DpT1_,"axG",@progbits,_ZN2at6native12_GLOBAL__N_125multi_tensor_apply_kernelINS1_18TensorListMetadataILi2EEENS1_14UnaryOpFunctorIN3c107complexIdEELi2ELi1ELi1EEEJSt6negateIS8_EEEEvT_T0_DpT1_,comdat
.Lfunc_end313:
	.size	_ZN2at6native12_GLOBAL__N_125multi_tensor_apply_kernelINS1_18TensorListMetadataILi2EEENS1_14UnaryOpFunctorIN3c107complexIdEELi2ELi1ELi1EEEJSt6negateIS8_EEEEvT_T0_DpT1_, .Lfunc_end313-_ZN2at6native12_GLOBAL__N_125multi_tensor_apply_kernelINS1_18TensorListMetadataILi2EEENS1_14UnaryOpFunctorIN3c107complexIdEELi2ELi1ELi1EEEJSt6negateIS8_EEEEvT_T0_DpT1_
                                        ; -- End function
	.section	.AMDGPU.csdata,"",@progbits
; Kernel info:
; codeLenInByte = 1448
; NumSgprs: 32
; NumVgprs: 36
; NumAgprs: 0
; TotalNumVgprs: 36
; ScratchSize: 0
; MemoryBound: 1
; FloatMode: 240
; IeeeMode: 1
; LDSByteSize: 0 bytes/workgroup (compile time only)
; SGPRBlocks: 3
; VGPRBlocks: 4
; NumSGPRsForWavesPerEU: 32
; NumVGPRsForWavesPerEU: 36
; AccumOffset: 36
; Occupancy: 8
; WaveLimiterHint : 0
; COMPUTE_PGM_RSRC2:SCRATCH_EN: 0
; COMPUTE_PGM_RSRC2:USER_SGPR: 6
; COMPUTE_PGM_RSRC2:TRAP_HANDLER: 0
; COMPUTE_PGM_RSRC2:TGID_X_EN: 1
; COMPUTE_PGM_RSRC2:TGID_Y_EN: 0
; COMPUTE_PGM_RSRC2:TGID_Z_EN: 0
; COMPUTE_PGM_RSRC2:TIDIG_COMP_CNT: 0
; COMPUTE_PGM_RSRC3_GFX90A:ACCUM_OFFSET: 8
; COMPUTE_PGM_RSRC3_GFX90A:TG_SPLIT: 0
	.section	.text._ZN2at6native12_GLOBAL__N_125multi_tensor_apply_kernelINS1_18TensorListMetadataILi2EEENS1_14UnaryOpFunctorIN3c107complexIfEELi2ELi1ELi1EEEJSt6negateIS8_EEEEvT_T0_DpT1_,"axG",@progbits,_ZN2at6native12_GLOBAL__N_125multi_tensor_apply_kernelINS1_18TensorListMetadataILi2EEENS1_14UnaryOpFunctorIN3c107complexIfEELi2ELi1ELi1EEEJSt6negateIS8_EEEEvT_T0_DpT1_,comdat
	.globl	_ZN2at6native12_GLOBAL__N_125multi_tensor_apply_kernelINS1_18TensorListMetadataILi2EEENS1_14UnaryOpFunctorIN3c107complexIfEELi2ELi1ELi1EEEJSt6negateIS8_EEEEvT_T0_DpT1_ ; -- Begin function _ZN2at6native12_GLOBAL__N_125multi_tensor_apply_kernelINS1_18TensorListMetadataILi2EEENS1_14UnaryOpFunctorIN3c107complexIfEELi2ELi1ELi1EEEJSt6negateIS8_EEEEvT_T0_DpT1_
	.p2align	8
	.type	_ZN2at6native12_GLOBAL__N_125multi_tensor_apply_kernelINS1_18TensorListMetadataILi2EEENS1_14UnaryOpFunctorIN3c107complexIfEELi2ELi1ELi1EEEJSt6negateIS8_EEEEvT_T0_DpT1_,@function
_ZN2at6native12_GLOBAL__N_125multi_tensor_apply_kernelINS1_18TensorListMetadataILi2EEENS1_14UnaryOpFunctorIN3c107complexIfEELi2ELi1ELi1EEEJSt6negateIS8_EEEEvT_T0_DpT1_: ; @_ZN2at6native12_GLOBAL__N_125multi_tensor_apply_kernelINS1_18TensorListMetadataILi2EEENS1_14UnaryOpFunctorIN3c107complexIfEELi2ELi1ELi1EEEJSt6negateIS8_EEEEvT_T0_DpT1_
; %bb.0:
	v_mov_b32_e32 v1, s6
	global_load_ubyte v1, v1, s[4:5] offset:1536
	s_add_u32 s0, s4, s6
	s_mul_hi_u32 s2, s6, 3
	s_mul_i32 s6, s6, 3
	s_addc_u32 s7, s5, 0
	s_add_u32 s6, s0, s6
	s_addc_u32 s7, s7, s2
	s_load_dword s10, s[6:7], 0x740
	s_mov_b32 s1, 0
	s_mov_b32 s3, s1
	;; [unrolled: 1-line block ×3, first 2 shown]
	s_waitcnt lgkmcnt(0)
	s_ashr_i32 s11, s10, 31
	s_lshl_b64 s[8:9], s[10:11], 19
	s_waitcnt vmcnt(0)
	v_readfirstlane_b32 s0, v1
	s_lshl_b32 s0, s0, 3
	s_load_dwordx2 s[14:15], s[4:5], s0 offset:0x0
	s_load_dwordx2 s[12:13], s[4:5], s0 offset:0x400
	;; [unrolled: 1-line block ×3, first 2 shown]
	s_waitcnt lgkmcnt(0)
	s_add_u32 s20, s14, s8
	s_addc_u32 s21, s15, s9
	s_add_u32 s22, s6, s8
	s_addc_u32 s23, s7, s9
	s_and_b32 s2, s20, 31
	s_and_b32 s16, s12, 3
	;; [unrolled: 1-line block ×3, first 2 shown]
	s_or_b64 s[2:3], s[2:3], s[16:17]
	s_lshl_b64 s[10:11], s[10:11], 16
	s_or_b64 s[2:3], s[0:1], s[2:3]
	s_sub_u32 s10, s12, s10
	s_subb_u32 s11, s13, s11
	s_cmp_eq_u64 s[2:3], 0
	s_mov_b64 s[2:3], -1
	s_cbranch_scc0 .LBB314_5
; %bb.1:
	v_mov_b32_e32 v3, 0
	v_lshlrev_b32_e32 v2, 2, v0
	v_cmp_gt_i64_e32 vcc, s[10:11], v[2:3]
	s_and_saveexec_b64 s[12:13], vcc
	s_cbranch_execz .LBB314_4
; %bb.2:
	s_load_dword s0, s[4:5], 0xc5c
	v_lshlrev_b32_e32 v4, 5, v0
	s_mov_b64 s[16:17], 0
	s_mov_b64 s[18:19], 0xffff
	v_mov_b32_e32 v1, s1
	s_waitcnt lgkmcnt(0)
	s_and_b32 s0, s0, 0xffff
	v_add_lshl_u32 v2, v0, s0, 2
	s_lshl_b32 s24, s0, 2
	s_lshl_b32 s25, s0, 5
.LBB314_3:                              ; =>This Inner Loop Header: Depth=1
	v_mov_b32_e32 v5, s21
	v_add_co_u32_e32 v14, vcc, s20, v4
	v_addc_co_u32_e32 v15, vcc, 0, v5, vcc
	global_load_dwordx4 v[6:9], v[14:15], off
	global_load_dwordx4 v[10:13], v[14:15], off offset:16
	v_cmp_le_i64_e32 vcc, s[10:11], v[2:3]
	v_cmp_lt_u64_e64 s[0:1], s[18:19], v[2:3]
	s_or_b64 s[0:1], vcc, s[0:1]
	v_add_co_u32_e64 v2, s[2:3], s24, v2
	s_add_u32 s20, s20, s25
	v_addc_co_u32_e64 v3, s[2:3], v3, v1, s[2:3]
	s_addc_u32 s21, s21, 0
	v_add_co_u32_e64 v14, s[2:3], s22, v4
	s_add_u32 s22, s22, s25
	v_mov_b32_e32 v5, s23
	s_addc_u32 s23, s23, 0
	s_and_b64 s[0:1], exec, s[0:1]
	v_addc_co_u32_e64 v15, s[2:3], 0, v5, s[2:3]
	s_or_b64 s[16:17], s[0:1], s[16:17]
	s_waitcnt vmcnt(1)
	v_xor_b32_e32 v7, 0x80000000, v7
	v_xor_b32_e32 v6, 0x80000000, v6
	;; [unrolled: 1-line block ×4, first 2 shown]
	s_waitcnt vmcnt(0)
	v_xor_b32_e32 v11, 0x80000000, v11
	v_xor_b32_e32 v10, 0x80000000, v10
	;; [unrolled: 1-line block ×4, first 2 shown]
	global_store_dwordx4 v[14:15], v[6:9], off
	global_store_dwordx4 v[14:15], v[10:13], off offset:16
	s_andn2_b64 exec, exec, s[16:17]
	s_cbranch_execnz .LBB314_3
.LBB314_4:
	s_or_b64 exec, exec, s[12:13]
	s_mov_b64 s[2:3], 0
.LBB314_5:
	s_andn2_b64 vcc, exec, s[2:3]
	s_cbranch_vccnz .LBB314_25
; %bb.6:
	v_cmp_lt_i64_e64 s[0:1], s[10:11], 1
	s_and_b64 vcc, exec, s[0:1]
	s_cbranch_vccnz .LBB314_25
; %bb.7:
	s_load_dword s0, s[4:5], 0xc5c
	v_mov_b32_e32 v2, 0x10000
	v_mov_b32_e32 v3, 0
	v_cmp_lt_u64_e32 vcc, s[10:11], v[2:3]
	v_lshlrev_b32_e32 v10, 3, v0
	s_waitcnt lgkmcnt(0)
	s_and_b32 s2, s0, 0xffff
	s_and_b64 s[0:1], vcc, exec
	v_mov_b32_e32 v13, s15
	v_add_co_u32_e32 v2, vcc, s14, v10
	v_addc_co_u32_e32 v1, vcc, 0, v13, vcc
	v_mov_b32_e32 v11, 0
	v_mov_b32_e32 v15, s7
	v_add_co_u32_e32 v4, vcc, s6, v10
	v_addc_co_u32_e32 v3, vcc, 0, v15, vcc
	v_mad_u64_u32 v[8:9], s[0:1], s2, 24, v[10:11]
	v_add_co_u32_e32 v6, vcc, s14, v8
	v_addc_co_u32_e32 v5, vcc, v13, v9, vcc
	v_add_co_u32_e32 v8, vcc, s6, v8
	s_mul_i32 s4, s2, 3
	v_addc_co_u32_e32 v7, vcc, v15, v9, vcc
	v_add_co_u32_e32 v17, vcc, s4, v0
	v_addc_co_u32_e64 v26, s[0:1], 0, 0, vcc
	s_cselect_b32 s13, s11, 0
	s_cselect_b32 s12, s10, 0x10000
	s_lshl_b32 s0, s2, 4
	v_add_co_u32_e32 v11, vcc, s0, v10
	v_addc_co_u32_e64 v14, s[0:1], 0, 0, vcc
	v_add_co_u32_e32 v10, vcc, s14, v11
	v_addc_co_u32_e32 v9, vcc, v13, v14, vcc
	v_add_co_u32_e32 v12, vcc, s6, v11
	s_lshl_b32 s3, s2, 1
	v_addc_co_u32_e32 v11, vcc, v15, v14, vcc
	v_add_co_u32_e32 v27, vcc, s3, v0
	v_addc_co_u32_e64 v28, s[0:1], 0, 0, vcc
	v_add_co_u32_e32 v29, vcc, s2, v0
	v_lshlrev_b32_e32 v16, 3, v29
	v_addc_co_u32_e64 v30, s[0:1], 0, 0, vcc
	v_add_co_u32_e32 v14, vcc, s14, v16
	v_addc_co_u32_e32 v13, vcc, 0, v13, vcc
	v_add_co_u32_e32 v16, vcc, s6, v16
	s_mov_b32 s18, 0
	s_lshl_b32 s19, s2, 2
	s_lshl_b32 s20, s2, 5
	v_addc_co_u32_e32 v15, vcc, 0, v15, vcc
	s_mov_b64 s[14:15], 0
	s_branch .LBB314_9
.LBB314_8:                              ;   in Loop: Header=BB314_9 Depth=1
	s_or_b64 exec, exec, s[0:1]
	s_add_u32 s14, s14, s19
	s_addc_u32 s15, s15, 0
	s_waitcnt vmcnt(0)
	v_pk_mov_b32 v[18:19], s[10:11], s[10:11] op_sel:[0,1]
	v_cmp_ge_i64_e32 vcc, s[14:15], v[18:19]
	v_mov_b32_e32 v18, 0xffff
	v_mov_b32_e32 v19, 0
	v_cmp_gt_u64_e64 s[0:1], s[14:15], v[18:19]
	s_or_b64 s[0:1], vcc, s[0:1]
	v_mov_b32_e32 v18, s18
	v_add_co_u32_e32 v2, vcc, s20, v2
	v_addc_co_u32_e32 v1, vcc, v1, v18, vcc
	v_add_co_u32_e32 v4, vcc, s20, v4
	v_addc_co_u32_e32 v3, vcc, v3, v18, vcc
	;; [unrolled: 2-line block ×8, first 2 shown]
	s_and_b64 vcc, exec, s[0:1]
	s_cbranch_vccnz .LBB314_25
.LBB314_9:                              ; =>This Inner Loop Header: Depth=1
	v_mov_b32_e32 v19, s15
	v_add_co_u32_e32 v18, vcc, s14, v0
	v_addc_co_u32_e32 v19, vcc, 0, v19, vcc
	v_cmp_gt_u64_e32 vcc, s[12:13], v[18:19]
	v_mov_b32_e32 v20, 0
	v_mov_b32_e32 v21, 0
	s_and_saveexec_b64 s[2:3], vcc
	s_cbranch_execz .LBB314_11
; %bb.10:                               ;   in Loop: Header=BB314_9 Depth=1
	v_mov_b32_e32 v19, s9
	v_add_co_u32_e64 v18, s[0:1], s8, v2
	v_addc_co_u32_e64 v19, s[0:1], v1, v19, s[0:1]
	global_load_dwordx2 v[20:21], v[18:19], off
.LBB314_11:                             ;   in Loop: Header=BB314_9 Depth=1
	s_or_b64 exec, exec, s[2:3]
	v_mov_b32_e32 v19, s15
	v_add_co_u32_e64 v18, s[0:1], s14, v29
	v_addc_co_u32_e64 v19, s[0:1], v30, v19, s[0:1]
	v_cmp_gt_u64_e64 s[0:1], s[12:13], v[18:19]
	v_mov_b32_e32 v18, 0
	v_mov_b32_e32 v22, 0
	;; [unrolled: 1-line block ×3, first 2 shown]
	s_and_saveexec_b64 s[4:5], s[0:1]
	s_cbranch_execz .LBB314_13
; %bb.12:                               ;   in Loop: Header=BB314_9 Depth=1
	v_mov_b32_e32 v19, s9
	v_add_co_u32_e64 v22, s[2:3], s8, v14
	v_addc_co_u32_e64 v23, s[2:3], v13, v19, s[2:3]
	global_load_dwordx2 v[22:23], v[22:23], off
.LBB314_13:                             ;   in Loop: Header=BB314_9 Depth=1
	s_or_b64 exec, exec, s[4:5]
	v_mov_b32_e32 v19, s15
	v_add_co_u32_e64 v24, s[2:3], s14, v27
	v_addc_co_u32_e64 v25, s[2:3], v28, v19, s[2:3]
	v_cmp_gt_u64_e64 s[2:3], s[12:13], v[24:25]
	v_mov_b32_e32 v19, 0
	s_and_saveexec_b64 s[6:7], s[2:3]
	s_cbranch_execz .LBB314_15
; %bb.14:                               ;   in Loop: Header=BB314_9 Depth=1
	v_mov_b32_e32 v19, s9
	v_add_co_u32_e64 v18, s[4:5], s8, v10
	v_addc_co_u32_e64 v19, s[4:5], v9, v19, s[4:5]
	global_load_dwordx2 v[18:19], v[18:19], off
.LBB314_15:                             ;   in Loop: Header=BB314_9 Depth=1
	s_or_b64 exec, exec, s[6:7]
	v_mov_b32_e32 v25, s15
	v_add_co_u32_e64 v24, s[4:5], s14, v17
	v_addc_co_u32_e64 v25, s[4:5], v26, v25, s[4:5]
	v_cmp_gt_u64_e64 s[4:5], s[12:13], v[24:25]
	v_mov_b32_e32 v24, 0
	v_mov_b32_e32 v25, 0
	s_and_saveexec_b64 s[16:17], s[4:5]
	s_cbranch_execnz .LBB314_20
; %bb.16:                               ;   in Loop: Header=BB314_9 Depth=1
	s_or_b64 exec, exec, s[16:17]
	s_and_saveexec_b64 s[6:7], vcc
	s_cbranch_execnz .LBB314_21
.LBB314_17:                             ;   in Loop: Header=BB314_9 Depth=1
	s_or_b64 exec, exec, s[6:7]
	s_and_saveexec_b64 s[6:7], s[0:1]
	s_cbranch_execnz .LBB314_22
.LBB314_18:                             ;   in Loop: Header=BB314_9 Depth=1
	s_or_b64 exec, exec, s[6:7]
	s_and_saveexec_b64 s[0:1], s[2:3]
	s_cbranch_execnz .LBB314_23
.LBB314_19:                             ;   in Loop: Header=BB314_9 Depth=1
	s_or_b64 exec, exec, s[0:1]
	s_and_saveexec_b64 s[0:1], s[4:5]
	s_cbranch_execz .LBB314_8
	s_branch .LBB314_24
.LBB314_20:                             ;   in Loop: Header=BB314_9 Depth=1
	v_mov_b32_e32 v25, s9
	v_add_co_u32_e64 v24, s[6:7], s8, v6
	v_addc_co_u32_e64 v25, s[6:7], v5, v25, s[6:7]
	global_load_dwordx2 v[24:25], v[24:25], off
	s_or_b64 exec, exec, s[16:17]
	s_and_saveexec_b64 s[6:7], vcc
	s_cbranch_execz .LBB314_17
.LBB314_21:                             ;   in Loop: Header=BB314_9 Depth=1
	v_mov_b32_e32 v31, s9
	v_add_co_u32_e32 v32, vcc, s8, v4
	v_addc_co_u32_e32 v33, vcc, v3, v31, vcc
	s_waitcnt vmcnt(0)
	v_pk_add_f32 v[20:21], v[20:21], 0 neg_lo:[1,1] neg_hi:[1,1]
	global_store_dwordx2 v[32:33], v[20:21], off
	s_or_b64 exec, exec, s[6:7]
	s_and_saveexec_b64 s[6:7], s[0:1]
	s_cbranch_execz .LBB314_18
.LBB314_22:                             ;   in Loop: Header=BB314_9 Depth=1
	s_waitcnt vmcnt(0)
	v_pk_add_f32 v[20:21], v[22:23], 0 neg_lo:[1,1] neg_hi:[1,1]
	v_mov_b32_e32 v23, s9
	v_add_co_u32_e32 v22, vcc, s8, v16
	v_addc_co_u32_e32 v23, vcc, v15, v23, vcc
	global_store_dwordx2 v[22:23], v[20:21], off
	s_or_b64 exec, exec, s[6:7]
	s_and_saveexec_b64 s[0:1], s[2:3]
	s_cbranch_execz .LBB314_19
.LBB314_23:                             ;   in Loop: Header=BB314_9 Depth=1
	s_waitcnt vmcnt(0)
	v_mov_b32_e32 v21, s9
	v_add_co_u32_e32 v20, vcc, s8, v12
	v_pk_add_f32 v[18:19], v[18:19], 0 neg_lo:[1,1] neg_hi:[1,1]
	v_addc_co_u32_e32 v21, vcc, v11, v21, vcc
	global_store_dwordx2 v[20:21], v[18:19], off
	s_or_b64 exec, exec, s[0:1]
	s_and_saveexec_b64 s[0:1], s[4:5]
	s_cbranch_execz .LBB314_8
.LBB314_24:                             ;   in Loop: Header=BB314_9 Depth=1
	s_waitcnt vmcnt(0)
	v_mov_b32_e32 v21, s9
	v_add_co_u32_e32 v20, vcc, s8, v8
	v_pk_add_f32 v[18:19], v[24:25], 0 neg_lo:[1,1] neg_hi:[1,1]
	v_addc_co_u32_e32 v21, vcc, v7, v21, vcc
	global_store_dwordx2 v[20:21], v[18:19], off
	s_branch .LBB314_8
.LBB314_25:
	s_endpgm
	.section	.rodata,"a",@progbits
	.p2align	6, 0x0
	.amdhsa_kernel _ZN2at6native12_GLOBAL__N_125multi_tensor_apply_kernelINS1_18TensorListMetadataILi2EEENS1_14UnaryOpFunctorIN3c107complexIfEELi2ELi1ELi1EEEJSt6negateIS8_EEEEvT_T0_DpT1_
		.amdhsa_group_segment_fixed_size 0
		.amdhsa_private_segment_fixed_size 0
		.amdhsa_kernarg_size 3408
		.amdhsa_user_sgpr_count 6
		.amdhsa_user_sgpr_private_segment_buffer 1
		.amdhsa_user_sgpr_dispatch_ptr 0
		.amdhsa_user_sgpr_queue_ptr 0
		.amdhsa_user_sgpr_kernarg_segment_ptr 1
		.amdhsa_user_sgpr_dispatch_id 0
		.amdhsa_user_sgpr_flat_scratch_init 0
		.amdhsa_user_sgpr_kernarg_preload_length 0
		.amdhsa_user_sgpr_kernarg_preload_offset 0
		.amdhsa_user_sgpr_private_segment_size 0
		.amdhsa_uses_dynamic_stack 0
		.amdhsa_system_sgpr_private_segment_wavefront_offset 0
		.amdhsa_system_sgpr_workgroup_id_x 1
		.amdhsa_system_sgpr_workgroup_id_y 0
		.amdhsa_system_sgpr_workgroup_id_z 0
		.amdhsa_system_sgpr_workgroup_info 0
		.amdhsa_system_vgpr_workitem_id 0
		.amdhsa_next_free_vgpr 34
		.amdhsa_next_free_sgpr 26
		.amdhsa_accum_offset 36
		.amdhsa_reserve_vcc 1
		.amdhsa_reserve_flat_scratch 0
		.amdhsa_float_round_mode_32 0
		.amdhsa_float_round_mode_16_64 0
		.amdhsa_float_denorm_mode_32 3
		.amdhsa_float_denorm_mode_16_64 3
		.amdhsa_dx10_clamp 1
		.amdhsa_ieee_mode 1
		.amdhsa_fp16_overflow 0
		.amdhsa_tg_split 0
		.amdhsa_exception_fp_ieee_invalid_op 0
		.amdhsa_exception_fp_denorm_src 0
		.amdhsa_exception_fp_ieee_div_zero 0
		.amdhsa_exception_fp_ieee_overflow 0
		.amdhsa_exception_fp_ieee_underflow 0
		.amdhsa_exception_fp_ieee_inexact 0
		.amdhsa_exception_int_div_zero 0
	.end_amdhsa_kernel
	.section	.text._ZN2at6native12_GLOBAL__N_125multi_tensor_apply_kernelINS1_18TensorListMetadataILi2EEENS1_14UnaryOpFunctorIN3c107complexIfEELi2ELi1ELi1EEEJSt6negateIS8_EEEEvT_T0_DpT1_,"axG",@progbits,_ZN2at6native12_GLOBAL__N_125multi_tensor_apply_kernelINS1_18TensorListMetadataILi2EEENS1_14UnaryOpFunctorIN3c107complexIfEELi2ELi1ELi1EEEJSt6negateIS8_EEEEvT_T0_DpT1_,comdat
.Lfunc_end314:
	.size	_ZN2at6native12_GLOBAL__N_125multi_tensor_apply_kernelINS1_18TensorListMetadataILi2EEENS1_14UnaryOpFunctorIN3c107complexIfEELi2ELi1ELi1EEEJSt6negateIS8_EEEEvT_T0_DpT1_, .Lfunc_end314-_ZN2at6native12_GLOBAL__N_125multi_tensor_apply_kernelINS1_18TensorListMetadataILi2EEENS1_14UnaryOpFunctorIN3c107complexIfEELi2ELi1ELi1EEEJSt6negateIS8_EEEEvT_T0_DpT1_
                                        ; -- End function
	.section	.AMDGPU.csdata,"",@progbits
; Kernel info:
; codeLenInByte = 1352
; NumSgprs: 30
; NumVgprs: 34
; NumAgprs: 0
; TotalNumVgprs: 34
; ScratchSize: 0
; MemoryBound: 0
; FloatMode: 240
; IeeeMode: 1
; LDSByteSize: 0 bytes/workgroup (compile time only)
; SGPRBlocks: 3
; VGPRBlocks: 4
; NumSGPRsForWavesPerEU: 30
; NumVGPRsForWavesPerEU: 34
; AccumOffset: 36
; Occupancy: 8
; WaveLimiterHint : 0
; COMPUTE_PGM_RSRC2:SCRATCH_EN: 0
; COMPUTE_PGM_RSRC2:USER_SGPR: 6
; COMPUTE_PGM_RSRC2:TRAP_HANDLER: 0
; COMPUTE_PGM_RSRC2:TGID_X_EN: 1
; COMPUTE_PGM_RSRC2:TGID_Y_EN: 0
; COMPUTE_PGM_RSRC2:TGID_Z_EN: 0
; COMPUTE_PGM_RSRC2:TIDIG_COMP_CNT: 0
; COMPUTE_PGM_RSRC3_GFX90A:ACCUM_OFFSET: 8
; COMPUTE_PGM_RSRC3_GFX90A:TG_SPLIT: 0
	.section	.text._ZN2at6native12_GLOBAL__N_125multi_tensor_apply_kernelINS1_18TensorListMetadataILi2EEENS1_14UnaryOpFunctorIN3c104HalfELi2ELi1ELi1EEEJSt6negateIfEEEEvT_T0_DpT1_,"axG",@progbits,_ZN2at6native12_GLOBAL__N_125multi_tensor_apply_kernelINS1_18TensorListMetadataILi2EEENS1_14UnaryOpFunctorIN3c104HalfELi2ELi1ELi1EEEJSt6negateIfEEEEvT_T0_DpT1_,comdat
	.globl	_ZN2at6native12_GLOBAL__N_125multi_tensor_apply_kernelINS1_18TensorListMetadataILi2EEENS1_14UnaryOpFunctorIN3c104HalfELi2ELi1ELi1EEEJSt6negateIfEEEEvT_T0_DpT1_ ; -- Begin function _ZN2at6native12_GLOBAL__N_125multi_tensor_apply_kernelINS1_18TensorListMetadataILi2EEENS1_14UnaryOpFunctorIN3c104HalfELi2ELi1ELi1EEEJSt6negateIfEEEEvT_T0_DpT1_
	.p2align	8
	.type	_ZN2at6native12_GLOBAL__N_125multi_tensor_apply_kernelINS1_18TensorListMetadataILi2EEENS1_14UnaryOpFunctorIN3c104HalfELi2ELi1ELi1EEEJSt6negateIfEEEEvT_T0_DpT1_,@function
_ZN2at6native12_GLOBAL__N_125multi_tensor_apply_kernelINS1_18TensorListMetadataILi2EEENS1_14UnaryOpFunctorIN3c104HalfELi2ELi1ELi1EEEJSt6negateIfEEEEvT_T0_DpT1_: ; @_ZN2at6native12_GLOBAL__N_125multi_tensor_apply_kernelINS1_18TensorListMetadataILi2EEENS1_14UnaryOpFunctorIN3c104HalfELi2ELi1ELi1EEEJSt6negateIfEEEEvT_T0_DpT1_
; %bb.0:
	v_mov_b32_e32 v1, s6
	global_load_ubyte v1, v1, s[4:5] offset:1536
	s_add_u32 s0, s4, s6
	s_mul_hi_u32 s2, s6, 3
	s_mul_i32 s6, s6, 3
	s_addc_u32 s7, s5, 0
	s_add_u32 s8, s0, s6
	s_addc_u32 s9, s7, s2
	s_mov_b32 s1, 0
	s_mov_b32 s17, s1
	;; [unrolled: 1-line block ×3, first 2 shown]
	s_waitcnt vmcnt(0)
	v_readfirstlane_b32 s0, v1
	s_lshl_b32 s0, s0, 3
	s_load_dword s10, s[8:9], 0x740
	s_load_dwordx2 s[14:15], s[4:5], s0 offset:0x0
	s_load_dwordx2 s[12:13], s[4:5], s0 offset:0x400
	;; [unrolled: 1-line block ×3, first 2 shown]
	s_waitcnt lgkmcnt(0)
	s_ashr_i32 s11, s10, 31
	s_and_b32 s0, s14, 7
	s_and_b32 s16, s12, 3
	;; [unrolled: 1-line block ×3, first 2 shown]
	s_or_b64 s[16:17], s[0:1], s[16:17]
	s_lshl_b64 s[8:9], s[10:11], 17
	s_or_b64 s[2:3], s[2:3], s[16:17]
	s_lshl_b64 s[10:11], s[10:11], 16
	s_sub_u32 s10, s12, s10
	s_subb_u32 s11, s13, s11
	s_cmp_eq_u64 s[2:3], 0
	s_mov_b64 s[2:3], -1
	s_cbranch_scc0 .LBB315_5
; %bb.1:
	v_mov_b32_e32 v3, 0
	v_lshlrev_b32_e32 v2, 2, v0
	v_cmp_gt_i64_e32 vcc, s[10:11], v[2:3]
	s_and_saveexec_b64 s[12:13], vcc
	s_cbranch_execz .LBB315_4
; %bb.2:
	s_load_dword s0, s[4:5], 0xc5c
	v_lshlrev_b32_e32 v1, 3, v0
	v_mov_b32_e32 v2, s9
	v_add_co_u32_e32 v4, vcc, s8, v1
	s_waitcnt lgkmcnt(0)
	s_and_b32 s0, s0, 0xffff
	v_addc_co_u32_e32 v1, vcc, 0, v2, vcc
	s_lshl_b32 s20, s0, 3
	v_add_lshl_u32 v2, v0, s0, 2
	s_lshl_b32 s21, s0, 2
	s_mov_b64 s[16:17], 0
	v_mov_b32_e32 v5, s15
	v_mov_b32_e32 v6, s7
	s_mov_b64 s[18:19], 0xffff
	v_mov_b32_e32 v7, s1
	v_mov_b32_e32 v8, s1
.LBB315_3:                              ; =>This Inner Loop Header: Depth=1
	v_add_co_u32_e32 v10, vcc, s14, v4
	v_addc_co_u32_e32 v11, vcc, v5, v1, vcc
	global_load_dwordx2 v[10:11], v[10:11], off
	v_add_co_u32_e32 v12, vcc, s6, v4
	v_addc_co_u32_e32 v13, vcc, v6, v1, vcc
	v_cmp_le_i64_e32 vcc, s[10:11], v[2:3]
	v_cmp_lt_u64_e64 s[0:1], s[18:19], v[2:3]
	v_add_co_u32_e64 v4, s[2:3], s20, v4
	v_addc_co_u32_e64 v1, s[2:3], v1, v7, s[2:3]
	s_or_b64 s[0:1], vcc, s[0:1]
	v_add_co_u32_e64 v2, s[2:3], s21, v2
	s_and_b64 s[0:1], exec, s[0:1]
	v_addc_co_u32_e64 v3, s[2:3], v3, v8, s[2:3]
	s_or_b64 s[16:17], s[0:1], s[16:17]
	s_waitcnt vmcnt(0)
	v_xor_b32_e32 v11, 0x80008000, v11
	v_xor_b32_e32 v10, 0x80008000, v10
	global_store_dwordx2 v[12:13], v[10:11], off
	s_andn2_b64 exec, exec, s[16:17]
	s_cbranch_execnz .LBB315_3
.LBB315_4:
	s_or_b64 exec, exec, s[12:13]
	s_mov_b64 s[2:3], 0
.LBB315_5:
	s_andn2_b64 vcc, exec, s[2:3]
	s_cbranch_vccnz .LBB315_25
; %bb.6:
	v_cmp_lt_i64_e64 s[0:1], s[10:11], 1
	s_and_b64 vcc, exec, s[0:1]
	s_cbranch_vccnz .LBB315_25
; %bb.7:
	s_load_dword s0, s[4:5], 0xc5c
	v_mov_b32_e32 v2, 0x10000
	v_mov_b32_e32 v3, 0
	v_cmp_lt_u64_e32 vcc, s[10:11], v[2:3]
	v_lshlrev_b32_e32 v10, 1, v0
	s_waitcnt lgkmcnt(0)
	s_and_b32 s2, s0, 0xffff
	s_and_b64 s[0:1], vcc, exec
	v_mov_b32_e32 v13, s15
	v_add_co_u32_e32 v2, vcc, s14, v10
	v_addc_co_u32_e32 v1, vcc, 0, v13, vcc
	v_mov_b32_e32 v11, 0
	v_mov_b32_e32 v15, s7
	v_add_co_u32_e32 v4, vcc, s6, v10
	v_addc_co_u32_e32 v3, vcc, 0, v15, vcc
	v_mad_u64_u32 v[8:9], s[0:1], s2, 6, v[10:11]
	v_add_co_u32_e32 v6, vcc, s14, v8
	v_addc_co_u32_e32 v5, vcc, v13, v9, vcc
	v_add_co_u32_e32 v8, vcc, s6, v8
	s_mul_i32 s4, s2, 3
	v_addc_co_u32_e32 v7, vcc, v15, v9, vcc
	s_cselect_b32 s13, s11, 0
	s_cselect_b32 s12, s10, 0x10000
	s_lshl_b32 s19, s2, 2
	v_add_co_u32_e32 v17, vcc, s4, v0
	v_addc_co_u32_e64 v18, s[0:1], 0, 0, vcc
	v_add_co_u32_e32 v11, vcc, s19, v10
	v_addc_co_u32_e64 v14, s[0:1], 0, 0, vcc
	v_add_co_u32_e32 v10, vcc, s14, v11
	v_addc_co_u32_e32 v9, vcc, v13, v14, vcc
	v_add_co_u32_e32 v12, vcc, s6, v11
	s_lshl_b32 s3, s2, 1
	v_addc_co_u32_e32 v11, vcc, v15, v14, vcc
	v_add_co_u32_e32 v19, vcc, s3, v0
	v_addc_co_u32_e64 v20, s[0:1], 0, 0, vcc
	v_add_co_u32_e32 v21, vcc, s2, v0
	v_lshlrev_b32_e32 v16, 1, v21
	v_addc_co_u32_e64 v22, s[0:1], 0, 0, vcc
	v_add_co_u32_e32 v14, vcc, s14, v16
	v_addc_co_u32_e32 v13, vcc, 0, v13, vcc
	v_add_co_u32_e32 v16, vcc, s6, v16
	s_mov_b32 s18, 0
	s_lshl_b32 s20, s2, 3
	v_addc_co_u32_e32 v15, vcc, 0, v15, vcc
	s_mov_b64 s[14:15], 0
	s_branch .LBB315_9
.LBB315_8:                              ;   in Loop: Header=BB315_9 Depth=1
	s_or_b64 exec, exec, s[0:1]
	s_add_u32 s14, s14, s19
	s_addc_u32 s15, s15, 0
	s_waitcnt vmcnt(0)
	v_pk_mov_b32 v[24:25], s[10:11], s[10:11] op_sel:[0,1]
	v_cmp_ge_i64_e32 vcc, s[14:15], v[24:25]
	v_mov_b32_e32 v24, 0xffff
	v_mov_b32_e32 v25, 0
	v_cmp_gt_u64_e64 s[0:1], s[14:15], v[24:25]
	s_or_b64 s[0:1], vcc, s[0:1]
	v_mov_b32_e32 v23, s18
	v_add_co_u32_e32 v2, vcc, s20, v2
	v_addc_co_u32_e32 v1, vcc, v1, v23, vcc
	v_add_co_u32_e32 v4, vcc, s20, v4
	v_addc_co_u32_e32 v3, vcc, v3, v23, vcc
	;; [unrolled: 2-line block ×8, first 2 shown]
	s_and_b64 vcc, exec, s[0:1]
	s_cbranch_vccnz .LBB315_25
.LBB315_9:                              ; =>This Inner Loop Header: Depth=1
	v_mov_b32_e32 v23, s15
	v_add_co_u32_e32 v24, vcc, s14, v0
	v_addc_co_u32_e32 v25, vcc, 0, v23, vcc
	v_cmp_gt_u64_e32 vcc, s[12:13], v[24:25]
	v_mov_b32_e32 v23, 0
	s_and_saveexec_b64 s[2:3], vcc
	s_cbranch_execz .LBB315_11
; %bb.10:                               ;   in Loop: Header=BB315_9 Depth=1
	v_mov_b32_e32 v23, s9
	v_add_co_u32_e64 v24, s[0:1], s8, v2
	v_addc_co_u32_e64 v25, s[0:1], v1, v23, s[0:1]
	global_load_ushort v23, v[24:25], off
.LBB315_11:                             ;   in Loop: Header=BB315_9 Depth=1
	s_or_b64 exec, exec, s[2:3]
	v_mov_b32_e32 v25, s15
	v_add_co_u32_e64 v24, s[0:1], s14, v21
	v_addc_co_u32_e64 v25, s[0:1], v22, v25, s[0:1]
	v_cmp_gt_u64_e64 s[0:1], s[12:13], v[24:25]
	v_mov_b32_e32 v25, 0
	s_and_saveexec_b64 s[4:5], s[0:1]
	s_cbranch_execz .LBB315_13
; %bb.12:                               ;   in Loop: Header=BB315_9 Depth=1
	v_mov_b32_e32 v25, s9
	v_add_co_u32_e64 v24, s[2:3], s8, v14
	v_addc_co_u32_e64 v25, s[2:3], v13, v25, s[2:3]
	global_load_ushort v25, v[24:25], off
.LBB315_13:                             ;   in Loop: Header=BB315_9 Depth=1
	s_or_b64 exec, exec, s[4:5]
	v_mov_b32_e32 v24, s15
	v_add_co_u32_e64 v26, s[2:3], s14, v19
	v_addc_co_u32_e64 v27, s[2:3], v20, v24, s[2:3]
	v_cmp_gt_u64_e64 s[2:3], s[12:13], v[26:27]
	v_mov_b32_e32 v24, 0
	v_mov_b32_e32 v26, 0
	s_and_saveexec_b64 s[6:7], s[2:3]
	s_cbranch_execz .LBB315_15
; %bb.14:                               ;   in Loop: Header=BB315_9 Depth=1
	v_mov_b32_e32 v27, s9
	v_add_co_u32_e64 v26, s[4:5], s8, v10
	v_addc_co_u32_e64 v27, s[4:5], v9, v27, s[4:5]
	global_load_ushort v26, v[26:27], off
.LBB315_15:                             ;   in Loop: Header=BB315_9 Depth=1
	s_or_b64 exec, exec, s[6:7]
	v_mov_b32_e32 v27, s15
	v_add_co_u32_e64 v28, s[4:5], s14, v17
	v_addc_co_u32_e64 v29, s[4:5], v18, v27, s[4:5]
	v_cmp_gt_u64_e64 s[4:5], s[12:13], v[28:29]
	s_and_saveexec_b64 s[16:17], s[4:5]
	s_cbranch_execnz .LBB315_20
; %bb.16:                               ;   in Loop: Header=BB315_9 Depth=1
	s_or_b64 exec, exec, s[16:17]
	s_and_saveexec_b64 s[6:7], vcc
	s_cbranch_execnz .LBB315_21
.LBB315_17:                             ;   in Loop: Header=BB315_9 Depth=1
	s_or_b64 exec, exec, s[6:7]
	s_and_saveexec_b64 s[6:7], s[0:1]
	s_cbranch_execnz .LBB315_22
.LBB315_18:                             ;   in Loop: Header=BB315_9 Depth=1
	s_or_b64 exec, exec, s[6:7]
	s_and_saveexec_b64 s[0:1], s[2:3]
	s_cbranch_execnz .LBB315_23
.LBB315_19:                             ;   in Loop: Header=BB315_9 Depth=1
	s_or_b64 exec, exec, s[0:1]
	s_and_saveexec_b64 s[0:1], s[4:5]
	s_cbranch_execz .LBB315_8
	s_branch .LBB315_24
.LBB315_20:                             ;   in Loop: Header=BB315_9 Depth=1
	v_mov_b32_e32 v24, s9
	v_add_co_u32_e64 v28, s[6:7], s8, v6
	v_addc_co_u32_e64 v29, s[6:7], v5, v24, s[6:7]
	global_load_ushort v24, v[28:29], off
	s_or_b64 exec, exec, s[16:17]
	s_and_saveexec_b64 s[6:7], vcc
	s_cbranch_execz .LBB315_17
.LBB315_21:                             ;   in Loop: Header=BB315_9 Depth=1
	v_mov_b32_e32 v27, s9
	v_add_co_u32_e32 v28, vcc, s8, v4
	v_addc_co_u32_e32 v29, vcc, v3, v27, vcc
	s_waitcnt vmcnt(0)
	v_xor_b32_e32 v23, 0x8000, v23
	global_store_short v[28:29], v23, off
	s_or_b64 exec, exec, s[6:7]
	s_and_saveexec_b64 s[6:7], s[0:1]
	s_cbranch_execz .LBB315_18
.LBB315_22:                             ;   in Loop: Header=BB315_9 Depth=1
	s_waitcnt vmcnt(0)
	v_xor_b32_e32 v23, 0x8000, v25
	v_mov_b32_e32 v25, s9
	v_add_co_u32_e32 v28, vcc, s8, v16
	v_addc_co_u32_e32 v29, vcc, v15, v25, vcc
	global_store_short v[28:29], v23, off
	s_or_b64 exec, exec, s[6:7]
	s_and_saveexec_b64 s[0:1], s[2:3]
	s_cbranch_execz .LBB315_19
.LBB315_23:                             ;   in Loop: Header=BB315_9 Depth=1
	s_waitcnt vmcnt(0)
	v_xor_b32_e32 v23, 0x8000, v26
	v_mov_b32_e32 v25, s9
	v_add_co_u32_e32 v26, vcc, s8, v12
	v_addc_co_u32_e32 v27, vcc, v11, v25, vcc
	global_store_short v[26:27], v23, off
	s_or_b64 exec, exec, s[0:1]
	s_and_saveexec_b64 s[0:1], s[4:5]
	s_cbranch_execz .LBB315_8
.LBB315_24:                             ;   in Loop: Header=BB315_9 Depth=1
	s_waitcnt vmcnt(0)
	v_xor_b32_e32 v23, 0x8000, v24
	v_mov_b32_e32 v25, s9
	v_add_co_u32_e32 v24, vcc, s8, v8
	v_addc_co_u32_e32 v25, vcc, v7, v25, vcc
	global_store_short v[24:25], v23, off
	s_branch .LBB315_8
.LBB315_25:
	s_endpgm
	.section	.rodata,"a",@progbits
	.p2align	6, 0x0
	.amdhsa_kernel _ZN2at6native12_GLOBAL__N_125multi_tensor_apply_kernelINS1_18TensorListMetadataILi2EEENS1_14UnaryOpFunctorIN3c104HalfELi2ELi1ELi1EEEJSt6negateIfEEEEvT_T0_DpT1_
		.amdhsa_group_segment_fixed_size 0
		.amdhsa_private_segment_fixed_size 0
		.amdhsa_kernarg_size 3408
		.amdhsa_user_sgpr_count 6
		.amdhsa_user_sgpr_private_segment_buffer 1
		.amdhsa_user_sgpr_dispatch_ptr 0
		.amdhsa_user_sgpr_queue_ptr 0
		.amdhsa_user_sgpr_kernarg_segment_ptr 1
		.amdhsa_user_sgpr_dispatch_id 0
		.amdhsa_user_sgpr_flat_scratch_init 0
		.amdhsa_user_sgpr_kernarg_preload_length 0
		.amdhsa_user_sgpr_kernarg_preload_offset 0
		.amdhsa_user_sgpr_private_segment_size 0
		.amdhsa_uses_dynamic_stack 0
		.amdhsa_system_sgpr_private_segment_wavefront_offset 0
		.amdhsa_system_sgpr_workgroup_id_x 1
		.amdhsa_system_sgpr_workgroup_id_y 0
		.amdhsa_system_sgpr_workgroup_id_z 0
		.amdhsa_system_sgpr_workgroup_info 0
		.amdhsa_system_vgpr_workitem_id 0
		.amdhsa_next_free_vgpr 30
		.amdhsa_next_free_sgpr 22
		.amdhsa_accum_offset 32
		.amdhsa_reserve_vcc 1
		.amdhsa_reserve_flat_scratch 0
		.amdhsa_float_round_mode_32 0
		.amdhsa_float_round_mode_16_64 0
		.amdhsa_float_denorm_mode_32 3
		.amdhsa_float_denorm_mode_16_64 3
		.amdhsa_dx10_clamp 1
		.amdhsa_ieee_mode 1
		.amdhsa_fp16_overflow 0
		.amdhsa_tg_split 0
		.amdhsa_exception_fp_ieee_invalid_op 0
		.amdhsa_exception_fp_denorm_src 0
		.amdhsa_exception_fp_ieee_div_zero 0
		.amdhsa_exception_fp_ieee_overflow 0
		.amdhsa_exception_fp_ieee_underflow 0
		.amdhsa_exception_fp_ieee_inexact 0
		.amdhsa_exception_int_div_zero 0
	.end_amdhsa_kernel
	.section	.text._ZN2at6native12_GLOBAL__N_125multi_tensor_apply_kernelINS1_18TensorListMetadataILi2EEENS1_14UnaryOpFunctorIN3c104HalfELi2ELi1ELi1EEEJSt6negateIfEEEEvT_T0_DpT1_,"axG",@progbits,_ZN2at6native12_GLOBAL__N_125multi_tensor_apply_kernelINS1_18TensorListMetadataILi2EEENS1_14UnaryOpFunctorIN3c104HalfELi2ELi1ELi1EEEJSt6negateIfEEEEvT_T0_DpT1_,comdat
.Lfunc_end315:
	.size	_ZN2at6native12_GLOBAL__N_125multi_tensor_apply_kernelINS1_18TensorListMetadataILi2EEENS1_14UnaryOpFunctorIN3c104HalfELi2ELi1ELi1EEEJSt6negateIfEEEEvT_T0_DpT1_, .Lfunc_end315-_ZN2at6native12_GLOBAL__N_125multi_tensor_apply_kernelINS1_18TensorListMetadataILi2EEENS1_14UnaryOpFunctorIN3c104HalfELi2ELi1ELi1EEEJSt6negateIfEEEEvT_T0_DpT1_
                                        ; -- End function
	.section	.AMDGPU.csdata,"",@progbits
; Kernel info:
; codeLenInByte = 1252
; NumSgprs: 26
; NumVgprs: 30
; NumAgprs: 0
; TotalNumVgprs: 30
; ScratchSize: 0
; MemoryBound: 0
; FloatMode: 240
; IeeeMode: 1
; LDSByteSize: 0 bytes/workgroup (compile time only)
; SGPRBlocks: 3
; VGPRBlocks: 3
; NumSGPRsForWavesPerEU: 26
; NumVGPRsForWavesPerEU: 30
; AccumOffset: 32
; Occupancy: 8
; WaveLimiterHint : 0
; COMPUTE_PGM_RSRC2:SCRATCH_EN: 0
; COMPUTE_PGM_RSRC2:USER_SGPR: 6
; COMPUTE_PGM_RSRC2:TRAP_HANDLER: 0
; COMPUTE_PGM_RSRC2:TGID_X_EN: 1
; COMPUTE_PGM_RSRC2:TGID_Y_EN: 0
; COMPUTE_PGM_RSRC2:TGID_Z_EN: 0
; COMPUTE_PGM_RSRC2:TIDIG_COMP_CNT: 0
; COMPUTE_PGM_RSRC3_GFX90A:ACCUM_OFFSET: 7
; COMPUTE_PGM_RSRC3_GFX90A:TG_SPLIT: 0
	.section	.text._ZN2at6native12_GLOBAL__N_125multi_tensor_apply_kernelINS1_18TensorListMetadataILi2EEENS1_14UnaryOpFunctorIN3c108BFloat16ELi2ELi1ELi1EEEJSt6negateIfEEEEvT_T0_DpT1_,"axG",@progbits,_ZN2at6native12_GLOBAL__N_125multi_tensor_apply_kernelINS1_18TensorListMetadataILi2EEENS1_14UnaryOpFunctorIN3c108BFloat16ELi2ELi1ELi1EEEJSt6negateIfEEEEvT_T0_DpT1_,comdat
	.globl	_ZN2at6native12_GLOBAL__N_125multi_tensor_apply_kernelINS1_18TensorListMetadataILi2EEENS1_14UnaryOpFunctorIN3c108BFloat16ELi2ELi1ELi1EEEJSt6negateIfEEEEvT_T0_DpT1_ ; -- Begin function _ZN2at6native12_GLOBAL__N_125multi_tensor_apply_kernelINS1_18TensorListMetadataILi2EEENS1_14UnaryOpFunctorIN3c108BFloat16ELi2ELi1ELi1EEEJSt6negateIfEEEEvT_T0_DpT1_
	.p2align	8
	.type	_ZN2at6native12_GLOBAL__N_125multi_tensor_apply_kernelINS1_18TensorListMetadataILi2EEENS1_14UnaryOpFunctorIN3c108BFloat16ELi2ELi1ELi1EEEJSt6negateIfEEEEvT_T0_DpT1_,@function
_ZN2at6native12_GLOBAL__N_125multi_tensor_apply_kernelINS1_18TensorListMetadataILi2EEENS1_14UnaryOpFunctorIN3c108BFloat16ELi2ELi1ELi1EEEJSt6negateIfEEEEvT_T0_DpT1_: ; @_ZN2at6native12_GLOBAL__N_125multi_tensor_apply_kernelINS1_18TensorListMetadataILi2EEENS1_14UnaryOpFunctorIN3c108BFloat16ELi2ELi1ELi1EEEJSt6negateIfEEEEvT_T0_DpT1_
; %bb.0:
	v_mov_b32_e32 v1, s6
	global_load_ubyte v1, v1, s[4:5] offset:1536
	s_add_u32 s0, s4, s6
	s_mul_hi_u32 s2, s6, 3
	s_mul_i32 s6, s6, 3
	s_addc_u32 s7, s5, 0
	s_add_u32 s8, s0, s6
	s_addc_u32 s9, s7, s2
	s_mov_b32 s1, 0
	s_mov_b32 s17, s1
	;; [unrolled: 1-line block ×3, first 2 shown]
	s_waitcnt vmcnt(0)
	v_readfirstlane_b32 s0, v1
	s_lshl_b32 s0, s0, 3
	s_load_dword s10, s[8:9], 0x740
	s_load_dwordx2 s[14:15], s[4:5], s0 offset:0x0
	s_load_dwordx2 s[12:13], s[4:5], s0 offset:0x400
	;; [unrolled: 1-line block ×3, first 2 shown]
	s_waitcnt lgkmcnt(0)
	s_ashr_i32 s11, s10, 31
	s_and_b32 s0, s14, 7
	s_and_b32 s16, s12, 3
	;; [unrolled: 1-line block ×3, first 2 shown]
	s_or_b64 s[16:17], s[0:1], s[16:17]
	s_lshl_b64 s[8:9], s[10:11], 17
	s_or_b64 s[2:3], s[2:3], s[16:17]
	s_lshl_b64 s[10:11], s[10:11], 16
	s_sub_u32 s10, s12, s10
	s_subb_u32 s11, s13, s11
	s_cmp_eq_u64 s[2:3], 0
	s_mov_b64 s[2:3], -1
	s_cbranch_scc0 .LBB316_5
; %bb.1:
	v_mov_b32_e32 v3, 0
	v_lshlrev_b32_e32 v2, 2, v0
	v_cmp_gt_i64_e32 vcc, s[10:11], v[2:3]
	s_and_saveexec_b64 s[12:13], vcc
	s_cbranch_execz .LBB316_4
; %bb.2:
	s_load_dword s0, s[4:5], 0xc5c
	v_lshlrev_b32_e32 v1, 3, v0
	v_mov_b32_e32 v2, s9
	v_add_co_u32_e32 v4, vcc, s8, v1
	s_waitcnt lgkmcnt(0)
	s_and_b32 s0, s0, 0xffff
	v_addc_co_u32_e32 v1, vcc, 0, v2, vcc
	s_lshl_b32 s20, s0, 3
	v_add_lshl_u32 v2, v0, s0, 2
	s_lshl_b32 s21, s0, 2
	s_mov_b64 s[16:17], 0
	v_mov_b32_e32 v5, s15
	s_movk_i32 s22, 0x7fff
	v_mov_b32_e32 v6, s7
	v_mov_b32_e32 v7, 0x7fc00000
	;; [unrolled: 1-line block ×3, first 2 shown]
	s_mov_b64 s[18:19], 0xffff
	v_mov_b32_e32 v9, s1
	v_mov_b32_e32 v10, s1
.LBB316_3:                              ; =>This Inner Loop Header: Depth=1
	v_add_co_u32_e32 v12, vcc, s14, v4
	v_addc_co_u32_e32 v13, vcc, v5, v1, vcc
	global_load_dwordx2 v[12:13], v[12:13], off
	v_add_co_u32_e32 v14, vcc, s6, v4
	v_addc_co_u32_e32 v15, vcc, v6, v1, vcc
	v_cmp_le_i64_e32 vcc, s[10:11], v[2:3]
	v_cmp_lt_u64_e64 s[0:1], s[18:19], v[2:3]
	v_add_co_u32_e64 v4, s[2:3], s20, v4
	v_addc_co_u32_e64 v1, s[2:3], v1, v9, s[2:3]
	s_or_b64 s[0:1], vcc, s[0:1]
	v_add_co_u32_e64 v2, s[2:3], s21, v2
	s_and_b64 s[0:1], exec, s[0:1]
	v_addc_co_u32_e64 v3, s[2:3], v3, v10, s[2:3]
	s_or_b64 s[16:17], s[0:1], s[16:17]
	s_waitcnt vmcnt(0)
	v_and_b32_e32 v11, 0xffff0000, v12
	v_lshlrev_b32_e32 v16, 16, v12
	v_alignbit_b32 v12, v13, v12, 16
	v_and_b32_e32 v13, 0xffff0000, v13
	v_xor_b32_e32 v17, 0x80000000, v16
	v_xor_b32_e32 v18, 0x80000000, v11
	v_and_b32_e32 v12, 0xffff0000, v12
	v_xor_b32_e32 v19, 0x80000000, v13
	v_bfe_u32 v20, v17, 16, 1
	v_bfe_u32 v21, v18, 16, 1
	v_xor_b32_e32 v22, 0x80000000, v12
	v_bfe_u32 v23, v19, 16, 1
	v_add3_u32 v17, v17, v20, s22
	v_add3_u32 v18, v18, v21, s22
	v_bfe_u32 v20, v22, 16, 1
	v_add3_u32 v19, v19, v23, s22
	v_lshrrev_b32_e32 v17, 16, v17
	v_and_b32_e32 v18, 0xffff0000, v18
	v_add3_u32 v20, v22, v20, s22
	v_cmp_o_f32_e32 vcc, v11, v11
	v_cmp_o_f32_e64 s[0:1], v16, v16
	v_and_b32_e32 v19, 0xffff0000, v19
	v_cmp_o_f32_e64 s[2:3], v13, v13
	v_lshrrev_b32_e32 v11, 16, v20
	v_cndmask_b32_e32 v16, v7, v18, vcc
	v_cndmask_b32_e64 v17, v8, v17, s[0:1]
	v_cmp_o_f32_e32 vcc, v12, v12
	v_cndmask_b32_e64 v13, v7, v19, s[2:3]
	v_cndmask_b32_e32 v11, v8, v11, vcc
	v_or_b32_e32 v12, v17, v16
	v_or3_b32 v13, 0, v11, v13
	v_or3_b32 v12, v12, 0, 0
	global_store_dwordx2 v[14:15], v[12:13], off
	s_andn2_b64 exec, exec, s[16:17]
	s_cbranch_execnz .LBB316_3
.LBB316_4:
	s_or_b64 exec, exec, s[12:13]
	s_mov_b64 s[2:3], 0
.LBB316_5:
	s_andn2_b64 vcc, exec, s[2:3]
	s_cbranch_vccnz .LBB316_25
; %bb.6:
	v_cmp_lt_i64_e64 s[0:1], s[10:11], 1
	s_and_b64 vcc, exec, s[0:1]
	s_cbranch_vccnz .LBB316_25
; %bb.7:
	s_load_dword s0, s[4:5], 0xc5c
	v_mov_b32_e32 v2, 0x10000
	v_mov_b32_e32 v3, 0
	v_cmp_lt_u64_e32 vcc, s[10:11], v[2:3]
	v_lshlrev_b32_e32 v10, 1, v0
	s_waitcnt lgkmcnt(0)
	s_and_b32 s2, s0, 0xffff
	s_and_b64 s[0:1], vcc, exec
	v_mov_b32_e32 v13, s15
	v_add_co_u32_e32 v2, vcc, s14, v10
	v_addc_co_u32_e32 v1, vcc, 0, v13, vcc
	v_mov_b32_e32 v11, 0
	v_mov_b32_e32 v15, s7
	v_add_co_u32_e32 v4, vcc, s6, v10
	v_addc_co_u32_e32 v3, vcc, 0, v15, vcc
	v_mad_u64_u32 v[8:9], s[0:1], s2, 6, v[10:11]
	v_add_co_u32_e32 v6, vcc, s14, v8
	v_addc_co_u32_e32 v5, vcc, v13, v9, vcc
	v_add_co_u32_e32 v8, vcc, s6, v8
	s_mul_i32 s4, s2, 3
	v_addc_co_u32_e32 v7, vcc, v15, v9, vcc
	s_cselect_b32 s13, s11, 0
	s_cselect_b32 s12, s10, 0x10000
	s_lshl_b32 s19, s2, 2
	v_add_co_u32_e32 v17, vcc, s4, v0
	v_addc_co_u32_e64 v18, s[0:1], 0, 0, vcc
	v_add_co_u32_e32 v11, vcc, s19, v10
	v_addc_co_u32_e64 v14, s[0:1], 0, 0, vcc
	v_add_co_u32_e32 v10, vcc, s14, v11
	v_addc_co_u32_e32 v9, vcc, v13, v14, vcc
	v_add_co_u32_e32 v12, vcc, s6, v11
	s_lshl_b32 s3, s2, 1
	v_addc_co_u32_e32 v11, vcc, v15, v14, vcc
	v_add_co_u32_e32 v19, vcc, s3, v0
	v_addc_co_u32_e64 v20, s[0:1], 0, 0, vcc
	v_add_co_u32_e32 v21, vcc, s2, v0
	v_lshlrev_b32_e32 v16, 1, v21
	v_addc_co_u32_e64 v22, s[0:1], 0, 0, vcc
	v_add_co_u32_e32 v14, vcc, s14, v16
	v_addc_co_u32_e32 v13, vcc, 0, v13, vcc
	v_add_co_u32_e32 v16, vcc, s6, v16
	s_mov_b32 s18, 0
	s_lshl_b32 s20, s2, 3
	v_addc_co_u32_e32 v15, vcc, 0, v15, vcc
	s_mov_b64 s[14:15], 0
	s_movk_i32 s21, 0x7fff
	v_mov_b32_e32 v23, 0x7fc0
	s_branch .LBB316_9
.LBB316_8:                              ;   in Loop: Header=BB316_9 Depth=1
	s_or_b64 exec, exec, s[0:1]
	s_add_u32 s14, s14, s19
	s_addc_u32 s15, s15, 0
	s_waitcnt vmcnt(0)
	v_pk_mov_b32 v[24:25], s[10:11], s[10:11] op_sel:[0,1]
	v_cmp_ge_i64_e32 vcc, s[14:15], v[24:25]
	v_mov_b32_e32 v24, 0xffff
	v_mov_b32_e32 v25, 0
	v_cmp_gt_u64_e64 s[0:1], s[14:15], v[24:25]
	s_or_b64 s[0:1], vcc, s[0:1]
	v_mov_b32_e32 v24, s18
	v_add_co_u32_e32 v2, vcc, s20, v2
	v_addc_co_u32_e32 v1, vcc, v1, v24, vcc
	v_add_co_u32_e32 v4, vcc, s20, v4
	v_addc_co_u32_e32 v3, vcc, v3, v24, vcc
	v_add_co_u32_e32 v6, vcc, s20, v6
	v_addc_co_u32_e32 v5, vcc, v5, v24, vcc
	v_add_co_u32_e32 v8, vcc, s20, v8
	v_addc_co_u32_e32 v7, vcc, v7, v24, vcc
	v_add_co_u32_e32 v10, vcc, s20, v10
	v_addc_co_u32_e32 v9, vcc, v9, v24, vcc
	v_add_co_u32_e32 v12, vcc, s20, v12
	v_addc_co_u32_e32 v11, vcc, v11, v24, vcc
	v_add_co_u32_e32 v14, vcc, s20, v14
	v_addc_co_u32_e32 v13, vcc, v13, v24, vcc
	v_add_co_u32_e32 v16, vcc, s20, v16
	v_addc_co_u32_e32 v15, vcc, v15, v24, vcc
	s_and_b64 vcc, exec, s[0:1]
	s_cbranch_vccnz .LBB316_25
.LBB316_9:                              ; =>This Inner Loop Header: Depth=1
	v_mov_b32_e32 v25, s15
	v_add_co_u32_e32 v24, vcc, s14, v0
	v_addc_co_u32_e32 v25, vcc, 0, v25, vcc
	v_cmp_gt_u64_e32 vcc, s[12:13], v[24:25]
	v_mov_b32_e32 v25, 0
	s_and_saveexec_b64 s[2:3], vcc
	s_cbranch_execz .LBB316_11
; %bb.10:                               ;   in Loop: Header=BB316_9 Depth=1
	v_mov_b32_e32 v25, s9
	v_add_co_u32_e64 v24, s[0:1], s8, v2
	v_addc_co_u32_e64 v25, s[0:1], v1, v25, s[0:1]
	global_load_ushort v25, v[24:25], off
.LBB316_11:                             ;   in Loop: Header=BB316_9 Depth=1
	s_or_b64 exec, exec, s[2:3]
	v_mov_b32_e32 v24, s15
	v_add_co_u32_e64 v26, s[0:1], s14, v21
	v_addc_co_u32_e64 v27, s[0:1], v22, v24, s[0:1]
	v_cmp_gt_u64_e64 s[0:1], s[12:13], v[26:27]
	v_mov_b32_e32 v26, 0
	s_and_saveexec_b64 s[4:5], s[0:1]
	s_cbranch_execz .LBB316_13
; %bb.12:                               ;   in Loop: Header=BB316_9 Depth=1
	v_mov_b32_e32 v24, s9
	v_add_co_u32_e64 v26, s[2:3], s8, v14
	v_addc_co_u32_e64 v27, s[2:3], v13, v24, s[2:3]
	global_load_ushort v26, v[26:27], off
.LBB316_13:                             ;   in Loop: Header=BB316_9 Depth=1
	s_or_b64 exec, exec, s[4:5]
	v_mov_b32_e32 v24, s15
	v_add_co_u32_e64 v28, s[2:3], s14, v19
	v_addc_co_u32_e64 v29, s[2:3], v20, v24, s[2:3]
	v_cmp_gt_u64_e64 s[2:3], s[12:13], v[28:29]
	v_mov_b32_e32 v24, 0
	v_mov_b32_e32 v27, 0
	s_and_saveexec_b64 s[6:7], s[2:3]
	s_cbranch_execz .LBB316_15
; %bb.14:                               ;   in Loop: Header=BB316_9 Depth=1
	v_mov_b32_e32 v27, s9
	v_add_co_u32_e64 v28, s[4:5], s8, v10
	v_addc_co_u32_e64 v29, s[4:5], v9, v27, s[4:5]
	global_load_ushort v27, v[28:29], off
.LBB316_15:                             ;   in Loop: Header=BB316_9 Depth=1
	s_or_b64 exec, exec, s[6:7]
	v_mov_b32_e32 v29, s15
	v_add_co_u32_e64 v28, s[4:5], s14, v17
	v_addc_co_u32_e64 v29, s[4:5], v18, v29, s[4:5]
	v_cmp_gt_u64_e64 s[4:5], s[12:13], v[28:29]
	s_and_saveexec_b64 s[16:17], s[4:5]
	s_cbranch_execnz .LBB316_20
; %bb.16:                               ;   in Loop: Header=BB316_9 Depth=1
	s_or_b64 exec, exec, s[16:17]
	s_and_saveexec_b64 s[6:7], vcc
	s_cbranch_execnz .LBB316_21
.LBB316_17:                             ;   in Loop: Header=BB316_9 Depth=1
	s_or_b64 exec, exec, s[6:7]
	s_and_saveexec_b64 s[6:7], s[0:1]
	s_cbranch_execnz .LBB316_22
.LBB316_18:                             ;   in Loop: Header=BB316_9 Depth=1
	s_or_b64 exec, exec, s[6:7]
	s_and_saveexec_b64 s[0:1], s[2:3]
	s_cbranch_execnz .LBB316_23
.LBB316_19:                             ;   in Loop: Header=BB316_9 Depth=1
	s_or_b64 exec, exec, s[0:1]
	s_and_saveexec_b64 s[0:1], s[4:5]
	s_cbranch_execz .LBB316_8
	s_branch .LBB316_24
.LBB316_20:                             ;   in Loop: Header=BB316_9 Depth=1
	v_mov_b32_e32 v24, s9
	v_add_co_u32_e64 v28, s[6:7], s8, v6
	v_addc_co_u32_e64 v29, s[6:7], v5, v24, s[6:7]
	global_load_ushort v24, v[28:29], off
	s_or_b64 exec, exec, s[16:17]
	s_and_saveexec_b64 s[6:7], vcc
	s_cbranch_execz .LBB316_17
.LBB316_21:                             ;   in Loop: Header=BB316_9 Depth=1
	s_waitcnt vmcnt(0)
	v_lshlrev_b32_e32 v25, 16, v25
	v_xor_b32_e32 v28, 0x80000000, v25
	v_bfe_u32 v29, v28, 16, 1
	v_add3_u32 v28, v28, v29, s21
	v_lshrrev_b32_e32 v28, 16, v28
	v_cmp_o_f32_e32 vcc, v25, v25
	v_cndmask_b32_e32 v25, v23, v28, vcc
	v_mov_b32_e32 v29, s9
	v_add_co_u32_e32 v28, vcc, s8, v4
	v_addc_co_u32_e32 v29, vcc, v3, v29, vcc
	global_store_short v[28:29], v25, off
	s_or_b64 exec, exec, s[6:7]
	s_and_saveexec_b64 s[6:7], s[0:1]
	s_cbranch_execz .LBB316_18
.LBB316_22:                             ;   in Loop: Header=BB316_9 Depth=1
	s_waitcnt vmcnt(0)
	v_lshlrev_b32_e32 v25, 16, v26
	v_xor_b32_e32 v26, 0x80000000, v25
	v_bfe_u32 v28, v26, 16, 1
	v_add3_u32 v26, v26, v28, s21
	v_lshrrev_b32_e32 v26, 16, v26
	v_cmp_o_f32_e32 vcc, v25, v25
	v_cndmask_b32_e32 v25, v23, v26, vcc
	v_mov_b32_e32 v26, s9
	v_add_co_u32_e32 v28, vcc, s8, v16
	v_addc_co_u32_e32 v29, vcc, v15, v26, vcc
	global_store_short v[28:29], v25, off
	s_or_b64 exec, exec, s[6:7]
	s_and_saveexec_b64 s[0:1], s[2:3]
	s_cbranch_execz .LBB316_19
.LBB316_23:                             ;   in Loop: Header=BB316_9 Depth=1
	s_waitcnt vmcnt(0)
	v_lshlrev_b32_e32 v25, 16, v27
	v_xor_b32_e32 v26, 0x80000000, v25
	v_bfe_u32 v27, v26, 16, 1
	v_add3_u32 v26, v26, v27, s21
	v_lshrrev_b32_e32 v26, 16, v26
	v_cmp_o_f32_e32 vcc, v25, v25
	v_cndmask_b32_e32 v25, v23, v26, vcc
	v_mov_b32_e32 v27, s9
	v_add_co_u32_e32 v26, vcc, s8, v12
	v_addc_co_u32_e32 v27, vcc, v11, v27, vcc
	global_store_short v[26:27], v25, off
	s_or_b64 exec, exec, s[0:1]
	s_and_saveexec_b64 s[0:1], s[4:5]
	s_cbranch_execz .LBB316_8
.LBB316_24:                             ;   in Loop: Header=BB316_9 Depth=1
	s_waitcnt vmcnt(0)
	v_lshlrev_b32_e32 v24, 16, v24
	v_xor_b32_e32 v25, 0x80000000, v24
	v_bfe_u32 v26, v25, 16, 1
	v_add3_u32 v25, v25, v26, s21
	v_lshrrev_b32_e32 v25, 16, v25
	v_cmp_o_f32_e32 vcc, v24, v24
	v_cndmask_b32_e32 v26, v23, v25, vcc
	v_mov_b32_e32 v25, s9
	v_add_co_u32_e32 v24, vcc, s8, v8
	v_addc_co_u32_e32 v25, vcc, v7, v25, vcc
	global_store_short v[24:25], v26, off
	s_branch .LBB316_8
.LBB316_25:
	s_endpgm
	.section	.rodata,"a",@progbits
	.p2align	6, 0x0
	.amdhsa_kernel _ZN2at6native12_GLOBAL__N_125multi_tensor_apply_kernelINS1_18TensorListMetadataILi2EEENS1_14UnaryOpFunctorIN3c108BFloat16ELi2ELi1ELi1EEEJSt6negateIfEEEEvT_T0_DpT1_
		.amdhsa_group_segment_fixed_size 0
		.amdhsa_private_segment_fixed_size 0
		.amdhsa_kernarg_size 3408
		.amdhsa_user_sgpr_count 6
		.amdhsa_user_sgpr_private_segment_buffer 1
		.amdhsa_user_sgpr_dispatch_ptr 0
		.amdhsa_user_sgpr_queue_ptr 0
		.amdhsa_user_sgpr_kernarg_segment_ptr 1
		.amdhsa_user_sgpr_dispatch_id 0
		.amdhsa_user_sgpr_flat_scratch_init 0
		.amdhsa_user_sgpr_kernarg_preload_length 0
		.amdhsa_user_sgpr_kernarg_preload_offset 0
		.amdhsa_user_sgpr_private_segment_size 0
		.amdhsa_uses_dynamic_stack 0
		.amdhsa_system_sgpr_private_segment_wavefront_offset 0
		.amdhsa_system_sgpr_workgroup_id_x 1
		.amdhsa_system_sgpr_workgroup_id_y 0
		.amdhsa_system_sgpr_workgroup_id_z 0
		.amdhsa_system_sgpr_workgroup_info 0
		.amdhsa_system_vgpr_workitem_id 0
		.amdhsa_next_free_vgpr 30
		.amdhsa_next_free_sgpr 23
		.amdhsa_accum_offset 32
		.amdhsa_reserve_vcc 1
		.amdhsa_reserve_flat_scratch 0
		.amdhsa_float_round_mode_32 0
		.amdhsa_float_round_mode_16_64 0
		.amdhsa_float_denorm_mode_32 3
		.amdhsa_float_denorm_mode_16_64 3
		.amdhsa_dx10_clamp 1
		.amdhsa_ieee_mode 1
		.amdhsa_fp16_overflow 0
		.amdhsa_tg_split 0
		.amdhsa_exception_fp_ieee_invalid_op 0
		.amdhsa_exception_fp_denorm_src 0
		.amdhsa_exception_fp_ieee_div_zero 0
		.amdhsa_exception_fp_ieee_overflow 0
		.amdhsa_exception_fp_ieee_underflow 0
		.amdhsa_exception_fp_ieee_inexact 0
		.amdhsa_exception_int_div_zero 0
	.end_amdhsa_kernel
	.section	.text._ZN2at6native12_GLOBAL__N_125multi_tensor_apply_kernelINS1_18TensorListMetadataILi2EEENS1_14UnaryOpFunctorIN3c108BFloat16ELi2ELi1ELi1EEEJSt6negateIfEEEEvT_T0_DpT1_,"axG",@progbits,_ZN2at6native12_GLOBAL__N_125multi_tensor_apply_kernelINS1_18TensorListMetadataILi2EEENS1_14UnaryOpFunctorIN3c108BFloat16ELi2ELi1ELi1EEEJSt6negateIfEEEEvT_T0_DpT1_,comdat
.Lfunc_end316:
	.size	_ZN2at6native12_GLOBAL__N_125multi_tensor_apply_kernelINS1_18TensorListMetadataILi2EEENS1_14UnaryOpFunctorIN3c108BFloat16ELi2ELi1ELi1EEEJSt6negateIfEEEEvT_T0_DpT1_, .Lfunc_end316-_ZN2at6native12_GLOBAL__N_125multi_tensor_apply_kernelINS1_18TensorListMetadataILi2EEENS1_14UnaryOpFunctorIN3c108BFloat16ELi2ELi1ELi1EEEJSt6negateIfEEEEvT_T0_DpT1_
                                        ; -- End function
	.section	.AMDGPU.csdata,"",@progbits
; Kernel info:
; codeLenInByte = 1620
; NumSgprs: 27
; NumVgprs: 30
; NumAgprs: 0
; TotalNumVgprs: 30
; ScratchSize: 0
; MemoryBound: 0
; FloatMode: 240
; IeeeMode: 1
; LDSByteSize: 0 bytes/workgroup (compile time only)
; SGPRBlocks: 3
; VGPRBlocks: 3
; NumSGPRsForWavesPerEU: 27
; NumVGPRsForWavesPerEU: 30
; AccumOffset: 32
; Occupancy: 8
; WaveLimiterHint : 0
; COMPUTE_PGM_RSRC2:SCRATCH_EN: 0
; COMPUTE_PGM_RSRC2:USER_SGPR: 6
; COMPUTE_PGM_RSRC2:TRAP_HANDLER: 0
; COMPUTE_PGM_RSRC2:TGID_X_EN: 1
; COMPUTE_PGM_RSRC2:TGID_Y_EN: 0
; COMPUTE_PGM_RSRC2:TGID_Z_EN: 0
; COMPUTE_PGM_RSRC2:TIDIG_COMP_CNT: 0
; COMPUTE_PGM_RSRC3_GFX90A:ACCUM_OFFSET: 7
; COMPUTE_PGM_RSRC3_GFX90A:TG_SPLIT: 0
	.section	.text._ZN2at6native12_GLOBAL__N_125multi_tensor_apply_kernelINS1_18TensorListMetadataILi1EEENS1_14UnaryOpFunctorIhLi1ELi1ELi0EEEJSt6negateIhEEEEvT_T0_DpT1_,"axG",@progbits,_ZN2at6native12_GLOBAL__N_125multi_tensor_apply_kernelINS1_18TensorListMetadataILi1EEENS1_14UnaryOpFunctorIhLi1ELi1ELi0EEEJSt6negateIhEEEEvT_T0_DpT1_,comdat
	.globl	_ZN2at6native12_GLOBAL__N_125multi_tensor_apply_kernelINS1_18TensorListMetadataILi1EEENS1_14UnaryOpFunctorIhLi1ELi1ELi0EEEJSt6negateIhEEEEvT_T0_DpT1_ ; -- Begin function _ZN2at6native12_GLOBAL__N_125multi_tensor_apply_kernelINS1_18TensorListMetadataILi1EEENS1_14UnaryOpFunctorIhLi1ELi1ELi0EEEJSt6negateIhEEEEvT_T0_DpT1_
	.p2align	8
	.type	_ZN2at6native12_GLOBAL__N_125multi_tensor_apply_kernelINS1_18TensorListMetadataILi1EEENS1_14UnaryOpFunctorIhLi1ELi1ELi0EEEJSt6negateIhEEEEvT_T0_DpT1_,@function
_ZN2at6native12_GLOBAL__N_125multi_tensor_apply_kernelINS1_18TensorListMetadataILi1EEENS1_14UnaryOpFunctorIhLi1ELi1ELi0EEEJSt6negateIhEEEEvT_T0_DpT1_: ; @_ZN2at6native12_GLOBAL__N_125multi_tensor_apply_kernelINS1_18TensorListMetadataILi1EEENS1_14UnaryOpFunctorIhLi1ELi1ELi0EEEJSt6negateIhEEEEvT_T0_DpT1_
; %bb.0:
	v_mov_b32_e32 v1, s6
	global_load_ubyte v1, v1, s[4:5] offset:1760
	s_add_u32 s0, s4, s6
	s_mul_hi_u32 s1, s6, 3
	s_mul_i32 s6, s6, 3
	s_addc_u32 s2, s5, 0
	s_add_u32 s0, s0, s6
	s_addc_u32 s1, s2, s1
	s_load_dword s2, s[0:1], 0x820
	s_waitcnt vmcnt(0)
	v_readfirstlane_b32 s0, v1
	s_lshl_b32 s3, s0, 3
	s_load_dwordx2 s[0:1], s[4:5], s3 offset:0x0
	s_load_dwordx2 s[6:7], s[4:5], s3 offset:0x370
	s_waitcnt lgkmcnt(0)
	s_ashr_i32 s3, s2, 31
	s_lshl_b64 s[2:3], s[2:3], 16
	s_add_u32 s18, s0, s2
	s_addc_u32 s19, s1, s3
	s_sub_u32 s10, s6, s2
	s_subb_u32 s11, s7, s3
	s_or_b32 s6, s6, s18
	s_and_b32 s6, s6, 3
	s_cmp_eq_u32 s6, 0
	s_cbranch_scc1 .LBB317_21
; %bb.1:
	v_cmp_lt_i64_e64 s[6:7], s[10:11], 1
	s_and_b64 vcc, exec, s[6:7]
	s_cbranch_vccnz .LBB317_20
; %bb.2:
	s_load_dword s6, s[4:5], 0xd3c
	v_mov_b32_e32 v2, 0x10000
	v_mov_b32_e32 v3, 0
	v_cmp_lt_u64_e32 vcc, s[10:11], v[2:3]
	v_mov_b32_e32 v1, s3
	s_waitcnt lgkmcnt(0)
	s_and_b32 s8, s6, 0xffff
	s_and_b64 s[6:7], vcc, exec
	s_cselect_b32 s13, s11, 0
	s_cselect_b32 s12, s10, 0x10000
	s_lshl_b32 s9, s8, 1
	s_mul_i32 s6, s8, 3
	s_lshl_b32 s20, s8, 2
	s_add_u32 s7, s2, s6
	v_add_co_u32_e32 v4, vcc, s2, v0
	s_addc_u32 s14, s3, 0
	v_addc_co_u32_e32 v5, vcc, 0, v1, vcc
	s_add_u32 s7, s0, s7
	v_mov_b32_e32 v6, s1
	v_add_co_u32_e32 v1, vcc, s0, v4
	s_addc_u32 s14, s1, s14
	v_addc_co_u32_e32 v6, vcc, v6, v5, vcc
	s_add_u32 s2, s2, s9
	v_mov_b32_e32 v8, s14
	v_add_co_u32_e32 v7, vcc, s7, v0
	s_addc_u32 s3, s3, 0
	v_addc_co_u32_e32 v8, vcc, 0, v8, vcc
	s_add_u32 s2, s0, s2
	v_add_co_u32_e32 v9, vcc, s6, v0
	s_addc_u32 s3, s1, s3
	v_addc_co_u32_e64 v10, s[6:7], 0, 0, vcc
	v_mov_b32_e32 v12, s3
	v_add_co_u32_e32 v11, vcc, s2, v0
	v_addc_co_u32_e32 v12, vcc, 0, v12, vcc
	s_add_u32 s0, s0, s8
	v_add_co_u32_e32 v13, vcc, s9, v0
	s_addc_u32 s1, s1, 0
	v_addc_co_u32_e64 v14, s[2:3], 0, 0, vcc
	v_mov_b32_e32 v16, s1
	v_add_co_u32_e32 v15, vcc, s0, v4
	v_addc_co_u32_e32 v16, vcc, v16, v5, vcc
	v_add_co_u32_e32 v17, vcc, s8, v0
	v_addc_co_u32_e64 v18, s[0:1], 0, 0, vcc
	s_mov_b64 s[14:15], 0
	v_pk_mov_b32 v[4:5], s[10:11], s[10:11] op_sel:[0,1]
	s_branch .LBB317_4
.LBB317_3:                              ;   in Loop: Header=BB317_4 Depth=1
	s_or_b64 exec, exec, s[0:1]
	s_add_u32 s14, s14, s20
	s_addc_u32 s15, s15, 0
	v_cmp_lt_i64_e32 vcc, s[14:15], v[4:5]
	v_cmp_lt_u64_e64 s[0:1], s[14:15], v[2:3]
	s_and_b64 s[0:1], vcc, s[0:1]
	s_and_b64 vcc, exec, s[0:1]
	s_cbranch_vccz .LBB317_20
.LBB317_4:                              ; =>This Inner Loop Header: Depth=1
	s_waitcnt vmcnt(0)
	v_mov_b32_e32 v19, s15
	v_add_co_u32_e32 v20, vcc, s14, v0
	v_addc_co_u32_e32 v21, vcc, 0, v19, vcc
	v_cmp_gt_u64_e32 vcc, s[12:13], v[20:21]
	v_mov_b32_e32 v19, 0
	s_and_saveexec_b64 s[2:3], vcc
	s_cbranch_execz .LBB317_6
; %bb.5:                                ;   in Loop: Header=BB317_4 Depth=1
	v_mov_b32_e32 v19, s15
	v_add_co_u32_e64 v20, s[0:1], s14, v1
	v_addc_co_u32_e64 v21, s[0:1], v6, v19, s[0:1]
	global_load_ubyte v19, v[20:21], off
.LBB317_6:                              ;   in Loop: Header=BB317_4 Depth=1
	s_or_b64 exec, exec, s[2:3]
	v_mov_b32_e32 v21, s15
	v_add_co_u32_e64 v20, s[0:1], s14, v17
	v_addc_co_u32_e64 v21, s[0:1], v18, v21, s[0:1]
	v_cmp_gt_u64_e64 s[0:1], s[12:13], v[20:21]
	v_mov_b32_e32 v21, 0
	s_and_saveexec_b64 s[6:7], s[0:1]
	s_cbranch_execz .LBB317_8
; %bb.7:                                ;   in Loop: Header=BB317_4 Depth=1
	v_mov_b32_e32 v21, s15
	v_add_co_u32_e64 v20, s[2:3], s14, v15
	v_addc_co_u32_e64 v21, s[2:3], v16, v21, s[2:3]
	global_load_ubyte v21, v[20:21], off
.LBB317_8:                              ;   in Loop: Header=BB317_4 Depth=1
	s_or_b64 exec, exec, s[6:7]
	v_mov_b32_e32 v20, s15
	v_add_co_u32_e64 v22, s[2:3], s14, v13
	v_addc_co_u32_e64 v23, s[2:3], v14, v20, s[2:3]
	v_cmp_gt_u64_e64 s[2:3], s[12:13], v[22:23]
	v_mov_b32_e32 v20, 0
	v_mov_b32_e32 v22, 0
	s_and_saveexec_b64 s[8:9], s[2:3]
	s_cbranch_execz .LBB317_10
; %bb.9:                                ;   in Loop: Header=BB317_4 Depth=1
	v_mov_b32_e32 v23, s15
	v_add_co_u32_e64 v22, s[6:7], s14, v11
	v_addc_co_u32_e64 v23, s[6:7], v12, v23, s[6:7]
	global_load_ubyte v22, v[22:23], off
.LBB317_10:                             ;   in Loop: Header=BB317_4 Depth=1
	s_or_b64 exec, exec, s[8:9]
	v_mov_b32_e32 v23, s15
	v_add_co_u32_e64 v24, s[6:7], s14, v9
	v_addc_co_u32_e64 v25, s[6:7], v10, v23, s[6:7]
	v_cmp_gt_u64_e64 s[6:7], s[12:13], v[24:25]
	s_and_saveexec_b64 s[16:17], s[6:7]
	s_cbranch_execnz .LBB317_15
; %bb.11:                               ;   in Loop: Header=BB317_4 Depth=1
	s_or_b64 exec, exec, s[16:17]
	s_and_saveexec_b64 s[8:9], vcc
	s_cbranch_execnz .LBB317_16
.LBB317_12:                             ;   in Loop: Header=BB317_4 Depth=1
	s_or_b64 exec, exec, s[8:9]
	s_and_saveexec_b64 s[8:9], s[0:1]
	s_cbranch_execnz .LBB317_17
.LBB317_13:                             ;   in Loop: Header=BB317_4 Depth=1
	s_or_b64 exec, exec, s[8:9]
	s_and_saveexec_b64 s[0:1], s[2:3]
	s_cbranch_execnz .LBB317_18
.LBB317_14:                             ;   in Loop: Header=BB317_4 Depth=1
	s_or_b64 exec, exec, s[0:1]
	s_and_saveexec_b64 s[0:1], s[6:7]
	s_cbranch_execz .LBB317_3
	s_branch .LBB317_19
.LBB317_15:                             ;   in Loop: Header=BB317_4 Depth=1
	v_mov_b32_e32 v20, s15
	v_add_co_u32_e64 v24, s[8:9], s14, v7
	v_addc_co_u32_e64 v25, s[8:9], v8, v20, s[8:9]
	global_load_ubyte v20, v[24:25], off
	s_or_b64 exec, exec, s[16:17]
	s_and_saveexec_b64 s[8:9], vcc
	s_cbranch_execz .LBB317_12
.LBB317_16:                             ;   in Loop: Header=BB317_4 Depth=1
	v_mov_b32_e32 v23, s15
	v_add_co_u32_e32 v24, vcc, s14, v1
	v_addc_co_u32_e32 v25, vcc, v6, v23, vcc
	s_waitcnt vmcnt(0)
	v_sub_u16_e32 v19, 0, v19
	global_store_byte v[24:25], v19, off
	s_or_b64 exec, exec, s[8:9]
	s_and_saveexec_b64 s[8:9], s[0:1]
	s_cbranch_execz .LBB317_13
.LBB317_17:                             ;   in Loop: Header=BB317_4 Depth=1
	s_waitcnt vmcnt(0)
	v_sub_u16_e32 v19, 0, v21
	v_mov_b32_e32 v21, s15
	v_add_co_u32_e32 v24, vcc, s14, v15
	v_addc_co_u32_e32 v25, vcc, v16, v21, vcc
	global_store_byte v[24:25], v19, off
	s_or_b64 exec, exec, s[8:9]
	s_and_saveexec_b64 s[0:1], s[2:3]
	s_cbranch_execz .LBB317_14
.LBB317_18:                             ;   in Loop: Header=BB317_4 Depth=1
	s_waitcnt vmcnt(0)
	v_sub_u16_e32 v19, 0, v22
	v_mov_b32_e32 v21, s15
	v_add_co_u32_e32 v22, vcc, s14, v11
	v_addc_co_u32_e32 v23, vcc, v12, v21, vcc
	global_store_byte v[22:23], v19, off
	s_or_b64 exec, exec, s[0:1]
	s_and_saveexec_b64 s[0:1], s[6:7]
	s_cbranch_execz .LBB317_3
.LBB317_19:                             ;   in Loop: Header=BB317_4 Depth=1
	s_waitcnt vmcnt(0)
	v_sub_u16_e32 v19, 0, v20
	v_mov_b32_e32 v21, s15
	v_add_co_u32_e32 v20, vcc, s14, v7
	v_addc_co_u32_e32 v21, vcc, v8, v21, vcc
	global_store_byte v[20:21], v19, off
	s_branch .LBB317_3
.LBB317_20:
	s_cbranch_execz .LBB317_22
	s_branch .LBB317_25
.LBB317_21:
.LBB317_22:
	v_lshlrev_b32_e32 v0, 2, v0
	v_mov_b32_e32 v1, 0
	v_cmp_gt_i64_e32 vcc, s[10:11], v[0:1]
	s_and_saveexec_b64 s[0:1], vcc
	s_cbranch_execz .LBB317_25
; %bb.23:
	s_load_dword s0, s[4:5], 0xd3c
	s_mov_b32 s1, 0
	s_mov_b64 s[2:3], 0
	v_mov_b32_e32 v2, s19
	v_mov_b32_e32 v3, s1
	s_waitcnt lgkmcnt(0)
	s_and_b32 s0, s0, 0xffff
	s_lshl_b32 s6, s0, 2
	s_mov_b64 s[4:5], 0xffff
.LBB317_24:                             ; =>This Inner Loop Header: Depth=1
	v_add_co_u32_e32 v4, vcc, s18, v0
	v_addc_co_u32_e32 v5, vcc, v2, v1, vcc
	global_load_dword v6, v[4:5], off
	v_add_co_u32_e32 v0, vcc, s6, v0
	v_addc_co_u32_e32 v1, vcc, v3, v1, vcc
	v_cmp_le_i64_e32 vcc, s[10:11], v[0:1]
	v_cmp_lt_u64_e64 s[0:1], s[4:5], v[0:1]
	s_or_b64 s[0:1], vcc, s[0:1]
	s_and_b64 s[0:1], exec, s[0:1]
	s_or_b64 s[2:3], s[0:1], s[2:3]
	s_waitcnt vmcnt(0)
	v_and_b32_e32 v8, 0xff0000, v6
	v_and_b32_e32 v7, 0xff00, v6
	v_sub_u32_e32 v8, 0, v8
	v_and_b32_e32 v9, 0xff000000, v6
	v_sub_u32_e32 v6, 0, v6
	v_sub_u32_e32 v7, 0, v7
	v_and_b32_e32 v8, 0xff0000, v8
	v_and_b32_e32 v6, 0xff, v6
	;; [unrolled: 1-line block ×3, first 2 shown]
	v_sub_u32_e32 v8, v8, v9
	v_or3_b32 v6, v8, v7, v6
	global_store_dword v[4:5], v6, off
	s_andn2_b64 exec, exec, s[2:3]
	s_cbranch_execnz .LBB317_24
.LBB317_25:
	s_endpgm
	.section	.rodata,"a",@progbits
	.p2align	6, 0x0
	.amdhsa_kernel _ZN2at6native12_GLOBAL__N_125multi_tensor_apply_kernelINS1_18TensorListMetadataILi1EEENS1_14UnaryOpFunctorIhLi1ELi1ELi0EEEJSt6negateIhEEEEvT_T0_DpT1_
		.amdhsa_group_segment_fixed_size 0
		.amdhsa_private_segment_fixed_size 0
		.amdhsa_kernarg_size 3632
		.amdhsa_user_sgpr_count 6
		.amdhsa_user_sgpr_private_segment_buffer 1
		.amdhsa_user_sgpr_dispatch_ptr 0
		.amdhsa_user_sgpr_queue_ptr 0
		.amdhsa_user_sgpr_kernarg_segment_ptr 1
		.amdhsa_user_sgpr_dispatch_id 0
		.amdhsa_user_sgpr_flat_scratch_init 0
		.amdhsa_user_sgpr_kernarg_preload_length 0
		.amdhsa_user_sgpr_kernarg_preload_offset 0
		.amdhsa_user_sgpr_private_segment_size 0
		.amdhsa_uses_dynamic_stack 0
		.amdhsa_system_sgpr_private_segment_wavefront_offset 0
		.amdhsa_system_sgpr_workgroup_id_x 1
		.amdhsa_system_sgpr_workgroup_id_y 0
		.amdhsa_system_sgpr_workgroup_id_z 0
		.amdhsa_system_sgpr_workgroup_info 0
		.amdhsa_system_vgpr_workitem_id 0
		.amdhsa_next_free_vgpr 26
		.amdhsa_next_free_sgpr 21
		.amdhsa_accum_offset 28
		.amdhsa_reserve_vcc 1
		.amdhsa_reserve_flat_scratch 0
		.amdhsa_float_round_mode_32 0
		.amdhsa_float_round_mode_16_64 0
		.amdhsa_float_denorm_mode_32 3
		.amdhsa_float_denorm_mode_16_64 3
		.amdhsa_dx10_clamp 1
		.amdhsa_ieee_mode 1
		.amdhsa_fp16_overflow 0
		.amdhsa_tg_split 0
		.amdhsa_exception_fp_ieee_invalid_op 0
		.amdhsa_exception_fp_denorm_src 0
		.amdhsa_exception_fp_ieee_div_zero 0
		.amdhsa_exception_fp_ieee_overflow 0
		.amdhsa_exception_fp_ieee_underflow 0
		.amdhsa_exception_fp_ieee_inexact 0
		.amdhsa_exception_int_div_zero 0
	.end_amdhsa_kernel
	.section	.text._ZN2at6native12_GLOBAL__N_125multi_tensor_apply_kernelINS1_18TensorListMetadataILi1EEENS1_14UnaryOpFunctorIhLi1ELi1ELi0EEEJSt6negateIhEEEEvT_T0_DpT1_,"axG",@progbits,_ZN2at6native12_GLOBAL__N_125multi_tensor_apply_kernelINS1_18TensorListMetadataILi1EEENS1_14UnaryOpFunctorIhLi1ELi1ELi0EEEJSt6negateIhEEEEvT_T0_DpT1_,comdat
.Lfunc_end317:
	.size	_ZN2at6native12_GLOBAL__N_125multi_tensor_apply_kernelINS1_18TensorListMetadataILi1EEENS1_14UnaryOpFunctorIhLi1ELi1ELi0EEEJSt6negateIhEEEEvT_T0_DpT1_, .Lfunc_end317-_ZN2at6native12_GLOBAL__N_125multi_tensor_apply_kernelINS1_18TensorListMetadataILi1EEENS1_14UnaryOpFunctorIhLi1ELi1ELi0EEEJSt6negateIhEEEEvT_T0_DpT1_
                                        ; -- End function
	.section	.AMDGPU.csdata,"",@progbits
; Kernel info:
; codeLenInByte = 1096
; NumSgprs: 25
; NumVgprs: 26
; NumAgprs: 0
; TotalNumVgprs: 26
; ScratchSize: 0
; MemoryBound: 0
; FloatMode: 240
; IeeeMode: 1
; LDSByteSize: 0 bytes/workgroup (compile time only)
; SGPRBlocks: 3
; VGPRBlocks: 3
; NumSGPRsForWavesPerEU: 25
; NumVGPRsForWavesPerEU: 26
; AccumOffset: 28
; Occupancy: 8
; WaveLimiterHint : 0
; COMPUTE_PGM_RSRC2:SCRATCH_EN: 0
; COMPUTE_PGM_RSRC2:USER_SGPR: 6
; COMPUTE_PGM_RSRC2:TRAP_HANDLER: 0
; COMPUTE_PGM_RSRC2:TGID_X_EN: 1
; COMPUTE_PGM_RSRC2:TGID_Y_EN: 0
; COMPUTE_PGM_RSRC2:TGID_Z_EN: 0
; COMPUTE_PGM_RSRC2:TIDIG_COMP_CNT: 0
; COMPUTE_PGM_RSRC3_GFX90A:ACCUM_OFFSET: 6
; COMPUTE_PGM_RSRC3_GFX90A:TG_SPLIT: 0
	.section	.text._ZN2at6native12_GLOBAL__N_125multi_tensor_apply_kernelINS1_18TensorListMetadataILi1EEENS1_14UnaryOpFunctorIaLi1ELi1ELi0EEEJSt6negateIaEEEEvT_T0_DpT1_,"axG",@progbits,_ZN2at6native12_GLOBAL__N_125multi_tensor_apply_kernelINS1_18TensorListMetadataILi1EEENS1_14UnaryOpFunctorIaLi1ELi1ELi0EEEJSt6negateIaEEEEvT_T0_DpT1_,comdat
	.globl	_ZN2at6native12_GLOBAL__N_125multi_tensor_apply_kernelINS1_18TensorListMetadataILi1EEENS1_14UnaryOpFunctorIaLi1ELi1ELi0EEEJSt6negateIaEEEEvT_T0_DpT1_ ; -- Begin function _ZN2at6native12_GLOBAL__N_125multi_tensor_apply_kernelINS1_18TensorListMetadataILi1EEENS1_14UnaryOpFunctorIaLi1ELi1ELi0EEEJSt6negateIaEEEEvT_T0_DpT1_
	.p2align	8
	.type	_ZN2at6native12_GLOBAL__N_125multi_tensor_apply_kernelINS1_18TensorListMetadataILi1EEENS1_14UnaryOpFunctorIaLi1ELi1ELi0EEEJSt6negateIaEEEEvT_T0_DpT1_,@function
_ZN2at6native12_GLOBAL__N_125multi_tensor_apply_kernelINS1_18TensorListMetadataILi1EEENS1_14UnaryOpFunctorIaLi1ELi1ELi0EEEJSt6negateIaEEEEvT_T0_DpT1_: ; @_ZN2at6native12_GLOBAL__N_125multi_tensor_apply_kernelINS1_18TensorListMetadataILi1EEENS1_14UnaryOpFunctorIaLi1ELi1ELi0EEEJSt6negateIaEEEEvT_T0_DpT1_
; %bb.0:
	v_mov_b32_e32 v1, s6
	global_load_ubyte v1, v1, s[4:5] offset:1760
	s_add_u32 s0, s4, s6
	s_mul_hi_u32 s1, s6, 3
	s_mul_i32 s6, s6, 3
	s_addc_u32 s2, s5, 0
	s_add_u32 s0, s0, s6
	s_addc_u32 s1, s2, s1
	s_load_dword s2, s[0:1], 0x820
	s_waitcnt vmcnt(0)
	v_readfirstlane_b32 s0, v1
	s_lshl_b32 s3, s0, 3
	s_load_dwordx2 s[0:1], s[4:5], s3 offset:0x0
	s_load_dwordx2 s[6:7], s[4:5], s3 offset:0x370
	s_waitcnt lgkmcnt(0)
	s_ashr_i32 s3, s2, 31
	s_lshl_b64 s[2:3], s[2:3], 16
	s_add_u32 s18, s0, s2
	s_addc_u32 s19, s1, s3
	s_sub_u32 s10, s6, s2
	s_subb_u32 s11, s7, s3
	s_or_b32 s6, s6, s18
	s_and_b32 s6, s6, 3
	s_cmp_eq_u32 s6, 0
	s_cbranch_scc1 .LBB318_21
; %bb.1:
	v_cmp_lt_i64_e64 s[6:7], s[10:11], 1
	s_and_b64 vcc, exec, s[6:7]
	s_cbranch_vccnz .LBB318_20
; %bb.2:
	s_load_dword s6, s[4:5], 0xd3c
	v_mov_b32_e32 v2, 0x10000
	v_mov_b32_e32 v3, 0
	v_cmp_lt_u64_e32 vcc, s[10:11], v[2:3]
	v_mov_b32_e32 v1, s3
	s_waitcnt lgkmcnt(0)
	s_and_b32 s8, s6, 0xffff
	s_and_b64 s[6:7], vcc, exec
	s_cselect_b32 s13, s11, 0
	s_cselect_b32 s12, s10, 0x10000
	s_lshl_b32 s9, s8, 1
	s_mul_i32 s6, s8, 3
	s_lshl_b32 s20, s8, 2
	s_add_u32 s7, s2, s6
	v_add_co_u32_e32 v4, vcc, s2, v0
	s_addc_u32 s14, s3, 0
	v_addc_co_u32_e32 v5, vcc, 0, v1, vcc
	s_add_u32 s7, s0, s7
	v_mov_b32_e32 v6, s1
	v_add_co_u32_e32 v1, vcc, s0, v4
	s_addc_u32 s14, s1, s14
	v_addc_co_u32_e32 v6, vcc, v6, v5, vcc
	s_add_u32 s2, s2, s9
	v_mov_b32_e32 v8, s14
	v_add_co_u32_e32 v7, vcc, s7, v0
	s_addc_u32 s3, s3, 0
	v_addc_co_u32_e32 v8, vcc, 0, v8, vcc
	s_add_u32 s2, s0, s2
	v_add_co_u32_e32 v9, vcc, s6, v0
	s_addc_u32 s3, s1, s3
	v_addc_co_u32_e64 v10, s[6:7], 0, 0, vcc
	v_mov_b32_e32 v12, s3
	v_add_co_u32_e32 v11, vcc, s2, v0
	v_addc_co_u32_e32 v12, vcc, 0, v12, vcc
	s_add_u32 s0, s0, s8
	v_add_co_u32_e32 v13, vcc, s9, v0
	s_addc_u32 s1, s1, 0
	v_addc_co_u32_e64 v14, s[2:3], 0, 0, vcc
	v_mov_b32_e32 v16, s1
	v_add_co_u32_e32 v15, vcc, s0, v4
	v_addc_co_u32_e32 v16, vcc, v16, v5, vcc
	v_add_co_u32_e32 v17, vcc, s8, v0
	v_addc_co_u32_e64 v18, s[0:1], 0, 0, vcc
	s_mov_b64 s[14:15], 0
	v_pk_mov_b32 v[4:5], s[10:11], s[10:11] op_sel:[0,1]
	s_branch .LBB318_4
.LBB318_3:                              ;   in Loop: Header=BB318_4 Depth=1
	s_or_b64 exec, exec, s[0:1]
	s_add_u32 s14, s14, s20
	s_addc_u32 s15, s15, 0
	v_cmp_lt_i64_e32 vcc, s[14:15], v[4:5]
	v_cmp_lt_u64_e64 s[0:1], s[14:15], v[2:3]
	s_and_b64 s[0:1], vcc, s[0:1]
	s_and_b64 vcc, exec, s[0:1]
	s_cbranch_vccz .LBB318_20
.LBB318_4:                              ; =>This Inner Loop Header: Depth=1
	s_waitcnt vmcnt(0)
	v_mov_b32_e32 v19, s15
	v_add_co_u32_e32 v20, vcc, s14, v0
	v_addc_co_u32_e32 v21, vcc, 0, v19, vcc
	v_cmp_gt_u64_e32 vcc, s[12:13], v[20:21]
	v_mov_b32_e32 v19, 0
	s_and_saveexec_b64 s[2:3], vcc
	s_cbranch_execz .LBB318_6
; %bb.5:                                ;   in Loop: Header=BB318_4 Depth=1
	v_mov_b32_e32 v19, s15
	v_add_co_u32_e64 v20, s[0:1], s14, v1
	v_addc_co_u32_e64 v21, s[0:1], v6, v19, s[0:1]
	global_load_ubyte v19, v[20:21], off
.LBB318_6:                              ;   in Loop: Header=BB318_4 Depth=1
	s_or_b64 exec, exec, s[2:3]
	v_mov_b32_e32 v21, s15
	v_add_co_u32_e64 v20, s[0:1], s14, v17
	v_addc_co_u32_e64 v21, s[0:1], v18, v21, s[0:1]
	v_cmp_gt_u64_e64 s[0:1], s[12:13], v[20:21]
	v_mov_b32_e32 v21, 0
	s_and_saveexec_b64 s[6:7], s[0:1]
	s_cbranch_execz .LBB318_8
; %bb.7:                                ;   in Loop: Header=BB318_4 Depth=1
	v_mov_b32_e32 v21, s15
	v_add_co_u32_e64 v20, s[2:3], s14, v15
	v_addc_co_u32_e64 v21, s[2:3], v16, v21, s[2:3]
	global_load_ubyte v21, v[20:21], off
.LBB318_8:                              ;   in Loop: Header=BB318_4 Depth=1
	s_or_b64 exec, exec, s[6:7]
	v_mov_b32_e32 v20, s15
	v_add_co_u32_e64 v22, s[2:3], s14, v13
	v_addc_co_u32_e64 v23, s[2:3], v14, v20, s[2:3]
	v_cmp_gt_u64_e64 s[2:3], s[12:13], v[22:23]
	v_mov_b32_e32 v20, 0
	v_mov_b32_e32 v22, 0
	s_and_saveexec_b64 s[8:9], s[2:3]
	s_cbranch_execz .LBB318_10
; %bb.9:                                ;   in Loop: Header=BB318_4 Depth=1
	v_mov_b32_e32 v23, s15
	v_add_co_u32_e64 v22, s[6:7], s14, v11
	v_addc_co_u32_e64 v23, s[6:7], v12, v23, s[6:7]
	global_load_ubyte v22, v[22:23], off
.LBB318_10:                             ;   in Loop: Header=BB318_4 Depth=1
	s_or_b64 exec, exec, s[8:9]
	v_mov_b32_e32 v23, s15
	v_add_co_u32_e64 v24, s[6:7], s14, v9
	v_addc_co_u32_e64 v25, s[6:7], v10, v23, s[6:7]
	v_cmp_gt_u64_e64 s[6:7], s[12:13], v[24:25]
	s_and_saveexec_b64 s[16:17], s[6:7]
	s_cbranch_execnz .LBB318_15
; %bb.11:                               ;   in Loop: Header=BB318_4 Depth=1
	s_or_b64 exec, exec, s[16:17]
	s_and_saveexec_b64 s[8:9], vcc
	s_cbranch_execnz .LBB318_16
.LBB318_12:                             ;   in Loop: Header=BB318_4 Depth=1
	s_or_b64 exec, exec, s[8:9]
	s_and_saveexec_b64 s[8:9], s[0:1]
	s_cbranch_execnz .LBB318_17
.LBB318_13:                             ;   in Loop: Header=BB318_4 Depth=1
	s_or_b64 exec, exec, s[8:9]
	s_and_saveexec_b64 s[0:1], s[2:3]
	s_cbranch_execnz .LBB318_18
.LBB318_14:                             ;   in Loop: Header=BB318_4 Depth=1
	s_or_b64 exec, exec, s[0:1]
	s_and_saveexec_b64 s[0:1], s[6:7]
	s_cbranch_execz .LBB318_3
	s_branch .LBB318_19
.LBB318_15:                             ;   in Loop: Header=BB318_4 Depth=1
	v_mov_b32_e32 v20, s15
	v_add_co_u32_e64 v24, s[8:9], s14, v7
	v_addc_co_u32_e64 v25, s[8:9], v8, v20, s[8:9]
	global_load_ubyte v20, v[24:25], off
	s_or_b64 exec, exec, s[16:17]
	s_and_saveexec_b64 s[8:9], vcc
	s_cbranch_execz .LBB318_12
.LBB318_16:                             ;   in Loop: Header=BB318_4 Depth=1
	v_mov_b32_e32 v23, s15
	v_add_co_u32_e32 v24, vcc, s14, v1
	v_addc_co_u32_e32 v25, vcc, v6, v23, vcc
	s_waitcnt vmcnt(0)
	v_sub_u16_e32 v19, 0, v19
	global_store_byte v[24:25], v19, off
	s_or_b64 exec, exec, s[8:9]
	s_and_saveexec_b64 s[8:9], s[0:1]
	s_cbranch_execz .LBB318_13
.LBB318_17:                             ;   in Loop: Header=BB318_4 Depth=1
	s_waitcnt vmcnt(0)
	v_sub_u16_e32 v19, 0, v21
	v_mov_b32_e32 v21, s15
	v_add_co_u32_e32 v24, vcc, s14, v15
	v_addc_co_u32_e32 v25, vcc, v16, v21, vcc
	global_store_byte v[24:25], v19, off
	s_or_b64 exec, exec, s[8:9]
	s_and_saveexec_b64 s[0:1], s[2:3]
	s_cbranch_execz .LBB318_14
.LBB318_18:                             ;   in Loop: Header=BB318_4 Depth=1
	s_waitcnt vmcnt(0)
	v_sub_u16_e32 v19, 0, v22
	v_mov_b32_e32 v21, s15
	v_add_co_u32_e32 v22, vcc, s14, v11
	v_addc_co_u32_e32 v23, vcc, v12, v21, vcc
	global_store_byte v[22:23], v19, off
	s_or_b64 exec, exec, s[0:1]
	s_and_saveexec_b64 s[0:1], s[6:7]
	s_cbranch_execz .LBB318_3
.LBB318_19:                             ;   in Loop: Header=BB318_4 Depth=1
	s_waitcnt vmcnt(0)
	v_sub_u16_e32 v19, 0, v20
	v_mov_b32_e32 v21, s15
	v_add_co_u32_e32 v20, vcc, s14, v7
	v_addc_co_u32_e32 v21, vcc, v8, v21, vcc
	global_store_byte v[20:21], v19, off
	s_branch .LBB318_3
.LBB318_20:
	s_cbranch_execz .LBB318_22
	s_branch .LBB318_25
.LBB318_21:
.LBB318_22:
	v_lshlrev_b32_e32 v0, 2, v0
	v_mov_b32_e32 v1, 0
	v_cmp_gt_i64_e32 vcc, s[10:11], v[0:1]
	s_and_saveexec_b64 s[0:1], vcc
	s_cbranch_execz .LBB318_25
; %bb.23:
	s_load_dword s0, s[4:5], 0xd3c
	s_mov_b32 s1, 0
	s_mov_b64 s[2:3], 0
	v_mov_b32_e32 v2, s19
	v_mov_b32_e32 v3, s1
	s_waitcnt lgkmcnt(0)
	s_and_b32 s0, s0, 0xffff
	s_lshl_b32 s6, s0, 2
	s_mov_b64 s[4:5], 0xffff
.LBB318_24:                             ; =>This Inner Loop Header: Depth=1
	v_add_co_u32_e32 v4, vcc, s18, v0
	v_addc_co_u32_e32 v5, vcc, v2, v1, vcc
	global_load_dword v6, v[4:5], off
	v_add_co_u32_e32 v0, vcc, s6, v0
	v_addc_co_u32_e32 v1, vcc, v3, v1, vcc
	v_cmp_le_i64_e32 vcc, s[10:11], v[0:1]
	v_cmp_lt_u64_e64 s[0:1], s[4:5], v[0:1]
	s_or_b64 s[0:1], vcc, s[0:1]
	s_and_b64 s[0:1], exec, s[0:1]
	s_or_b64 s[2:3], s[0:1], s[2:3]
	s_waitcnt vmcnt(0)
	v_and_b32_e32 v8, 0xff0000, v6
	v_and_b32_e32 v7, 0xff00, v6
	v_sub_u32_e32 v8, 0, v8
	v_and_b32_e32 v9, 0xff000000, v6
	v_sub_u32_e32 v6, 0, v6
	v_sub_u32_e32 v7, 0, v7
	v_and_b32_e32 v8, 0xff0000, v8
	v_and_b32_e32 v6, 0xff, v6
	;; [unrolled: 1-line block ×3, first 2 shown]
	v_sub_u32_e32 v8, v8, v9
	v_or3_b32 v6, v8, v7, v6
	global_store_dword v[4:5], v6, off
	s_andn2_b64 exec, exec, s[2:3]
	s_cbranch_execnz .LBB318_24
.LBB318_25:
	s_endpgm
	.section	.rodata,"a",@progbits
	.p2align	6, 0x0
	.amdhsa_kernel _ZN2at6native12_GLOBAL__N_125multi_tensor_apply_kernelINS1_18TensorListMetadataILi1EEENS1_14UnaryOpFunctorIaLi1ELi1ELi0EEEJSt6negateIaEEEEvT_T0_DpT1_
		.amdhsa_group_segment_fixed_size 0
		.amdhsa_private_segment_fixed_size 0
		.amdhsa_kernarg_size 3632
		.amdhsa_user_sgpr_count 6
		.amdhsa_user_sgpr_private_segment_buffer 1
		.amdhsa_user_sgpr_dispatch_ptr 0
		.amdhsa_user_sgpr_queue_ptr 0
		.amdhsa_user_sgpr_kernarg_segment_ptr 1
		.amdhsa_user_sgpr_dispatch_id 0
		.amdhsa_user_sgpr_flat_scratch_init 0
		.amdhsa_user_sgpr_kernarg_preload_length 0
		.amdhsa_user_sgpr_kernarg_preload_offset 0
		.amdhsa_user_sgpr_private_segment_size 0
		.amdhsa_uses_dynamic_stack 0
		.amdhsa_system_sgpr_private_segment_wavefront_offset 0
		.amdhsa_system_sgpr_workgroup_id_x 1
		.amdhsa_system_sgpr_workgroup_id_y 0
		.amdhsa_system_sgpr_workgroup_id_z 0
		.amdhsa_system_sgpr_workgroup_info 0
		.amdhsa_system_vgpr_workitem_id 0
		.amdhsa_next_free_vgpr 26
		.amdhsa_next_free_sgpr 21
		.amdhsa_accum_offset 28
		.amdhsa_reserve_vcc 1
		.amdhsa_reserve_flat_scratch 0
		.amdhsa_float_round_mode_32 0
		.amdhsa_float_round_mode_16_64 0
		.amdhsa_float_denorm_mode_32 3
		.amdhsa_float_denorm_mode_16_64 3
		.amdhsa_dx10_clamp 1
		.amdhsa_ieee_mode 1
		.amdhsa_fp16_overflow 0
		.amdhsa_tg_split 0
		.amdhsa_exception_fp_ieee_invalid_op 0
		.amdhsa_exception_fp_denorm_src 0
		.amdhsa_exception_fp_ieee_div_zero 0
		.amdhsa_exception_fp_ieee_overflow 0
		.amdhsa_exception_fp_ieee_underflow 0
		.amdhsa_exception_fp_ieee_inexact 0
		.amdhsa_exception_int_div_zero 0
	.end_amdhsa_kernel
	.section	.text._ZN2at6native12_GLOBAL__N_125multi_tensor_apply_kernelINS1_18TensorListMetadataILi1EEENS1_14UnaryOpFunctorIaLi1ELi1ELi0EEEJSt6negateIaEEEEvT_T0_DpT1_,"axG",@progbits,_ZN2at6native12_GLOBAL__N_125multi_tensor_apply_kernelINS1_18TensorListMetadataILi1EEENS1_14UnaryOpFunctorIaLi1ELi1ELi0EEEJSt6negateIaEEEEvT_T0_DpT1_,comdat
.Lfunc_end318:
	.size	_ZN2at6native12_GLOBAL__N_125multi_tensor_apply_kernelINS1_18TensorListMetadataILi1EEENS1_14UnaryOpFunctorIaLi1ELi1ELi0EEEJSt6negateIaEEEEvT_T0_DpT1_, .Lfunc_end318-_ZN2at6native12_GLOBAL__N_125multi_tensor_apply_kernelINS1_18TensorListMetadataILi1EEENS1_14UnaryOpFunctorIaLi1ELi1ELi0EEEJSt6negateIaEEEEvT_T0_DpT1_
                                        ; -- End function
	.section	.AMDGPU.csdata,"",@progbits
; Kernel info:
; codeLenInByte = 1096
; NumSgprs: 25
; NumVgprs: 26
; NumAgprs: 0
; TotalNumVgprs: 26
; ScratchSize: 0
; MemoryBound: 0
; FloatMode: 240
; IeeeMode: 1
; LDSByteSize: 0 bytes/workgroup (compile time only)
; SGPRBlocks: 3
; VGPRBlocks: 3
; NumSGPRsForWavesPerEU: 25
; NumVGPRsForWavesPerEU: 26
; AccumOffset: 28
; Occupancy: 8
; WaveLimiterHint : 0
; COMPUTE_PGM_RSRC2:SCRATCH_EN: 0
; COMPUTE_PGM_RSRC2:USER_SGPR: 6
; COMPUTE_PGM_RSRC2:TRAP_HANDLER: 0
; COMPUTE_PGM_RSRC2:TGID_X_EN: 1
; COMPUTE_PGM_RSRC2:TGID_Y_EN: 0
; COMPUTE_PGM_RSRC2:TGID_Z_EN: 0
; COMPUTE_PGM_RSRC2:TIDIG_COMP_CNT: 0
; COMPUTE_PGM_RSRC3_GFX90A:ACCUM_OFFSET: 6
; COMPUTE_PGM_RSRC3_GFX90A:TG_SPLIT: 0
	.section	.text._ZN2at6native12_GLOBAL__N_125multi_tensor_apply_kernelINS1_18TensorListMetadataILi1EEENS1_14UnaryOpFunctorIiLi1ELi1ELi0EEEJSt6negateIiEEEEvT_T0_DpT1_,"axG",@progbits,_ZN2at6native12_GLOBAL__N_125multi_tensor_apply_kernelINS1_18TensorListMetadataILi1EEENS1_14UnaryOpFunctorIiLi1ELi1ELi0EEEJSt6negateIiEEEEvT_T0_DpT1_,comdat
	.globl	_ZN2at6native12_GLOBAL__N_125multi_tensor_apply_kernelINS1_18TensorListMetadataILi1EEENS1_14UnaryOpFunctorIiLi1ELi1ELi0EEEJSt6negateIiEEEEvT_T0_DpT1_ ; -- Begin function _ZN2at6native12_GLOBAL__N_125multi_tensor_apply_kernelINS1_18TensorListMetadataILi1EEENS1_14UnaryOpFunctorIiLi1ELi1ELi0EEEJSt6negateIiEEEEvT_T0_DpT1_
	.p2align	8
	.type	_ZN2at6native12_GLOBAL__N_125multi_tensor_apply_kernelINS1_18TensorListMetadataILi1EEENS1_14UnaryOpFunctorIiLi1ELi1ELi0EEEJSt6negateIiEEEEvT_T0_DpT1_,@function
_ZN2at6native12_GLOBAL__N_125multi_tensor_apply_kernelINS1_18TensorListMetadataILi1EEENS1_14UnaryOpFunctorIiLi1ELi1ELi0EEEJSt6negateIiEEEEvT_T0_DpT1_: ; @_ZN2at6native12_GLOBAL__N_125multi_tensor_apply_kernelINS1_18TensorListMetadataILi1EEENS1_14UnaryOpFunctorIiLi1ELi1ELi0EEEJSt6negateIiEEEEvT_T0_DpT1_
; %bb.0:
	v_mov_b32_e32 v1, s6
	global_load_ubyte v1, v1, s[4:5] offset:1760
	s_add_u32 s0, s4, s6
	s_mul_hi_u32 s1, s6, 3
	s_mul_i32 s6, s6, 3
	s_addc_u32 s2, s5, 0
	s_add_u32 s0, s0, s6
	s_addc_u32 s1, s2, s1
	s_load_dword s0, s[0:1], 0x820
	s_mov_b32 s7, 0
	s_waitcnt vmcnt(0)
	v_readfirstlane_b32 s2, v1
	s_lshl_b32 s1, s2, 3
	s_load_dwordx2 s[2:3], s[4:5], s1 offset:0x370
	s_load_dwordx2 s[12:13], s[4:5], s1 offset:0x0
	s_waitcnt lgkmcnt(0)
	s_ashr_i32 s1, s0, 31
	s_lshl_b64 s[14:15], s[0:1], 18
	s_lshl_b64 s[0:1], s[0:1], 16
	s_and_b32 s6, s12, 15
	s_sub_u32 s10, s2, s0
	s_subb_u32 s11, s3, s1
	s_and_b32 s0, s2, 3
	s_mov_b32 s1, s7
	s_or_b64 s[0:1], s[6:7], s[0:1]
	s_cmp_eq_u64 s[0:1], 0
	s_cbranch_scc1 .LBB319_21
; %bb.1:
	v_cmp_lt_i64_e64 s[0:1], s[10:11], 1
	s_and_b64 vcc, exec, s[0:1]
	s_cbranch_vccnz .LBB319_20
; %bb.2:
	s_load_dword s0, s[4:5], 0xd3c
	v_mov_b32_e32 v2, 0x10000
	v_mov_b32_e32 v3, 0
	v_cmp_lt_u64_e32 vcc, s[10:11], v[2:3]
	v_lshlrev_b32_e32 v1, 2, v0
	s_waitcnt lgkmcnt(0)
	s_and_b32 s3, s0, 0xffff
	s_and_b64 s[0:1], vcc, exec
	s_cselect_b32 s17, s11, 0
	s_cselect_b32 s16, s10, 0x10000
	s_lshl_b32 s6, s3, 1
	s_lshl_b32 s22, s3, 2
	s_add_u32 s7, s12, s14
	s_addc_u32 s8, s13, s15
	v_mov_b32_e32 v5, s8
	v_add_co_u32_e32 v4, vcc, s7, v1
	s_mul_i32 s0, s3, 3
	v_addc_co_u32_e32 v5, vcc, 0, v5, vcc
	v_add_co_u32_e32 v1, vcc, s0, v0
	v_addc_co_u32_e64 v10, s[0:1], 0, 0, vcc
	v_add_co_u32_e32 v11, vcc, s6, v0
	v_addc_co_u32_e64 v12, s[0:1], 0, 0, vcc
	v_add_co_u32_e32 v13, vcc, s3, v0
	v_lshlrev_b32_e32 v6, 2, v13
	s_mov_b32 s2, 0
	v_addc_co_u32_e64 v14, s[0:1], 0, 0, vcc
	v_mov_b32_e32 v7, s8
	v_add_co_u32_e32 v6, vcc, s7, v6
	s_lshl_b32 s23, s3, 4
	s_mul_i32 s24, s3, 12
	s_mov_b32 s25, s2
	s_lshl_b32 s26, s3, 3
	s_mov_b32 s27, s2
	v_addc_co_u32_e32 v7, vcc, 0, v7, vcc
	s_mov_b64 s[18:19], 0
	v_pk_mov_b32 v[8:9], s[10:11], s[10:11] op_sel:[0,1]
	v_mov_b32_e32 v15, s2
	s_branch .LBB319_4
.LBB319_3:                              ;   in Loop: Header=BB319_4 Depth=1
	s_or_b64 exec, exec, s[0:1]
	s_add_u32 s18, s18, s22
	s_addc_u32 s19, s19, 0
	v_cmp_lt_i64_e32 vcc, s[18:19], v[8:9]
	v_cmp_lt_u64_e64 s[0:1], s[18:19], v[2:3]
	s_and_b64 s[0:1], vcc, s[0:1]
	v_add_co_u32_e32 v4, vcc, s23, v4
	v_addc_co_u32_e32 v5, vcc, v5, v15, vcc
	v_add_co_u32_e32 v6, vcc, s23, v6
	v_addc_co_u32_e32 v7, vcc, v7, v15, vcc
	s_and_b64 vcc, exec, s[0:1]
	s_cbranch_vccz .LBB319_20
.LBB319_4:                              ; =>This Inner Loop Header: Depth=1
	s_waitcnt vmcnt(0)
	v_mov_b32_e32 v17, s19
	v_add_co_u32_e32 v16, vcc, s18, v0
	v_addc_co_u32_e32 v17, vcc, 0, v17, vcc
	v_cmp_gt_u64_e32 vcc, s[16:17], v[16:17]
	v_mov_b32_e32 v16, 0
	s_and_saveexec_b64 s[0:1], vcc
	s_cbranch_execz .LBB319_6
; %bb.5:                                ;   in Loop: Header=BB319_4 Depth=1
	global_load_dword v16, v[4:5], off
.LBB319_6:                              ;   in Loop: Header=BB319_4 Depth=1
	s_or_b64 exec, exec, s[0:1]
	v_mov_b32_e32 v17, s19
	v_add_co_u32_e64 v18, s[0:1], s18, v13
	v_addc_co_u32_e64 v19, s[0:1], v14, v17, s[0:1]
	v_cmp_gt_u64_e64 s[0:1], s[16:17], v[18:19]
	v_mov_b32_e32 v18, 0
	s_and_saveexec_b64 s[2:3], s[0:1]
	s_cbranch_execz .LBB319_8
; %bb.7:                                ;   in Loop: Header=BB319_4 Depth=1
	global_load_dword v18, v[6:7], off
.LBB319_8:                              ;   in Loop: Header=BB319_4 Depth=1
	s_or_b64 exec, exec, s[2:3]
	v_mov_b32_e32 v17, s19
	v_add_co_u32_e64 v20, s[2:3], s18, v11
	v_addc_co_u32_e64 v21, s[2:3], v12, v17, s[2:3]
	v_cmp_gt_u64_e64 s[2:3], s[16:17], v[20:21]
	v_mov_b32_e32 v17, 0
	v_mov_b32_e32 v19, 0
	s_and_saveexec_b64 s[8:9], s[2:3]
	s_cbranch_execz .LBB319_10
; %bb.9:                                ;   in Loop: Header=BB319_4 Depth=1
	v_mov_b32_e32 v19, s27
	v_add_co_u32_e64 v20, s[6:7], s26, v4
	v_addc_co_u32_e64 v21, s[6:7], v5, v19, s[6:7]
	global_load_dword v19, v[20:21], off
.LBB319_10:                             ;   in Loop: Header=BB319_4 Depth=1
	s_or_b64 exec, exec, s[8:9]
	v_mov_b32_e32 v21, s19
	v_add_co_u32_e64 v20, s[6:7], s18, v1
	v_addc_co_u32_e64 v21, s[6:7], v10, v21, s[6:7]
	v_cmp_gt_u64_e64 s[6:7], s[16:17], v[20:21]
	s_and_saveexec_b64 s[20:21], s[6:7]
	s_cbranch_execnz .LBB319_15
; %bb.11:                               ;   in Loop: Header=BB319_4 Depth=1
	s_or_b64 exec, exec, s[20:21]
	s_and_saveexec_b64 s[8:9], vcc
	s_cbranch_execnz .LBB319_16
.LBB319_12:                             ;   in Loop: Header=BB319_4 Depth=1
	s_or_b64 exec, exec, s[8:9]
	s_and_saveexec_b64 s[8:9], s[0:1]
	s_cbranch_execnz .LBB319_17
.LBB319_13:                             ;   in Loop: Header=BB319_4 Depth=1
	s_or_b64 exec, exec, s[8:9]
	s_and_saveexec_b64 s[0:1], s[2:3]
	s_cbranch_execnz .LBB319_18
.LBB319_14:                             ;   in Loop: Header=BB319_4 Depth=1
	s_or_b64 exec, exec, s[0:1]
	s_and_saveexec_b64 s[0:1], s[6:7]
	s_cbranch_execz .LBB319_3
	s_branch .LBB319_19
.LBB319_15:                             ;   in Loop: Header=BB319_4 Depth=1
	v_mov_b32_e32 v17, s25
	v_add_co_u32_e64 v20, s[8:9], s24, v4
	v_addc_co_u32_e64 v21, s[8:9], v5, v17, s[8:9]
	global_load_dword v17, v[20:21], off
	s_or_b64 exec, exec, s[20:21]
	s_and_saveexec_b64 s[8:9], vcc
	s_cbranch_execz .LBB319_12
.LBB319_16:                             ;   in Loop: Header=BB319_4 Depth=1
	s_waitcnt vmcnt(0)
	v_sub_u32_e32 v16, 0, v16
	global_store_dword v[4:5], v16, off
	s_or_b64 exec, exec, s[8:9]
	s_and_saveexec_b64 s[8:9], s[0:1]
	s_cbranch_execz .LBB319_13
.LBB319_17:                             ;   in Loop: Header=BB319_4 Depth=1
	s_waitcnt vmcnt(0)
	v_sub_u32_e32 v16, 0, v18
	global_store_dword v[6:7], v16, off
	s_or_b64 exec, exec, s[8:9]
	s_and_saveexec_b64 s[0:1], s[2:3]
	s_cbranch_execz .LBB319_14
.LBB319_18:                             ;   in Loop: Header=BB319_4 Depth=1
	s_waitcnt vmcnt(0)
	v_sub_u32_e32 v16, 0, v19
	v_mov_b32_e32 v19, s27
	v_add_co_u32_e32 v18, vcc, s26, v4
	v_addc_co_u32_e32 v19, vcc, v5, v19, vcc
	global_store_dword v[18:19], v16, off
	s_or_b64 exec, exec, s[0:1]
	s_and_saveexec_b64 s[0:1], s[6:7]
	s_cbranch_execz .LBB319_3
.LBB319_19:                             ;   in Loop: Header=BB319_4 Depth=1
	s_waitcnt vmcnt(0)
	v_sub_u32_e32 v18, 0, v17
	v_mov_b32_e32 v17, s25
	v_add_co_u32_e32 v16, vcc, s24, v4
	v_addc_co_u32_e32 v17, vcc, v5, v17, vcc
	global_store_dword v[16:17], v18, off
	s_branch .LBB319_3
.LBB319_20:
	s_cbranch_execz .LBB319_22
	s_branch .LBB319_25
.LBB319_21:
.LBB319_22:
	v_mov_b32_e32 v3, 0
	v_lshlrev_b32_e32 v2, 2, v0
	s_mov_b32 s0, 0
	v_cmp_gt_i64_e32 vcc, s[10:11], v[2:3]
	s_and_saveexec_b64 s[2:3], vcc
	s_cbranch_execz .LBB319_25
; %bb.23:
	s_load_dword s1, s[4:5], 0xd3c
	v_lshlrev_b32_e32 v1, 4, v0
	s_mov_b64 s[4:5], 0xffff
	s_waitcnt lgkmcnt(0)
	s_and_b32 s1, s1, 0xffff
	s_add_u32 s2, s12, s14
	s_addc_u32 s3, s13, s15
	v_mov_b32_e32 v2, s3
	v_add_co_u32_e32 v1, vcc, s2, v1
	v_addc_co_u32_e32 v2, vcc, 0, v2, vcc
	v_add_co_u32_e32 v4, vcc, 8, v1
	v_addc_co_u32_e32 v5, vcc, 0, v2, vcc
	s_lshl_b32 s6, s1, 4
	v_add_lshl_u32 v2, v0, s1, 2
	s_lshl_b32 s7, s1, 2
	s_mov_b64 s[2:3], 0
	v_mov_b32_e32 v0, s0
	v_mov_b32_e32 v1, s0
.LBB319_24:                             ; =>This Inner Loop Header: Depth=1
	global_load_dwordx4 v[6:9], v[4:5], off offset:-8
	v_cmp_le_i64_e32 vcc, s[10:11], v[2:3]
	v_cmp_lt_u64_e64 s[0:1], s[4:5], v[2:3]
	s_or_b64 s[0:1], vcc, s[0:1]
	s_and_b64 s[0:1], exec, s[0:1]
	s_or_b64 s[2:3], s[0:1], s[2:3]
	s_waitcnt vmcnt(0)
	v_sub_u32_e32 v7, 0, v7
	v_sub_u32_e32 v6, 0, v6
	;; [unrolled: 1-line block ×4, first 2 shown]
	global_store_dwordx4 v[4:5], v[6:9], off offset:-8
	v_add_co_u32_e32 v4, vcc, s6, v4
	v_addc_co_u32_e32 v5, vcc, v5, v0, vcc
	v_add_co_u32_e32 v2, vcc, s7, v2
	v_addc_co_u32_e32 v3, vcc, v3, v1, vcc
	s_andn2_b64 exec, exec, s[2:3]
	s_cbranch_execnz .LBB319_24
.LBB319_25:
	s_endpgm
	.section	.rodata,"a",@progbits
	.p2align	6, 0x0
	.amdhsa_kernel _ZN2at6native12_GLOBAL__N_125multi_tensor_apply_kernelINS1_18TensorListMetadataILi1EEENS1_14UnaryOpFunctorIiLi1ELi1ELi0EEEJSt6negateIiEEEEvT_T0_DpT1_
		.amdhsa_group_segment_fixed_size 0
		.amdhsa_private_segment_fixed_size 0
		.amdhsa_kernarg_size 3632
		.amdhsa_user_sgpr_count 6
		.amdhsa_user_sgpr_private_segment_buffer 1
		.amdhsa_user_sgpr_dispatch_ptr 0
		.amdhsa_user_sgpr_queue_ptr 0
		.amdhsa_user_sgpr_kernarg_segment_ptr 1
		.amdhsa_user_sgpr_dispatch_id 0
		.amdhsa_user_sgpr_flat_scratch_init 0
		.amdhsa_user_sgpr_kernarg_preload_length 0
		.amdhsa_user_sgpr_kernarg_preload_offset 0
		.amdhsa_user_sgpr_private_segment_size 0
		.amdhsa_uses_dynamic_stack 0
		.amdhsa_system_sgpr_private_segment_wavefront_offset 0
		.amdhsa_system_sgpr_workgroup_id_x 1
		.amdhsa_system_sgpr_workgroup_id_y 0
		.amdhsa_system_sgpr_workgroup_id_z 0
		.amdhsa_system_sgpr_workgroup_info 0
		.amdhsa_system_vgpr_workitem_id 0
		.amdhsa_next_free_vgpr 22
		.amdhsa_next_free_sgpr 28
		.amdhsa_accum_offset 24
		.amdhsa_reserve_vcc 1
		.amdhsa_reserve_flat_scratch 0
		.amdhsa_float_round_mode_32 0
		.amdhsa_float_round_mode_16_64 0
		.amdhsa_float_denorm_mode_32 3
		.amdhsa_float_denorm_mode_16_64 3
		.amdhsa_dx10_clamp 1
		.amdhsa_ieee_mode 1
		.amdhsa_fp16_overflow 0
		.amdhsa_tg_split 0
		.amdhsa_exception_fp_ieee_invalid_op 0
		.amdhsa_exception_fp_denorm_src 0
		.amdhsa_exception_fp_ieee_div_zero 0
		.amdhsa_exception_fp_ieee_overflow 0
		.amdhsa_exception_fp_ieee_underflow 0
		.amdhsa_exception_fp_ieee_inexact 0
		.amdhsa_exception_int_div_zero 0
	.end_amdhsa_kernel
	.section	.text._ZN2at6native12_GLOBAL__N_125multi_tensor_apply_kernelINS1_18TensorListMetadataILi1EEENS1_14UnaryOpFunctorIiLi1ELi1ELi0EEEJSt6negateIiEEEEvT_T0_DpT1_,"axG",@progbits,_ZN2at6native12_GLOBAL__N_125multi_tensor_apply_kernelINS1_18TensorListMetadataILi1EEENS1_14UnaryOpFunctorIiLi1ELi1ELi0EEEJSt6negateIiEEEEvT_T0_DpT1_,comdat
.Lfunc_end319:
	.size	_ZN2at6native12_GLOBAL__N_125multi_tensor_apply_kernelINS1_18TensorListMetadataILi1EEENS1_14UnaryOpFunctorIiLi1ELi1ELi0EEEJSt6negateIiEEEEvT_T0_DpT1_, .Lfunc_end319-_ZN2at6native12_GLOBAL__N_125multi_tensor_apply_kernelINS1_18TensorListMetadataILi1EEENS1_14UnaryOpFunctorIiLi1ELi1ELi0EEEJSt6negateIiEEEEvT_T0_DpT1_
                                        ; -- End function
	.section	.AMDGPU.csdata,"",@progbits
; Kernel info:
; codeLenInByte = 1012
; NumSgprs: 32
; NumVgprs: 22
; NumAgprs: 0
; TotalNumVgprs: 22
; ScratchSize: 0
; MemoryBound: 0
; FloatMode: 240
; IeeeMode: 1
; LDSByteSize: 0 bytes/workgroup (compile time only)
; SGPRBlocks: 3
; VGPRBlocks: 2
; NumSGPRsForWavesPerEU: 32
; NumVGPRsForWavesPerEU: 22
; AccumOffset: 24
; Occupancy: 8
; WaveLimiterHint : 0
; COMPUTE_PGM_RSRC2:SCRATCH_EN: 0
; COMPUTE_PGM_RSRC2:USER_SGPR: 6
; COMPUTE_PGM_RSRC2:TRAP_HANDLER: 0
; COMPUTE_PGM_RSRC2:TGID_X_EN: 1
; COMPUTE_PGM_RSRC2:TGID_Y_EN: 0
; COMPUTE_PGM_RSRC2:TGID_Z_EN: 0
; COMPUTE_PGM_RSRC2:TIDIG_COMP_CNT: 0
; COMPUTE_PGM_RSRC3_GFX90A:ACCUM_OFFSET: 5
; COMPUTE_PGM_RSRC3_GFX90A:TG_SPLIT: 0
	.section	.text._ZN2at6native12_GLOBAL__N_125multi_tensor_apply_kernelINS1_18TensorListMetadataILi1EEENS1_14UnaryOpFunctorIlLi1ELi1ELi0EEEJSt6negateIlEEEEvT_T0_DpT1_,"axG",@progbits,_ZN2at6native12_GLOBAL__N_125multi_tensor_apply_kernelINS1_18TensorListMetadataILi1EEENS1_14UnaryOpFunctorIlLi1ELi1ELi0EEEJSt6negateIlEEEEvT_T0_DpT1_,comdat
	.globl	_ZN2at6native12_GLOBAL__N_125multi_tensor_apply_kernelINS1_18TensorListMetadataILi1EEENS1_14UnaryOpFunctorIlLi1ELi1ELi0EEEJSt6negateIlEEEEvT_T0_DpT1_ ; -- Begin function _ZN2at6native12_GLOBAL__N_125multi_tensor_apply_kernelINS1_18TensorListMetadataILi1EEENS1_14UnaryOpFunctorIlLi1ELi1ELi0EEEJSt6negateIlEEEEvT_T0_DpT1_
	.p2align	8
	.type	_ZN2at6native12_GLOBAL__N_125multi_tensor_apply_kernelINS1_18TensorListMetadataILi1EEENS1_14UnaryOpFunctorIlLi1ELi1ELi0EEEJSt6negateIlEEEEvT_T0_DpT1_,@function
_ZN2at6native12_GLOBAL__N_125multi_tensor_apply_kernelINS1_18TensorListMetadataILi1EEENS1_14UnaryOpFunctorIlLi1ELi1ELi0EEEJSt6negateIlEEEEvT_T0_DpT1_: ; @_ZN2at6native12_GLOBAL__N_125multi_tensor_apply_kernelINS1_18TensorListMetadataILi1EEENS1_14UnaryOpFunctorIlLi1ELi1ELi0EEEJSt6negateIlEEEEvT_T0_DpT1_
; %bb.0:
	v_mov_b32_e32 v1, s6
	global_load_ubyte v1, v1, s[4:5] offset:1760
	s_add_u32 s0, s4, s6
	s_mul_hi_u32 s1, s6, 3
	s_mul_i32 s6, s6, 3
	s_addc_u32 s2, s5, 0
	s_add_u32 s0, s0, s6
	s_addc_u32 s1, s2, s1
	s_load_dword s0, s[0:1], 0x820
	s_mov_b32 s7, 0
	s_waitcnt vmcnt(0)
	v_readfirstlane_b32 s2, v1
	s_lshl_b32 s1, s2, 3
	s_load_dwordx2 s[2:3], s[4:5], s1 offset:0x370
	s_load_dwordx2 s[12:13], s[4:5], s1 offset:0x0
	s_waitcnt lgkmcnt(0)
	s_ashr_i32 s1, s0, 31
	s_lshl_b64 s[14:15], s[0:1], 19
	s_lshl_b64 s[0:1], s[0:1], 16
	s_and_b32 s6, s12, 31
	s_sub_u32 s10, s2, s0
	s_subb_u32 s11, s3, s1
	s_and_b32 s0, s2, 3
	s_mov_b32 s1, s7
	s_or_b64 s[0:1], s[6:7], s[0:1]
	s_cmp_eq_u64 s[0:1], 0
	s_cbranch_scc1 .LBB320_21
; %bb.1:
	v_cmp_lt_i64_e64 s[0:1], s[10:11], 1
	s_and_b64 vcc, exec, s[0:1]
	s_cbranch_vccnz .LBB320_20
; %bb.2:
	s_load_dword s0, s[4:5], 0xd3c
	v_mov_b32_e32 v2, 0x10000
	v_mov_b32_e32 v3, 0
	v_cmp_lt_u64_e32 vcc, s[10:11], v[2:3]
	v_lshlrev_b32_e32 v1, 3, v0
	s_waitcnt lgkmcnt(0)
	s_and_b32 s3, s0, 0xffff
	s_and_b64 s[0:1], vcc, exec
	s_cselect_b32 s17, s11, 0
	s_cselect_b32 s16, s10, 0x10000
	s_lshl_b32 s6, s3, 1
	s_lshl_b32 s22, s3, 2
	s_add_u32 s7, s12, s14
	s_addc_u32 s8, s13, s15
	v_mov_b32_e32 v3, s8
	v_add_co_u32_e32 v2, vcc, s7, v1
	s_mul_i32 s0, s3, 3
	v_addc_co_u32_e32 v3, vcc, 0, v3, vcc
	v_add_co_u32_e32 v1, vcc, s0, v0
	v_addc_co_u32_e64 v16, s[0:1], 0, 0, vcc
	v_add_co_u32_e32 v17, vcc, s6, v0
	v_addc_co_u32_e64 v18, s[0:1], 0, 0, vcc
	v_add_co_u32_e32 v19, vcc, s3, v0
	v_lshlrev_b32_e32 v4, 3, v19
	s_mov_b32 s2, 0
	v_addc_co_u32_e64 v20, s[0:1], 0, 0, vcc
	v_mov_b32_e32 v5, s8
	v_add_co_u32_e32 v4, vcc, s7, v4
	s_lshl_b32 s23, s3, 5
	s_mul_i32 s24, s3, 24
	s_mov_b32 s25, s2
	s_lshl_b32 s26, s3, 4
	s_mov_b32 s27, s2
	v_addc_co_u32_e32 v5, vcc, 0, v5, vcc
	s_mov_b64 s[18:19], 0
	v_pk_mov_b32 v[6:7], s[10:11], s[10:11] op_sel:[0,1]
	v_mov_b32_e32 v21, s2
	s_branch .LBB320_4
.LBB320_3:                              ;   in Loop: Header=BB320_4 Depth=1
	s_or_b64 exec, exec, s[0:1]
	s_add_u32 s18, s18, s22
	s_waitcnt vmcnt(0)
	v_mov_b32_e32 v8, 0x10000
	s_addc_u32 s19, s19, 0
	v_mov_b32_e32 v9, 0
	v_cmp_lt_i64_e32 vcc, s[18:19], v[6:7]
	v_cmp_lt_u64_e64 s[0:1], s[18:19], v[8:9]
	s_and_b64 s[0:1], vcc, s[0:1]
	v_add_co_u32_e32 v2, vcc, s23, v2
	v_addc_co_u32_e32 v3, vcc, v3, v21, vcc
	v_add_co_u32_e32 v4, vcc, s23, v4
	v_addc_co_u32_e32 v5, vcc, v5, v21, vcc
	s_and_b64 vcc, exec, s[0:1]
	s_cbranch_vccz .LBB320_20
.LBB320_4:                              ; =>This Inner Loop Header: Depth=1
	v_mov_b32_e32 v9, s19
	v_add_co_u32_e32 v8, vcc, s18, v0
	v_addc_co_u32_e32 v9, vcc, 0, v9, vcc
	v_cmp_gt_u64_e32 vcc, s[16:17], v[8:9]
	v_pk_mov_b32 v[8:9], 0, 0
	v_pk_mov_b32 v[12:13], v[8:9], v[8:9] op_sel:[0,1]
	s_and_saveexec_b64 s[0:1], vcc
	s_cbranch_execz .LBB320_6
; %bb.5:                                ;   in Loop: Header=BB320_4 Depth=1
	global_load_dwordx2 v[12:13], v[2:3], off
.LBB320_6:                              ;   in Loop: Header=BB320_4 Depth=1
	s_or_b64 exec, exec, s[0:1]
	v_mov_b32_e32 v11, s19
	v_add_co_u32_e64 v10, s[0:1], s18, v19
	v_addc_co_u32_e64 v11, s[0:1], v20, v11, s[0:1]
	v_cmp_gt_u64_e64 s[0:1], s[16:17], v[10:11]
	s_and_saveexec_b64 s[2:3], s[0:1]
	s_cbranch_execz .LBB320_8
; %bb.7:                                ;   in Loop: Header=BB320_4 Depth=1
	global_load_dwordx2 v[8:9], v[4:5], off
.LBB320_8:                              ;   in Loop: Header=BB320_4 Depth=1
	s_or_b64 exec, exec, s[2:3]
	v_mov_b32_e32 v11, s19
	v_add_co_u32_e64 v10, s[2:3], s18, v17
	v_addc_co_u32_e64 v11, s[2:3], v18, v11, s[2:3]
	v_cmp_gt_u64_e64 s[2:3], s[16:17], v[10:11]
	v_pk_mov_b32 v[10:11], 0, 0
	v_pk_mov_b32 v[14:15], v[10:11], v[10:11] op_sel:[0,1]
	s_and_saveexec_b64 s[8:9], s[2:3]
	s_cbranch_execz .LBB320_10
; %bb.9:                                ;   in Loop: Header=BB320_4 Depth=1
	v_mov_b32_e32 v15, s27
	v_add_co_u32_e64 v14, s[6:7], s26, v2
	v_addc_co_u32_e64 v15, s[6:7], v3, v15, s[6:7]
	global_load_dwordx2 v[14:15], v[14:15], off
.LBB320_10:                             ;   in Loop: Header=BB320_4 Depth=1
	s_or_b64 exec, exec, s[8:9]
	v_mov_b32_e32 v23, s19
	v_add_co_u32_e64 v22, s[6:7], s18, v1
	v_addc_co_u32_e64 v23, s[6:7], v16, v23, s[6:7]
	v_cmp_gt_u64_e64 s[6:7], s[16:17], v[22:23]
	s_and_saveexec_b64 s[20:21], s[6:7]
	s_cbranch_execnz .LBB320_15
; %bb.11:                               ;   in Loop: Header=BB320_4 Depth=1
	s_or_b64 exec, exec, s[20:21]
	s_and_saveexec_b64 s[8:9], vcc
	s_cbranch_execnz .LBB320_16
.LBB320_12:                             ;   in Loop: Header=BB320_4 Depth=1
	s_or_b64 exec, exec, s[8:9]
	s_and_saveexec_b64 s[8:9], s[0:1]
	s_cbranch_execnz .LBB320_17
.LBB320_13:                             ;   in Loop: Header=BB320_4 Depth=1
	s_or_b64 exec, exec, s[8:9]
	s_and_saveexec_b64 s[0:1], s[2:3]
	s_cbranch_execnz .LBB320_18
.LBB320_14:                             ;   in Loop: Header=BB320_4 Depth=1
	s_or_b64 exec, exec, s[0:1]
	s_and_saveexec_b64 s[0:1], s[6:7]
	s_cbranch_execz .LBB320_3
	s_branch .LBB320_19
.LBB320_15:                             ;   in Loop: Header=BB320_4 Depth=1
	v_mov_b32_e32 v11, s25
	v_add_co_u32_e64 v10, s[8:9], s24, v2
	v_addc_co_u32_e64 v11, s[8:9], v3, v11, s[8:9]
	global_load_dwordx2 v[10:11], v[10:11], off
	s_or_b64 exec, exec, s[20:21]
	s_and_saveexec_b64 s[8:9], vcc
	s_cbranch_execz .LBB320_12
.LBB320_16:                             ;   in Loop: Header=BB320_4 Depth=1
	s_waitcnt vmcnt(0)
	v_sub_co_u32_e32 v12, vcc, 0, v12
	v_subb_co_u32_e32 v13, vcc, 0, v13, vcc
	global_store_dwordx2 v[2:3], v[12:13], off
	s_or_b64 exec, exec, s[8:9]
	s_and_saveexec_b64 s[8:9], s[0:1]
	s_cbranch_execz .LBB320_13
.LBB320_17:                             ;   in Loop: Header=BB320_4 Depth=1
	s_waitcnt vmcnt(0)
	v_sub_co_u32_e32 v8, vcc, 0, v8
	v_subb_co_u32_e32 v9, vcc, 0, v9, vcc
	global_store_dwordx2 v[4:5], v[8:9], off
	s_or_b64 exec, exec, s[8:9]
	s_and_saveexec_b64 s[0:1], s[2:3]
	s_cbranch_execz .LBB320_14
.LBB320_18:                             ;   in Loop: Header=BB320_4 Depth=1
	s_waitcnt vmcnt(0)
	v_sub_co_u32_e32 v8, vcc, 0, v14
	v_subb_co_u32_e32 v9, vcc, 0, v15, vcc
	v_mov_b32_e32 v13, s27
	v_add_co_u32_e32 v12, vcc, s26, v2
	v_addc_co_u32_e32 v13, vcc, v3, v13, vcc
	global_store_dwordx2 v[12:13], v[8:9], off
	s_or_b64 exec, exec, s[0:1]
	s_and_saveexec_b64 s[0:1], s[6:7]
	s_cbranch_execz .LBB320_3
.LBB320_19:                             ;   in Loop: Header=BB320_4 Depth=1
	s_waitcnt vmcnt(0)
	v_sub_co_u32_e32 v8, vcc, 0, v10
	v_subb_co_u32_e32 v9, vcc, 0, v11, vcc
	v_mov_b32_e32 v11, s25
	v_add_co_u32_e32 v10, vcc, s24, v2
	v_addc_co_u32_e32 v11, vcc, v3, v11, vcc
	global_store_dwordx2 v[10:11], v[8:9], off
	s_branch .LBB320_3
.LBB320_20:
	s_cbranch_execz .LBB320_22
	s_branch .LBB320_25
.LBB320_21:
.LBB320_22:
	v_mov_b32_e32 v3, 0
	v_lshlrev_b32_e32 v2, 2, v0
	s_mov_b32 s0, 0
	v_cmp_gt_i64_e32 vcc, s[10:11], v[2:3]
	s_and_saveexec_b64 s[2:3], vcc
	s_cbranch_execz .LBB320_25
; %bb.23:
	s_load_dword s1, s[4:5], 0xd3c
	v_lshlrev_b32_e32 v1, 5, v0
	s_mov_b64 s[4:5], 0
	s_mov_b64 s[6:7], 0xffff
	v_mov_b32_e32 v5, s0
	s_waitcnt lgkmcnt(0)
	s_and_b32 s1, s1, 0xffff
	s_lshl_b32 s8, s1, 2
	s_add_u32 s2, s12, s14
	s_addc_u32 s3, s13, s15
	v_add_lshl_u32 v2, v0, s1, 2
	v_mov_b32_e32 v0, s3
	v_add_co_u32_e32 v1, vcc, s2, v1
	v_addc_co_u32_e32 v4, vcc, 0, v0, vcc
	v_add_co_u32_e32 v0, vcc, 16, v1
	v_addc_co_u32_e32 v1, vcc, 0, v4, vcc
	s_lshl_b32 s9, s1, 5
	v_mov_b32_e32 v4, s0
.LBB320_24:                             ; =>This Inner Loop Header: Depth=1
	global_load_dwordx4 v[6:9], v[0:1], off offset:-16
	global_load_dwordx4 v[10:13], v[0:1], off
	v_cmp_le_i64_e32 vcc, s[10:11], v[2:3]
	v_cmp_lt_u64_e64 s[0:1], s[6:7], v[2:3]
	s_or_b64 s[0:1], vcc, s[0:1]
	v_add_co_u32_e64 v2, s[2:3], s8, v2
	s_and_b64 s[0:1], exec, s[0:1]
	v_addc_co_u32_e64 v3, s[2:3], v3, v4, s[2:3]
	s_or_b64 s[4:5], s[0:1], s[4:5]
	s_waitcnt vmcnt(1)
	v_sub_co_u32_e32 v6, vcc, 0, v6
	v_subb_co_u32_e32 v7, vcc, 0, v7, vcc
	v_sub_co_u32_e32 v8, vcc, 0, v8
	v_subb_co_u32_e32 v9, vcc, 0, v9, vcc
	s_waitcnt vmcnt(0)
	v_sub_co_u32_e32 v10, vcc, 0, v10
	v_subb_co_u32_e32 v11, vcc, 0, v11, vcc
	v_sub_co_u32_e32 v12, vcc, 0, v12
	v_subb_co_u32_e32 v13, vcc, 0, v13, vcc
	global_store_dwordx4 v[0:1], v[6:9], off offset:-16
	global_store_dwordx4 v[0:1], v[10:13], off
	v_add_co_u32_e32 v0, vcc, s9, v0
	v_addc_co_u32_e32 v1, vcc, v1, v5, vcc
	s_andn2_b64 exec, exec, s[4:5]
	s_cbranch_execnz .LBB320_24
.LBB320_25:
	s_endpgm
	.section	.rodata,"a",@progbits
	.p2align	6, 0x0
	.amdhsa_kernel _ZN2at6native12_GLOBAL__N_125multi_tensor_apply_kernelINS1_18TensorListMetadataILi1EEENS1_14UnaryOpFunctorIlLi1ELi1ELi0EEEJSt6negateIlEEEEvT_T0_DpT1_
		.amdhsa_group_segment_fixed_size 0
		.amdhsa_private_segment_fixed_size 0
		.amdhsa_kernarg_size 3632
		.amdhsa_user_sgpr_count 6
		.amdhsa_user_sgpr_private_segment_buffer 1
		.amdhsa_user_sgpr_dispatch_ptr 0
		.amdhsa_user_sgpr_queue_ptr 0
		.amdhsa_user_sgpr_kernarg_segment_ptr 1
		.amdhsa_user_sgpr_dispatch_id 0
		.amdhsa_user_sgpr_flat_scratch_init 0
		.amdhsa_user_sgpr_kernarg_preload_length 0
		.amdhsa_user_sgpr_kernarg_preload_offset 0
		.amdhsa_user_sgpr_private_segment_size 0
		.amdhsa_uses_dynamic_stack 0
		.amdhsa_system_sgpr_private_segment_wavefront_offset 0
		.amdhsa_system_sgpr_workgroup_id_x 1
		.amdhsa_system_sgpr_workgroup_id_y 0
		.amdhsa_system_sgpr_workgroup_id_z 0
		.amdhsa_system_sgpr_workgroup_info 0
		.amdhsa_system_vgpr_workitem_id 0
		.amdhsa_next_free_vgpr 24
		.amdhsa_next_free_sgpr 28
		.amdhsa_accum_offset 24
		.amdhsa_reserve_vcc 1
		.amdhsa_reserve_flat_scratch 0
		.amdhsa_float_round_mode_32 0
		.amdhsa_float_round_mode_16_64 0
		.amdhsa_float_denorm_mode_32 3
		.amdhsa_float_denorm_mode_16_64 3
		.amdhsa_dx10_clamp 1
		.amdhsa_ieee_mode 1
		.amdhsa_fp16_overflow 0
		.amdhsa_tg_split 0
		.amdhsa_exception_fp_ieee_invalid_op 0
		.amdhsa_exception_fp_denorm_src 0
		.amdhsa_exception_fp_ieee_div_zero 0
		.amdhsa_exception_fp_ieee_overflow 0
		.amdhsa_exception_fp_ieee_underflow 0
		.amdhsa_exception_fp_ieee_inexact 0
		.amdhsa_exception_int_div_zero 0
	.end_amdhsa_kernel
	.section	.text._ZN2at6native12_GLOBAL__N_125multi_tensor_apply_kernelINS1_18TensorListMetadataILi1EEENS1_14UnaryOpFunctorIlLi1ELi1ELi0EEEJSt6negateIlEEEEvT_T0_DpT1_,"axG",@progbits,_ZN2at6native12_GLOBAL__N_125multi_tensor_apply_kernelINS1_18TensorListMetadataILi1EEENS1_14UnaryOpFunctorIlLi1ELi1ELi0EEEJSt6negateIlEEEEvT_T0_DpT1_,comdat
.Lfunc_end320:
	.size	_ZN2at6native12_GLOBAL__N_125multi_tensor_apply_kernelINS1_18TensorListMetadataILi1EEENS1_14UnaryOpFunctorIlLi1ELi1ELi0EEEJSt6negateIlEEEEvT_T0_DpT1_, .Lfunc_end320-_ZN2at6native12_GLOBAL__N_125multi_tensor_apply_kernelINS1_18TensorListMetadataILi1EEENS1_14UnaryOpFunctorIlLi1ELi1ELi0EEEJSt6negateIlEEEEvT_T0_DpT1_
                                        ; -- End function
	.section	.AMDGPU.csdata,"",@progbits
; Kernel info:
; codeLenInByte = 1100
; NumSgprs: 32
; NumVgprs: 24
; NumAgprs: 0
; TotalNumVgprs: 24
; ScratchSize: 0
; MemoryBound: 0
; FloatMode: 240
; IeeeMode: 1
; LDSByteSize: 0 bytes/workgroup (compile time only)
; SGPRBlocks: 3
; VGPRBlocks: 2
; NumSGPRsForWavesPerEU: 32
; NumVGPRsForWavesPerEU: 24
; AccumOffset: 24
; Occupancy: 8
; WaveLimiterHint : 0
; COMPUTE_PGM_RSRC2:SCRATCH_EN: 0
; COMPUTE_PGM_RSRC2:USER_SGPR: 6
; COMPUTE_PGM_RSRC2:TRAP_HANDLER: 0
; COMPUTE_PGM_RSRC2:TGID_X_EN: 1
; COMPUTE_PGM_RSRC2:TGID_Y_EN: 0
; COMPUTE_PGM_RSRC2:TGID_Z_EN: 0
; COMPUTE_PGM_RSRC2:TIDIG_COMP_CNT: 0
; COMPUTE_PGM_RSRC3_GFX90A:ACCUM_OFFSET: 5
; COMPUTE_PGM_RSRC3_GFX90A:TG_SPLIT: 0
	.section	.text._ZN2at6native12_GLOBAL__N_125multi_tensor_apply_kernelINS1_18TensorListMetadataILi1EEENS1_14UnaryOpFunctorIsLi1ELi1ELi0EEEJSt6negateIsEEEEvT_T0_DpT1_,"axG",@progbits,_ZN2at6native12_GLOBAL__N_125multi_tensor_apply_kernelINS1_18TensorListMetadataILi1EEENS1_14UnaryOpFunctorIsLi1ELi1ELi0EEEJSt6negateIsEEEEvT_T0_DpT1_,comdat
	.globl	_ZN2at6native12_GLOBAL__N_125multi_tensor_apply_kernelINS1_18TensorListMetadataILi1EEENS1_14UnaryOpFunctorIsLi1ELi1ELi0EEEJSt6negateIsEEEEvT_T0_DpT1_ ; -- Begin function _ZN2at6native12_GLOBAL__N_125multi_tensor_apply_kernelINS1_18TensorListMetadataILi1EEENS1_14UnaryOpFunctorIsLi1ELi1ELi0EEEJSt6negateIsEEEEvT_T0_DpT1_
	.p2align	8
	.type	_ZN2at6native12_GLOBAL__N_125multi_tensor_apply_kernelINS1_18TensorListMetadataILi1EEENS1_14UnaryOpFunctorIsLi1ELi1ELi0EEEJSt6negateIsEEEEvT_T0_DpT1_,@function
_ZN2at6native12_GLOBAL__N_125multi_tensor_apply_kernelINS1_18TensorListMetadataILi1EEENS1_14UnaryOpFunctorIsLi1ELi1ELi0EEEJSt6negateIsEEEEvT_T0_DpT1_: ; @_ZN2at6native12_GLOBAL__N_125multi_tensor_apply_kernelINS1_18TensorListMetadataILi1EEENS1_14UnaryOpFunctorIsLi1ELi1ELi0EEEJSt6negateIsEEEEvT_T0_DpT1_
; %bb.0:
	v_mov_b32_e32 v1, s6
	global_load_ubyte v1, v1, s[4:5] offset:1760
	s_add_u32 s0, s4, s6
	s_mul_hi_u32 s1, s6, 3
	s_mul_i32 s6, s6, 3
	s_addc_u32 s2, s5, 0
	s_add_u32 s0, s0, s6
	s_addc_u32 s1, s2, s1
	s_load_dword s0, s[0:1], 0x820
	s_mov_b32 s7, 0
	s_waitcnt vmcnt(0)
	v_readfirstlane_b32 s2, v1
	s_lshl_b32 s1, s2, 3
	s_load_dwordx2 s[2:3], s[4:5], s1 offset:0x370
	s_load_dwordx2 s[12:13], s[4:5], s1 offset:0x0
	s_waitcnt lgkmcnt(0)
	s_ashr_i32 s1, s0, 31
	s_lshl_b64 s[14:15], s[0:1], 17
	s_lshl_b64 s[0:1], s[0:1], 16
	s_and_b32 s6, s12, 7
	s_sub_u32 s10, s2, s0
	s_subb_u32 s11, s3, s1
	s_and_b32 s0, s2, 3
	s_mov_b32 s1, s7
	s_or_b64 s[0:1], s[6:7], s[0:1]
	s_cmp_eq_u64 s[0:1], 0
	s_cbranch_scc1 .LBB321_21
; %bb.1:
	v_cmp_lt_i64_e64 s[0:1], s[10:11], 1
	s_and_b64 vcc, exec, s[0:1]
	s_cbranch_vccnz .LBB321_20
; %bb.2:
	s_load_dword s0, s[4:5], 0xd3c
	v_mov_b32_e32 v2, 0x10000
	v_mov_b32_e32 v3, 0
	v_cmp_lt_u64_e32 vcc, s[10:11], v[2:3]
	v_lshlrev_b32_e32 v1, 1, v0
	s_waitcnt lgkmcnt(0)
	s_and_b32 s2, s0, 0xffff
	s_and_b64 s[0:1], vcc, exec
	s_cselect_b32 s17, s11, 0
	s_cselect_b32 s16, s10, 0x10000
	s_lshl_b32 s3, s2, 1
	s_lshl_b32 s23, s2, 2
	s_add_u32 s6, s12, s14
	s_addc_u32 s7, s13, s15
	v_mov_b32_e32 v5, s7
	v_add_co_u32_e32 v4, vcc, s6, v1
	s_mul_i32 s0, s2, 3
	v_addc_co_u32_e32 v5, vcc, 0, v5, vcc
	v_add_co_u32_e32 v1, vcc, s0, v0
	v_addc_co_u32_e64 v10, s[0:1], 0, 0, vcc
	v_add_co_u32_e32 v11, vcc, s3, v0
	v_addc_co_u32_e64 v12, s[0:1], 0, 0, vcc
	v_add_co_u32_e32 v13, vcc, s2, v0
	v_lshlrev_b32_e32 v6, 1, v13
	s_mov_b32 s22, 0
	v_addc_co_u32_e64 v14, s[0:1], 0, 0, vcc
	v_mov_b32_e32 v7, s7
	v_add_co_u32_e32 v6, vcc, s6, v6
	s_lshl_b32 s24, s2, 3
	s_mul_i32 s25, s2, 6
	s_mov_b32 s26, s22
	v_addc_co_u32_e32 v7, vcc, 0, v7, vcc
	s_mov_b64 s[18:19], 0
	v_pk_mov_b32 v[8:9], s[10:11], s[10:11] op_sel:[0,1]
	v_mov_b32_e32 v15, s22
	s_branch .LBB321_4
.LBB321_3:                              ;   in Loop: Header=BB321_4 Depth=1
	s_or_b64 exec, exec, s[0:1]
	s_add_u32 s18, s18, s23
	s_addc_u32 s19, s19, 0
	v_cmp_lt_i64_e32 vcc, s[18:19], v[8:9]
	v_cmp_lt_u64_e64 s[0:1], s[18:19], v[2:3]
	s_and_b64 s[0:1], vcc, s[0:1]
	v_add_co_u32_e32 v4, vcc, s24, v4
	v_addc_co_u32_e32 v5, vcc, v5, v15, vcc
	v_add_co_u32_e32 v6, vcc, s24, v6
	v_addc_co_u32_e32 v7, vcc, v7, v15, vcc
	s_and_b64 vcc, exec, s[0:1]
	s_cbranch_vccz .LBB321_20
.LBB321_4:                              ; =>This Inner Loop Header: Depth=1
	s_waitcnt vmcnt(0)
	v_mov_b32_e32 v17, s19
	v_add_co_u32_e32 v16, vcc, s18, v0
	v_addc_co_u32_e32 v17, vcc, 0, v17, vcc
	v_cmp_gt_u64_e32 vcc, s[16:17], v[16:17]
	v_mov_b32_e32 v16, 0
	s_and_saveexec_b64 s[0:1], vcc
	s_cbranch_execz .LBB321_6
; %bb.5:                                ;   in Loop: Header=BB321_4 Depth=1
	global_load_ushort v16, v[4:5], off
.LBB321_6:                              ;   in Loop: Header=BB321_4 Depth=1
	s_or_b64 exec, exec, s[0:1]
	v_mov_b32_e32 v17, s19
	v_add_co_u32_e64 v18, s[0:1], s18, v13
	v_addc_co_u32_e64 v19, s[0:1], v14, v17, s[0:1]
	v_cmp_gt_u64_e64 s[0:1], s[16:17], v[18:19]
	v_mov_b32_e32 v18, 0
	s_and_saveexec_b64 s[2:3], s[0:1]
	s_cbranch_execz .LBB321_8
; %bb.7:                                ;   in Loop: Header=BB321_4 Depth=1
	global_load_ushort v18, v[6:7], off
.LBB321_8:                              ;   in Loop: Header=BB321_4 Depth=1
	s_or_b64 exec, exec, s[2:3]
	v_mov_b32_e32 v17, s19
	v_add_co_u32_e64 v20, s[2:3], s18, v11
	v_addc_co_u32_e64 v21, s[2:3], v12, v17, s[2:3]
	v_cmp_gt_u64_e64 s[2:3], s[16:17], v[20:21]
	v_mov_b32_e32 v17, 0
	v_mov_b32_e32 v19, 0
	s_and_saveexec_b64 s[8:9], s[2:3]
	s_cbranch_execz .LBB321_10
; %bb.9:                                ;   in Loop: Header=BB321_4 Depth=1
	v_mov_b32_e32 v19, s22
	v_add_co_u32_e64 v20, s[6:7], s23, v4
	v_addc_co_u32_e64 v21, s[6:7], v5, v19, s[6:7]
	global_load_ushort v19, v[20:21], off
.LBB321_10:                             ;   in Loop: Header=BB321_4 Depth=1
	s_or_b64 exec, exec, s[8:9]
	v_mov_b32_e32 v21, s19
	v_add_co_u32_e64 v20, s[6:7], s18, v1
	v_addc_co_u32_e64 v21, s[6:7], v10, v21, s[6:7]
	v_cmp_gt_u64_e64 s[6:7], s[16:17], v[20:21]
	s_and_saveexec_b64 s[20:21], s[6:7]
	s_cbranch_execnz .LBB321_15
; %bb.11:                               ;   in Loop: Header=BB321_4 Depth=1
	s_or_b64 exec, exec, s[20:21]
	s_and_saveexec_b64 s[8:9], vcc
	s_cbranch_execnz .LBB321_16
.LBB321_12:                             ;   in Loop: Header=BB321_4 Depth=1
	s_or_b64 exec, exec, s[8:9]
	s_and_saveexec_b64 s[8:9], s[0:1]
	s_cbranch_execnz .LBB321_17
.LBB321_13:                             ;   in Loop: Header=BB321_4 Depth=1
	s_or_b64 exec, exec, s[8:9]
	s_and_saveexec_b64 s[0:1], s[2:3]
	s_cbranch_execnz .LBB321_18
.LBB321_14:                             ;   in Loop: Header=BB321_4 Depth=1
	s_or_b64 exec, exec, s[0:1]
	s_and_saveexec_b64 s[0:1], s[6:7]
	s_cbranch_execz .LBB321_3
	s_branch .LBB321_19
.LBB321_15:                             ;   in Loop: Header=BB321_4 Depth=1
	v_mov_b32_e32 v17, s26
	v_add_co_u32_e64 v20, s[8:9], s25, v4
	v_addc_co_u32_e64 v21, s[8:9], v5, v17, s[8:9]
	global_load_ushort v17, v[20:21], off
	s_or_b64 exec, exec, s[20:21]
	s_and_saveexec_b64 s[8:9], vcc
	s_cbranch_execz .LBB321_12
.LBB321_16:                             ;   in Loop: Header=BB321_4 Depth=1
	s_waitcnt vmcnt(0)
	v_sub_u16_e32 v16, 0, v16
	global_store_short v[4:5], v16, off
	s_or_b64 exec, exec, s[8:9]
	s_and_saveexec_b64 s[8:9], s[0:1]
	s_cbranch_execz .LBB321_13
.LBB321_17:                             ;   in Loop: Header=BB321_4 Depth=1
	s_waitcnt vmcnt(0)
	v_sub_u16_e32 v16, 0, v18
	global_store_short v[6:7], v16, off
	s_or_b64 exec, exec, s[8:9]
	s_and_saveexec_b64 s[0:1], s[2:3]
	s_cbranch_execz .LBB321_14
.LBB321_18:                             ;   in Loop: Header=BB321_4 Depth=1
	s_waitcnt vmcnt(0)
	v_sub_u16_e32 v16, 0, v19
	v_mov_b32_e32 v19, s22
	v_add_co_u32_e32 v18, vcc, s23, v4
	v_addc_co_u32_e32 v19, vcc, v5, v19, vcc
	global_store_short v[18:19], v16, off
	s_or_b64 exec, exec, s[0:1]
	s_and_saveexec_b64 s[0:1], s[6:7]
	s_cbranch_execz .LBB321_3
.LBB321_19:                             ;   in Loop: Header=BB321_4 Depth=1
	s_waitcnt vmcnt(0)
	v_sub_u16_e32 v18, 0, v17
	v_mov_b32_e32 v17, s26
	v_add_co_u32_e32 v16, vcc, s25, v4
	v_addc_co_u32_e32 v17, vcc, v5, v17, vcc
	global_store_short v[16:17], v18, off
	s_branch .LBB321_3
.LBB321_20:
	s_cbranch_execz .LBB321_22
	s_branch .LBB321_25
.LBB321_21:
.LBB321_22:
	v_mov_b32_e32 v3, 0
	v_lshlrev_b32_e32 v2, 2, v0
	s_mov_b32 s0, 0
	v_cmp_gt_i64_e32 vcc, s[10:11], v[2:3]
	s_and_saveexec_b64 s[2:3], vcc
	s_cbranch_execz .LBB321_25
; %bb.23:
	s_load_dword s1, s[4:5], 0xd3c
	v_lshlrev_b32_e32 v1, 3, v0
	s_mov_b64 s[4:5], 0
	s_mov_b64 s[6:7], 0xffff
	s_waitcnt lgkmcnt(0)
	s_and_b32 s1, s1, 0xffff
	s_add_u32 s2, s12, s14
	s_addc_u32 s3, s13, s15
	v_mov_b32_e32 v2, s3
	v_add_co_u32_e32 v4, vcc, s2, v1
	v_addc_co_u32_e32 v5, vcc, 0, v2, vcc
	s_lshl_b32 s8, s1, 3
	v_add_lshl_u32 v2, v0, s1, 2
	s_lshl_b32 s9, s1, 2
	v_mov_b32_e32 v0, s0
	v_mov_b32_e32 v1, s0
	v_sub_co_u32_e64 v6, vcc, 0, 0
.LBB321_24:                             ; =>This Inner Loop Header: Depth=1
	global_load_dwordx2 v[6:7], v[4:5], off
	v_cmp_le_i64_e64 s[0:1], s[10:11], v[2:3]
	v_cmp_lt_u64_e64 s[2:3], s[6:7], v[2:3]
	s_or_b64 s[0:1], s[0:1], s[2:3]
	s_and_b64 s[0:1], exec, s[0:1]
	s_or_b64 s[4:5], s[0:1], s[4:5]
	s_waitcnt vmcnt(0)
	v_and_b32_e32 v9, 0xffff, v7
	v_and_b32_e32 v8, 0xffff0000, v6
	v_sub_u32_e32 v6, 0, v6
	v_subb_co_u32_e64 v9, s[0:1], 0, v9, vcc
	v_and_b32_e32 v7, 0xffff0000, v7
	v_sub_u32_sdwa v6, v6, v8 dst_sel:DWORD dst_unused:UNUSED_PAD src0_sel:WORD_0 src1_sel:DWORD
	v_and_b32_e32 v8, 0xffff, v9
	v_subb_co_u32_e64 v7, s[0:1], v8, v7, vcc
	global_store_dwordx2 v[4:5], v[6:7], off
	v_add_co_u32_e64 v4, s[0:1], s8, v4
	v_addc_co_u32_e64 v5, s[0:1], v5, v0, s[0:1]
	v_add_co_u32_e64 v2, s[0:1], s9, v2
	v_addc_co_u32_e64 v3, s[0:1], v3, v1, s[0:1]
	s_andn2_b64 exec, exec, s[4:5]
	s_cbranch_execnz .LBB321_24
.LBB321_25:
	s_endpgm
	.section	.rodata,"a",@progbits
	.p2align	6, 0x0
	.amdhsa_kernel _ZN2at6native12_GLOBAL__N_125multi_tensor_apply_kernelINS1_18TensorListMetadataILi1EEENS1_14UnaryOpFunctorIsLi1ELi1ELi0EEEJSt6negateIsEEEEvT_T0_DpT1_
		.amdhsa_group_segment_fixed_size 0
		.amdhsa_private_segment_fixed_size 0
		.amdhsa_kernarg_size 3632
		.amdhsa_user_sgpr_count 6
		.amdhsa_user_sgpr_private_segment_buffer 1
		.amdhsa_user_sgpr_dispatch_ptr 0
		.amdhsa_user_sgpr_queue_ptr 0
		.amdhsa_user_sgpr_kernarg_segment_ptr 1
		.amdhsa_user_sgpr_dispatch_id 0
		.amdhsa_user_sgpr_flat_scratch_init 0
		.amdhsa_user_sgpr_kernarg_preload_length 0
		.amdhsa_user_sgpr_kernarg_preload_offset 0
		.amdhsa_user_sgpr_private_segment_size 0
		.amdhsa_uses_dynamic_stack 0
		.amdhsa_system_sgpr_private_segment_wavefront_offset 0
		.amdhsa_system_sgpr_workgroup_id_x 1
		.amdhsa_system_sgpr_workgroup_id_y 0
		.amdhsa_system_sgpr_workgroup_id_z 0
		.amdhsa_system_sgpr_workgroup_info 0
		.amdhsa_system_vgpr_workitem_id 0
		.amdhsa_next_free_vgpr 22
		.amdhsa_next_free_sgpr 27
		.amdhsa_accum_offset 24
		.amdhsa_reserve_vcc 1
		.amdhsa_reserve_flat_scratch 0
		.amdhsa_float_round_mode_32 0
		.amdhsa_float_round_mode_16_64 0
		.amdhsa_float_denorm_mode_32 3
		.amdhsa_float_denorm_mode_16_64 3
		.amdhsa_dx10_clamp 1
		.amdhsa_ieee_mode 1
		.amdhsa_fp16_overflow 0
		.amdhsa_tg_split 0
		.amdhsa_exception_fp_ieee_invalid_op 0
		.amdhsa_exception_fp_denorm_src 0
		.amdhsa_exception_fp_ieee_div_zero 0
		.amdhsa_exception_fp_ieee_overflow 0
		.amdhsa_exception_fp_ieee_underflow 0
		.amdhsa_exception_fp_ieee_inexact 0
		.amdhsa_exception_int_div_zero 0
	.end_amdhsa_kernel
	.section	.text._ZN2at6native12_GLOBAL__N_125multi_tensor_apply_kernelINS1_18TensorListMetadataILi1EEENS1_14UnaryOpFunctorIsLi1ELi1ELi0EEEJSt6negateIsEEEEvT_T0_DpT1_,"axG",@progbits,_ZN2at6native12_GLOBAL__N_125multi_tensor_apply_kernelINS1_18TensorListMetadataILi1EEENS1_14UnaryOpFunctorIsLi1ELi1ELi0EEEJSt6negateIsEEEEvT_T0_DpT1_,comdat
.Lfunc_end321:
	.size	_ZN2at6native12_GLOBAL__N_125multi_tensor_apply_kernelINS1_18TensorListMetadataILi1EEENS1_14UnaryOpFunctorIsLi1ELi1ELi0EEEJSt6negateIsEEEEvT_T0_DpT1_, .Lfunc_end321-_ZN2at6native12_GLOBAL__N_125multi_tensor_apply_kernelINS1_18TensorListMetadataILi1EEENS1_14UnaryOpFunctorIsLi1ELi1ELi0EEEJSt6negateIsEEEEvT_T0_DpT1_
                                        ; -- End function
	.section	.AMDGPU.csdata,"",@progbits
; Kernel info:
; codeLenInByte = 1068
; NumSgprs: 31
; NumVgprs: 22
; NumAgprs: 0
; TotalNumVgprs: 22
; ScratchSize: 0
; MemoryBound: 0
; FloatMode: 240
; IeeeMode: 1
; LDSByteSize: 0 bytes/workgroup (compile time only)
; SGPRBlocks: 3
; VGPRBlocks: 2
; NumSGPRsForWavesPerEU: 31
; NumVGPRsForWavesPerEU: 22
; AccumOffset: 24
; Occupancy: 8
; WaveLimiterHint : 0
; COMPUTE_PGM_RSRC2:SCRATCH_EN: 0
; COMPUTE_PGM_RSRC2:USER_SGPR: 6
; COMPUTE_PGM_RSRC2:TRAP_HANDLER: 0
; COMPUTE_PGM_RSRC2:TGID_X_EN: 1
; COMPUTE_PGM_RSRC2:TGID_Y_EN: 0
; COMPUTE_PGM_RSRC2:TGID_Z_EN: 0
; COMPUTE_PGM_RSRC2:TIDIG_COMP_CNT: 0
; COMPUTE_PGM_RSRC3_GFX90A:ACCUM_OFFSET: 5
; COMPUTE_PGM_RSRC3_GFX90A:TG_SPLIT: 0
	.section	.text._ZN2at6native12_GLOBAL__N_125multi_tensor_apply_kernelINS1_18TensorListMetadataILi1EEENS1_14UnaryOpFunctorIdLi1ELi1ELi0EEEJSt6negateIdEEEEvT_T0_DpT1_,"axG",@progbits,_ZN2at6native12_GLOBAL__N_125multi_tensor_apply_kernelINS1_18TensorListMetadataILi1EEENS1_14UnaryOpFunctorIdLi1ELi1ELi0EEEJSt6negateIdEEEEvT_T0_DpT1_,comdat
	.globl	_ZN2at6native12_GLOBAL__N_125multi_tensor_apply_kernelINS1_18TensorListMetadataILi1EEENS1_14UnaryOpFunctorIdLi1ELi1ELi0EEEJSt6negateIdEEEEvT_T0_DpT1_ ; -- Begin function _ZN2at6native12_GLOBAL__N_125multi_tensor_apply_kernelINS1_18TensorListMetadataILi1EEENS1_14UnaryOpFunctorIdLi1ELi1ELi0EEEJSt6negateIdEEEEvT_T0_DpT1_
	.p2align	8
	.type	_ZN2at6native12_GLOBAL__N_125multi_tensor_apply_kernelINS1_18TensorListMetadataILi1EEENS1_14UnaryOpFunctorIdLi1ELi1ELi0EEEJSt6negateIdEEEEvT_T0_DpT1_,@function
_ZN2at6native12_GLOBAL__N_125multi_tensor_apply_kernelINS1_18TensorListMetadataILi1EEENS1_14UnaryOpFunctorIdLi1ELi1ELi0EEEJSt6negateIdEEEEvT_T0_DpT1_: ; @_ZN2at6native12_GLOBAL__N_125multi_tensor_apply_kernelINS1_18TensorListMetadataILi1EEENS1_14UnaryOpFunctorIdLi1ELi1ELi0EEEJSt6negateIdEEEEvT_T0_DpT1_
; %bb.0:
	v_mov_b32_e32 v1, s6
	global_load_ubyte v1, v1, s[4:5] offset:1760
	s_add_u32 s0, s4, s6
	s_mul_hi_u32 s1, s6, 3
	s_mul_i32 s6, s6, 3
	s_addc_u32 s2, s5, 0
	s_add_u32 s0, s0, s6
	s_addc_u32 s1, s2, s1
	s_load_dword s0, s[0:1], 0x820
	s_mov_b32 s7, 0
	s_waitcnt vmcnt(0)
	v_readfirstlane_b32 s2, v1
	s_lshl_b32 s1, s2, 3
	s_load_dwordx2 s[2:3], s[4:5], s1 offset:0x370
	s_load_dwordx2 s[12:13], s[4:5], s1 offset:0x0
	s_waitcnt lgkmcnt(0)
	s_ashr_i32 s1, s0, 31
	s_lshl_b64 s[14:15], s[0:1], 19
	s_lshl_b64 s[0:1], s[0:1], 16
	s_and_b32 s6, s12, 31
	s_sub_u32 s10, s2, s0
	s_subb_u32 s11, s3, s1
	s_and_b32 s0, s2, 3
	s_mov_b32 s1, s7
	s_or_b64 s[0:1], s[6:7], s[0:1]
	s_cmp_eq_u64 s[0:1], 0
	s_cbranch_scc1 .LBB322_21
; %bb.1:
	v_cmp_lt_i64_e64 s[0:1], s[10:11], 1
	s_and_b64 vcc, exec, s[0:1]
	s_cbranch_vccnz .LBB322_20
; %bb.2:
	s_load_dword s0, s[4:5], 0xd3c
	v_mov_b32_e32 v2, 0x10000
	v_mov_b32_e32 v3, 0
	v_cmp_lt_u64_e32 vcc, s[10:11], v[2:3]
	v_lshlrev_b32_e32 v1, 3, v0
	s_waitcnt lgkmcnt(0)
	s_and_b32 s3, s0, 0xffff
	s_and_b64 s[0:1], vcc, exec
	s_cselect_b32 s17, s11, 0
	s_cselect_b32 s16, s10, 0x10000
	s_lshl_b32 s6, s3, 1
	s_lshl_b32 s22, s3, 2
	s_add_u32 s7, s12, s14
	s_addc_u32 s8, s13, s15
	v_mov_b32_e32 v3, s8
	v_add_co_u32_e32 v2, vcc, s7, v1
	s_mul_i32 s0, s3, 3
	v_addc_co_u32_e32 v3, vcc, 0, v3, vcc
	v_add_co_u32_e32 v1, vcc, s0, v0
	v_addc_co_u32_e64 v16, s[0:1], 0, 0, vcc
	v_add_co_u32_e32 v17, vcc, s6, v0
	v_addc_co_u32_e64 v18, s[0:1], 0, 0, vcc
	v_add_co_u32_e32 v19, vcc, s3, v0
	v_lshlrev_b32_e32 v4, 3, v19
	s_mov_b32 s2, 0
	v_addc_co_u32_e64 v20, s[0:1], 0, 0, vcc
	v_mov_b32_e32 v5, s8
	v_add_co_u32_e32 v4, vcc, s7, v4
	s_lshl_b32 s23, s3, 5
	s_mul_i32 s24, s3, 24
	s_mov_b32 s25, s2
	s_lshl_b32 s26, s3, 4
	s_mov_b32 s27, s2
	v_addc_co_u32_e32 v5, vcc, 0, v5, vcc
	s_mov_b64 s[18:19], 0
	v_pk_mov_b32 v[6:7], s[10:11], s[10:11] op_sel:[0,1]
	v_mov_b32_e32 v21, s2
	s_branch .LBB322_4
.LBB322_3:                              ;   in Loop: Header=BB322_4 Depth=1
	s_or_b64 exec, exec, s[0:1]
	s_add_u32 s18, s18, s22
	s_waitcnt vmcnt(0)
	v_mov_b32_e32 v8, 0x10000
	s_addc_u32 s19, s19, 0
	v_mov_b32_e32 v9, 0
	v_cmp_lt_i64_e32 vcc, s[18:19], v[6:7]
	v_cmp_lt_u64_e64 s[0:1], s[18:19], v[8:9]
	s_and_b64 s[0:1], vcc, s[0:1]
	v_add_co_u32_e32 v2, vcc, s23, v2
	v_addc_co_u32_e32 v3, vcc, v3, v21, vcc
	v_add_co_u32_e32 v4, vcc, s23, v4
	v_addc_co_u32_e32 v5, vcc, v5, v21, vcc
	s_and_b64 vcc, exec, s[0:1]
	s_cbranch_vccz .LBB322_20
.LBB322_4:                              ; =>This Inner Loop Header: Depth=1
	v_mov_b32_e32 v9, s19
	v_add_co_u32_e32 v8, vcc, s18, v0
	v_addc_co_u32_e32 v9, vcc, 0, v9, vcc
	v_cmp_gt_u64_e32 vcc, s[16:17], v[8:9]
	v_pk_mov_b32 v[8:9], 0, 0
	v_pk_mov_b32 v[12:13], v[8:9], v[8:9] op_sel:[0,1]
	s_and_saveexec_b64 s[0:1], vcc
	s_cbranch_execz .LBB322_6
; %bb.5:                                ;   in Loop: Header=BB322_4 Depth=1
	global_load_dwordx2 v[12:13], v[2:3], off
.LBB322_6:                              ;   in Loop: Header=BB322_4 Depth=1
	s_or_b64 exec, exec, s[0:1]
	v_mov_b32_e32 v11, s19
	v_add_co_u32_e64 v10, s[0:1], s18, v19
	v_addc_co_u32_e64 v11, s[0:1], v20, v11, s[0:1]
	v_cmp_gt_u64_e64 s[0:1], s[16:17], v[10:11]
	s_and_saveexec_b64 s[2:3], s[0:1]
	s_cbranch_execz .LBB322_8
; %bb.7:                                ;   in Loop: Header=BB322_4 Depth=1
	global_load_dwordx2 v[8:9], v[4:5], off
.LBB322_8:                              ;   in Loop: Header=BB322_4 Depth=1
	s_or_b64 exec, exec, s[2:3]
	v_mov_b32_e32 v11, s19
	v_add_co_u32_e64 v10, s[2:3], s18, v17
	v_addc_co_u32_e64 v11, s[2:3], v18, v11, s[2:3]
	v_cmp_gt_u64_e64 s[2:3], s[16:17], v[10:11]
	v_pk_mov_b32 v[10:11], 0, 0
	v_pk_mov_b32 v[14:15], v[10:11], v[10:11] op_sel:[0,1]
	s_and_saveexec_b64 s[8:9], s[2:3]
	s_cbranch_execz .LBB322_10
; %bb.9:                                ;   in Loop: Header=BB322_4 Depth=1
	v_mov_b32_e32 v15, s27
	v_add_co_u32_e64 v14, s[6:7], s26, v2
	v_addc_co_u32_e64 v15, s[6:7], v3, v15, s[6:7]
	global_load_dwordx2 v[14:15], v[14:15], off
.LBB322_10:                             ;   in Loop: Header=BB322_4 Depth=1
	s_or_b64 exec, exec, s[8:9]
	v_mov_b32_e32 v23, s19
	v_add_co_u32_e64 v22, s[6:7], s18, v1
	v_addc_co_u32_e64 v23, s[6:7], v16, v23, s[6:7]
	v_cmp_gt_u64_e64 s[6:7], s[16:17], v[22:23]
	s_and_saveexec_b64 s[20:21], s[6:7]
	s_cbranch_execnz .LBB322_15
; %bb.11:                               ;   in Loop: Header=BB322_4 Depth=1
	s_or_b64 exec, exec, s[20:21]
	s_and_saveexec_b64 s[8:9], vcc
	s_cbranch_execnz .LBB322_16
.LBB322_12:                             ;   in Loop: Header=BB322_4 Depth=1
	s_or_b64 exec, exec, s[8:9]
	s_and_saveexec_b64 s[8:9], s[0:1]
	s_cbranch_execnz .LBB322_17
.LBB322_13:                             ;   in Loop: Header=BB322_4 Depth=1
	s_or_b64 exec, exec, s[8:9]
	s_and_saveexec_b64 s[0:1], s[2:3]
	s_cbranch_execnz .LBB322_18
.LBB322_14:                             ;   in Loop: Header=BB322_4 Depth=1
	s_or_b64 exec, exec, s[0:1]
	s_and_saveexec_b64 s[0:1], s[6:7]
	s_cbranch_execz .LBB322_3
	s_branch .LBB322_19
.LBB322_15:                             ;   in Loop: Header=BB322_4 Depth=1
	v_mov_b32_e32 v11, s25
	v_add_co_u32_e64 v10, s[8:9], s24, v2
	v_addc_co_u32_e64 v11, s[8:9], v3, v11, s[8:9]
	global_load_dwordx2 v[10:11], v[10:11], off
	s_or_b64 exec, exec, s[20:21]
	s_and_saveexec_b64 s[8:9], vcc
	s_cbranch_execz .LBB322_12
.LBB322_16:                             ;   in Loop: Header=BB322_4 Depth=1
	s_waitcnt vmcnt(0)
	v_xor_b32_e32 v13, 0x80000000, v13
	global_store_dwordx2 v[2:3], v[12:13], off
	s_or_b64 exec, exec, s[8:9]
	s_and_saveexec_b64 s[8:9], s[0:1]
	s_cbranch_execz .LBB322_13
.LBB322_17:                             ;   in Loop: Header=BB322_4 Depth=1
	s_waitcnt vmcnt(0)
	v_xor_b32_e32 v9, 0x80000000, v9
	global_store_dwordx2 v[4:5], v[8:9], off
	s_or_b64 exec, exec, s[8:9]
	s_and_saveexec_b64 s[0:1], s[2:3]
	s_cbranch_execz .LBB322_14
.LBB322_18:                             ;   in Loop: Header=BB322_4 Depth=1
	s_waitcnt vmcnt(0)
	v_mov_b32_e32 v9, s27
	v_add_co_u32_e32 v8, vcc, s26, v2
	v_xor_b32_e32 v15, 0x80000000, v15
	v_addc_co_u32_e32 v9, vcc, v3, v9, vcc
	global_store_dwordx2 v[8:9], v[14:15], off
	s_or_b64 exec, exec, s[0:1]
	s_and_saveexec_b64 s[0:1], s[6:7]
	s_cbranch_execz .LBB322_3
.LBB322_19:                             ;   in Loop: Header=BB322_4 Depth=1
	s_waitcnt vmcnt(0)
	v_mov_b32_e32 v9, s25
	v_add_co_u32_e32 v8, vcc, s24, v2
	v_xor_b32_e32 v11, 0x80000000, v11
	v_addc_co_u32_e32 v9, vcc, v3, v9, vcc
	global_store_dwordx2 v[8:9], v[10:11], off
	s_branch .LBB322_3
.LBB322_20:
	s_cbranch_execz .LBB322_22
	s_branch .LBB322_25
.LBB322_21:
.LBB322_22:
	v_mov_b32_e32 v3, 0
	v_lshlrev_b32_e32 v2, 2, v0
	s_mov_b32 s0, 0
	v_cmp_gt_i64_e32 vcc, s[10:11], v[2:3]
	s_and_saveexec_b64 s[2:3], vcc
	s_cbranch_execz .LBB322_25
; %bb.23:
	s_load_dword s1, s[4:5], 0xd3c
	v_lshlrev_b32_e32 v1, 5, v0
	s_mov_b64 s[4:5], 0
	s_mov_b64 s[6:7], 0xffff
	v_mov_b32_e32 v5, s0
	s_waitcnt lgkmcnt(0)
	s_and_b32 s1, s1, 0xffff
	s_lshl_b32 s8, s1, 2
	s_add_u32 s2, s12, s14
	s_addc_u32 s3, s13, s15
	v_add_lshl_u32 v2, v0, s1, 2
	v_mov_b32_e32 v0, s3
	v_add_co_u32_e32 v1, vcc, s2, v1
	v_addc_co_u32_e32 v4, vcc, 0, v0, vcc
	v_add_co_u32_e32 v0, vcc, 16, v1
	v_addc_co_u32_e32 v1, vcc, 0, v4, vcc
	s_lshl_b32 s9, s1, 5
	v_mov_b32_e32 v4, s0
.LBB322_24:                             ; =>This Inner Loop Header: Depth=1
	global_load_dwordx4 v[6:9], v[0:1], off offset:-16
	global_load_dwordx4 v[10:13], v[0:1], off
	v_cmp_le_i64_e32 vcc, s[10:11], v[2:3]
	v_cmp_lt_u64_e64 s[0:1], s[6:7], v[2:3]
	s_or_b64 s[0:1], vcc, s[0:1]
	v_add_co_u32_e64 v2, s[2:3], s8, v2
	s_and_b64 s[0:1], exec, s[0:1]
	v_addc_co_u32_e64 v3, s[2:3], v3, v4, s[2:3]
	s_or_b64 s[4:5], s[0:1], s[4:5]
	s_waitcnt vmcnt(1)
	v_xor_b32_e32 v7, 0x80000000, v7
	v_xor_b32_e32 v9, 0x80000000, v9
	s_waitcnt vmcnt(0)
	v_xor_b32_e32 v11, 0x80000000, v11
	v_xor_b32_e32 v13, 0x80000000, v13
	global_store_dwordx4 v[0:1], v[6:9], off offset:-16
	global_store_dwordx4 v[0:1], v[10:13], off
	v_add_co_u32_e32 v0, vcc, s9, v0
	v_addc_co_u32_e32 v1, vcc, v1, v5, vcc
	s_andn2_b64 exec, exec, s[4:5]
	s_cbranch_execnz .LBB322_24
.LBB322_25:
	s_endpgm
	.section	.rodata,"a",@progbits
	.p2align	6, 0x0
	.amdhsa_kernel _ZN2at6native12_GLOBAL__N_125multi_tensor_apply_kernelINS1_18TensorListMetadataILi1EEENS1_14UnaryOpFunctorIdLi1ELi1ELi0EEEJSt6negateIdEEEEvT_T0_DpT1_
		.amdhsa_group_segment_fixed_size 0
		.amdhsa_private_segment_fixed_size 0
		.amdhsa_kernarg_size 3632
		.amdhsa_user_sgpr_count 6
		.amdhsa_user_sgpr_private_segment_buffer 1
		.amdhsa_user_sgpr_dispatch_ptr 0
		.amdhsa_user_sgpr_queue_ptr 0
		.amdhsa_user_sgpr_kernarg_segment_ptr 1
		.amdhsa_user_sgpr_dispatch_id 0
		.amdhsa_user_sgpr_flat_scratch_init 0
		.amdhsa_user_sgpr_kernarg_preload_length 0
		.amdhsa_user_sgpr_kernarg_preload_offset 0
		.amdhsa_user_sgpr_private_segment_size 0
		.amdhsa_uses_dynamic_stack 0
		.amdhsa_system_sgpr_private_segment_wavefront_offset 0
		.amdhsa_system_sgpr_workgroup_id_x 1
		.amdhsa_system_sgpr_workgroup_id_y 0
		.amdhsa_system_sgpr_workgroup_id_z 0
		.amdhsa_system_sgpr_workgroup_info 0
		.amdhsa_system_vgpr_workitem_id 0
		.amdhsa_next_free_vgpr 24
		.amdhsa_next_free_sgpr 28
		.amdhsa_accum_offset 24
		.amdhsa_reserve_vcc 1
		.amdhsa_reserve_flat_scratch 0
		.amdhsa_float_round_mode_32 0
		.amdhsa_float_round_mode_16_64 0
		.amdhsa_float_denorm_mode_32 3
		.amdhsa_float_denorm_mode_16_64 3
		.amdhsa_dx10_clamp 1
		.amdhsa_ieee_mode 1
		.amdhsa_fp16_overflow 0
		.amdhsa_tg_split 0
		.amdhsa_exception_fp_ieee_invalid_op 0
		.amdhsa_exception_fp_denorm_src 0
		.amdhsa_exception_fp_ieee_div_zero 0
		.amdhsa_exception_fp_ieee_overflow 0
		.amdhsa_exception_fp_ieee_underflow 0
		.amdhsa_exception_fp_ieee_inexact 0
		.amdhsa_exception_int_div_zero 0
	.end_amdhsa_kernel
	.section	.text._ZN2at6native12_GLOBAL__N_125multi_tensor_apply_kernelINS1_18TensorListMetadataILi1EEENS1_14UnaryOpFunctorIdLi1ELi1ELi0EEEJSt6negateIdEEEEvT_T0_DpT1_,"axG",@progbits,_ZN2at6native12_GLOBAL__N_125multi_tensor_apply_kernelINS1_18TensorListMetadataILi1EEENS1_14UnaryOpFunctorIdLi1ELi1ELi0EEEJSt6negateIdEEEEvT_T0_DpT1_,comdat
.Lfunc_end322:
	.size	_ZN2at6native12_GLOBAL__N_125multi_tensor_apply_kernelINS1_18TensorListMetadataILi1EEENS1_14UnaryOpFunctorIdLi1ELi1ELi0EEEJSt6negateIdEEEEvT_T0_DpT1_, .Lfunc_end322-_ZN2at6native12_GLOBAL__N_125multi_tensor_apply_kernelINS1_18TensorListMetadataILi1EEENS1_14UnaryOpFunctorIdLi1ELi1ELi0EEEJSt6negateIdEEEEvT_T0_DpT1_
                                        ; -- End function
	.section	.AMDGPU.csdata,"",@progbits
; Kernel info:
; codeLenInByte = 1100
; NumSgprs: 32
; NumVgprs: 24
; NumAgprs: 0
; TotalNumVgprs: 24
; ScratchSize: 0
; MemoryBound: 0
; FloatMode: 240
; IeeeMode: 1
; LDSByteSize: 0 bytes/workgroup (compile time only)
; SGPRBlocks: 3
; VGPRBlocks: 2
; NumSGPRsForWavesPerEU: 32
; NumVGPRsForWavesPerEU: 24
; AccumOffset: 24
; Occupancy: 8
; WaveLimiterHint : 0
; COMPUTE_PGM_RSRC2:SCRATCH_EN: 0
; COMPUTE_PGM_RSRC2:USER_SGPR: 6
; COMPUTE_PGM_RSRC2:TRAP_HANDLER: 0
; COMPUTE_PGM_RSRC2:TGID_X_EN: 1
; COMPUTE_PGM_RSRC2:TGID_Y_EN: 0
; COMPUTE_PGM_RSRC2:TGID_Z_EN: 0
; COMPUTE_PGM_RSRC2:TIDIG_COMP_CNT: 0
; COMPUTE_PGM_RSRC3_GFX90A:ACCUM_OFFSET: 5
; COMPUTE_PGM_RSRC3_GFX90A:TG_SPLIT: 0
	.section	.text._ZN2at6native12_GLOBAL__N_125multi_tensor_apply_kernelINS1_18TensorListMetadataILi1EEENS1_14UnaryOpFunctorIfLi1ELi1ELi0EEEJSt6negateIfEEEEvT_T0_DpT1_,"axG",@progbits,_ZN2at6native12_GLOBAL__N_125multi_tensor_apply_kernelINS1_18TensorListMetadataILi1EEENS1_14UnaryOpFunctorIfLi1ELi1ELi0EEEJSt6negateIfEEEEvT_T0_DpT1_,comdat
	.globl	_ZN2at6native12_GLOBAL__N_125multi_tensor_apply_kernelINS1_18TensorListMetadataILi1EEENS1_14UnaryOpFunctorIfLi1ELi1ELi0EEEJSt6negateIfEEEEvT_T0_DpT1_ ; -- Begin function _ZN2at6native12_GLOBAL__N_125multi_tensor_apply_kernelINS1_18TensorListMetadataILi1EEENS1_14UnaryOpFunctorIfLi1ELi1ELi0EEEJSt6negateIfEEEEvT_T0_DpT1_
	.p2align	8
	.type	_ZN2at6native12_GLOBAL__N_125multi_tensor_apply_kernelINS1_18TensorListMetadataILi1EEENS1_14UnaryOpFunctorIfLi1ELi1ELi0EEEJSt6negateIfEEEEvT_T0_DpT1_,@function
_ZN2at6native12_GLOBAL__N_125multi_tensor_apply_kernelINS1_18TensorListMetadataILi1EEENS1_14UnaryOpFunctorIfLi1ELi1ELi0EEEJSt6negateIfEEEEvT_T0_DpT1_: ; @_ZN2at6native12_GLOBAL__N_125multi_tensor_apply_kernelINS1_18TensorListMetadataILi1EEENS1_14UnaryOpFunctorIfLi1ELi1ELi0EEEJSt6negateIfEEEEvT_T0_DpT1_
; %bb.0:
	v_mov_b32_e32 v1, s6
	global_load_ubyte v1, v1, s[4:5] offset:1760
	s_add_u32 s0, s4, s6
	s_mul_hi_u32 s1, s6, 3
	s_mul_i32 s6, s6, 3
	s_addc_u32 s2, s5, 0
	s_add_u32 s0, s0, s6
	s_addc_u32 s1, s2, s1
	s_load_dword s0, s[0:1], 0x820
	s_mov_b32 s7, 0
	s_waitcnt vmcnt(0)
	v_readfirstlane_b32 s2, v1
	s_lshl_b32 s1, s2, 3
	s_load_dwordx2 s[2:3], s[4:5], s1 offset:0x370
	s_load_dwordx2 s[12:13], s[4:5], s1 offset:0x0
	s_waitcnt lgkmcnt(0)
	s_ashr_i32 s1, s0, 31
	s_lshl_b64 s[14:15], s[0:1], 18
	s_lshl_b64 s[0:1], s[0:1], 16
	s_and_b32 s6, s12, 15
	s_sub_u32 s10, s2, s0
	s_subb_u32 s11, s3, s1
	s_and_b32 s0, s2, 3
	s_mov_b32 s1, s7
	s_or_b64 s[0:1], s[6:7], s[0:1]
	s_cmp_eq_u64 s[0:1], 0
	s_cbranch_scc1 .LBB323_21
; %bb.1:
	v_cmp_lt_i64_e64 s[0:1], s[10:11], 1
	s_and_b64 vcc, exec, s[0:1]
	s_cbranch_vccnz .LBB323_20
; %bb.2:
	s_load_dword s0, s[4:5], 0xd3c
	v_mov_b32_e32 v2, 0x10000
	v_mov_b32_e32 v3, 0
	v_cmp_lt_u64_e32 vcc, s[10:11], v[2:3]
	v_lshlrev_b32_e32 v1, 2, v0
	s_waitcnt lgkmcnt(0)
	s_and_b32 s3, s0, 0xffff
	s_and_b64 s[0:1], vcc, exec
	s_cselect_b32 s17, s11, 0
	s_cselect_b32 s16, s10, 0x10000
	s_lshl_b32 s6, s3, 1
	s_lshl_b32 s22, s3, 2
	s_add_u32 s7, s12, s14
	s_addc_u32 s8, s13, s15
	v_mov_b32_e32 v5, s8
	v_add_co_u32_e32 v4, vcc, s7, v1
	s_mul_i32 s0, s3, 3
	v_addc_co_u32_e32 v5, vcc, 0, v5, vcc
	v_add_co_u32_e32 v1, vcc, s0, v0
	v_addc_co_u32_e64 v10, s[0:1], 0, 0, vcc
	v_add_co_u32_e32 v11, vcc, s6, v0
	v_addc_co_u32_e64 v12, s[0:1], 0, 0, vcc
	v_add_co_u32_e32 v13, vcc, s3, v0
	v_lshlrev_b32_e32 v6, 2, v13
	s_mov_b32 s2, 0
	v_addc_co_u32_e64 v14, s[0:1], 0, 0, vcc
	v_mov_b32_e32 v7, s8
	v_add_co_u32_e32 v6, vcc, s7, v6
	s_lshl_b32 s23, s3, 4
	s_mul_i32 s24, s3, 12
	s_mov_b32 s25, s2
	s_lshl_b32 s26, s3, 3
	s_mov_b32 s27, s2
	v_addc_co_u32_e32 v7, vcc, 0, v7, vcc
	s_mov_b64 s[18:19], 0
	v_pk_mov_b32 v[8:9], s[10:11], s[10:11] op_sel:[0,1]
	v_mov_b32_e32 v15, s2
	s_branch .LBB323_4
.LBB323_3:                              ;   in Loop: Header=BB323_4 Depth=1
	s_or_b64 exec, exec, s[0:1]
	s_add_u32 s18, s18, s22
	s_addc_u32 s19, s19, 0
	v_cmp_lt_i64_e32 vcc, s[18:19], v[8:9]
	v_cmp_lt_u64_e64 s[0:1], s[18:19], v[2:3]
	s_and_b64 s[0:1], vcc, s[0:1]
	v_add_co_u32_e32 v4, vcc, s23, v4
	v_addc_co_u32_e32 v5, vcc, v5, v15, vcc
	v_add_co_u32_e32 v6, vcc, s23, v6
	v_addc_co_u32_e32 v7, vcc, v7, v15, vcc
	s_and_b64 vcc, exec, s[0:1]
	s_cbranch_vccz .LBB323_20
.LBB323_4:                              ; =>This Inner Loop Header: Depth=1
	s_waitcnt vmcnt(0)
	v_mov_b32_e32 v17, s19
	v_add_co_u32_e32 v16, vcc, s18, v0
	v_addc_co_u32_e32 v17, vcc, 0, v17, vcc
	v_cmp_gt_u64_e32 vcc, s[16:17], v[16:17]
	v_mov_b32_e32 v16, 0
	s_and_saveexec_b64 s[0:1], vcc
	s_cbranch_execz .LBB323_6
; %bb.5:                                ;   in Loop: Header=BB323_4 Depth=1
	global_load_dword v16, v[4:5], off
.LBB323_6:                              ;   in Loop: Header=BB323_4 Depth=1
	s_or_b64 exec, exec, s[0:1]
	v_mov_b32_e32 v17, s19
	v_add_co_u32_e64 v18, s[0:1], s18, v13
	v_addc_co_u32_e64 v19, s[0:1], v14, v17, s[0:1]
	v_cmp_gt_u64_e64 s[0:1], s[16:17], v[18:19]
	v_mov_b32_e32 v18, 0
	s_and_saveexec_b64 s[2:3], s[0:1]
	s_cbranch_execz .LBB323_8
; %bb.7:                                ;   in Loop: Header=BB323_4 Depth=1
	global_load_dword v18, v[6:7], off
.LBB323_8:                              ;   in Loop: Header=BB323_4 Depth=1
	s_or_b64 exec, exec, s[2:3]
	v_mov_b32_e32 v17, s19
	v_add_co_u32_e64 v20, s[2:3], s18, v11
	v_addc_co_u32_e64 v21, s[2:3], v12, v17, s[2:3]
	v_cmp_gt_u64_e64 s[2:3], s[16:17], v[20:21]
	v_mov_b32_e32 v17, 0
	v_mov_b32_e32 v19, 0
	s_and_saveexec_b64 s[8:9], s[2:3]
	s_cbranch_execz .LBB323_10
; %bb.9:                                ;   in Loop: Header=BB323_4 Depth=1
	v_mov_b32_e32 v19, s27
	v_add_co_u32_e64 v20, s[6:7], s26, v4
	v_addc_co_u32_e64 v21, s[6:7], v5, v19, s[6:7]
	global_load_dword v19, v[20:21], off
.LBB323_10:                             ;   in Loop: Header=BB323_4 Depth=1
	s_or_b64 exec, exec, s[8:9]
	v_mov_b32_e32 v21, s19
	v_add_co_u32_e64 v20, s[6:7], s18, v1
	v_addc_co_u32_e64 v21, s[6:7], v10, v21, s[6:7]
	v_cmp_gt_u64_e64 s[6:7], s[16:17], v[20:21]
	s_and_saveexec_b64 s[20:21], s[6:7]
	s_cbranch_execnz .LBB323_15
; %bb.11:                               ;   in Loop: Header=BB323_4 Depth=1
	s_or_b64 exec, exec, s[20:21]
	s_and_saveexec_b64 s[8:9], vcc
	s_cbranch_execnz .LBB323_16
.LBB323_12:                             ;   in Loop: Header=BB323_4 Depth=1
	s_or_b64 exec, exec, s[8:9]
	s_and_saveexec_b64 s[8:9], s[0:1]
	s_cbranch_execnz .LBB323_17
.LBB323_13:                             ;   in Loop: Header=BB323_4 Depth=1
	s_or_b64 exec, exec, s[8:9]
	s_and_saveexec_b64 s[0:1], s[2:3]
	s_cbranch_execnz .LBB323_18
.LBB323_14:                             ;   in Loop: Header=BB323_4 Depth=1
	s_or_b64 exec, exec, s[0:1]
	s_and_saveexec_b64 s[0:1], s[6:7]
	s_cbranch_execz .LBB323_3
	s_branch .LBB323_19
.LBB323_15:                             ;   in Loop: Header=BB323_4 Depth=1
	v_mov_b32_e32 v17, s25
	v_add_co_u32_e64 v20, s[8:9], s24, v4
	v_addc_co_u32_e64 v21, s[8:9], v5, v17, s[8:9]
	global_load_dword v17, v[20:21], off
	s_or_b64 exec, exec, s[20:21]
	s_and_saveexec_b64 s[8:9], vcc
	s_cbranch_execz .LBB323_12
.LBB323_16:                             ;   in Loop: Header=BB323_4 Depth=1
	s_waitcnt vmcnt(0)
	v_xor_b32_e32 v16, 0x80000000, v16
	global_store_dword v[4:5], v16, off
	s_or_b64 exec, exec, s[8:9]
	s_and_saveexec_b64 s[8:9], s[0:1]
	s_cbranch_execz .LBB323_13
.LBB323_17:                             ;   in Loop: Header=BB323_4 Depth=1
	s_waitcnt vmcnt(0)
	v_xor_b32_e32 v16, 0x80000000, v18
	global_store_dword v[6:7], v16, off
	s_or_b64 exec, exec, s[8:9]
	s_and_saveexec_b64 s[0:1], s[2:3]
	s_cbranch_execz .LBB323_14
.LBB323_18:                             ;   in Loop: Header=BB323_4 Depth=1
	s_waitcnt vmcnt(0)
	v_xor_b32_e32 v16, 0x80000000, v19
	v_mov_b32_e32 v19, s27
	v_add_co_u32_e32 v18, vcc, s26, v4
	v_addc_co_u32_e32 v19, vcc, v5, v19, vcc
	global_store_dword v[18:19], v16, off
	s_or_b64 exec, exec, s[0:1]
	s_and_saveexec_b64 s[0:1], s[6:7]
	s_cbranch_execz .LBB323_3
.LBB323_19:                             ;   in Loop: Header=BB323_4 Depth=1
	s_waitcnt vmcnt(0)
	v_xor_b32_e32 v18, 0x80000000, v17
	v_mov_b32_e32 v17, s25
	v_add_co_u32_e32 v16, vcc, s24, v4
	v_addc_co_u32_e32 v17, vcc, v5, v17, vcc
	global_store_dword v[16:17], v18, off
	s_branch .LBB323_3
.LBB323_20:
	s_cbranch_execz .LBB323_22
	s_branch .LBB323_25
.LBB323_21:
.LBB323_22:
	v_mov_b32_e32 v3, 0
	v_lshlrev_b32_e32 v2, 2, v0
	s_mov_b32 s0, 0
	v_cmp_gt_i64_e32 vcc, s[10:11], v[2:3]
	s_and_saveexec_b64 s[2:3], vcc
	s_cbranch_execz .LBB323_25
; %bb.23:
	s_load_dword s1, s[4:5], 0xd3c
	v_lshlrev_b32_e32 v1, 4, v0
	s_mov_b64 s[4:5], 0xffff
	s_waitcnt lgkmcnt(0)
	s_and_b32 s1, s1, 0xffff
	s_add_u32 s2, s12, s14
	s_addc_u32 s3, s13, s15
	v_mov_b32_e32 v2, s3
	v_add_co_u32_e32 v1, vcc, s2, v1
	v_addc_co_u32_e32 v2, vcc, 0, v2, vcc
	v_add_co_u32_e32 v4, vcc, 8, v1
	v_addc_co_u32_e32 v5, vcc, 0, v2, vcc
	s_lshl_b32 s6, s1, 4
	v_add_lshl_u32 v2, v0, s1, 2
	s_lshl_b32 s7, s1, 2
	s_mov_b64 s[2:3], 0
	v_mov_b32_e32 v0, s0
	v_mov_b32_e32 v1, s0
.LBB323_24:                             ; =>This Inner Loop Header: Depth=1
	global_load_dwordx4 v[6:9], v[4:5], off offset:-8
	v_cmp_le_i64_e32 vcc, s[10:11], v[2:3]
	v_cmp_lt_u64_e64 s[0:1], s[4:5], v[2:3]
	s_or_b64 s[0:1], vcc, s[0:1]
	s_and_b64 s[0:1], exec, s[0:1]
	s_or_b64 s[2:3], s[0:1], s[2:3]
	s_waitcnt vmcnt(0)
	v_xor_b32_e32 v7, 0x80000000, v7
	v_xor_b32_e32 v6, 0x80000000, v6
	;; [unrolled: 1-line block ×4, first 2 shown]
	global_store_dwordx4 v[4:5], v[6:9], off offset:-8
	v_add_co_u32_e32 v4, vcc, s6, v4
	v_addc_co_u32_e32 v5, vcc, v5, v0, vcc
	v_add_co_u32_e32 v2, vcc, s7, v2
	v_addc_co_u32_e32 v3, vcc, v3, v1, vcc
	s_andn2_b64 exec, exec, s[2:3]
	s_cbranch_execnz .LBB323_24
.LBB323_25:
	s_endpgm
	.section	.rodata,"a",@progbits
	.p2align	6, 0x0
	.amdhsa_kernel _ZN2at6native12_GLOBAL__N_125multi_tensor_apply_kernelINS1_18TensorListMetadataILi1EEENS1_14UnaryOpFunctorIfLi1ELi1ELi0EEEJSt6negateIfEEEEvT_T0_DpT1_
		.amdhsa_group_segment_fixed_size 0
		.amdhsa_private_segment_fixed_size 0
		.amdhsa_kernarg_size 3632
		.amdhsa_user_sgpr_count 6
		.amdhsa_user_sgpr_private_segment_buffer 1
		.amdhsa_user_sgpr_dispatch_ptr 0
		.amdhsa_user_sgpr_queue_ptr 0
		.amdhsa_user_sgpr_kernarg_segment_ptr 1
		.amdhsa_user_sgpr_dispatch_id 0
		.amdhsa_user_sgpr_flat_scratch_init 0
		.amdhsa_user_sgpr_kernarg_preload_length 0
		.amdhsa_user_sgpr_kernarg_preload_offset 0
		.amdhsa_user_sgpr_private_segment_size 0
		.amdhsa_uses_dynamic_stack 0
		.amdhsa_system_sgpr_private_segment_wavefront_offset 0
		.amdhsa_system_sgpr_workgroup_id_x 1
		.amdhsa_system_sgpr_workgroup_id_y 0
		.amdhsa_system_sgpr_workgroup_id_z 0
		.amdhsa_system_sgpr_workgroup_info 0
		.amdhsa_system_vgpr_workitem_id 0
		.amdhsa_next_free_vgpr 22
		.amdhsa_next_free_sgpr 28
		.amdhsa_accum_offset 24
		.amdhsa_reserve_vcc 1
		.amdhsa_reserve_flat_scratch 0
		.amdhsa_float_round_mode_32 0
		.amdhsa_float_round_mode_16_64 0
		.amdhsa_float_denorm_mode_32 3
		.amdhsa_float_denorm_mode_16_64 3
		.amdhsa_dx10_clamp 1
		.amdhsa_ieee_mode 1
		.amdhsa_fp16_overflow 0
		.amdhsa_tg_split 0
		.amdhsa_exception_fp_ieee_invalid_op 0
		.amdhsa_exception_fp_denorm_src 0
		.amdhsa_exception_fp_ieee_div_zero 0
		.amdhsa_exception_fp_ieee_overflow 0
		.amdhsa_exception_fp_ieee_underflow 0
		.amdhsa_exception_fp_ieee_inexact 0
		.amdhsa_exception_int_div_zero 0
	.end_amdhsa_kernel
	.section	.text._ZN2at6native12_GLOBAL__N_125multi_tensor_apply_kernelINS1_18TensorListMetadataILi1EEENS1_14UnaryOpFunctorIfLi1ELi1ELi0EEEJSt6negateIfEEEEvT_T0_DpT1_,"axG",@progbits,_ZN2at6native12_GLOBAL__N_125multi_tensor_apply_kernelINS1_18TensorListMetadataILi1EEENS1_14UnaryOpFunctorIfLi1ELi1ELi0EEEJSt6negateIfEEEEvT_T0_DpT1_,comdat
.Lfunc_end323:
	.size	_ZN2at6native12_GLOBAL__N_125multi_tensor_apply_kernelINS1_18TensorListMetadataILi1EEENS1_14UnaryOpFunctorIfLi1ELi1ELi0EEEJSt6negateIfEEEEvT_T0_DpT1_, .Lfunc_end323-_ZN2at6native12_GLOBAL__N_125multi_tensor_apply_kernelINS1_18TensorListMetadataILi1EEENS1_14UnaryOpFunctorIfLi1ELi1ELi0EEEJSt6negateIfEEEEvT_T0_DpT1_
                                        ; -- End function
	.section	.AMDGPU.csdata,"",@progbits
; Kernel info:
; codeLenInByte = 1044
; NumSgprs: 32
; NumVgprs: 22
; NumAgprs: 0
; TotalNumVgprs: 22
; ScratchSize: 0
; MemoryBound: 0
; FloatMode: 240
; IeeeMode: 1
; LDSByteSize: 0 bytes/workgroup (compile time only)
; SGPRBlocks: 3
; VGPRBlocks: 2
; NumSGPRsForWavesPerEU: 32
; NumVGPRsForWavesPerEU: 22
; AccumOffset: 24
; Occupancy: 8
; WaveLimiterHint : 0
; COMPUTE_PGM_RSRC2:SCRATCH_EN: 0
; COMPUTE_PGM_RSRC2:USER_SGPR: 6
; COMPUTE_PGM_RSRC2:TRAP_HANDLER: 0
; COMPUTE_PGM_RSRC2:TGID_X_EN: 1
; COMPUTE_PGM_RSRC2:TGID_Y_EN: 0
; COMPUTE_PGM_RSRC2:TGID_Z_EN: 0
; COMPUTE_PGM_RSRC2:TIDIG_COMP_CNT: 0
; COMPUTE_PGM_RSRC3_GFX90A:ACCUM_OFFSET: 5
; COMPUTE_PGM_RSRC3_GFX90A:TG_SPLIT: 0
	.section	.text._ZN2at6native12_GLOBAL__N_125multi_tensor_apply_kernelINS1_18TensorListMetadataILi1EEENS1_14UnaryOpFunctorIN3c107complexIdEELi1ELi1ELi0EEEJSt6negateIS8_EEEEvT_T0_DpT1_,"axG",@progbits,_ZN2at6native12_GLOBAL__N_125multi_tensor_apply_kernelINS1_18TensorListMetadataILi1EEENS1_14UnaryOpFunctorIN3c107complexIdEELi1ELi1ELi0EEEJSt6negateIS8_EEEEvT_T0_DpT1_,comdat
	.globl	_ZN2at6native12_GLOBAL__N_125multi_tensor_apply_kernelINS1_18TensorListMetadataILi1EEENS1_14UnaryOpFunctorIN3c107complexIdEELi1ELi1ELi0EEEJSt6negateIS8_EEEEvT_T0_DpT1_ ; -- Begin function _ZN2at6native12_GLOBAL__N_125multi_tensor_apply_kernelINS1_18TensorListMetadataILi1EEENS1_14UnaryOpFunctorIN3c107complexIdEELi1ELi1ELi0EEEJSt6negateIS8_EEEEvT_T0_DpT1_
	.p2align	8
	.type	_ZN2at6native12_GLOBAL__N_125multi_tensor_apply_kernelINS1_18TensorListMetadataILi1EEENS1_14UnaryOpFunctorIN3c107complexIdEELi1ELi1ELi0EEEJSt6negateIS8_EEEEvT_T0_DpT1_,@function
_ZN2at6native12_GLOBAL__N_125multi_tensor_apply_kernelINS1_18TensorListMetadataILi1EEENS1_14UnaryOpFunctorIN3c107complexIdEELi1ELi1ELi0EEEJSt6negateIS8_EEEEvT_T0_DpT1_: ; @_ZN2at6native12_GLOBAL__N_125multi_tensor_apply_kernelINS1_18TensorListMetadataILi1EEENS1_14UnaryOpFunctorIN3c107complexIdEELi1ELi1ELi0EEEJSt6negateIS8_EEEEvT_T0_DpT1_
; %bb.0:
	v_mov_b32_e32 v1, s6
	global_load_ubyte v1, v1, s[4:5] offset:1760
	s_add_u32 s0, s4, s6
	s_mul_hi_u32 s1, s6, 3
	s_mul_i32 s6, s6, 3
	s_addc_u32 s2, s5, 0
	s_add_u32 s0, s0, s6
	s_addc_u32 s1, s2, s1
	s_load_dword s0, s[0:1], 0x820
	s_mov_b32 s7, 0
	s_waitcnt vmcnt(0)
	v_readfirstlane_b32 s1, v1
	s_lshl_b32 s1, s1, 3
	s_load_dwordx2 s[12:13], s[4:5], s1 offset:0x0
	s_load_dwordx2 s[2:3], s[4:5], s1 offset:0x370
	s_waitcnt lgkmcnt(0)
	s_ashr_i32 s1, s0, 31
	s_lshl_b64 s[14:15], s[0:1], 20
	s_add_u32 s22, s12, s14
	s_addc_u32 s23, s13, s15
	s_lshl_b64 s[0:1], s[0:1], 16
	s_and_b32 s6, s22, 63
	s_sub_u32 s10, s2, s0
	s_subb_u32 s11, s3, s1
	s_and_b32 s0, s2, 3
	s_mov_b32 s1, s7
	s_or_b64 s[0:1], s[6:7], s[0:1]
	s_cmp_eq_u64 s[0:1], 0
	s_cbranch_scc1 .LBB324_21
; %bb.1:
	v_cmp_lt_i64_e64 s[0:1], s[10:11], 1
	s_and_b64 vcc, exec, s[0:1]
	s_cbranch_vccnz .LBB324_20
; %bb.2:
	s_load_dword s0, s[4:5], 0xd3c
	v_mov_b32_e32 v2, 0x10000
	v_mov_b32_e32 v3, 0
	v_cmp_lt_u64_e32 vcc, s[10:11], v[2:3]
	v_mov_b32_e32 v19, 0
	s_waitcnt lgkmcnt(0)
	s_and_b32 s2, s0, 0xffff
	s_and_b64 s[0:1], vcc, exec
	s_mul_i32 s6, s2, 3
	v_lshlrev_b32_e32 v18, 4, v0
	v_add_co_u32_e32 v23, vcc, s2, v0
	v_addc_co_u32_e64 v25, s[0:1], 0, 0, vcc
	v_mad_u64_u32 v[20:21], s[0:1], s2, 48, v[18:19]
	v_add_co_u32_e32 v19, vcc, s6, v0
	v_addc_co_u32_e64 v26, s[0:1], 0, 0, vcc
	s_cselect_b32 s17, s11, 0
	s_cselect_b32 s16, s10, 0x10000
	s_lshl_b32 s0, s2, 5
	s_lshl_b32 s3, s2, 1
	v_add_co_u32_e32 v2, vcc, s0, v18
	v_addc_co_u32_e64 v1, s[0:1], 0, 0, vcc
	v_add_co_u32_e32 v27, vcc, s3, v0
	s_lshl_b32 s24, s2, 2
	s_lshl_b32 s25, s2, 6
	v_or_b32_e32 v20, 8, v20
	v_lshlrev_b32_e32 v22, 4, v23
	v_or_b32_e32 v24, 8, v2
	v_addc_co_u32_e64 v28, s[0:1], 0, 0, vcc
	s_mov_b64 s[18:19], 0
	s_branch .LBB324_4
.LBB324_3:                              ;   in Loop: Header=BB324_4 Depth=1
	s_or_b64 exec, exec, s[0:1]
	s_add_u32 s18, s18, s24
	s_addc_u32 s19, s19, 0
	s_waitcnt vmcnt(0)
	v_pk_mov_b32 v[2:3], s[10:11], s[10:11] op_sel:[0,1]
	v_cmp_lt_i64_e32 vcc, s[18:19], v[2:3]
	v_mov_b32_e32 v2, 0x10000
	v_mov_b32_e32 v3, 0
	v_cmp_lt_u64_e64 s[0:1], s[18:19], v[2:3]
	s_and_b64 s[0:1], vcc, s[0:1]
	s_add_u32 s22, s22, s25
	s_addc_u32 s23, s23, 0
	s_and_b64 vcc, exec, s[0:1]
	s_cbranch_vccz .LBB324_20
.LBB324_4:                              ; =>This Inner Loop Header: Depth=1
	v_mov_b32_e32 v3, s19
	v_add_co_u32_e32 v2, vcc, s18, v0
	v_addc_co_u32_e32 v3, vcc, 0, v3, vcc
	v_pk_mov_b32 v[4:5], 0, 0
	v_cmp_gt_u64_e32 vcc, s[16:17], v[2:3]
	v_pk_mov_b32 v[8:9], v[4:5], v[4:5] op_sel:[0,1]
	v_pk_mov_b32 v[6:7], v[4:5], v[4:5] op_sel:[0,1]
	s_and_saveexec_b64 s[2:3], vcc
	s_cbranch_execz .LBB324_6
; %bb.5:                                ;   in Loop: Header=BB324_4 Depth=1
	v_mov_b32_e32 v3, s23
	v_add_co_u32_e64 v2, s[0:1], s22, v18
	v_addc_co_u32_e64 v3, s[0:1], 0, v3, s[0:1]
	global_load_dwordx4 v[6:9], v[2:3], off
.LBB324_6:                              ;   in Loop: Header=BB324_4 Depth=1
	s_or_b64 exec, exec, s[2:3]
	v_mov_b32_e32 v3, s19
	v_add_co_u32_e64 v2, s[0:1], s18, v23
	v_addc_co_u32_e64 v3, s[0:1], v25, v3, s[0:1]
	v_cmp_gt_u64_e64 s[0:1], s[16:17], v[2:3]
	v_pk_mov_b32 v[2:3], v[4:5], v[4:5] op_sel:[0,1]
	s_and_saveexec_b64 s[6:7], s[0:1]
	s_cbranch_execz .LBB324_8
; %bb.7:                                ;   in Loop: Header=BB324_4 Depth=1
	v_mov_b32_e32 v3, s23
	v_add_co_u32_e64 v2, s[2:3], s22, v22
	v_addc_co_u32_e64 v3, s[2:3], 0, v3, s[2:3]
	global_load_dwordx4 v[2:5], v[2:3], off
.LBB324_8:                              ;   in Loop: Header=BB324_4 Depth=1
	s_or_b64 exec, exec, s[6:7]
	v_mov_b32_e32 v11, s19
	v_add_co_u32_e64 v10, s[2:3], s18, v27
	v_addc_co_u32_e64 v11, s[2:3], v28, v11, s[2:3]
	v_pk_mov_b32 v[12:13], 0, 0
	v_cmp_gt_u64_e64 s[2:3], s[16:17], v[10:11]
	v_pk_mov_b32 v[16:17], v[12:13], v[12:13] op_sel:[0,1]
	v_pk_mov_b32 v[14:15], v[12:13], v[12:13] op_sel:[0,1]
	s_and_saveexec_b64 s[8:9], s[2:3]
	s_cbranch_execz .LBB324_10
; %bb.9:                                ;   in Loop: Header=BB324_4 Depth=1
	v_mov_b32_e32 v11, s23
	v_add_co_u32_e64 v10, s[6:7], s22, v24
	v_addc_co_u32_e64 v11, s[6:7], v11, v1, s[6:7]
	global_load_dwordx4 v[14:17], v[10:11], off offset:-8
.LBB324_10:                             ;   in Loop: Header=BB324_4 Depth=1
	s_or_b64 exec, exec, s[8:9]
	v_mov_b32_e32 v11, s19
	v_add_co_u32_e64 v10, s[6:7], s18, v19
	v_addc_co_u32_e64 v11, s[6:7], v26, v11, s[6:7]
	v_cmp_gt_u64_e64 s[6:7], s[16:17], v[10:11]
	v_pk_mov_b32 v[10:11], v[12:13], v[12:13] op_sel:[0,1]
	s_and_saveexec_b64 s[20:21], s[6:7]
	s_cbranch_execnz .LBB324_15
; %bb.11:                               ;   in Loop: Header=BB324_4 Depth=1
	s_or_b64 exec, exec, s[20:21]
	s_and_saveexec_b64 s[8:9], vcc
	s_cbranch_execnz .LBB324_16
.LBB324_12:                             ;   in Loop: Header=BB324_4 Depth=1
	s_or_b64 exec, exec, s[8:9]
	s_and_saveexec_b64 s[8:9], s[0:1]
	s_cbranch_execnz .LBB324_17
.LBB324_13:                             ;   in Loop: Header=BB324_4 Depth=1
	s_or_b64 exec, exec, s[8:9]
	s_and_saveexec_b64 s[0:1], s[2:3]
	s_cbranch_execnz .LBB324_18
.LBB324_14:                             ;   in Loop: Header=BB324_4 Depth=1
	s_or_b64 exec, exec, s[0:1]
	s_and_saveexec_b64 s[0:1], s[6:7]
	s_cbranch_execz .LBB324_3
	s_branch .LBB324_19
.LBB324_15:                             ;   in Loop: Header=BB324_4 Depth=1
	v_mov_b32_e32 v11, s23
	v_add_co_u32_e64 v10, s[8:9], s22, v20
	v_addc_co_u32_e64 v11, s[8:9], v11, v21, s[8:9]
	global_load_dwordx4 v[10:13], v[10:11], off offset:-8
	s_or_b64 exec, exec, s[20:21]
	s_and_saveexec_b64 s[8:9], vcc
	s_cbranch_execz .LBB324_12
.LBB324_16:                             ;   in Loop: Header=BB324_4 Depth=1
	v_mov_b32_e32 v29, s23
	v_add_co_u32_e32 v30, vcc, s22, v18
	v_addc_co_u32_e32 v31, vcc, 0, v29, vcc
	s_waitcnt vmcnt(0)
	v_xor_b32_e32 v7, 0x80000000, v7
	v_xor_b32_e32 v9, 0x80000000, v9
	global_store_dwordx4 v[30:31], v[6:9], off
	s_or_b64 exec, exec, s[8:9]
	s_and_saveexec_b64 s[8:9], s[0:1]
	s_cbranch_execz .LBB324_13
.LBB324_17:                             ;   in Loop: Header=BB324_4 Depth=1
	s_waitcnt vmcnt(0)
	v_mov_b32_e32 v7, s23
	v_add_co_u32_e32 v6, vcc, s22, v22
	v_xor_b32_e32 v3, 0x80000000, v3
	v_xor_b32_e32 v5, 0x80000000, v5
	v_addc_co_u32_e32 v7, vcc, 0, v7, vcc
	global_store_dwordx4 v[6:7], v[2:5], off
	s_or_b64 exec, exec, s[8:9]
	s_and_saveexec_b64 s[0:1], s[2:3]
	s_cbranch_execz .LBB324_14
.LBB324_18:                             ;   in Loop: Header=BB324_4 Depth=1
	s_waitcnt vmcnt(0)
	v_mov_b32_e32 v3, s23
	v_add_co_u32_e32 v2, vcc, s22, v24
	v_xor_b32_e32 v15, 0x80000000, v15
	v_xor_b32_e32 v17, 0x80000000, v17
	v_addc_co_u32_e32 v3, vcc, v3, v1, vcc
	global_store_dwordx4 v[2:3], v[14:17], off offset:-8
	s_or_b64 exec, exec, s[0:1]
	s_and_saveexec_b64 s[0:1], s[6:7]
	s_cbranch_execz .LBB324_3
.LBB324_19:                             ;   in Loop: Header=BB324_4 Depth=1
	s_waitcnt vmcnt(0)
	v_mov_b32_e32 v3, s23
	v_add_co_u32_e32 v2, vcc, s22, v20
	v_xor_b32_e32 v11, 0x80000000, v11
	v_xor_b32_e32 v13, 0x80000000, v13
	v_addc_co_u32_e32 v3, vcc, v3, v21, vcc
	global_store_dwordx4 v[2:3], v[10:13], off offset:-8
	s_branch .LBB324_3
.LBB324_20:
	s_cbranch_execz .LBB324_22
	s_branch .LBB324_25
.LBB324_21:
.LBB324_22:
	v_mov_b32_e32 v3, 0
	v_lshlrev_b32_e32 v2, 2, v0
	s_mov_b32 s0, 0
	v_cmp_gt_i64_e32 vcc, s[10:11], v[2:3]
	s_and_saveexec_b64 s[2:3], vcc
	s_cbranch_execz .LBB324_25
; %bb.23:
	s_load_dword s1, s[4:5], 0xd3c
	v_lshlrev_b32_e32 v1, 6, v0
	s_mov_b64 s[4:5], 0
	s_mov_b64 s[6:7], 0xffff
	v_mov_b32_e32 v5, s0
	s_waitcnt lgkmcnt(0)
	s_and_b32 s1, s1, 0xffff
	s_lshl_b32 s8, s1, 2
	s_add_u32 s2, s12, s14
	s_addc_u32 s3, s13, s15
	v_add_lshl_u32 v2, v0, s1, 2
	v_mov_b32_e32 v4, s3
	v_add_co_u32_e32 v0, vcc, s2, v1
	v_addc_co_u32_e32 v1, vcc, 0, v4, vcc
	s_lshl_b32 s9, s1, 6
	v_mov_b32_e32 v4, s0
.LBB324_24:                             ; =>This Inner Loop Header: Depth=1
	global_load_dwordx4 v[6:9], v[0:1], off
	global_load_dwordx4 v[10:13], v[0:1], off offset:16
	global_load_dwordx4 v[14:17], v[0:1], off offset:32
	;; [unrolled: 1-line block ×3, first 2 shown]
	v_cmp_le_i64_e32 vcc, s[10:11], v[2:3]
	v_cmp_lt_u64_e64 s[0:1], s[6:7], v[2:3]
	s_or_b64 s[0:1], vcc, s[0:1]
	v_add_co_u32_e64 v2, s[2:3], s8, v2
	s_and_b64 s[0:1], exec, s[0:1]
	v_addc_co_u32_e64 v3, s[2:3], v3, v4, s[2:3]
	s_or_b64 s[4:5], s[0:1], s[4:5]
	s_waitcnt vmcnt(3)
	v_xor_b32_e32 v7, 0x80000000, v7
	v_xor_b32_e32 v9, 0x80000000, v9
	s_waitcnt vmcnt(2)
	v_xor_b32_e32 v11, 0x80000000, v11
	v_xor_b32_e32 v13, 0x80000000, v13
	;; [unrolled: 3-line block ×4, first 2 shown]
	global_store_dwordx4 v[0:1], v[6:9], off
	global_store_dwordx4 v[0:1], v[10:13], off offset:16
	global_store_dwordx4 v[0:1], v[14:17], off offset:32
	;; [unrolled: 1-line block ×3, first 2 shown]
	v_add_co_u32_e32 v0, vcc, s9, v0
	v_addc_co_u32_e32 v1, vcc, v1, v5, vcc
	s_andn2_b64 exec, exec, s[4:5]
	s_cbranch_execnz .LBB324_24
.LBB324_25:
	s_endpgm
	.section	.rodata,"a",@progbits
	.p2align	6, 0x0
	.amdhsa_kernel _ZN2at6native12_GLOBAL__N_125multi_tensor_apply_kernelINS1_18TensorListMetadataILi1EEENS1_14UnaryOpFunctorIN3c107complexIdEELi1ELi1ELi0EEEJSt6negateIS8_EEEEvT_T0_DpT1_
		.amdhsa_group_segment_fixed_size 0
		.amdhsa_private_segment_fixed_size 0
		.amdhsa_kernarg_size 3632
		.amdhsa_user_sgpr_count 6
		.amdhsa_user_sgpr_private_segment_buffer 1
		.amdhsa_user_sgpr_dispatch_ptr 0
		.amdhsa_user_sgpr_queue_ptr 0
		.amdhsa_user_sgpr_kernarg_segment_ptr 1
		.amdhsa_user_sgpr_dispatch_id 0
		.amdhsa_user_sgpr_flat_scratch_init 0
		.amdhsa_user_sgpr_kernarg_preload_length 0
		.amdhsa_user_sgpr_kernarg_preload_offset 0
		.amdhsa_user_sgpr_private_segment_size 0
		.amdhsa_uses_dynamic_stack 0
		.amdhsa_system_sgpr_private_segment_wavefront_offset 0
		.amdhsa_system_sgpr_workgroup_id_x 1
		.amdhsa_system_sgpr_workgroup_id_y 0
		.amdhsa_system_sgpr_workgroup_id_z 0
		.amdhsa_system_sgpr_workgroup_info 0
		.amdhsa_system_vgpr_workitem_id 0
		.amdhsa_next_free_vgpr 32
		.amdhsa_next_free_sgpr 26
		.amdhsa_accum_offset 32
		.amdhsa_reserve_vcc 1
		.amdhsa_reserve_flat_scratch 0
		.amdhsa_float_round_mode_32 0
		.amdhsa_float_round_mode_16_64 0
		.amdhsa_float_denorm_mode_32 3
		.amdhsa_float_denorm_mode_16_64 3
		.amdhsa_dx10_clamp 1
		.amdhsa_ieee_mode 1
		.amdhsa_fp16_overflow 0
		.amdhsa_tg_split 0
		.amdhsa_exception_fp_ieee_invalid_op 0
		.amdhsa_exception_fp_denorm_src 0
		.amdhsa_exception_fp_ieee_div_zero 0
		.amdhsa_exception_fp_ieee_overflow 0
		.amdhsa_exception_fp_ieee_underflow 0
		.amdhsa_exception_fp_ieee_inexact 0
		.amdhsa_exception_int_div_zero 0
	.end_amdhsa_kernel
	.section	.text._ZN2at6native12_GLOBAL__N_125multi_tensor_apply_kernelINS1_18TensorListMetadataILi1EEENS1_14UnaryOpFunctorIN3c107complexIdEELi1ELi1ELi0EEEJSt6negateIS8_EEEEvT_T0_DpT1_,"axG",@progbits,_ZN2at6native12_GLOBAL__N_125multi_tensor_apply_kernelINS1_18TensorListMetadataILi1EEENS1_14UnaryOpFunctorIN3c107complexIdEELi1ELi1ELi0EEEJSt6negateIS8_EEEEvT_T0_DpT1_,comdat
.Lfunc_end324:
	.size	_ZN2at6native12_GLOBAL__N_125multi_tensor_apply_kernelINS1_18TensorListMetadataILi1EEENS1_14UnaryOpFunctorIN3c107complexIdEELi1ELi1ELi0EEEJSt6negateIS8_EEEEvT_T0_DpT1_, .Lfunc_end324-_ZN2at6native12_GLOBAL__N_125multi_tensor_apply_kernelINS1_18TensorListMetadataILi1EEENS1_14UnaryOpFunctorIN3c107complexIdEELi1ELi1ELi0EEEJSt6negateIS8_EEEEvT_T0_DpT1_
                                        ; -- End function
	.section	.AMDGPU.csdata,"",@progbits
; Kernel info:
; codeLenInByte = 1272
; NumSgprs: 30
; NumVgprs: 32
; NumAgprs: 0
; TotalNumVgprs: 32
; ScratchSize: 0
; MemoryBound: 1
; FloatMode: 240
; IeeeMode: 1
; LDSByteSize: 0 bytes/workgroup (compile time only)
; SGPRBlocks: 3
; VGPRBlocks: 3
; NumSGPRsForWavesPerEU: 30
; NumVGPRsForWavesPerEU: 32
; AccumOffset: 32
; Occupancy: 8
; WaveLimiterHint : 0
; COMPUTE_PGM_RSRC2:SCRATCH_EN: 0
; COMPUTE_PGM_RSRC2:USER_SGPR: 6
; COMPUTE_PGM_RSRC2:TRAP_HANDLER: 0
; COMPUTE_PGM_RSRC2:TGID_X_EN: 1
; COMPUTE_PGM_RSRC2:TGID_Y_EN: 0
; COMPUTE_PGM_RSRC2:TGID_Z_EN: 0
; COMPUTE_PGM_RSRC2:TIDIG_COMP_CNT: 0
; COMPUTE_PGM_RSRC3_GFX90A:ACCUM_OFFSET: 7
; COMPUTE_PGM_RSRC3_GFX90A:TG_SPLIT: 0
	.section	.text._ZN2at6native12_GLOBAL__N_125multi_tensor_apply_kernelINS1_18TensorListMetadataILi1EEENS1_14UnaryOpFunctorIN3c107complexIfEELi1ELi1ELi0EEEJSt6negateIS8_EEEEvT_T0_DpT1_,"axG",@progbits,_ZN2at6native12_GLOBAL__N_125multi_tensor_apply_kernelINS1_18TensorListMetadataILi1EEENS1_14UnaryOpFunctorIN3c107complexIfEELi1ELi1ELi0EEEJSt6negateIS8_EEEEvT_T0_DpT1_,comdat
	.globl	_ZN2at6native12_GLOBAL__N_125multi_tensor_apply_kernelINS1_18TensorListMetadataILi1EEENS1_14UnaryOpFunctorIN3c107complexIfEELi1ELi1ELi0EEEJSt6negateIS8_EEEEvT_T0_DpT1_ ; -- Begin function _ZN2at6native12_GLOBAL__N_125multi_tensor_apply_kernelINS1_18TensorListMetadataILi1EEENS1_14UnaryOpFunctorIN3c107complexIfEELi1ELi1ELi0EEEJSt6negateIS8_EEEEvT_T0_DpT1_
	.p2align	8
	.type	_ZN2at6native12_GLOBAL__N_125multi_tensor_apply_kernelINS1_18TensorListMetadataILi1EEENS1_14UnaryOpFunctorIN3c107complexIfEELi1ELi1ELi0EEEJSt6negateIS8_EEEEvT_T0_DpT1_,@function
_ZN2at6native12_GLOBAL__N_125multi_tensor_apply_kernelINS1_18TensorListMetadataILi1EEENS1_14UnaryOpFunctorIN3c107complexIfEELi1ELi1ELi0EEEJSt6negateIS8_EEEEvT_T0_DpT1_: ; @_ZN2at6native12_GLOBAL__N_125multi_tensor_apply_kernelINS1_18TensorListMetadataILi1EEENS1_14UnaryOpFunctorIN3c107complexIfEELi1ELi1ELi0EEEJSt6negateIS8_EEEEvT_T0_DpT1_
; %bb.0:
	v_mov_b32_e32 v1, s6
	global_load_ubyte v1, v1, s[4:5] offset:1760
	s_add_u32 s0, s4, s6
	s_mul_hi_u32 s1, s6, 3
	s_mul_i32 s6, s6, 3
	s_addc_u32 s2, s5, 0
	s_add_u32 s0, s0, s6
	s_addc_u32 s1, s2, s1
	s_load_dword s0, s[0:1], 0x820
	s_mov_b32 s7, 0
	s_waitcnt vmcnt(0)
	v_readfirstlane_b32 s2, v1
	s_lshl_b32 s1, s2, 3
	s_load_dwordx2 s[2:3], s[4:5], s1 offset:0x370
	s_load_dwordx2 s[12:13], s[4:5], s1 offset:0x0
	s_waitcnt lgkmcnt(0)
	s_ashr_i32 s1, s0, 31
	s_lshl_b64 s[14:15], s[0:1], 19
	s_lshl_b64 s[0:1], s[0:1], 16
	s_and_b32 s6, s12, 31
	s_sub_u32 s10, s2, s0
	s_subb_u32 s11, s3, s1
	s_and_b32 s0, s2, 3
	s_mov_b32 s1, s7
	s_or_b64 s[0:1], s[6:7], s[0:1]
	s_cmp_eq_u64 s[0:1], 0
	s_cbranch_scc1 .LBB325_21
; %bb.1:
	v_cmp_lt_i64_e64 s[0:1], s[10:11], 1
	s_and_b64 vcc, exec, s[0:1]
	s_cbranch_vccnz .LBB325_20
; %bb.2:
	s_load_dword s0, s[4:5], 0xd3c
	v_mov_b32_e32 v2, 0x10000
	v_mov_b32_e32 v3, 0
	v_cmp_lt_u64_e32 vcc, s[10:11], v[2:3]
	v_lshlrev_b32_e32 v1, 3, v0
	s_waitcnt lgkmcnt(0)
	s_and_b32 s3, s0, 0xffff
	s_and_b64 s[0:1], vcc, exec
	s_cselect_b32 s17, s11, 0
	s_cselect_b32 s16, s10, 0x10000
	s_lshl_b32 s6, s3, 1
	s_lshl_b32 s22, s3, 2
	s_add_u32 s7, s12, s14
	s_addc_u32 s8, s13, s15
	v_mov_b32_e32 v3, s8
	v_add_co_u32_e32 v2, vcc, s7, v1
	s_mul_i32 s0, s3, 3
	v_addc_co_u32_e32 v3, vcc, 0, v3, vcc
	v_add_co_u32_e32 v1, vcc, s0, v0
	v_addc_co_u32_e64 v16, s[0:1], 0, 0, vcc
	v_add_co_u32_e32 v17, vcc, s6, v0
	v_addc_co_u32_e64 v18, s[0:1], 0, 0, vcc
	v_add_co_u32_e32 v19, vcc, s3, v0
	v_lshlrev_b32_e32 v4, 3, v19
	s_mov_b32 s2, 0
	v_addc_co_u32_e64 v20, s[0:1], 0, 0, vcc
	v_mov_b32_e32 v5, s8
	v_add_co_u32_e32 v4, vcc, s7, v4
	s_lshl_b32 s23, s3, 5
	s_mul_i32 s24, s3, 24
	s_mov_b32 s25, s2
	s_lshl_b32 s26, s3, 4
	s_mov_b32 s27, s2
	v_addc_co_u32_e32 v5, vcc, 0, v5, vcc
	s_mov_b64 s[18:19], 0
	v_pk_mov_b32 v[6:7], s[10:11], s[10:11] op_sel:[0,1]
	v_mov_b32_e32 v21, s2
	s_branch .LBB325_4
.LBB325_3:                              ;   in Loop: Header=BB325_4 Depth=1
	s_or_b64 exec, exec, s[0:1]
	s_add_u32 s18, s18, s22
	s_waitcnt vmcnt(0)
	v_mov_b32_e32 v8, 0x10000
	s_addc_u32 s19, s19, 0
	v_mov_b32_e32 v9, 0
	v_cmp_lt_i64_e32 vcc, s[18:19], v[6:7]
	v_cmp_lt_u64_e64 s[0:1], s[18:19], v[8:9]
	s_and_b64 s[0:1], vcc, s[0:1]
	v_add_co_u32_e32 v2, vcc, s23, v2
	v_addc_co_u32_e32 v3, vcc, v3, v21, vcc
	v_add_co_u32_e32 v4, vcc, s23, v4
	v_addc_co_u32_e32 v5, vcc, v5, v21, vcc
	s_and_b64 vcc, exec, s[0:1]
	s_cbranch_vccz .LBB325_20
.LBB325_4:                              ; =>This Inner Loop Header: Depth=1
	v_mov_b32_e32 v9, s19
	v_add_co_u32_e32 v8, vcc, s18, v0
	v_addc_co_u32_e32 v9, vcc, 0, v9, vcc
	v_cmp_gt_u64_e32 vcc, s[16:17], v[8:9]
	v_mov_b32_e32 v8, 0
	v_mov_b32_e32 v9, 0
	s_and_saveexec_b64 s[0:1], vcc
	s_cbranch_execz .LBB325_6
; %bb.5:                                ;   in Loop: Header=BB325_4 Depth=1
	global_load_dwordx2 v[8:9], v[2:3], off
.LBB325_6:                              ;   in Loop: Header=BB325_4 Depth=1
	s_or_b64 exec, exec, s[0:1]
	v_mov_b32_e32 v11, s19
	v_add_co_u32_e64 v10, s[0:1], s18, v19
	v_addc_co_u32_e64 v11, s[0:1], v20, v11, s[0:1]
	v_cmp_gt_u64_e64 s[0:1], s[16:17], v[10:11]
	v_mov_b32_e32 v10, 0
	v_mov_b32_e32 v12, 0
	;; [unrolled: 1-line block ×3, first 2 shown]
	s_and_saveexec_b64 s[2:3], s[0:1]
	s_cbranch_execz .LBB325_8
; %bb.7:                                ;   in Loop: Header=BB325_4 Depth=1
	global_load_dwordx2 v[12:13], v[4:5], off
.LBB325_8:                              ;   in Loop: Header=BB325_4 Depth=1
	s_or_b64 exec, exec, s[2:3]
	v_mov_b32_e32 v11, s19
	v_add_co_u32_e64 v14, s[2:3], s18, v17
	v_addc_co_u32_e64 v15, s[2:3], v18, v11, s[2:3]
	v_cmp_gt_u64_e64 s[2:3], s[16:17], v[14:15]
	v_mov_b32_e32 v11, 0
	s_and_saveexec_b64 s[8:9], s[2:3]
	s_cbranch_execz .LBB325_10
; %bb.9:                                ;   in Loop: Header=BB325_4 Depth=1
	v_mov_b32_e32 v11, s27
	v_add_co_u32_e64 v10, s[6:7], s26, v2
	v_addc_co_u32_e64 v11, s[6:7], v3, v11, s[6:7]
	global_load_dwordx2 v[10:11], v[10:11], off
.LBB325_10:                             ;   in Loop: Header=BB325_4 Depth=1
	s_or_b64 exec, exec, s[8:9]
	v_mov_b32_e32 v15, s19
	v_add_co_u32_e64 v14, s[6:7], s18, v1
	v_addc_co_u32_e64 v15, s[6:7], v16, v15, s[6:7]
	v_cmp_gt_u64_e64 s[6:7], s[16:17], v[14:15]
	v_mov_b32_e32 v14, 0
	v_mov_b32_e32 v15, 0
	s_and_saveexec_b64 s[20:21], s[6:7]
	s_cbranch_execnz .LBB325_15
; %bb.11:                               ;   in Loop: Header=BB325_4 Depth=1
	s_or_b64 exec, exec, s[20:21]
	s_and_saveexec_b64 s[8:9], vcc
	s_cbranch_execnz .LBB325_16
.LBB325_12:                             ;   in Loop: Header=BB325_4 Depth=1
	s_or_b64 exec, exec, s[8:9]
	s_and_saveexec_b64 s[8:9], s[0:1]
	s_cbranch_execnz .LBB325_17
.LBB325_13:                             ;   in Loop: Header=BB325_4 Depth=1
	s_or_b64 exec, exec, s[8:9]
	s_and_saveexec_b64 s[0:1], s[2:3]
	s_cbranch_execnz .LBB325_18
.LBB325_14:                             ;   in Loop: Header=BB325_4 Depth=1
	s_or_b64 exec, exec, s[0:1]
	s_and_saveexec_b64 s[0:1], s[6:7]
	s_cbranch_execz .LBB325_3
	s_branch .LBB325_19
.LBB325_15:                             ;   in Loop: Header=BB325_4 Depth=1
	v_mov_b32_e32 v15, s25
	v_add_co_u32_e64 v14, s[8:9], s24, v2
	v_addc_co_u32_e64 v15, s[8:9], v3, v15, s[8:9]
	global_load_dwordx2 v[14:15], v[14:15], off
	s_or_b64 exec, exec, s[20:21]
	s_and_saveexec_b64 s[8:9], vcc
	s_cbranch_execz .LBB325_12
.LBB325_16:                             ;   in Loop: Header=BB325_4 Depth=1
	s_waitcnt vmcnt(0)
	v_pk_add_f32 v[8:9], v[8:9], 0 neg_lo:[1,1] neg_hi:[1,1]
	global_store_dwordx2 v[2:3], v[8:9], off
	s_or_b64 exec, exec, s[8:9]
	s_and_saveexec_b64 s[8:9], s[0:1]
	s_cbranch_execz .LBB325_13
.LBB325_17:                             ;   in Loop: Header=BB325_4 Depth=1
	s_waitcnt vmcnt(0)
	v_pk_add_f32 v[8:9], v[12:13], 0 neg_lo:[1,1] neg_hi:[1,1]
	global_store_dwordx2 v[4:5], v[8:9], off
	s_or_b64 exec, exec, s[8:9]
	s_and_saveexec_b64 s[0:1], s[2:3]
	s_cbranch_execz .LBB325_14
.LBB325_18:                             ;   in Loop: Header=BB325_4 Depth=1
	s_waitcnt vmcnt(0)
	v_pk_add_f32 v[8:9], v[10:11], 0 neg_lo:[1,1] neg_hi:[1,1]
	v_mov_b32_e32 v11, s27
	v_add_co_u32_e32 v10, vcc, s26, v2
	v_addc_co_u32_e32 v11, vcc, v3, v11, vcc
	global_store_dwordx2 v[10:11], v[8:9], off
	s_or_b64 exec, exec, s[0:1]
	s_and_saveexec_b64 s[0:1], s[6:7]
	s_cbranch_execz .LBB325_3
.LBB325_19:                             ;   in Loop: Header=BB325_4 Depth=1
	s_waitcnt vmcnt(0)
	v_mov_b32_e32 v11, s25
	v_add_co_u32_e32 v10, vcc, s24, v2
	v_pk_add_f32 v[8:9], v[14:15], 0 neg_lo:[1,1] neg_hi:[1,1]
	v_addc_co_u32_e32 v11, vcc, v3, v11, vcc
	global_store_dwordx2 v[10:11], v[8:9], off
	s_branch .LBB325_3
.LBB325_20:
	s_cbranch_execz .LBB325_22
	s_branch .LBB325_25
.LBB325_21:
.LBB325_22:
	v_mov_b32_e32 v3, 0
	v_lshlrev_b32_e32 v2, 2, v0
	s_mov_b32 s0, 0
	v_cmp_gt_i64_e32 vcc, s[10:11], v[2:3]
	s_and_saveexec_b64 s[2:3], vcc
	s_cbranch_execz .LBB325_25
; %bb.23:
	s_load_dword s1, s[4:5], 0xd3c
	v_lshlrev_b32_e32 v1, 5, v0
	s_mov_b64 s[4:5], 0
	s_mov_b64 s[6:7], 0xffff
	v_mov_b32_e32 v5, s0
	s_waitcnt lgkmcnt(0)
	s_and_b32 s1, s1, 0xffff
	s_lshl_b32 s8, s1, 2
	s_add_u32 s2, s12, s14
	s_addc_u32 s3, s13, s15
	v_add_lshl_u32 v2, v0, s1, 2
	v_mov_b32_e32 v0, s3
	v_add_co_u32_e32 v1, vcc, s2, v1
	v_addc_co_u32_e32 v4, vcc, 0, v0, vcc
	v_add_co_u32_e32 v0, vcc, 16, v1
	v_addc_co_u32_e32 v1, vcc, 0, v4, vcc
	s_lshl_b32 s9, s1, 5
	v_mov_b32_e32 v4, s0
.LBB325_24:                             ; =>This Inner Loop Header: Depth=1
	global_load_dwordx4 v[6:9], v[0:1], off offset:-16
	global_load_dwordx4 v[10:13], v[0:1], off
	v_cmp_le_i64_e32 vcc, s[10:11], v[2:3]
	v_cmp_lt_u64_e64 s[0:1], s[6:7], v[2:3]
	s_or_b64 s[0:1], vcc, s[0:1]
	v_add_co_u32_e64 v2, s[2:3], s8, v2
	s_and_b64 s[0:1], exec, s[0:1]
	v_addc_co_u32_e64 v3, s[2:3], v3, v4, s[2:3]
	s_or_b64 s[4:5], s[0:1], s[4:5]
	s_waitcnt vmcnt(1)
	v_xor_b32_e32 v7, 0x80000000, v7
	v_xor_b32_e32 v6, 0x80000000, v6
	;; [unrolled: 1-line block ×4, first 2 shown]
	s_waitcnt vmcnt(0)
	v_xor_b32_e32 v11, 0x80000000, v11
	v_xor_b32_e32 v10, 0x80000000, v10
	;; [unrolled: 1-line block ×4, first 2 shown]
	global_store_dwordx4 v[0:1], v[6:9], off offset:-16
	global_store_dwordx4 v[0:1], v[10:13], off
	v_add_co_u32_e32 v0, vcc, s9, v0
	v_addc_co_u32_e32 v1, vcc, v1, v5, vcc
	s_andn2_b64 exec, exec, s[4:5]
	s_cbranch_execnz .LBB325_24
.LBB325_25:
	s_endpgm
	.section	.rodata,"a",@progbits
	.p2align	6, 0x0
	.amdhsa_kernel _ZN2at6native12_GLOBAL__N_125multi_tensor_apply_kernelINS1_18TensorListMetadataILi1EEENS1_14UnaryOpFunctorIN3c107complexIfEELi1ELi1ELi0EEEJSt6negateIS8_EEEEvT_T0_DpT1_
		.amdhsa_group_segment_fixed_size 0
		.amdhsa_private_segment_fixed_size 0
		.amdhsa_kernarg_size 3632
		.amdhsa_user_sgpr_count 6
		.amdhsa_user_sgpr_private_segment_buffer 1
		.amdhsa_user_sgpr_dispatch_ptr 0
		.amdhsa_user_sgpr_queue_ptr 0
		.amdhsa_user_sgpr_kernarg_segment_ptr 1
		.amdhsa_user_sgpr_dispatch_id 0
		.amdhsa_user_sgpr_flat_scratch_init 0
		.amdhsa_user_sgpr_kernarg_preload_length 0
		.amdhsa_user_sgpr_kernarg_preload_offset 0
		.amdhsa_user_sgpr_private_segment_size 0
		.amdhsa_uses_dynamic_stack 0
		.amdhsa_system_sgpr_private_segment_wavefront_offset 0
		.amdhsa_system_sgpr_workgroup_id_x 1
		.amdhsa_system_sgpr_workgroup_id_y 0
		.amdhsa_system_sgpr_workgroup_id_z 0
		.amdhsa_system_sgpr_workgroup_info 0
		.amdhsa_system_vgpr_workitem_id 0
		.amdhsa_next_free_vgpr 22
		.amdhsa_next_free_sgpr 28
		.amdhsa_accum_offset 24
		.amdhsa_reserve_vcc 1
		.amdhsa_reserve_flat_scratch 0
		.amdhsa_float_round_mode_32 0
		.amdhsa_float_round_mode_16_64 0
		.amdhsa_float_denorm_mode_32 3
		.amdhsa_float_denorm_mode_16_64 3
		.amdhsa_dx10_clamp 1
		.amdhsa_ieee_mode 1
		.amdhsa_fp16_overflow 0
		.amdhsa_tg_split 0
		.amdhsa_exception_fp_ieee_invalid_op 0
		.amdhsa_exception_fp_denorm_src 0
		.amdhsa_exception_fp_ieee_div_zero 0
		.amdhsa_exception_fp_ieee_overflow 0
		.amdhsa_exception_fp_ieee_underflow 0
		.amdhsa_exception_fp_ieee_inexact 0
		.amdhsa_exception_int_div_zero 0
	.end_amdhsa_kernel
	.section	.text._ZN2at6native12_GLOBAL__N_125multi_tensor_apply_kernelINS1_18TensorListMetadataILi1EEENS1_14UnaryOpFunctorIN3c107complexIfEELi1ELi1ELi0EEEJSt6negateIS8_EEEEvT_T0_DpT1_,"axG",@progbits,_ZN2at6native12_GLOBAL__N_125multi_tensor_apply_kernelINS1_18TensorListMetadataILi1EEENS1_14UnaryOpFunctorIN3c107complexIfEELi1ELi1ELi0EEEJSt6negateIS8_EEEEvT_T0_DpT1_,comdat
.Lfunc_end325:
	.size	_ZN2at6native12_GLOBAL__N_125multi_tensor_apply_kernelINS1_18TensorListMetadataILi1EEENS1_14UnaryOpFunctorIN3c107complexIfEELi1ELi1ELi0EEEJSt6negateIS8_EEEEvT_T0_DpT1_, .Lfunc_end325-_ZN2at6native12_GLOBAL__N_125multi_tensor_apply_kernelINS1_18TensorListMetadataILi1EEENS1_14UnaryOpFunctorIN3c107complexIfEELi1ELi1ELi0EEEJSt6negateIS8_EEEEvT_T0_DpT1_
                                        ; -- End function
	.section	.AMDGPU.csdata,"",@progbits
; Kernel info:
; codeLenInByte = 1132
; NumSgprs: 32
; NumVgprs: 22
; NumAgprs: 0
; TotalNumVgprs: 22
; ScratchSize: 0
; MemoryBound: 0
; FloatMode: 240
; IeeeMode: 1
; LDSByteSize: 0 bytes/workgroup (compile time only)
; SGPRBlocks: 3
; VGPRBlocks: 2
; NumSGPRsForWavesPerEU: 32
; NumVGPRsForWavesPerEU: 22
; AccumOffset: 24
; Occupancy: 8
; WaveLimiterHint : 0
; COMPUTE_PGM_RSRC2:SCRATCH_EN: 0
; COMPUTE_PGM_RSRC2:USER_SGPR: 6
; COMPUTE_PGM_RSRC2:TRAP_HANDLER: 0
; COMPUTE_PGM_RSRC2:TGID_X_EN: 1
; COMPUTE_PGM_RSRC2:TGID_Y_EN: 0
; COMPUTE_PGM_RSRC2:TGID_Z_EN: 0
; COMPUTE_PGM_RSRC2:TIDIG_COMP_CNT: 0
; COMPUTE_PGM_RSRC3_GFX90A:ACCUM_OFFSET: 5
; COMPUTE_PGM_RSRC3_GFX90A:TG_SPLIT: 0
	.section	.text._ZN2at6native12_GLOBAL__N_125multi_tensor_apply_kernelINS1_18TensorListMetadataILi1EEENS1_14UnaryOpFunctorIN3c104HalfELi1ELi1ELi0EEEJSt6negateIfEEEEvT_T0_DpT1_,"axG",@progbits,_ZN2at6native12_GLOBAL__N_125multi_tensor_apply_kernelINS1_18TensorListMetadataILi1EEENS1_14UnaryOpFunctorIN3c104HalfELi1ELi1ELi0EEEJSt6negateIfEEEEvT_T0_DpT1_,comdat
	.globl	_ZN2at6native12_GLOBAL__N_125multi_tensor_apply_kernelINS1_18TensorListMetadataILi1EEENS1_14UnaryOpFunctorIN3c104HalfELi1ELi1ELi0EEEJSt6negateIfEEEEvT_T0_DpT1_ ; -- Begin function _ZN2at6native12_GLOBAL__N_125multi_tensor_apply_kernelINS1_18TensorListMetadataILi1EEENS1_14UnaryOpFunctorIN3c104HalfELi1ELi1ELi0EEEJSt6negateIfEEEEvT_T0_DpT1_
	.p2align	8
	.type	_ZN2at6native12_GLOBAL__N_125multi_tensor_apply_kernelINS1_18TensorListMetadataILi1EEENS1_14UnaryOpFunctorIN3c104HalfELi1ELi1ELi0EEEJSt6negateIfEEEEvT_T0_DpT1_,@function
_ZN2at6native12_GLOBAL__N_125multi_tensor_apply_kernelINS1_18TensorListMetadataILi1EEENS1_14UnaryOpFunctorIN3c104HalfELi1ELi1ELi0EEEJSt6negateIfEEEEvT_T0_DpT1_: ; @_ZN2at6native12_GLOBAL__N_125multi_tensor_apply_kernelINS1_18TensorListMetadataILi1EEENS1_14UnaryOpFunctorIN3c104HalfELi1ELi1ELi0EEEJSt6negateIfEEEEvT_T0_DpT1_
; %bb.0:
	v_mov_b32_e32 v1, s6
	global_load_ubyte v1, v1, s[4:5] offset:1760
	s_add_u32 s0, s4, s6
	s_mul_hi_u32 s1, s6, 3
	s_mul_i32 s6, s6, 3
	s_addc_u32 s2, s5, 0
	s_add_u32 s0, s0, s6
	s_addc_u32 s1, s2, s1
	s_load_dword s0, s[0:1], 0x820
	s_mov_b32 s7, 0
	s_waitcnt vmcnt(0)
	v_readfirstlane_b32 s2, v1
	s_lshl_b32 s1, s2, 3
	s_load_dwordx2 s[2:3], s[4:5], s1 offset:0x370
	s_load_dwordx2 s[12:13], s[4:5], s1 offset:0x0
	s_waitcnt lgkmcnt(0)
	s_ashr_i32 s1, s0, 31
	s_lshl_b64 s[14:15], s[0:1], 17
	s_lshl_b64 s[0:1], s[0:1], 16
	s_and_b32 s6, s12, 7
	s_sub_u32 s10, s2, s0
	s_subb_u32 s11, s3, s1
	s_and_b32 s0, s2, 3
	s_mov_b32 s1, s7
	s_or_b64 s[0:1], s[6:7], s[0:1]
	s_cmp_eq_u64 s[0:1], 0
	s_cbranch_scc1 .LBB326_21
; %bb.1:
	v_cmp_lt_i64_e64 s[0:1], s[10:11], 1
	s_and_b64 vcc, exec, s[0:1]
	s_cbranch_vccnz .LBB326_20
; %bb.2:
	s_load_dword s0, s[4:5], 0xd3c
	v_mov_b32_e32 v2, 0x10000
	v_mov_b32_e32 v3, 0
	v_cmp_lt_u64_e32 vcc, s[10:11], v[2:3]
	v_lshlrev_b32_e32 v1, 1, v0
	s_waitcnt lgkmcnt(0)
	s_and_b32 s2, s0, 0xffff
	s_and_b64 s[0:1], vcc, exec
	s_cselect_b32 s17, s11, 0
	s_cselect_b32 s16, s10, 0x10000
	s_lshl_b32 s3, s2, 1
	s_lshl_b32 s23, s2, 2
	s_add_u32 s6, s12, s14
	s_addc_u32 s7, s13, s15
	v_mov_b32_e32 v5, s7
	v_add_co_u32_e32 v4, vcc, s6, v1
	s_mul_i32 s0, s2, 3
	v_addc_co_u32_e32 v5, vcc, 0, v5, vcc
	v_add_co_u32_e32 v1, vcc, s0, v0
	v_addc_co_u32_e64 v10, s[0:1], 0, 0, vcc
	v_add_co_u32_e32 v11, vcc, s3, v0
	v_addc_co_u32_e64 v12, s[0:1], 0, 0, vcc
	v_add_co_u32_e32 v13, vcc, s2, v0
	v_lshlrev_b32_e32 v6, 1, v13
	s_mov_b32 s22, 0
	v_addc_co_u32_e64 v14, s[0:1], 0, 0, vcc
	v_mov_b32_e32 v7, s7
	v_add_co_u32_e32 v6, vcc, s6, v6
	s_lshl_b32 s24, s2, 3
	s_mul_i32 s25, s2, 6
	s_mov_b32 s26, s22
	v_addc_co_u32_e32 v7, vcc, 0, v7, vcc
	s_mov_b64 s[18:19], 0
	v_pk_mov_b32 v[8:9], s[10:11], s[10:11] op_sel:[0,1]
	v_mov_b32_e32 v15, s22
	s_branch .LBB326_4
.LBB326_3:                              ;   in Loop: Header=BB326_4 Depth=1
	s_or_b64 exec, exec, s[0:1]
	s_add_u32 s18, s18, s23
	s_addc_u32 s19, s19, 0
	v_cmp_lt_i64_e32 vcc, s[18:19], v[8:9]
	v_cmp_lt_u64_e64 s[0:1], s[18:19], v[2:3]
	s_and_b64 s[0:1], vcc, s[0:1]
	v_add_co_u32_e32 v4, vcc, s24, v4
	v_addc_co_u32_e32 v5, vcc, v5, v15, vcc
	v_add_co_u32_e32 v6, vcc, s24, v6
	v_addc_co_u32_e32 v7, vcc, v7, v15, vcc
	s_and_b64 vcc, exec, s[0:1]
	s_cbranch_vccz .LBB326_20
.LBB326_4:                              ; =>This Inner Loop Header: Depth=1
	s_waitcnt vmcnt(0)
	v_mov_b32_e32 v17, s19
	v_add_co_u32_e32 v16, vcc, s18, v0
	v_addc_co_u32_e32 v17, vcc, 0, v17, vcc
	v_cmp_gt_u64_e32 vcc, s[16:17], v[16:17]
	v_mov_b32_e32 v16, 0
	s_and_saveexec_b64 s[0:1], vcc
	s_cbranch_execz .LBB326_6
; %bb.5:                                ;   in Loop: Header=BB326_4 Depth=1
	global_load_ushort v16, v[4:5], off
.LBB326_6:                              ;   in Loop: Header=BB326_4 Depth=1
	s_or_b64 exec, exec, s[0:1]
	v_mov_b32_e32 v17, s19
	v_add_co_u32_e64 v18, s[0:1], s18, v13
	v_addc_co_u32_e64 v19, s[0:1], v14, v17, s[0:1]
	v_cmp_gt_u64_e64 s[0:1], s[16:17], v[18:19]
	v_mov_b32_e32 v18, 0
	s_and_saveexec_b64 s[2:3], s[0:1]
	s_cbranch_execz .LBB326_8
; %bb.7:                                ;   in Loop: Header=BB326_4 Depth=1
	global_load_ushort v18, v[6:7], off
.LBB326_8:                              ;   in Loop: Header=BB326_4 Depth=1
	s_or_b64 exec, exec, s[2:3]
	v_mov_b32_e32 v17, s19
	v_add_co_u32_e64 v20, s[2:3], s18, v11
	v_addc_co_u32_e64 v21, s[2:3], v12, v17, s[2:3]
	v_cmp_gt_u64_e64 s[2:3], s[16:17], v[20:21]
	v_mov_b32_e32 v17, 0
	v_mov_b32_e32 v19, 0
	s_and_saveexec_b64 s[8:9], s[2:3]
	s_cbranch_execz .LBB326_10
; %bb.9:                                ;   in Loop: Header=BB326_4 Depth=1
	v_mov_b32_e32 v19, s22
	v_add_co_u32_e64 v20, s[6:7], s23, v4
	v_addc_co_u32_e64 v21, s[6:7], v5, v19, s[6:7]
	global_load_ushort v19, v[20:21], off
.LBB326_10:                             ;   in Loop: Header=BB326_4 Depth=1
	s_or_b64 exec, exec, s[8:9]
	v_mov_b32_e32 v21, s19
	v_add_co_u32_e64 v20, s[6:7], s18, v1
	v_addc_co_u32_e64 v21, s[6:7], v10, v21, s[6:7]
	v_cmp_gt_u64_e64 s[6:7], s[16:17], v[20:21]
	s_and_saveexec_b64 s[20:21], s[6:7]
	s_cbranch_execnz .LBB326_15
; %bb.11:                               ;   in Loop: Header=BB326_4 Depth=1
	s_or_b64 exec, exec, s[20:21]
	s_and_saveexec_b64 s[8:9], vcc
	s_cbranch_execnz .LBB326_16
.LBB326_12:                             ;   in Loop: Header=BB326_4 Depth=1
	s_or_b64 exec, exec, s[8:9]
	s_and_saveexec_b64 s[8:9], s[0:1]
	s_cbranch_execnz .LBB326_17
.LBB326_13:                             ;   in Loop: Header=BB326_4 Depth=1
	s_or_b64 exec, exec, s[8:9]
	s_and_saveexec_b64 s[0:1], s[2:3]
	s_cbranch_execnz .LBB326_18
.LBB326_14:                             ;   in Loop: Header=BB326_4 Depth=1
	s_or_b64 exec, exec, s[0:1]
	s_and_saveexec_b64 s[0:1], s[6:7]
	s_cbranch_execz .LBB326_3
	s_branch .LBB326_19
.LBB326_15:                             ;   in Loop: Header=BB326_4 Depth=1
	v_mov_b32_e32 v17, s26
	v_add_co_u32_e64 v20, s[8:9], s25, v4
	v_addc_co_u32_e64 v21, s[8:9], v5, v17, s[8:9]
	global_load_ushort v17, v[20:21], off
	s_or_b64 exec, exec, s[20:21]
	s_and_saveexec_b64 s[8:9], vcc
	s_cbranch_execz .LBB326_12
.LBB326_16:                             ;   in Loop: Header=BB326_4 Depth=1
	s_waitcnt vmcnt(0)
	v_xor_b32_e32 v16, 0x8000, v16
	global_store_short v[4:5], v16, off
	s_or_b64 exec, exec, s[8:9]
	s_and_saveexec_b64 s[8:9], s[0:1]
	s_cbranch_execz .LBB326_13
.LBB326_17:                             ;   in Loop: Header=BB326_4 Depth=1
	s_waitcnt vmcnt(0)
	v_xor_b32_e32 v16, 0x8000, v18
	global_store_short v[6:7], v16, off
	s_or_b64 exec, exec, s[8:9]
	s_and_saveexec_b64 s[0:1], s[2:3]
	s_cbranch_execz .LBB326_14
.LBB326_18:                             ;   in Loop: Header=BB326_4 Depth=1
	s_waitcnt vmcnt(0)
	v_xor_b32_e32 v16, 0x8000, v19
	v_mov_b32_e32 v19, s22
	v_add_co_u32_e32 v18, vcc, s23, v4
	v_addc_co_u32_e32 v19, vcc, v5, v19, vcc
	global_store_short v[18:19], v16, off
	s_or_b64 exec, exec, s[0:1]
	s_and_saveexec_b64 s[0:1], s[6:7]
	s_cbranch_execz .LBB326_3
.LBB326_19:                             ;   in Loop: Header=BB326_4 Depth=1
	s_waitcnt vmcnt(0)
	v_xor_b32_e32 v18, 0x8000, v17
	v_mov_b32_e32 v17, s26
	v_add_co_u32_e32 v16, vcc, s25, v4
	v_addc_co_u32_e32 v17, vcc, v5, v17, vcc
	global_store_short v[16:17], v18, off
	s_branch .LBB326_3
.LBB326_20:
	s_cbranch_execz .LBB326_22
	s_branch .LBB326_25
.LBB326_21:
.LBB326_22:
	v_mov_b32_e32 v3, 0
	v_lshlrev_b32_e32 v2, 2, v0
	s_mov_b32 s0, 0
	v_cmp_gt_i64_e32 vcc, s[10:11], v[2:3]
	s_and_saveexec_b64 s[2:3], vcc
	s_cbranch_execz .LBB326_25
; %bb.23:
	s_load_dword s1, s[4:5], 0xd3c
	v_lshlrev_b32_e32 v1, 3, v0
	s_mov_b64 s[4:5], 0xffff
	s_waitcnt lgkmcnt(0)
	s_and_b32 s1, s1, 0xffff
	s_add_u32 s2, s12, s14
	s_addc_u32 s3, s13, s15
	v_mov_b32_e32 v2, s3
	v_add_co_u32_e32 v4, vcc, s2, v1
	v_addc_co_u32_e32 v5, vcc, 0, v2, vcc
	s_lshl_b32 s6, s1, 3
	v_add_lshl_u32 v2, v0, s1, 2
	s_lshl_b32 s7, s1, 2
	s_mov_b64 s[2:3], 0
	v_mov_b32_e32 v0, s0
	v_mov_b32_e32 v1, s0
.LBB326_24:                             ; =>This Inner Loop Header: Depth=1
	global_load_dwordx2 v[6:7], v[4:5], off
	v_cmp_le_i64_e32 vcc, s[10:11], v[2:3]
	v_cmp_lt_u64_e64 s[0:1], s[4:5], v[2:3]
	s_or_b64 s[0:1], vcc, s[0:1]
	s_and_b64 s[0:1], exec, s[0:1]
	s_or_b64 s[2:3], s[0:1], s[2:3]
	s_waitcnt vmcnt(0)
	v_xor_b32_e32 v7, 0x80008000, v7
	v_xor_b32_e32 v6, 0x80008000, v6
	global_store_dwordx2 v[4:5], v[6:7], off
	v_add_co_u32_e32 v4, vcc, s6, v4
	v_addc_co_u32_e32 v5, vcc, v5, v0, vcc
	v_add_co_u32_e32 v2, vcc, s7, v2
	v_addc_co_u32_e32 v3, vcc, v3, v1, vcc
	s_andn2_b64 exec, exec, s[2:3]
	s_cbranch_execnz .LBB326_24
.LBB326_25:
	s_endpgm
	.section	.rodata,"a",@progbits
	.p2align	6, 0x0
	.amdhsa_kernel _ZN2at6native12_GLOBAL__N_125multi_tensor_apply_kernelINS1_18TensorListMetadataILi1EEENS1_14UnaryOpFunctorIN3c104HalfELi1ELi1ELi0EEEJSt6negateIfEEEEvT_T0_DpT1_
		.amdhsa_group_segment_fixed_size 0
		.amdhsa_private_segment_fixed_size 0
		.amdhsa_kernarg_size 3632
		.amdhsa_user_sgpr_count 6
		.amdhsa_user_sgpr_private_segment_buffer 1
		.amdhsa_user_sgpr_dispatch_ptr 0
		.amdhsa_user_sgpr_queue_ptr 0
		.amdhsa_user_sgpr_kernarg_segment_ptr 1
		.amdhsa_user_sgpr_dispatch_id 0
		.amdhsa_user_sgpr_flat_scratch_init 0
		.amdhsa_user_sgpr_kernarg_preload_length 0
		.amdhsa_user_sgpr_kernarg_preload_offset 0
		.amdhsa_user_sgpr_private_segment_size 0
		.amdhsa_uses_dynamic_stack 0
		.amdhsa_system_sgpr_private_segment_wavefront_offset 0
		.amdhsa_system_sgpr_workgroup_id_x 1
		.amdhsa_system_sgpr_workgroup_id_y 0
		.amdhsa_system_sgpr_workgroup_id_z 0
		.amdhsa_system_sgpr_workgroup_info 0
		.amdhsa_system_vgpr_workitem_id 0
		.amdhsa_next_free_vgpr 22
		.amdhsa_next_free_sgpr 27
		.amdhsa_accum_offset 24
		.amdhsa_reserve_vcc 1
		.amdhsa_reserve_flat_scratch 0
		.amdhsa_float_round_mode_32 0
		.amdhsa_float_round_mode_16_64 0
		.amdhsa_float_denorm_mode_32 3
		.amdhsa_float_denorm_mode_16_64 3
		.amdhsa_dx10_clamp 1
		.amdhsa_ieee_mode 1
		.amdhsa_fp16_overflow 0
		.amdhsa_tg_split 0
		.amdhsa_exception_fp_ieee_invalid_op 0
		.amdhsa_exception_fp_denorm_src 0
		.amdhsa_exception_fp_ieee_div_zero 0
		.amdhsa_exception_fp_ieee_overflow 0
		.amdhsa_exception_fp_ieee_underflow 0
		.amdhsa_exception_fp_ieee_inexact 0
		.amdhsa_exception_int_div_zero 0
	.end_amdhsa_kernel
	.section	.text._ZN2at6native12_GLOBAL__N_125multi_tensor_apply_kernelINS1_18TensorListMetadataILi1EEENS1_14UnaryOpFunctorIN3c104HalfELi1ELi1ELi0EEEJSt6negateIfEEEEvT_T0_DpT1_,"axG",@progbits,_ZN2at6native12_GLOBAL__N_125multi_tensor_apply_kernelINS1_18TensorListMetadataILi1EEENS1_14UnaryOpFunctorIN3c104HalfELi1ELi1ELi0EEEJSt6negateIfEEEEvT_T0_DpT1_,comdat
.Lfunc_end326:
	.size	_ZN2at6native12_GLOBAL__N_125multi_tensor_apply_kernelINS1_18TensorListMetadataILi1EEENS1_14UnaryOpFunctorIN3c104HalfELi1ELi1ELi0EEEJSt6negateIfEEEEvT_T0_DpT1_, .Lfunc_end326-_ZN2at6native12_GLOBAL__N_125multi_tensor_apply_kernelINS1_18TensorListMetadataILi1EEENS1_14UnaryOpFunctorIN3c104HalfELi1ELi1ELi0EEEJSt6negateIfEEEEvT_T0_DpT1_
                                        ; -- End function
	.section	.AMDGPU.csdata,"",@progbits
; Kernel info:
; codeLenInByte = 1012
; NumSgprs: 31
; NumVgprs: 22
; NumAgprs: 0
; TotalNumVgprs: 22
; ScratchSize: 0
; MemoryBound: 0
; FloatMode: 240
; IeeeMode: 1
; LDSByteSize: 0 bytes/workgroup (compile time only)
; SGPRBlocks: 3
; VGPRBlocks: 2
; NumSGPRsForWavesPerEU: 31
; NumVGPRsForWavesPerEU: 22
; AccumOffset: 24
; Occupancy: 8
; WaveLimiterHint : 0
; COMPUTE_PGM_RSRC2:SCRATCH_EN: 0
; COMPUTE_PGM_RSRC2:USER_SGPR: 6
; COMPUTE_PGM_RSRC2:TRAP_HANDLER: 0
; COMPUTE_PGM_RSRC2:TGID_X_EN: 1
; COMPUTE_PGM_RSRC2:TGID_Y_EN: 0
; COMPUTE_PGM_RSRC2:TGID_Z_EN: 0
; COMPUTE_PGM_RSRC2:TIDIG_COMP_CNT: 0
; COMPUTE_PGM_RSRC3_GFX90A:ACCUM_OFFSET: 5
; COMPUTE_PGM_RSRC3_GFX90A:TG_SPLIT: 0
	.section	.text._ZN2at6native12_GLOBAL__N_125multi_tensor_apply_kernelINS1_18TensorListMetadataILi1EEENS1_14UnaryOpFunctorIN3c108BFloat16ELi1ELi1ELi0EEEJSt6negateIfEEEEvT_T0_DpT1_,"axG",@progbits,_ZN2at6native12_GLOBAL__N_125multi_tensor_apply_kernelINS1_18TensorListMetadataILi1EEENS1_14UnaryOpFunctorIN3c108BFloat16ELi1ELi1ELi0EEEJSt6negateIfEEEEvT_T0_DpT1_,comdat
	.globl	_ZN2at6native12_GLOBAL__N_125multi_tensor_apply_kernelINS1_18TensorListMetadataILi1EEENS1_14UnaryOpFunctorIN3c108BFloat16ELi1ELi1ELi0EEEJSt6negateIfEEEEvT_T0_DpT1_ ; -- Begin function _ZN2at6native12_GLOBAL__N_125multi_tensor_apply_kernelINS1_18TensorListMetadataILi1EEENS1_14UnaryOpFunctorIN3c108BFloat16ELi1ELi1ELi0EEEJSt6negateIfEEEEvT_T0_DpT1_
	.p2align	8
	.type	_ZN2at6native12_GLOBAL__N_125multi_tensor_apply_kernelINS1_18TensorListMetadataILi1EEENS1_14UnaryOpFunctorIN3c108BFloat16ELi1ELi1ELi0EEEJSt6negateIfEEEEvT_T0_DpT1_,@function
_ZN2at6native12_GLOBAL__N_125multi_tensor_apply_kernelINS1_18TensorListMetadataILi1EEENS1_14UnaryOpFunctorIN3c108BFloat16ELi1ELi1ELi0EEEJSt6negateIfEEEEvT_T0_DpT1_: ; @_ZN2at6native12_GLOBAL__N_125multi_tensor_apply_kernelINS1_18TensorListMetadataILi1EEENS1_14UnaryOpFunctorIN3c108BFloat16ELi1ELi1ELi0EEEJSt6negateIfEEEEvT_T0_DpT1_
; %bb.0:
	v_mov_b32_e32 v1, s6
	global_load_ubyte v1, v1, s[4:5] offset:1760
	s_add_u32 s0, s4, s6
	s_mul_hi_u32 s1, s6, 3
	s_mul_i32 s6, s6, 3
	s_addc_u32 s2, s5, 0
	s_add_u32 s0, s0, s6
	s_addc_u32 s1, s2, s1
	s_load_dword s0, s[0:1], 0x820
	s_mov_b32 s7, 0
	s_waitcnt vmcnt(0)
	v_readfirstlane_b32 s2, v1
	s_lshl_b32 s1, s2, 3
	s_load_dwordx2 s[2:3], s[4:5], s1 offset:0x370
	s_load_dwordx2 s[12:13], s[4:5], s1 offset:0x0
	s_waitcnt lgkmcnt(0)
	s_ashr_i32 s1, s0, 31
	s_lshl_b64 s[14:15], s[0:1], 17
	s_lshl_b64 s[0:1], s[0:1], 16
	s_and_b32 s6, s12, 7
	s_sub_u32 s10, s2, s0
	s_subb_u32 s11, s3, s1
	s_and_b32 s0, s2, 3
	s_mov_b32 s1, s7
	s_or_b64 s[0:1], s[6:7], s[0:1]
	s_cmp_eq_u64 s[0:1], 0
	s_cbranch_scc1 .LBB327_21
; %bb.1:
	v_cmp_lt_i64_e64 s[0:1], s[10:11], 1
	s_and_b64 vcc, exec, s[0:1]
	s_cbranch_vccnz .LBB327_20
; %bb.2:
	s_load_dword s0, s[4:5], 0xd3c
	v_mov_b32_e32 v2, 0x10000
	v_mov_b32_e32 v3, 0
	v_cmp_lt_u64_e32 vcc, s[10:11], v[2:3]
	v_lshlrev_b32_e32 v1, 1, v0
	s_waitcnt lgkmcnt(0)
	s_and_b32 s2, s0, 0xffff
	s_and_b64 s[0:1], vcc, exec
	s_cselect_b32 s17, s11, 0
	s_cselect_b32 s16, s10, 0x10000
	s_lshl_b32 s3, s2, 1
	s_lshl_b32 s23, s2, 2
	s_add_u32 s6, s12, s14
	s_addc_u32 s7, s13, s15
	v_mov_b32_e32 v5, s7
	v_add_co_u32_e32 v4, vcc, s6, v1
	s_mul_i32 s0, s2, 3
	v_addc_co_u32_e32 v5, vcc, 0, v5, vcc
	v_add_co_u32_e32 v1, vcc, s0, v0
	v_addc_co_u32_e64 v10, s[0:1], 0, 0, vcc
	v_add_co_u32_e32 v11, vcc, s3, v0
	v_addc_co_u32_e64 v12, s[0:1], 0, 0, vcc
	v_add_co_u32_e32 v13, vcc, s2, v0
	v_lshlrev_b32_e32 v6, 1, v13
	s_mov_b32 s22, 0
	v_addc_co_u32_e64 v14, s[0:1], 0, 0, vcc
	v_mov_b32_e32 v7, s7
	v_add_co_u32_e32 v6, vcc, s6, v6
	s_lshl_b32 s24, s2, 3
	s_mul_i32 s25, s2, 6
	s_mov_b32 s26, s22
	v_addc_co_u32_e32 v7, vcc, 0, v7, vcc
	s_mov_b64 s[18:19], 0
	s_movk_i32 s27, 0x7fff
	v_pk_mov_b32 v[8:9], s[10:11], s[10:11] op_sel:[0,1]
	v_mov_b32_e32 v15, s22
	v_mov_b32_e32 v16, 0x7fc0
	s_branch .LBB327_4
.LBB327_3:                              ;   in Loop: Header=BB327_4 Depth=1
	s_or_b64 exec, exec, s[0:1]
	s_add_u32 s18, s18, s23
	s_addc_u32 s19, s19, 0
	v_cmp_lt_i64_e32 vcc, s[18:19], v[8:9]
	v_cmp_lt_u64_e64 s[0:1], s[18:19], v[2:3]
	s_and_b64 s[0:1], vcc, s[0:1]
	v_add_co_u32_e32 v4, vcc, s24, v4
	v_addc_co_u32_e32 v5, vcc, v5, v15, vcc
	v_add_co_u32_e32 v6, vcc, s24, v6
	v_addc_co_u32_e32 v7, vcc, v7, v15, vcc
	s_and_b64 vcc, exec, s[0:1]
	s_cbranch_vccz .LBB327_20
.LBB327_4:                              ; =>This Inner Loop Header: Depth=1
	s_waitcnt vmcnt(0)
	v_mov_b32_e32 v17, s19
	v_add_co_u32_e32 v18, vcc, s18, v0
	v_addc_co_u32_e32 v19, vcc, 0, v17, vcc
	v_cmp_gt_u64_e32 vcc, s[16:17], v[18:19]
	v_mov_b32_e32 v18, 0
	s_and_saveexec_b64 s[0:1], vcc
	s_cbranch_execz .LBB327_6
; %bb.5:                                ;   in Loop: Header=BB327_4 Depth=1
	global_load_ushort v18, v[4:5], off
.LBB327_6:                              ;   in Loop: Header=BB327_4 Depth=1
	s_or_b64 exec, exec, s[0:1]
	v_mov_b32_e32 v17, s19
	v_add_co_u32_e64 v20, s[0:1], s18, v13
	v_addc_co_u32_e64 v21, s[0:1], v14, v17, s[0:1]
	v_cmp_gt_u64_e64 s[0:1], s[16:17], v[20:21]
	v_mov_b32_e32 v19, 0
	s_and_saveexec_b64 s[2:3], s[0:1]
	s_cbranch_execz .LBB327_8
; %bb.7:                                ;   in Loop: Header=BB327_4 Depth=1
	global_load_ushort v19, v[6:7], off
.LBB327_8:                              ;   in Loop: Header=BB327_4 Depth=1
	s_or_b64 exec, exec, s[2:3]
	v_mov_b32_e32 v17, s19
	v_add_co_u32_e64 v20, s[2:3], s18, v11
	v_addc_co_u32_e64 v21, s[2:3], v12, v17, s[2:3]
	v_cmp_gt_u64_e64 s[2:3], s[16:17], v[20:21]
	v_mov_b32_e32 v17, 0
	v_mov_b32_e32 v20, 0
	s_and_saveexec_b64 s[8:9], s[2:3]
	s_cbranch_execz .LBB327_10
; %bb.9:                                ;   in Loop: Header=BB327_4 Depth=1
	v_mov_b32_e32 v21, s22
	v_add_co_u32_e64 v20, s[6:7], s23, v4
	v_addc_co_u32_e64 v21, s[6:7], v5, v21, s[6:7]
	global_load_ushort v20, v[20:21], off
.LBB327_10:                             ;   in Loop: Header=BB327_4 Depth=1
	s_or_b64 exec, exec, s[8:9]
	v_mov_b32_e32 v21, s19
	v_add_co_u32_e64 v22, s[6:7], s18, v1
	v_addc_co_u32_e64 v23, s[6:7], v10, v21, s[6:7]
	v_cmp_gt_u64_e64 s[6:7], s[16:17], v[22:23]
	s_and_saveexec_b64 s[20:21], s[6:7]
	s_cbranch_execnz .LBB327_15
; %bb.11:                               ;   in Loop: Header=BB327_4 Depth=1
	s_or_b64 exec, exec, s[20:21]
	s_and_saveexec_b64 s[8:9], vcc
	s_cbranch_execnz .LBB327_16
.LBB327_12:                             ;   in Loop: Header=BB327_4 Depth=1
	s_or_b64 exec, exec, s[8:9]
	s_and_saveexec_b64 s[8:9], s[0:1]
	s_cbranch_execnz .LBB327_17
.LBB327_13:                             ;   in Loop: Header=BB327_4 Depth=1
	s_or_b64 exec, exec, s[8:9]
	s_and_saveexec_b64 s[0:1], s[2:3]
	s_cbranch_execnz .LBB327_18
.LBB327_14:                             ;   in Loop: Header=BB327_4 Depth=1
	s_or_b64 exec, exec, s[0:1]
	s_and_saveexec_b64 s[0:1], s[6:7]
	s_cbranch_execz .LBB327_3
	s_branch .LBB327_19
.LBB327_15:                             ;   in Loop: Header=BB327_4 Depth=1
	v_mov_b32_e32 v17, s26
	v_add_co_u32_e64 v22, s[8:9], s25, v4
	v_addc_co_u32_e64 v23, s[8:9], v5, v17, s[8:9]
	global_load_ushort v17, v[22:23], off
	s_or_b64 exec, exec, s[20:21]
	s_and_saveexec_b64 s[8:9], vcc
	s_cbranch_execz .LBB327_12
.LBB327_16:                             ;   in Loop: Header=BB327_4 Depth=1
	s_waitcnt vmcnt(0)
	v_lshlrev_b32_e32 v18, 16, v18
	v_xor_b32_e32 v21, 0x80000000, v18
	v_bfe_u32 v22, v21, 16, 1
	v_add3_u32 v21, v21, v22, s27
	v_lshrrev_b32_e32 v21, 16, v21
	v_cmp_o_f32_e32 vcc, v18, v18
	v_cndmask_b32_e32 v18, v16, v21, vcc
	global_store_short v[4:5], v18, off
	s_or_b64 exec, exec, s[8:9]
	s_and_saveexec_b64 s[8:9], s[0:1]
	s_cbranch_execz .LBB327_13
.LBB327_17:                             ;   in Loop: Header=BB327_4 Depth=1
	s_waitcnt vmcnt(0)
	v_lshlrev_b32_e32 v18, 16, v19
	v_xor_b32_e32 v19, 0x80000000, v18
	v_bfe_u32 v21, v19, 16, 1
	v_add3_u32 v19, v19, v21, s27
	v_lshrrev_b32_e32 v19, 16, v19
	v_cmp_o_f32_e32 vcc, v18, v18
	v_cndmask_b32_e32 v18, v16, v19, vcc
	global_store_short v[6:7], v18, off
	s_or_b64 exec, exec, s[8:9]
	s_and_saveexec_b64 s[0:1], s[2:3]
	s_cbranch_execz .LBB327_14
.LBB327_18:                             ;   in Loop: Header=BB327_4 Depth=1
	s_waitcnt vmcnt(0)
	v_lshlrev_b32_e32 v18, 16, v20
	v_xor_b32_e32 v19, 0x80000000, v18
	v_bfe_u32 v20, v19, 16, 1
	v_add3_u32 v19, v19, v20, s27
	v_lshrrev_b32_e32 v19, 16, v19
	v_cmp_o_f32_e32 vcc, v18, v18
	v_cndmask_b32_e32 v20, v16, v19, vcc
	v_mov_b32_e32 v19, s22
	v_add_co_u32_e32 v18, vcc, s23, v4
	v_addc_co_u32_e32 v19, vcc, v5, v19, vcc
	global_store_short v[18:19], v20, off
	s_or_b64 exec, exec, s[0:1]
	s_and_saveexec_b64 s[0:1], s[6:7]
	s_cbranch_execz .LBB327_3
.LBB327_19:                             ;   in Loop: Header=BB327_4 Depth=1
	s_waitcnt vmcnt(0)
	v_lshlrev_b32_e32 v17, 16, v17
	v_xor_b32_e32 v18, 0x80000000, v17
	v_bfe_u32 v19, v18, 16, 1
	v_add3_u32 v18, v18, v19, s27
	v_lshrrev_b32_e32 v18, 16, v18
	v_cmp_o_f32_e32 vcc, v17, v17
	v_cndmask_b32_e32 v17, v16, v18, vcc
	v_mov_b32_e32 v19, s26
	v_add_co_u32_e32 v18, vcc, s25, v4
	v_addc_co_u32_e32 v19, vcc, v5, v19, vcc
	global_store_short v[18:19], v17, off
	s_branch .LBB327_3
.LBB327_20:
	s_cbranch_execz .LBB327_22
	s_branch .LBB327_25
.LBB327_21:
.LBB327_22:
	v_mov_b32_e32 v3, 0
	v_lshlrev_b32_e32 v2, 2, v0
	s_mov_b32 s0, 0
	v_cmp_gt_i64_e32 vcc, s[10:11], v[2:3]
	s_and_saveexec_b64 s[2:3], vcc
	s_cbranch_execz .LBB327_25
; %bb.23:
	s_load_dword s1, s[4:5], 0xd3c
	v_lshlrev_b32_e32 v1, 3, v0
	s_movk_i32 s8, 0x7fff
	s_mov_b64 s[4:5], 0xffff
	v_mov_b32_e32 v6, s0
	s_waitcnt lgkmcnt(0)
	s_and_b32 s1, s1, 0xffff
	s_add_u32 s2, s12, s14
	s_addc_u32 s3, s13, s15
	v_mov_b32_e32 v2, s3
	v_add_co_u32_e32 v4, vcc, s2, v1
	v_addc_co_u32_e32 v5, vcc, 0, v2, vcc
	s_lshl_b32 s6, s1, 3
	v_add_lshl_u32 v2, v0, s1, 2
	s_lshl_b32 s7, s1, 2
	s_mov_b64 s[2:3], 0
	v_mov_b32_e32 v0, 0x7fc00000
	v_mov_b32_e32 v1, 0x7fc0
	;; [unrolled: 1-line block ×3, first 2 shown]
.LBB327_24:                             ; =>This Inner Loop Header: Depth=1
	global_load_dwordx2 v[8:9], v[4:5], off
	v_cmp_le_i64_e32 vcc, s[10:11], v[2:3]
	v_cmp_lt_u64_e64 s[0:1], s[4:5], v[2:3]
	s_or_b64 s[0:1], vcc, s[0:1]
	s_and_b64 s[0:1], exec, s[0:1]
	s_or_b64 s[2:3], s[0:1], s[2:3]
	s_waitcnt vmcnt(0)
	v_and_b32_e32 v10, 0xffff0000, v8
	v_lshlrev_b32_e32 v11, 16, v8
	v_alignbit_b32 v8, v9, v8, 16
	v_and_b32_e32 v9, 0xffff0000, v9
	v_xor_b32_e32 v14, 0x80000000, v9
	v_xor_b32_e32 v13, 0x80000000, v10
	v_bfe_u32 v18, v14, 16, 1
	v_xor_b32_e32 v12, 0x80000000, v11
	v_and_b32_e32 v8, 0xffff0000, v8
	v_bfe_u32 v16, v13, 16, 1
	v_add3_u32 v14, v14, v18, s8
	v_bfe_u32 v15, v12, 16, 1
	v_xor_b32_e32 v17, 0x80000000, v8
	v_add3_u32 v13, v13, v16, s8
	v_and_b32_e32 v14, 0xffff0000, v14
	v_cmp_o_f32_e32 vcc, v9, v9
	v_add3_u32 v12, v12, v15, s8
	v_bfe_u32 v15, v17, 16, 1
	v_and_b32_e32 v13, 0xffff0000, v13
	v_cndmask_b32_e32 v9, v0, v14, vcc
	v_cmp_o_f32_e32 vcc, v10, v10
	v_lshrrev_b32_e32 v12, 16, v12
	v_add3_u32 v15, v17, v15, s8
	v_cndmask_b32_e32 v10, v0, v13, vcc
	v_cmp_o_f32_e32 vcc, v11, v11
	v_lshrrev_b32_e32 v15, 16, v15
	v_cndmask_b32_e32 v11, v1, v12, vcc
	v_cmp_o_f32_e32 vcc, v8, v8
	v_cndmask_b32_e32 v8, v1, v15, vcc
	v_or_b32_e32 v10, v11, v10
	v_or3_b32 v9, 0, v8, v9
	v_or3_b32 v8, v10, 0, 0
	global_store_dwordx2 v[4:5], v[8:9], off
	v_add_co_u32_e32 v4, vcc, s6, v4
	v_addc_co_u32_e32 v5, vcc, v5, v6, vcc
	v_add_co_u32_e32 v2, vcc, s7, v2
	v_addc_co_u32_e32 v3, vcc, v3, v7, vcc
	s_andn2_b64 exec, exec, s[2:3]
	s_cbranch_execnz .LBB327_24
.LBB327_25:
	s_endpgm
	.section	.rodata,"a",@progbits
	.p2align	6, 0x0
	.amdhsa_kernel _ZN2at6native12_GLOBAL__N_125multi_tensor_apply_kernelINS1_18TensorListMetadataILi1EEENS1_14UnaryOpFunctorIN3c108BFloat16ELi1ELi1ELi0EEEJSt6negateIfEEEEvT_T0_DpT1_
		.amdhsa_group_segment_fixed_size 0
		.amdhsa_private_segment_fixed_size 0
		.amdhsa_kernarg_size 3632
		.amdhsa_user_sgpr_count 6
		.amdhsa_user_sgpr_private_segment_buffer 1
		.amdhsa_user_sgpr_dispatch_ptr 0
		.amdhsa_user_sgpr_queue_ptr 0
		.amdhsa_user_sgpr_kernarg_segment_ptr 1
		.amdhsa_user_sgpr_dispatch_id 0
		.amdhsa_user_sgpr_flat_scratch_init 0
		.amdhsa_user_sgpr_kernarg_preload_length 0
		.amdhsa_user_sgpr_kernarg_preload_offset 0
		.amdhsa_user_sgpr_private_segment_size 0
		.amdhsa_uses_dynamic_stack 0
		.amdhsa_system_sgpr_private_segment_wavefront_offset 0
		.amdhsa_system_sgpr_workgroup_id_x 1
		.amdhsa_system_sgpr_workgroup_id_y 0
		.amdhsa_system_sgpr_workgroup_id_z 0
		.amdhsa_system_sgpr_workgroup_info 0
		.amdhsa_system_vgpr_workitem_id 0
		.amdhsa_next_free_vgpr 24
		.amdhsa_next_free_sgpr 28
		.amdhsa_accum_offset 24
		.amdhsa_reserve_vcc 1
		.amdhsa_reserve_flat_scratch 0
		.amdhsa_float_round_mode_32 0
		.amdhsa_float_round_mode_16_64 0
		.amdhsa_float_denorm_mode_32 3
		.amdhsa_float_denorm_mode_16_64 3
		.amdhsa_dx10_clamp 1
		.amdhsa_ieee_mode 1
		.amdhsa_fp16_overflow 0
		.amdhsa_tg_split 0
		.amdhsa_exception_fp_ieee_invalid_op 0
		.amdhsa_exception_fp_denorm_src 0
		.amdhsa_exception_fp_ieee_div_zero 0
		.amdhsa_exception_fp_ieee_overflow 0
		.amdhsa_exception_fp_ieee_underflow 0
		.amdhsa_exception_fp_ieee_inexact 0
		.amdhsa_exception_int_div_zero 0
	.end_amdhsa_kernel
	.section	.text._ZN2at6native12_GLOBAL__N_125multi_tensor_apply_kernelINS1_18TensorListMetadataILi1EEENS1_14UnaryOpFunctorIN3c108BFloat16ELi1ELi1ELi0EEEJSt6negateIfEEEEvT_T0_DpT1_,"axG",@progbits,_ZN2at6native12_GLOBAL__N_125multi_tensor_apply_kernelINS1_18TensorListMetadataILi1EEENS1_14UnaryOpFunctorIN3c108BFloat16ELi1ELi1ELi0EEEJSt6negateIfEEEEvT_T0_DpT1_,comdat
.Lfunc_end327:
	.size	_ZN2at6native12_GLOBAL__N_125multi_tensor_apply_kernelINS1_18TensorListMetadataILi1EEENS1_14UnaryOpFunctorIN3c108BFloat16ELi1ELi1ELi0EEEJSt6negateIfEEEEvT_T0_DpT1_, .Lfunc_end327-_ZN2at6native12_GLOBAL__N_125multi_tensor_apply_kernelINS1_18TensorListMetadataILi1EEENS1_14UnaryOpFunctorIN3c108BFloat16ELi1ELi1ELi0EEEJSt6negateIfEEEEvT_T0_DpT1_
                                        ; -- End function
	.section	.AMDGPU.csdata,"",@progbits
; Kernel info:
; codeLenInByte = 1364
; NumSgprs: 32
; NumVgprs: 24
; NumAgprs: 0
; TotalNumVgprs: 24
; ScratchSize: 0
; MemoryBound: 0
; FloatMode: 240
; IeeeMode: 1
; LDSByteSize: 0 bytes/workgroup (compile time only)
; SGPRBlocks: 3
; VGPRBlocks: 2
; NumSGPRsForWavesPerEU: 32
; NumVGPRsForWavesPerEU: 24
; AccumOffset: 24
; Occupancy: 8
; WaveLimiterHint : 0
; COMPUTE_PGM_RSRC2:SCRATCH_EN: 0
; COMPUTE_PGM_RSRC2:USER_SGPR: 6
; COMPUTE_PGM_RSRC2:TRAP_HANDLER: 0
; COMPUTE_PGM_RSRC2:TGID_X_EN: 1
; COMPUTE_PGM_RSRC2:TGID_Y_EN: 0
; COMPUTE_PGM_RSRC2:TGID_Z_EN: 0
; COMPUTE_PGM_RSRC2:TIDIG_COMP_CNT: 0
; COMPUTE_PGM_RSRC3_GFX90A:ACCUM_OFFSET: 5
; COMPUTE_PGM_RSRC3_GFX90A:TG_SPLIT: 0
	.section	.text._ZN2at6native12_GLOBAL__N_125multi_tensor_apply_kernelINS1_18TensorListMetadataILi2EEENS1_14UnaryOpFunctorIhLi2ELi1ELi1EEEJNS0_3AbsIhEEEEEvT_T0_DpT1_,"axG",@progbits,_ZN2at6native12_GLOBAL__N_125multi_tensor_apply_kernelINS1_18TensorListMetadataILi2EEENS1_14UnaryOpFunctorIhLi2ELi1ELi1EEEJNS0_3AbsIhEEEEEvT_T0_DpT1_,comdat
	.globl	_ZN2at6native12_GLOBAL__N_125multi_tensor_apply_kernelINS1_18TensorListMetadataILi2EEENS1_14UnaryOpFunctorIhLi2ELi1ELi1EEEJNS0_3AbsIhEEEEEvT_T0_DpT1_ ; -- Begin function _ZN2at6native12_GLOBAL__N_125multi_tensor_apply_kernelINS1_18TensorListMetadataILi2EEENS1_14UnaryOpFunctorIhLi2ELi1ELi1EEEJNS0_3AbsIhEEEEEvT_T0_DpT1_
	.p2align	8
	.type	_ZN2at6native12_GLOBAL__N_125multi_tensor_apply_kernelINS1_18TensorListMetadataILi2EEENS1_14UnaryOpFunctorIhLi2ELi1ELi1EEEJNS0_3AbsIhEEEEEvT_T0_DpT1_,@function
_ZN2at6native12_GLOBAL__N_125multi_tensor_apply_kernelINS1_18TensorListMetadataILi2EEENS1_14UnaryOpFunctorIhLi2ELi1ELi1EEEJNS0_3AbsIhEEEEEvT_T0_DpT1_: ; @_ZN2at6native12_GLOBAL__N_125multi_tensor_apply_kernelINS1_18TensorListMetadataILi2EEENS1_14UnaryOpFunctorIhLi2ELi1ELi1EEEJNS0_3AbsIhEEEEEvT_T0_DpT1_
; %bb.0:
	v_mov_b32_e32 v1, s6
	global_load_ubyte v1, v1, s[4:5] offset:1536
	s_add_u32 s0, s4, s6
	s_mul_hi_u32 s1, s6, 3
	s_mul_i32 s6, s6, 3
	s_addc_u32 s2, s5, 0
	s_add_u32 s0, s0, s6
	s_addc_u32 s1, s2, s1
	s_load_dword s0, s[0:1], 0x740
	s_waitcnt vmcnt(0)
	v_readfirstlane_b32 s2, v1
	s_lshl_b32 s1, s2, 3
	s_load_dwordx2 s[2:3], s[4:5], s1 offset:0x0
	s_load_dwordx2 s[12:13], s[4:5], s1 offset:0x400
	;; [unrolled: 1-line block ×3, first 2 shown]
	s_waitcnt lgkmcnt(0)
	s_ashr_i32 s1, s0, 31
	s_lshl_b64 s[10:11], s[0:1], 16
	s_add_u32 s8, s2, s10
	s_addc_u32 s9, s3, s11
	s_add_u32 s20, s6, s10
	s_addc_u32 s18, s7, s11
	s_or_b64 s[0:1], s[12:13], s[8:9]
	s_or_b32 s0, s20, s0
	s_and_b32 s0, s0, 3
	s_sub_u32 s12, s12, s10
	s_subb_u32 s13, s13, s11
	s_cmp_eq_u32 s0, 0
	s_mov_b64 s[0:1], -1
	s_cbranch_scc0 .LBB328_5
; %bb.1:
	v_lshlrev_b32_e32 v2, 2, v0
	v_mov_b32_e32 v3, 0
	v_cmp_gt_i64_e32 vcc, s[12:13], v[2:3]
	s_and_saveexec_b64 s[14:15], vcc
	s_cbranch_execz .LBB328_4
; %bb.2:
	s_load_dword s0, s[4:5], 0xc5c
	s_mov_b32 s1, 0
	s_mov_b64 s[16:17], 0
	v_mov_b32_e32 v1, s9
	v_mov_b32_e32 v4, s18
	s_waitcnt lgkmcnt(0)
	s_and_b32 s0, s0, 0xffff
	s_lshl_b32 s9, s0, 2
	v_mov_b32_e32 v5, s1
	s_mov_b64 s[18:19], 0xffff
.LBB328_3:                              ; =>This Inner Loop Header: Depth=1
	v_add_co_u32_e32 v6, vcc, s8, v2
	v_addc_co_u32_e32 v7, vcc, v1, v3, vcc
	global_load_dword v8, v[6:7], off
	v_add_co_u32_e32 v6, vcc, s20, v2
	v_addc_co_u32_e32 v7, vcc, v4, v3, vcc
	v_add_co_u32_e32 v2, vcc, s9, v2
	v_addc_co_u32_e32 v3, vcc, v5, v3, vcc
	v_cmp_le_i64_e32 vcc, s[12:13], v[2:3]
	v_cmp_lt_u64_e64 s[0:1], s[18:19], v[2:3]
	s_or_b64 s[0:1], vcc, s[0:1]
	s_and_b64 s[0:1], exec, s[0:1]
	s_or_b64 s[16:17], s[0:1], s[16:17]
	s_waitcnt vmcnt(0)
	global_store_dword v[6:7], v8, off
	s_andn2_b64 exec, exec, s[16:17]
	s_cbranch_execnz .LBB328_3
.LBB328_4:
	s_or_b64 exec, exec, s[14:15]
	s_mov_b64 s[0:1], 0
.LBB328_5:
	s_andn2_b64 vcc, exec, s[0:1]
	s_cbranch_vccnz .LBB328_25
; %bb.6:
	v_cmp_lt_i64_e64 s[0:1], s[12:13], 1
	s_and_b64 vcc, exec, s[0:1]
	s_cbranch_vccnz .LBB328_25
; %bb.7:
	s_load_dword s0, s[4:5], 0xc5c
	v_mov_b32_e32 v2, 0x10000
	v_mov_b32_e32 v3, 0
	v_cmp_lt_u64_e32 vcc, s[12:13], v[2:3]
	v_mov_b32_e32 v1, s11
	s_waitcnt lgkmcnt(0)
	s_and_b32 s4, s0, 0xffff
	s_and_b64 s[0:1], vcc, exec
	v_add_co_u32_e32 v2, vcc, s10, v0
	v_addc_co_u32_e32 v3, vcc, 0, v1, vcc
	v_mov_b32_e32 v20, s3
	v_add_co_u32_e32 v1, vcc, s2, v2
	s_cselect_b32 s9, s13, 0
	s_cselect_b32 s8, s12, 0x10000
	s_lshl_b32 s5, s4, 1
	s_mul_i32 s0, s4, 3
	s_lshl_b32 s14, s4, 2
	v_addc_co_u32_e32 v4, vcc, v20, v3, vcc
	v_mov_b32_e32 v22, s7
	v_add_co_u32_e32 v5, vcc, s6, v2
	s_add_u32 s1, s10, s0
	v_addc_co_u32_e32 v6, vcc, v22, v3, vcc
	s_addc_u32 s3, s11, 0
	v_mov_b32_e32 v7, s3
	v_add_co_u32_e32 v9, vcc, s1, v0
	v_addc_co_u32_e32 v10, vcc, 0, v7, vcc
	v_add_co_u32_e32 v7, vcc, s2, v9
	v_addc_co_u32_e32 v8, vcc, v20, v10, vcc
	v_add_co_u32_e32 v9, vcc, s6, v9
	v_addc_co_u32_e32 v10, vcc, v22, v10, vcc
	v_add_co_u32_e32 v11, vcc, s0, v0
	v_addc_co_u32_e64 v12, s[0:1], 0, 0, vcc
	s_add_u32 s0, s10, s5
	s_addc_u32 s1, s11, 0
	v_mov_b32_e32 v13, s1
	v_add_co_u32_e32 v15, vcc, s0, v0
	v_addc_co_u32_e32 v16, vcc, 0, v13, vcc
	v_add_co_u32_e32 v13, vcc, s2, v15
	v_addc_co_u32_e32 v14, vcc, v20, v16, vcc
	;; [unrolled: 2-line block ×3, first 2 shown]
	v_add_co_u32_e32 v17, vcc, s5, v0
	v_addc_co_u32_e64 v18, s[0:1], 0, 0, vcc
	v_add_co_u32_e32 v2, vcc, s4, v2
	v_addc_co_u32_e32 v3, vcc, 0, v3, vcc
	v_add_co_u32_e32 v19, vcc, s2, v2
	v_addc_co_u32_e32 v20, vcc, v20, v3, vcc
	;; [unrolled: 2-line block ×3, first 2 shown]
	v_add_co_u32_e32 v23, vcc, s4, v0
	v_addc_co_u32_e64 v24, s[0:1], 0, 0, vcc
	s_mov_b64 s[10:11], 0
	v_pk_mov_b32 v[2:3], s[12:13], s[12:13] op_sel:[0,1]
	s_branch .LBB328_9
.LBB328_8:                              ;   in Loop: Header=BB328_9 Depth=1
	s_or_b64 exec, exec, s[0:1]
	s_add_u32 s10, s10, s14
	s_waitcnt vmcnt(0)
	v_mov_b32_e32 v26, 0xffff
	s_addc_u32 s11, s11, 0
	v_mov_b32_e32 v27, 0
	v_cmp_ge_i64_e32 vcc, s[10:11], v[2:3]
	v_cmp_gt_u64_e64 s[0:1], s[10:11], v[26:27]
	s_or_b64 s[0:1], vcc, s[0:1]
	s_and_b64 vcc, exec, s[0:1]
	s_cbranch_vccnz .LBB328_25
.LBB328_9:                              ; =>This Inner Loop Header: Depth=1
	v_mov_b32_e32 v25, s11
	v_add_co_u32_e32 v26, vcc, s10, v0
	v_addc_co_u32_e32 v27, vcc, 0, v25, vcc
	v_cmp_gt_u64_e32 vcc, s[8:9], v[26:27]
	v_mov_b32_e32 v25, 0
	s_and_saveexec_b64 s[2:3], vcc
	s_cbranch_execz .LBB328_11
; %bb.10:                               ;   in Loop: Header=BB328_9 Depth=1
	v_mov_b32_e32 v25, s11
	v_add_co_u32_e64 v26, s[0:1], s10, v1
	v_addc_co_u32_e64 v27, s[0:1], v4, v25, s[0:1]
	global_load_ubyte v25, v[26:27], off
.LBB328_11:                             ;   in Loop: Header=BB328_9 Depth=1
	s_or_b64 exec, exec, s[2:3]
	v_mov_b32_e32 v27, s11
	v_add_co_u32_e64 v26, s[0:1], s10, v23
	v_addc_co_u32_e64 v27, s[0:1], v24, v27, s[0:1]
	v_cmp_gt_u64_e64 s[0:1], s[8:9], v[26:27]
	v_mov_b32_e32 v27, 0
	s_and_saveexec_b64 s[4:5], s[0:1]
	s_cbranch_execz .LBB328_13
; %bb.12:                               ;   in Loop: Header=BB328_9 Depth=1
	v_mov_b32_e32 v27, s11
	v_add_co_u32_e64 v26, s[2:3], s10, v19
	v_addc_co_u32_e64 v27, s[2:3], v20, v27, s[2:3]
	global_load_ubyte v27, v[26:27], off
.LBB328_13:                             ;   in Loop: Header=BB328_9 Depth=1
	s_or_b64 exec, exec, s[4:5]
	v_mov_b32_e32 v26, s11
	v_add_co_u32_e64 v28, s[2:3], s10, v17
	v_addc_co_u32_e64 v29, s[2:3], v18, v26, s[2:3]
	v_cmp_gt_u64_e64 s[2:3], s[8:9], v[28:29]
	v_mov_b32_e32 v26, 0
	v_mov_b32_e32 v28, 0
	s_and_saveexec_b64 s[6:7], s[2:3]
	s_cbranch_execz .LBB328_15
; %bb.14:                               ;   in Loop: Header=BB328_9 Depth=1
	v_mov_b32_e32 v29, s11
	v_add_co_u32_e64 v28, s[4:5], s10, v13
	v_addc_co_u32_e64 v29, s[4:5], v14, v29, s[4:5]
	global_load_ubyte v28, v[28:29], off
.LBB328_15:                             ;   in Loop: Header=BB328_9 Depth=1
	s_or_b64 exec, exec, s[6:7]
	v_mov_b32_e32 v29, s11
	v_add_co_u32_e64 v30, s[4:5], s10, v11
	v_addc_co_u32_e64 v31, s[4:5], v12, v29, s[4:5]
	v_cmp_gt_u64_e64 s[4:5], s[8:9], v[30:31]
	s_and_saveexec_b64 s[12:13], s[4:5]
	s_cbranch_execnz .LBB328_20
; %bb.16:                               ;   in Loop: Header=BB328_9 Depth=1
	s_or_b64 exec, exec, s[12:13]
	s_and_saveexec_b64 s[6:7], vcc
	s_cbranch_execnz .LBB328_21
.LBB328_17:                             ;   in Loop: Header=BB328_9 Depth=1
	s_or_b64 exec, exec, s[6:7]
	s_and_saveexec_b64 s[6:7], s[0:1]
	s_cbranch_execnz .LBB328_22
.LBB328_18:                             ;   in Loop: Header=BB328_9 Depth=1
	s_or_b64 exec, exec, s[6:7]
	s_and_saveexec_b64 s[0:1], s[2:3]
	s_cbranch_execnz .LBB328_23
.LBB328_19:                             ;   in Loop: Header=BB328_9 Depth=1
	s_or_b64 exec, exec, s[0:1]
	s_and_saveexec_b64 s[0:1], s[4:5]
	s_cbranch_execz .LBB328_8
	s_branch .LBB328_24
.LBB328_20:                             ;   in Loop: Header=BB328_9 Depth=1
	v_mov_b32_e32 v26, s11
	v_add_co_u32_e64 v30, s[6:7], s10, v7
	v_addc_co_u32_e64 v31, s[6:7], v8, v26, s[6:7]
	global_load_ubyte v26, v[30:31], off
	s_or_b64 exec, exec, s[12:13]
	s_and_saveexec_b64 s[6:7], vcc
	s_cbranch_execz .LBB328_17
.LBB328_21:                             ;   in Loop: Header=BB328_9 Depth=1
	v_mov_b32_e32 v29, s11
	v_add_co_u32_e32 v30, vcc, s10, v5
	v_addc_co_u32_e32 v31, vcc, v6, v29, vcc
	s_waitcnt vmcnt(0)
	global_store_byte v[30:31], v25, off
	s_or_b64 exec, exec, s[6:7]
	s_and_saveexec_b64 s[6:7], s[0:1]
	s_cbranch_execz .LBB328_18
.LBB328_22:                             ;   in Loop: Header=BB328_9 Depth=1
	s_waitcnt vmcnt(0)
	v_mov_b32_e32 v25, s11
	v_add_co_u32_e32 v30, vcc, s10, v21
	v_addc_co_u32_e32 v31, vcc, v22, v25, vcc
	global_store_byte v[30:31], v27, off
	s_or_b64 exec, exec, s[6:7]
	s_and_saveexec_b64 s[0:1], s[2:3]
	s_cbranch_execz .LBB328_19
.LBB328_23:                             ;   in Loop: Header=BB328_9 Depth=1
	s_waitcnt vmcnt(0)
	v_mov_b32_e32 v25, s11
	v_add_co_u32_e32 v30, vcc, s10, v15
	v_addc_co_u32_e32 v31, vcc, v16, v25, vcc
	global_store_byte v[30:31], v28, off
	s_or_b64 exec, exec, s[0:1]
	s_and_saveexec_b64 s[0:1], s[4:5]
	s_cbranch_execz .LBB328_8
.LBB328_24:                             ;   in Loop: Header=BB328_9 Depth=1
	s_waitcnt vmcnt(0)
	v_mov_b32_e32 v25, s11
	v_add_co_u32_e32 v28, vcc, s10, v9
	v_addc_co_u32_e32 v29, vcc, v10, v25, vcc
	global_store_byte v[28:29], v26, off
	s_branch .LBB328_8
.LBB328_25:
	s_endpgm
	.section	.rodata,"a",@progbits
	.p2align	6, 0x0
	.amdhsa_kernel _ZN2at6native12_GLOBAL__N_125multi_tensor_apply_kernelINS1_18TensorListMetadataILi2EEENS1_14UnaryOpFunctorIhLi2ELi1ELi1EEEJNS0_3AbsIhEEEEEvT_T0_DpT1_
		.amdhsa_group_segment_fixed_size 0
		.amdhsa_private_segment_fixed_size 0
		.amdhsa_kernarg_size 3408
		.amdhsa_user_sgpr_count 6
		.amdhsa_user_sgpr_private_segment_buffer 1
		.amdhsa_user_sgpr_dispatch_ptr 0
		.amdhsa_user_sgpr_queue_ptr 0
		.amdhsa_user_sgpr_kernarg_segment_ptr 1
		.amdhsa_user_sgpr_dispatch_id 0
		.amdhsa_user_sgpr_flat_scratch_init 0
		.amdhsa_user_sgpr_kernarg_preload_length 0
		.amdhsa_user_sgpr_kernarg_preload_offset 0
		.amdhsa_user_sgpr_private_segment_size 0
		.amdhsa_uses_dynamic_stack 0
		.amdhsa_system_sgpr_private_segment_wavefront_offset 0
		.amdhsa_system_sgpr_workgroup_id_x 1
		.amdhsa_system_sgpr_workgroup_id_y 0
		.amdhsa_system_sgpr_workgroup_id_z 0
		.amdhsa_system_sgpr_workgroup_info 0
		.amdhsa_system_vgpr_workitem_id 0
		.amdhsa_next_free_vgpr 32
		.amdhsa_next_free_sgpr 21
		.amdhsa_accum_offset 32
		.amdhsa_reserve_vcc 1
		.amdhsa_reserve_flat_scratch 0
		.amdhsa_float_round_mode_32 0
		.amdhsa_float_round_mode_16_64 0
		.amdhsa_float_denorm_mode_32 3
		.amdhsa_float_denorm_mode_16_64 3
		.amdhsa_dx10_clamp 1
		.amdhsa_ieee_mode 1
		.amdhsa_fp16_overflow 0
		.amdhsa_tg_split 0
		.amdhsa_exception_fp_ieee_invalid_op 0
		.amdhsa_exception_fp_denorm_src 0
		.amdhsa_exception_fp_ieee_div_zero 0
		.amdhsa_exception_fp_ieee_overflow 0
		.amdhsa_exception_fp_ieee_underflow 0
		.amdhsa_exception_fp_ieee_inexact 0
		.amdhsa_exception_int_div_zero 0
	.end_amdhsa_kernel
	.section	.text._ZN2at6native12_GLOBAL__N_125multi_tensor_apply_kernelINS1_18TensorListMetadataILi2EEENS1_14UnaryOpFunctorIhLi2ELi1ELi1EEEJNS0_3AbsIhEEEEEvT_T0_DpT1_,"axG",@progbits,_ZN2at6native12_GLOBAL__N_125multi_tensor_apply_kernelINS1_18TensorListMetadataILi2EEENS1_14UnaryOpFunctorIhLi2ELi1ELi1EEEJNS0_3AbsIhEEEEEvT_T0_DpT1_,comdat
.Lfunc_end328:
	.size	_ZN2at6native12_GLOBAL__N_125multi_tensor_apply_kernelINS1_18TensorListMetadataILi2EEENS1_14UnaryOpFunctorIhLi2ELi1ELi1EEEJNS0_3AbsIhEEEEEvT_T0_DpT1_, .Lfunc_end328-_ZN2at6native12_GLOBAL__N_125multi_tensor_apply_kernelINS1_18TensorListMetadataILi2EEENS1_14UnaryOpFunctorIhLi2ELi1ELi1EEEJNS0_3AbsIhEEEEEvT_T0_DpT1_
                                        ; -- End function
	.section	.AMDGPU.csdata,"",@progbits
; Kernel info:
; codeLenInByte = 1096
; NumSgprs: 25
; NumVgprs: 32
; NumAgprs: 0
; TotalNumVgprs: 32
; ScratchSize: 0
; MemoryBound: 0
; FloatMode: 240
; IeeeMode: 1
; LDSByteSize: 0 bytes/workgroup (compile time only)
; SGPRBlocks: 3
; VGPRBlocks: 3
; NumSGPRsForWavesPerEU: 25
; NumVGPRsForWavesPerEU: 32
; AccumOffset: 32
; Occupancy: 8
; WaveLimiterHint : 0
; COMPUTE_PGM_RSRC2:SCRATCH_EN: 0
; COMPUTE_PGM_RSRC2:USER_SGPR: 6
; COMPUTE_PGM_RSRC2:TRAP_HANDLER: 0
; COMPUTE_PGM_RSRC2:TGID_X_EN: 1
; COMPUTE_PGM_RSRC2:TGID_Y_EN: 0
; COMPUTE_PGM_RSRC2:TGID_Z_EN: 0
; COMPUTE_PGM_RSRC2:TIDIG_COMP_CNT: 0
; COMPUTE_PGM_RSRC3_GFX90A:ACCUM_OFFSET: 7
; COMPUTE_PGM_RSRC3_GFX90A:TG_SPLIT: 0
	.section	.text._ZN2at6native12_GLOBAL__N_125multi_tensor_apply_kernelINS1_18TensorListMetadataILi2EEENS1_14UnaryOpFunctorIaLi2ELi1ELi1EEEJNS0_3AbsIaEEEEEvT_T0_DpT1_,"axG",@progbits,_ZN2at6native12_GLOBAL__N_125multi_tensor_apply_kernelINS1_18TensorListMetadataILi2EEENS1_14UnaryOpFunctorIaLi2ELi1ELi1EEEJNS0_3AbsIaEEEEEvT_T0_DpT1_,comdat
	.globl	_ZN2at6native12_GLOBAL__N_125multi_tensor_apply_kernelINS1_18TensorListMetadataILi2EEENS1_14UnaryOpFunctorIaLi2ELi1ELi1EEEJNS0_3AbsIaEEEEEvT_T0_DpT1_ ; -- Begin function _ZN2at6native12_GLOBAL__N_125multi_tensor_apply_kernelINS1_18TensorListMetadataILi2EEENS1_14UnaryOpFunctorIaLi2ELi1ELi1EEEJNS0_3AbsIaEEEEEvT_T0_DpT1_
	.p2align	8
	.type	_ZN2at6native12_GLOBAL__N_125multi_tensor_apply_kernelINS1_18TensorListMetadataILi2EEENS1_14UnaryOpFunctorIaLi2ELi1ELi1EEEJNS0_3AbsIaEEEEEvT_T0_DpT1_,@function
_ZN2at6native12_GLOBAL__N_125multi_tensor_apply_kernelINS1_18TensorListMetadataILi2EEENS1_14UnaryOpFunctorIaLi2ELi1ELi1EEEJNS0_3AbsIaEEEEEvT_T0_DpT1_: ; @_ZN2at6native12_GLOBAL__N_125multi_tensor_apply_kernelINS1_18TensorListMetadataILi2EEENS1_14UnaryOpFunctorIaLi2ELi1ELi1EEEJNS0_3AbsIaEEEEEvT_T0_DpT1_
; %bb.0:
	v_mov_b32_e32 v1, s6
	global_load_ubyte v1, v1, s[4:5] offset:1536
	s_add_u32 s0, s4, s6
	s_mul_hi_u32 s1, s6, 3
	s_mul_i32 s6, s6, 3
	s_addc_u32 s2, s5, 0
	s_add_u32 s0, s0, s6
	s_addc_u32 s1, s2, s1
	s_load_dword s0, s[0:1], 0x740
	s_waitcnt vmcnt(0)
	v_readfirstlane_b32 s2, v1
	s_lshl_b32 s1, s2, 3
	s_load_dwordx2 s[2:3], s[4:5], s1 offset:0x0
	s_load_dwordx2 s[12:13], s[4:5], s1 offset:0x400
	s_load_dwordx2 s[6:7], s[4:5], s1 offset:0x200
	s_waitcnt lgkmcnt(0)
	s_ashr_i32 s1, s0, 31
	s_lshl_b64 s[10:11], s[0:1], 16
	s_add_u32 s8, s2, s10
	s_addc_u32 s9, s3, s11
	s_add_u32 s20, s6, s10
	s_addc_u32 s18, s7, s11
	s_or_b64 s[0:1], s[12:13], s[8:9]
	s_or_b32 s0, s20, s0
	s_and_b32 s0, s0, 3
	s_sub_u32 s12, s12, s10
	s_subb_u32 s13, s13, s11
	s_cmp_eq_u32 s0, 0
	s_mov_b64 s[0:1], -1
	s_cbranch_scc0 .LBB329_5
; %bb.1:
	v_lshlrev_b32_e32 v2, 2, v0
	v_mov_b32_e32 v3, 0
	v_cmp_gt_i64_e32 vcc, s[12:13], v[2:3]
	s_and_saveexec_b64 s[14:15], vcc
	s_cbranch_execz .LBB329_4
; %bb.2:
	s_load_dword s0, s[4:5], 0xc5c
	s_mov_b32 s1, 0
	s_mov_b64 s[16:17], 0
	v_mov_b32_e32 v1, s9
	v_mov_b32_e32 v6, s18
	s_waitcnt lgkmcnt(0)
	s_and_b32 s0, s0, 0xffff
	s_lshl_b32 s9, s0, 2
	v_mov_b32_e32 v7, s1
	s_mov_b64 s[18:19], 0xffff
	v_pk_mov_b32 v[4:5], v[2:3], v[2:3] op_sel:[0,1]
.LBB329_3:                              ; =>This Inner Loop Header: Depth=1
	v_add_co_u32_e32 v8, vcc, s8, v4
	v_addc_co_u32_e32 v9, vcc, v1, v5, vcc
	global_load_dword v2, v[8:9], off
	v_add_co_u32_e32 v8, vcc, s20, v4
	v_addc_co_u32_e32 v9, vcc, v6, v5, vcc
	v_add_co_u32_e32 v4, vcc, s9, v4
	v_addc_co_u32_e32 v5, vcc, v7, v5, vcc
	v_cmp_le_i64_e32 vcc, s[12:13], v[4:5]
	v_cmp_lt_u64_e64 s[0:1], s[18:19], v[4:5]
	s_or_b64 s[0:1], vcc, s[0:1]
	s_and_b64 s[0:1], exec, s[0:1]
	s_or_b64 s[16:17], s[0:1], s[16:17]
	s_waitcnt vmcnt(0)
	v_lshrrev_b32_e32 v10, 16, v2
	v_lshrrev_b32_e32 v11, 24, v2
	v_sub_u16_sdwa v13, v3, sext(v2) dst_sel:DWORD dst_unused:UNUSED_PAD src0_sel:DWORD src1_sel:BYTE_1
	v_sub_u16_sdwa v14, v3, sext(v10) dst_sel:DWORD dst_unused:UNUSED_PAD src0_sel:DWORD src1_sel:BYTE_0
	v_sub_u16_sdwa v15, v3, sext(v11) dst_sel:DWORD dst_unused:UNUSED_PAD src0_sel:DWORD src1_sel:BYTE_0
	;; [unrolled: 1-line block ×3, first 2 shown]
	v_max_i16_sdwa v13, sext(v2), v13 dst_sel:DWORD dst_unused:UNUSED_PAD src0_sel:BYTE_1 src1_sel:DWORD
	v_max_i16_sdwa v10, sext(v10), v14 dst_sel:WORD_1 dst_unused:UNUSED_PAD src0_sel:BYTE_0 src1_sel:DWORD
	v_max_i16_sdwa v11, sext(v11), v15 dst_sel:DWORD dst_unused:UNUSED_PAD src0_sel:BYTE_0 src1_sel:DWORD
	v_max_i16_sdwa v2, sext(v2), v12 dst_sel:DWORD dst_unused:UNUSED_PAD src0_sel:BYTE_0 src1_sel:DWORD
	v_lshlrev_b32_e32 v12, 8, v13
	v_lshl_or_b32 v10, v11, 24, v10
	v_or3_b32 v2, v10, v12, v2
	global_store_dword v[8:9], v2, off
	s_andn2_b64 exec, exec, s[16:17]
	s_cbranch_execnz .LBB329_3
.LBB329_4:
	s_or_b64 exec, exec, s[14:15]
	s_mov_b64 s[0:1], 0
.LBB329_5:
	s_andn2_b64 vcc, exec, s[0:1]
	s_cbranch_vccnz .LBB329_25
; %bb.6:
	v_cmp_lt_i64_e64 s[0:1], s[12:13], 1
	s_and_b64 vcc, exec, s[0:1]
	s_cbranch_vccnz .LBB329_25
; %bb.7:
	s_load_dword s0, s[4:5], 0xc5c
	v_mov_b32_e32 v2, 0x10000
	v_mov_b32_e32 v3, 0
	v_cmp_lt_u64_e32 vcc, s[12:13], v[2:3]
	v_mov_b32_e32 v2, s11
	s_waitcnt lgkmcnt(0)
	s_and_b32 s4, s0, 0xffff
	s_and_b64 s[0:1], vcc, exec
	v_add_co_u32_e32 v3, vcc, s10, v0
	v_addc_co_u32_e32 v2, vcc, 0, v2, vcc
	v_mov_b32_e32 v21, s3
	v_add_co_u32_e32 v4, vcc, s2, v3
	s_cselect_b32 s9, s13, 0
	s_cselect_b32 s8, s12, 0x10000
	s_lshl_b32 s5, s4, 1
	s_mul_i32 s0, s4, 3
	s_lshl_b32 s14, s4, 2
	v_addc_co_u32_e32 v5, vcc, v21, v2, vcc
	v_mov_b32_e32 v23, s7
	v_add_co_u32_e32 v6, vcc, s6, v3
	s_add_u32 s1, s10, s0
	v_addc_co_u32_e32 v7, vcc, v23, v2, vcc
	s_addc_u32 s3, s11, 0
	v_mov_b32_e32 v8, s3
	v_add_co_u32_e32 v10, vcc, s1, v0
	v_addc_co_u32_e32 v11, vcc, 0, v8, vcc
	v_add_co_u32_e32 v8, vcc, s2, v10
	v_addc_co_u32_e32 v9, vcc, v21, v11, vcc
	;; [unrolled: 2-line block ×3, first 2 shown]
	v_add_co_u32_e32 v12, vcc, s0, v0
	v_addc_co_u32_e64 v13, s[0:1], 0, 0, vcc
	s_add_u32 s0, s10, s5
	s_addc_u32 s1, s11, 0
	v_mov_b32_e32 v14, s1
	v_add_co_u32_e32 v16, vcc, s0, v0
	v_addc_co_u32_e32 v17, vcc, 0, v14, vcc
	v_add_co_u32_e32 v14, vcc, s2, v16
	v_addc_co_u32_e32 v15, vcc, v21, v17, vcc
	;; [unrolled: 2-line block ×3, first 2 shown]
	v_add_co_u32_e32 v18, vcc, s5, v0
	v_addc_co_u32_e64 v19, s[0:1], 0, 0, vcc
	v_add_co_u32_e32 v3, vcc, s4, v3
	v_addc_co_u32_e32 v2, vcc, 0, v2, vcc
	v_add_co_u32_e32 v20, vcc, s2, v3
	v_addc_co_u32_e32 v21, vcc, v21, v2, vcc
	;; [unrolled: 2-line block ×3, first 2 shown]
	v_add_co_u32_e32 v24, vcc, s4, v0
	v_mov_b32_e32 v1, 0
	v_addc_co_u32_e64 v25, s[0:1], 0, 0, vcc
	s_mov_b64 s[10:11], 0
	v_pk_mov_b32 v[2:3], s[12:13], s[12:13] op_sel:[0,1]
	s_branch .LBB329_9
.LBB329_8:                              ;   in Loop: Header=BB329_9 Depth=1
	s_or_b64 exec, exec, s[0:1]
	s_add_u32 s10, s10, s14
	s_waitcnt vmcnt(0)
	v_mov_b32_e32 v26, 0xffff
	s_addc_u32 s11, s11, 0
	v_mov_b32_e32 v27, 0
	v_cmp_ge_i64_e32 vcc, s[10:11], v[2:3]
	v_cmp_gt_u64_e64 s[0:1], s[10:11], v[26:27]
	s_or_b64 s[0:1], vcc, s[0:1]
	s_and_b64 vcc, exec, s[0:1]
	s_cbranch_vccnz .LBB329_25
.LBB329_9:                              ; =>This Inner Loop Header: Depth=1
	v_mov_b32_e32 v27, s11
	v_add_co_u32_e32 v26, vcc, s10, v0
	v_addc_co_u32_e32 v27, vcc, 0, v27, vcc
	v_cmp_gt_u64_e32 vcc, s[8:9], v[26:27]
	v_mov_b32_e32 v26, 0
	s_and_saveexec_b64 s[2:3], vcc
	s_cbranch_execz .LBB329_11
; %bb.10:                               ;   in Loop: Header=BB329_9 Depth=1
	v_mov_b32_e32 v27, s11
	v_add_co_u32_e64 v26, s[0:1], s10, v4
	v_addc_co_u32_e64 v27, s[0:1], v5, v27, s[0:1]
	global_load_ubyte v26, v[26:27], off
.LBB329_11:                             ;   in Loop: Header=BB329_9 Depth=1
	s_or_b64 exec, exec, s[2:3]
	v_mov_b32_e32 v27, s11
	v_add_co_u32_e64 v28, s[0:1], s10, v24
	v_addc_co_u32_e64 v29, s[0:1], v25, v27, s[0:1]
	v_cmp_gt_u64_e64 s[0:1], s[8:9], v[28:29]
	v_mov_b32_e32 v28, 0
	s_and_saveexec_b64 s[4:5], s[0:1]
	s_cbranch_execz .LBB329_13
; %bb.12:                               ;   in Loop: Header=BB329_9 Depth=1
	v_mov_b32_e32 v27, s11
	v_add_co_u32_e64 v28, s[2:3], s10, v20
	v_addc_co_u32_e64 v29, s[2:3], v21, v27, s[2:3]
	global_load_ubyte v28, v[28:29], off
.LBB329_13:                             ;   in Loop: Header=BB329_9 Depth=1
	s_or_b64 exec, exec, s[4:5]
	v_mov_b32_e32 v27, s11
	v_add_co_u32_e64 v30, s[2:3], s10, v18
	v_addc_co_u32_e64 v31, s[2:3], v19, v27, s[2:3]
	v_cmp_gt_u64_e64 s[2:3], s[8:9], v[30:31]
	v_mov_b32_e32 v27, 0
	v_mov_b32_e32 v29, 0
	s_and_saveexec_b64 s[6:7], s[2:3]
	s_cbranch_execz .LBB329_15
; %bb.14:                               ;   in Loop: Header=BB329_9 Depth=1
	v_mov_b32_e32 v29, s11
	v_add_co_u32_e64 v30, s[4:5], s10, v14
	v_addc_co_u32_e64 v31, s[4:5], v15, v29, s[4:5]
	global_load_ubyte v29, v[30:31], off
.LBB329_15:                             ;   in Loop: Header=BB329_9 Depth=1
	s_or_b64 exec, exec, s[6:7]
	v_mov_b32_e32 v31, s11
	v_add_co_u32_e64 v30, s[4:5], s10, v12
	v_addc_co_u32_e64 v31, s[4:5], v13, v31, s[4:5]
	v_cmp_gt_u64_e64 s[4:5], s[8:9], v[30:31]
	s_and_saveexec_b64 s[12:13], s[4:5]
	s_cbranch_execnz .LBB329_20
; %bb.16:                               ;   in Loop: Header=BB329_9 Depth=1
	s_or_b64 exec, exec, s[12:13]
	s_and_saveexec_b64 s[6:7], vcc
	s_cbranch_execnz .LBB329_21
.LBB329_17:                             ;   in Loop: Header=BB329_9 Depth=1
	s_or_b64 exec, exec, s[6:7]
	s_and_saveexec_b64 s[6:7], s[0:1]
	s_cbranch_execnz .LBB329_22
.LBB329_18:                             ;   in Loop: Header=BB329_9 Depth=1
	s_or_b64 exec, exec, s[6:7]
	s_and_saveexec_b64 s[0:1], s[2:3]
	s_cbranch_execnz .LBB329_23
.LBB329_19:                             ;   in Loop: Header=BB329_9 Depth=1
	s_or_b64 exec, exec, s[0:1]
	s_and_saveexec_b64 s[0:1], s[4:5]
	s_cbranch_execz .LBB329_8
	s_branch .LBB329_24
.LBB329_20:                             ;   in Loop: Header=BB329_9 Depth=1
	v_mov_b32_e32 v27, s11
	v_add_co_u32_e64 v30, s[6:7], s10, v8
	v_addc_co_u32_e64 v31, s[6:7], v9, v27, s[6:7]
	global_load_ubyte v27, v[30:31], off
	s_or_b64 exec, exec, s[12:13]
	s_and_saveexec_b64 s[6:7], vcc
	s_cbranch_execz .LBB329_17
.LBB329_21:                             ;   in Loop: Header=BB329_9 Depth=1
	v_mov_b32_e32 v31, s11
	v_add_co_u32_e32 v30, vcc, s10, v6
	s_waitcnt vmcnt(0)
	v_sub_u16_sdwa v32, v1, sext(v26) dst_sel:DWORD dst_unused:UNUSED_PAD src0_sel:DWORD src1_sel:BYTE_0
	v_addc_co_u32_e32 v31, vcc, v7, v31, vcc
	v_max_i16_sdwa v26, sext(v26), v32 dst_sel:DWORD dst_unused:UNUSED_PAD src0_sel:BYTE_0 src1_sel:DWORD
	global_store_byte v[30:31], v26, off
	s_or_b64 exec, exec, s[6:7]
	s_and_saveexec_b64 s[6:7], s[0:1]
	s_cbranch_execz .LBB329_18
.LBB329_22:                             ;   in Loop: Header=BB329_9 Depth=1
	s_waitcnt vmcnt(0)
	v_sub_u16_sdwa v26, v1, sext(v28) dst_sel:DWORD dst_unused:UNUSED_PAD src0_sel:DWORD src1_sel:BYTE_0
	v_max_i16_sdwa v26, sext(v28), v26 dst_sel:DWORD dst_unused:UNUSED_PAD src0_sel:BYTE_0 src1_sel:DWORD
	v_mov_b32_e32 v28, s11
	v_add_co_u32_e32 v30, vcc, s10, v22
	v_addc_co_u32_e32 v31, vcc, v23, v28, vcc
	global_store_byte v[30:31], v26, off
	s_or_b64 exec, exec, s[6:7]
	s_and_saveexec_b64 s[0:1], s[2:3]
	s_cbranch_execz .LBB329_19
.LBB329_23:                             ;   in Loop: Header=BB329_9 Depth=1
	s_waitcnt vmcnt(0)
	v_sub_u16_sdwa v26, v1, sext(v29) dst_sel:DWORD dst_unused:UNUSED_PAD src0_sel:DWORD src1_sel:BYTE_0
	v_max_i16_sdwa v26, sext(v29), v26 dst_sel:DWORD dst_unused:UNUSED_PAD src0_sel:BYTE_0 src1_sel:DWORD
	v_mov_b32_e32 v29, s11
	v_add_co_u32_e32 v28, vcc, s10, v16
	v_addc_co_u32_e32 v29, vcc, v17, v29, vcc
	global_store_byte v[28:29], v26, off
	s_or_b64 exec, exec, s[0:1]
	s_and_saveexec_b64 s[0:1], s[4:5]
	s_cbranch_execz .LBB329_8
.LBB329_24:                             ;   in Loop: Header=BB329_9 Depth=1
	s_waitcnt vmcnt(0)
	v_sub_u16_sdwa v26, v1, sext(v27) dst_sel:DWORD dst_unused:UNUSED_PAD src0_sel:DWORD src1_sel:BYTE_0
	v_max_i16_sdwa v28, sext(v27), v26 dst_sel:DWORD dst_unused:UNUSED_PAD src0_sel:BYTE_0 src1_sel:DWORD
	v_mov_b32_e32 v27, s11
	v_add_co_u32_e32 v26, vcc, s10, v10
	v_addc_co_u32_e32 v27, vcc, v11, v27, vcc
	global_store_byte v[26:27], v28, off
	s_branch .LBB329_8
.LBB329_25:
	s_endpgm
	.section	.rodata,"a",@progbits
	.p2align	6, 0x0
	.amdhsa_kernel _ZN2at6native12_GLOBAL__N_125multi_tensor_apply_kernelINS1_18TensorListMetadataILi2EEENS1_14UnaryOpFunctorIaLi2ELi1ELi1EEEJNS0_3AbsIaEEEEEvT_T0_DpT1_
		.amdhsa_group_segment_fixed_size 0
		.amdhsa_private_segment_fixed_size 0
		.amdhsa_kernarg_size 3408
		.amdhsa_user_sgpr_count 6
		.amdhsa_user_sgpr_private_segment_buffer 1
		.amdhsa_user_sgpr_dispatch_ptr 0
		.amdhsa_user_sgpr_queue_ptr 0
		.amdhsa_user_sgpr_kernarg_segment_ptr 1
		.amdhsa_user_sgpr_dispatch_id 0
		.amdhsa_user_sgpr_flat_scratch_init 0
		.amdhsa_user_sgpr_kernarg_preload_length 0
		.amdhsa_user_sgpr_kernarg_preload_offset 0
		.amdhsa_user_sgpr_private_segment_size 0
		.amdhsa_uses_dynamic_stack 0
		.amdhsa_system_sgpr_private_segment_wavefront_offset 0
		.amdhsa_system_sgpr_workgroup_id_x 1
		.amdhsa_system_sgpr_workgroup_id_y 0
		.amdhsa_system_sgpr_workgroup_id_z 0
		.amdhsa_system_sgpr_workgroup_info 0
		.amdhsa_system_vgpr_workitem_id 0
		.amdhsa_next_free_vgpr 33
		.amdhsa_next_free_sgpr 21
		.amdhsa_accum_offset 36
		.amdhsa_reserve_vcc 1
		.amdhsa_reserve_flat_scratch 0
		.amdhsa_float_round_mode_32 0
		.amdhsa_float_round_mode_16_64 0
		.amdhsa_float_denorm_mode_32 3
		.amdhsa_float_denorm_mode_16_64 3
		.amdhsa_dx10_clamp 1
		.amdhsa_ieee_mode 1
		.amdhsa_fp16_overflow 0
		.amdhsa_tg_split 0
		.amdhsa_exception_fp_ieee_invalid_op 0
		.amdhsa_exception_fp_denorm_src 0
		.amdhsa_exception_fp_ieee_div_zero 0
		.amdhsa_exception_fp_ieee_overflow 0
		.amdhsa_exception_fp_ieee_underflow 0
		.amdhsa_exception_fp_ieee_inexact 0
		.amdhsa_exception_int_div_zero 0
	.end_amdhsa_kernel
	.section	.text._ZN2at6native12_GLOBAL__N_125multi_tensor_apply_kernelINS1_18TensorListMetadataILi2EEENS1_14UnaryOpFunctorIaLi2ELi1ELi1EEEJNS0_3AbsIaEEEEEvT_T0_DpT1_,"axG",@progbits,_ZN2at6native12_GLOBAL__N_125multi_tensor_apply_kernelINS1_18TensorListMetadataILi2EEENS1_14UnaryOpFunctorIaLi2ELi1ELi1EEEJNS0_3AbsIaEEEEEvT_T0_DpT1_,comdat
.Lfunc_end329:
	.size	_ZN2at6native12_GLOBAL__N_125multi_tensor_apply_kernelINS1_18TensorListMetadataILi2EEENS1_14UnaryOpFunctorIaLi2ELi1ELi1EEEJNS0_3AbsIaEEEEEvT_T0_DpT1_, .Lfunc_end329-_ZN2at6native12_GLOBAL__N_125multi_tensor_apply_kernelINS1_18TensorListMetadataILi2EEENS1_14UnaryOpFunctorIaLi2ELi1ELi1EEEJNS0_3AbsIaEEEEEvT_T0_DpT1_
                                        ; -- End function
	.section	.AMDGPU.csdata,"",@progbits
; Kernel info:
; codeLenInByte = 1264
; NumSgprs: 25
; NumVgprs: 33
; NumAgprs: 0
; TotalNumVgprs: 33
; ScratchSize: 0
; MemoryBound: 0
; FloatMode: 240
; IeeeMode: 1
; LDSByteSize: 0 bytes/workgroup (compile time only)
; SGPRBlocks: 3
; VGPRBlocks: 4
; NumSGPRsForWavesPerEU: 25
; NumVGPRsForWavesPerEU: 33
; AccumOffset: 36
; Occupancy: 8
; WaveLimiterHint : 0
; COMPUTE_PGM_RSRC2:SCRATCH_EN: 0
; COMPUTE_PGM_RSRC2:USER_SGPR: 6
; COMPUTE_PGM_RSRC2:TRAP_HANDLER: 0
; COMPUTE_PGM_RSRC2:TGID_X_EN: 1
; COMPUTE_PGM_RSRC2:TGID_Y_EN: 0
; COMPUTE_PGM_RSRC2:TGID_Z_EN: 0
; COMPUTE_PGM_RSRC2:TIDIG_COMP_CNT: 0
; COMPUTE_PGM_RSRC3_GFX90A:ACCUM_OFFSET: 8
; COMPUTE_PGM_RSRC3_GFX90A:TG_SPLIT: 0
	.section	.text._ZN2at6native12_GLOBAL__N_125multi_tensor_apply_kernelINS1_18TensorListMetadataILi2EEENS1_14UnaryOpFunctorIiLi2ELi1ELi1EEEJNS0_3AbsIiEEEEEvT_T0_DpT1_,"axG",@progbits,_ZN2at6native12_GLOBAL__N_125multi_tensor_apply_kernelINS1_18TensorListMetadataILi2EEENS1_14UnaryOpFunctorIiLi2ELi1ELi1EEEJNS0_3AbsIiEEEEEvT_T0_DpT1_,comdat
	.globl	_ZN2at6native12_GLOBAL__N_125multi_tensor_apply_kernelINS1_18TensorListMetadataILi2EEENS1_14UnaryOpFunctorIiLi2ELi1ELi1EEEJNS0_3AbsIiEEEEEvT_T0_DpT1_ ; -- Begin function _ZN2at6native12_GLOBAL__N_125multi_tensor_apply_kernelINS1_18TensorListMetadataILi2EEENS1_14UnaryOpFunctorIiLi2ELi1ELi1EEEJNS0_3AbsIiEEEEEvT_T0_DpT1_
	.p2align	8
	.type	_ZN2at6native12_GLOBAL__N_125multi_tensor_apply_kernelINS1_18TensorListMetadataILi2EEENS1_14UnaryOpFunctorIiLi2ELi1ELi1EEEJNS0_3AbsIiEEEEEvT_T0_DpT1_,@function
_ZN2at6native12_GLOBAL__N_125multi_tensor_apply_kernelINS1_18TensorListMetadataILi2EEENS1_14UnaryOpFunctorIiLi2ELi1ELi1EEEJNS0_3AbsIiEEEEEvT_T0_DpT1_: ; @_ZN2at6native12_GLOBAL__N_125multi_tensor_apply_kernelINS1_18TensorListMetadataILi2EEENS1_14UnaryOpFunctorIiLi2ELi1ELi1EEEJNS0_3AbsIiEEEEEvT_T0_DpT1_
; %bb.0:
	v_mov_b32_e32 v1, s6
	global_load_ubyte v1, v1, s[4:5] offset:1536
	s_add_u32 s0, s4, s6
	s_mul_hi_u32 s2, s6, 3
	s_mul_i32 s6, s6, 3
	s_addc_u32 s7, s5, 0
	s_add_u32 s8, s0, s6
	s_addc_u32 s9, s7, s2
	s_mov_b32 s1, 0
	s_mov_b32 s17, s1
	;; [unrolled: 1-line block ×3, first 2 shown]
	s_waitcnt vmcnt(0)
	v_readfirstlane_b32 s0, v1
	s_lshl_b32 s0, s0, 3
	s_load_dword s10, s[8:9], 0x740
	s_load_dwordx2 s[14:15], s[4:5], s0 offset:0x0
	s_load_dwordx2 s[12:13], s[4:5], s0 offset:0x400
	;; [unrolled: 1-line block ×3, first 2 shown]
	s_waitcnt lgkmcnt(0)
	s_ashr_i32 s11, s10, 31
	s_and_b32 s0, s14, 15
	s_and_b32 s16, s12, 3
	;; [unrolled: 1-line block ×3, first 2 shown]
	s_or_b64 s[16:17], s[0:1], s[16:17]
	s_lshl_b64 s[8:9], s[10:11], 18
	s_or_b64 s[2:3], s[2:3], s[16:17]
	s_lshl_b64 s[10:11], s[10:11], 16
	s_sub_u32 s10, s12, s10
	s_subb_u32 s11, s13, s11
	s_cmp_eq_u64 s[2:3], 0
	s_mov_b64 s[2:3], -1
	s_cbranch_scc0 .LBB330_5
; %bb.1:
	v_mov_b32_e32 v3, 0
	v_lshlrev_b32_e32 v2, 2, v0
	v_cmp_gt_i64_e32 vcc, s[10:11], v[2:3]
	s_and_saveexec_b64 s[12:13], vcc
	s_cbranch_execz .LBB330_4
; %bb.2:
	s_load_dword s0, s[4:5], 0xc5c
	v_lshlrev_b32_e32 v1, 4, v0
	v_mov_b32_e32 v4, s9
	v_add_co_u32_e32 v1, vcc, s8, v1
	v_addc_co_u32_e32 v5, vcc, 0, v4, vcc
	s_waitcnt lgkmcnt(0)
	s_and_b32 s0, s0, 0xffff
	v_add_co_u32_e32 v4, vcc, 8, v1
	v_add_lshl_u32 v2, v0, s0, 2
	s_lshl_b32 s20, s0, 2
	v_addc_co_u32_e32 v1, vcc, 0, v5, vcc
	s_lshl_b32 s21, s0, 4
	s_mov_b64 s[16:17], 0
	v_mov_b32_e32 v5, s15
	v_mov_b32_e32 v6, s7
	s_mov_b64 s[18:19], 0xffff
	v_mov_b32_e32 v7, s1
	v_mov_b32_e32 v8, s1
.LBB330_3:                              ; =>This Inner Loop Header: Depth=1
	v_add_co_u32_e32 v10, vcc, s14, v4
	v_addc_co_u32_e32 v11, vcc, v5, v1, vcc
	global_load_dwordx4 v[10:13], v[10:11], off offset:-8
	v_add_co_u32_e32 v14, vcc, s6, v4
	v_addc_co_u32_e32 v15, vcc, v6, v1, vcc
	v_cmp_le_i64_e32 vcc, s[10:11], v[2:3]
	v_cmp_lt_u64_e64 s[0:1], s[18:19], v[2:3]
	v_add_co_u32_e64 v2, s[2:3], s20, v2
	v_addc_co_u32_e64 v3, s[2:3], v3, v7, s[2:3]
	s_or_b64 s[0:1], vcc, s[0:1]
	v_add_co_u32_e64 v4, s[2:3], s21, v4
	s_and_b64 s[0:1], exec, s[0:1]
	v_addc_co_u32_e64 v1, s[2:3], v1, v8, s[2:3]
	s_or_b64 s[16:17], s[0:1], s[16:17]
	s_waitcnt vmcnt(0)
	v_sub_u32_e32 v9, 0, v11
	v_sub_u32_e32 v16, 0, v10
	v_sub_u32_e32 v17, 0, v13
	v_sub_u32_e32 v18, 0, v12
	v_max_i32_e32 v11, v11, v9
	v_max_i32_e32 v10, v10, v16
	;; [unrolled: 1-line block ×4, first 2 shown]
	global_store_dwordx4 v[14:15], v[10:13], off offset:-8
	s_andn2_b64 exec, exec, s[16:17]
	s_cbranch_execnz .LBB330_3
.LBB330_4:
	s_or_b64 exec, exec, s[12:13]
	s_mov_b64 s[2:3], 0
.LBB330_5:
	s_andn2_b64 vcc, exec, s[2:3]
	s_cbranch_vccnz .LBB330_25
; %bb.6:
	v_cmp_lt_i64_e64 s[0:1], s[10:11], 1
	s_and_b64 vcc, exec, s[0:1]
	s_cbranch_vccnz .LBB330_25
; %bb.7:
	s_load_dword s0, s[4:5], 0xc5c
	v_mov_b32_e32 v2, 0x10000
	v_mov_b32_e32 v3, 0
	v_cmp_lt_u64_e32 vcc, s[10:11], v[2:3]
	v_lshlrev_b32_e32 v10, 2, v0
	s_waitcnt lgkmcnt(0)
	s_and_b32 s2, s0, 0xffff
	s_and_b64 s[0:1], vcc, exec
	v_mov_b32_e32 v13, s15
	v_add_co_u32_e32 v2, vcc, s14, v10
	v_addc_co_u32_e32 v1, vcc, 0, v13, vcc
	v_mov_b32_e32 v11, 0
	v_mov_b32_e32 v15, s7
	v_add_co_u32_e32 v4, vcc, s6, v10
	v_addc_co_u32_e32 v3, vcc, 0, v15, vcc
	v_mad_u64_u32 v[8:9], s[0:1], s2, 12, v[10:11]
	v_add_co_u32_e32 v6, vcc, s14, v8
	v_addc_co_u32_e32 v5, vcc, v13, v9, vcc
	v_add_co_u32_e32 v8, vcc, s6, v8
	s_mul_i32 s4, s2, 3
	v_addc_co_u32_e32 v7, vcc, v15, v9, vcc
	v_add_co_u32_e32 v17, vcc, s4, v0
	v_addc_co_u32_e64 v18, s[0:1], 0, 0, vcc
	s_cselect_b32 s13, s11, 0
	s_cselect_b32 s12, s10, 0x10000
	s_lshl_b32 s0, s2, 3
	v_add_co_u32_e32 v11, vcc, s0, v10
	v_addc_co_u32_e64 v14, s[0:1], 0, 0, vcc
	v_add_co_u32_e32 v10, vcc, s14, v11
	v_addc_co_u32_e32 v9, vcc, v13, v14, vcc
	v_add_co_u32_e32 v12, vcc, s6, v11
	s_lshl_b32 s3, s2, 1
	v_addc_co_u32_e32 v11, vcc, v15, v14, vcc
	v_add_co_u32_e32 v19, vcc, s3, v0
	v_addc_co_u32_e64 v20, s[0:1], 0, 0, vcc
	v_add_co_u32_e32 v21, vcc, s2, v0
	v_lshlrev_b32_e32 v16, 2, v21
	v_addc_co_u32_e64 v22, s[0:1], 0, 0, vcc
	v_add_co_u32_e32 v14, vcc, s14, v16
	v_addc_co_u32_e32 v13, vcc, 0, v13, vcc
	v_add_co_u32_e32 v16, vcc, s6, v16
	s_mov_b32 s18, 0
	s_lshl_b32 s19, s2, 2
	s_lshl_b32 s20, s2, 4
	v_addc_co_u32_e32 v15, vcc, 0, v15, vcc
	s_mov_b64 s[14:15], 0
	s_branch .LBB330_9
.LBB330_8:                              ;   in Loop: Header=BB330_9 Depth=1
	s_or_b64 exec, exec, s[0:1]
	s_add_u32 s14, s14, s19
	s_addc_u32 s15, s15, 0
	s_waitcnt vmcnt(0)
	v_pk_mov_b32 v[24:25], s[10:11], s[10:11] op_sel:[0,1]
	v_cmp_ge_i64_e32 vcc, s[14:15], v[24:25]
	v_mov_b32_e32 v24, 0xffff
	v_mov_b32_e32 v25, 0
	v_cmp_gt_u64_e64 s[0:1], s[14:15], v[24:25]
	s_or_b64 s[0:1], vcc, s[0:1]
	v_mov_b32_e32 v23, s18
	v_add_co_u32_e32 v2, vcc, s20, v2
	v_addc_co_u32_e32 v1, vcc, v1, v23, vcc
	v_add_co_u32_e32 v4, vcc, s20, v4
	v_addc_co_u32_e32 v3, vcc, v3, v23, vcc
	;; [unrolled: 2-line block ×8, first 2 shown]
	s_and_b64 vcc, exec, s[0:1]
	s_cbranch_vccnz .LBB330_25
.LBB330_9:                              ; =>This Inner Loop Header: Depth=1
	v_mov_b32_e32 v23, s15
	v_add_co_u32_e32 v24, vcc, s14, v0
	v_addc_co_u32_e32 v25, vcc, 0, v23, vcc
	v_cmp_gt_u64_e32 vcc, s[12:13], v[24:25]
	v_mov_b32_e32 v23, 0
	s_and_saveexec_b64 s[2:3], vcc
	s_cbranch_execz .LBB330_11
; %bb.10:                               ;   in Loop: Header=BB330_9 Depth=1
	v_mov_b32_e32 v23, s9
	v_add_co_u32_e64 v24, s[0:1], s8, v2
	v_addc_co_u32_e64 v25, s[0:1], v1, v23, s[0:1]
	global_load_dword v23, v[24:25], off
.LBB330_11:                             ;   in Loop: Header=BB330_9 Depth=1
	s_or_b64 exec, exec, s[2:3]
	v_mov_b32_e32 v25, s15
	v_add_co_u32_e64 v24, s[0:1], s14, v21
	v_addc_co_u32_e64 v25, s[0:1], v22, v25, s[0:1]
	v_cmp_gt_u64_e64 s[0:1], s[12:13], v[24:25]
	v_mov_b32_e32 v25, 0
	s_and_saveexec_b64 s[4:5], s[0:1]
	s_cbranch_execz .LBB330_13
; %bb.12:                               ;   in Loop: Header=BB330_9 Depth=1
	v_mov_b32_e32 v25, s9
	v_add_co_u32_e64 v24, s[2:3], s8, v14
	v_addc_co_u32_e64 v25, s[2:3], v13, v25, s[2:3]
	global_load_dword v25, v[24:25], off
.LBB330_13:                             ;   in Loop: Header=BB330_9 Depth=1
	s_or_b64 exec, exec, s[4:5]
	v_mov_b32_e32 v24, s15
	v_add_co_u32_e64 v26, s[2:3], s14, v19
	v_addc_co_u32_e64 v27, s[2:3], v20, v24, s[2:3]
	v_cmp_gt_u64_e64 s[2:3], s[12:13], v[26:27]
	v_mov_b32_e32 v24, 0
	v_mov_b32_e32 v26, 0
	s_and_saveexec_b64 s[6:7], s[2:3]
	s_cbranch_execz .LBB330_15
; %bb.14:                               ;   in Loop: Header=BB330_9 Depth=1
	v_mov_b32_e32 v27, s9
	v_add_co_u32_e64 v26, s[4:5], s8, v10
	v_addc_co_u32_e64 v27, s[4:5], v9, v27, s[4:5]
	global_load_dword v26, v[26:27], off
.LBB330_15:                             ;   in Loop: Header=BB330_9 Depth=1
	s_or_b64 exec, exec, s[6:7]
	v_mov_b32_e32 v27, s15
	v_add_co_u32_e64 v28, s[4:5], s14, v17
	v_addc_co_u32_e64 v29, s[4:5], v18, v27, s[4:5]
	v_cmp_gt_u64_e64 s[4:5], s[12:13], v[28:29]
	s_and_saveexec_b64 s[16:17], s[4:5]
	s_cbranch_execnz .LBB330_20
; %bb.16:                               ;   in Loop: Header=BB330_9 Depth=1
	s_or_b64 exec, exec, s[16:17]
	s_and_saveexec_b64 s[6:7], vcc
	s_cbranch_execnz .LBB330_21
.LBB330_17:                             ;   in Loop: Header=BB330_9 Depth=1
	s_or_b64 exec, exec, s[6:7]
	s_and_saveexec_b64 s[6:7], s[0:1]
	s_cbranch_execnz .LBB330_22
.LBB330_18:                             ;   in Loop: Header=BB330_9 Depth=1
	s_or_b64 exec, exec, s[6:7]
	s_and_saveexec_b64 s[0:1], s[2:3]
	s_cbranch_execnz .LBB330_23
.LBB330_19:                             ;   in Loop: Header=BB330_9 Depth=1
	s_or_b64 exec, exec, s[0:1]
	s_and_saveexec_b64 s[0:1], s[4:5]
	s_cbranch_execz .LBB330_8
	s_branch .LBB330_24
.LBB330_20:                             ;   in Loop: Header=BB330_9 Depth=1
	v_mov_b32_e32 v24, s9
	v_add_co_u32_e64 v28, s[6:7], s8, v6
	v_addc_co_u32_e64 v29, s[6:7], v5, v24, s[6:7]
	global_load_dword v24, v[28:29], off
	s_or_b64 exec, exec, s[16:17]
	s_and_saveexec_b64 s[6:7], vcc
	s_cbranch_execz .LBB330_17
.LBB330_21:                             ;   in Loop: Header=BB330_9 Depth=1
	v_mov_b32_e32 v27, s9
	v_add_co_u32_e32 v28, vcc, s8, v4
	v_addc_co_u32_e32 v29, vcc, v3, v27, vcc
	s_waitcnt vmcnt(0)
	v_sub_u32_e32 v27, 0, v23
	v_max_i32_e32 v23, v23, v27
	global_store_dword v[28:29], v23, off
	s_or_b64 exec, exec, s[6:7]
	s_and_saveexec_b64 s[6:7], s[0:1]
	s_cbranch_execz .LBB330_18
.LBB330_22:                             ;   in Loop: Header=BB330_9 Depth=1
	s_waitcnt vmcnt(0)
	v_sub_u32_e32 v23, 0, v25
	v_max_i32_e32 v23, v25, v23
	v_mov_b32_e32 v25, s9
	v_add_co_u32_e32 v28, vcc, s8, v16
	v_addc_co_u32_e32 v29, vcc, v15, v25, vcc
	global_store_dword v[28:29], v23, off
	s_or_b64 exec, exec, s[6:7]
	s_and_saveexec_b64 s[0:1], s[2:3]
	s_cbranch_execz .LBB330_19
.LBB330_23:                             ;   in Loop: Header=BB330_9 Depth=1
	s_waitcnt vmcnt(0)
	v_sub_u32_e32 v23, 0, v26
	v_max_i32_e32 v23, v26, v23
	v_mov_b32_e32 v25, s9
	v_add_co_u32_e32 v26, vcc, s8, v12
	v_addc_co_u32_e32 v27, vcc, v11, v25, vcc
	global_store_dword v[26:27], v23, off
	s_or_b64 exec, exec, s[0:1]
	s_and_saveexec_b64 s[0:1], s[4:5]
	s_cbranch_execz .LBB330_8
.LBB330_24:                             ;   in Loop: Header=BB330_9 Depth=1
	s_waitcnt vmcnt(0)
	v_sub_u32_e32 v23, 0, v24
	v_max_i32_e32 v23, v24, v23
	v_mov_b32_e32 v25, s9
	v_add_co_u32_e32 v24, vcc, s8, v8
	v_addc_co_u32_e32 v25, vcc, v7, v25, vcc
	global_store_dword v[24:25], v23, off
	s_branch .LBB330_8
.LBB330_25:
	s_endpgm
	.section	.rodata,"a",@progbits
	.p2align	6, 0x0
	.amdhsa_kernel _ZN2at6native12_GLOBAL__N_125multi_tensor_apply_kernelINS1_18TensorListMetadataILi2EEENS1_14UnaryOpFunctorIiLi2ELi1ELi1EEEJNS0_3AbsIiEEEEEvT_T0_DpT1_
		.amdhsa_group_segment_fixed_size 0
		.amdhsa_private_segment_fixed_size 0
		.amdhsa_kernarg_size 3408
		.amdhsa_user_sgpr_count 6
		.amdhsa_user_sgpr_private_segment_buffer 1
		.amdhsa_user_sgpr_dispatch_ptr 0
		.amdhsa_user_sgpr_queue_ptr 0
		.amdhsa_user_sgpr_kernarg_segment_ptr 1
		.amdhsa_user_sgpr_dispatch_id 0
		.amdhsa_user_sgpr_flat_scratch_init 0
		.amdhsa_user_sgpr_kernarg_preload_length 0
		.amdhsa_user_sgpr_kernarg_preload_offset 0
		.amdhsa_user_sgpr_private_segment_size 0
		.amdhsa_uses_dynamic_stack 0
		.amdhsa_system_sgpr_private_segment_wavefront_offset 0
		.amdhsa_system_sgpr_workgroup_id_x 1
		.amdhsa_system_sgpr_workgroup_id_y 0
		.amdhsa_system_sgpr_workgroup_id_z 0
		.amdhsa_system_sgpr_workgroup_info 0
		.amdhsa_system_vgpr_workitem_id 0
		.amdhsa_next_free_vgpr 30
		.amdhsa_next_free_sgpr 22
		.amdhsa_accum_offset 32
		.amdhsa_reserve_vcc 1
		.amdhsa_reserve_flat_scratch 0
		.amdhsa_float_round_mode_32 0
		.amdhsa_float_round_mode_16_64 0
		.amdhsa_float_denorm_mode_32 3
		.amdhsa_float_denorm_mode_16_64 3
		.amdhsa_dx10_clamp 1
		.amdhsa_ieee_mode 1
		.amdhsa_fp16_overflow 0
		.amdhsa_tg_split 0
		.amdhsa_exception_fp_ieee_invalid_op 0
		.amdhsa_exception_fp_denorm_src 0
		.amdhsa_exception_fp_ieee_div_zero 0
		.amdhsa_exception_fp_ieee_overflow 0
		.amdhsa_exception_fp_ieee_underflow 0
		.amdhsa_exception_fp_ieee_inexact 0
		.amdhsa_exception_int_div_zero 0
	.end_amdhsa_kernel
	.section	.text._ZN2at6native12_GLOBAL__N_125multi_tensor_apply_kernelINS1_18TensorListMetadataILi2EEENS1_14UnaryOpFunctorIiLi2ELi1ELi1EEEJNS0_3AbsIiEEEEEvT_T0_DpT1_,"axG",@progbits,_ZN2at6native12_GLOBAL__N_125multi_tensor_apply_kernelINS1_18TensorListMetadataILi2EEENS1_14UnaryOpFunctorIiLi2ELi1ELi1EEEJNS0_3AbsIiEEEEEvT_T0_DpT1_,comdat
.Lfunc_end330:
	.size	_ZN2at6native12_GLOBAL__N_125multi_tensor_apply_kernelINS1_18TensorListMetadataILi2EEENS1_14UnaryOpFunctorIiLi2ELi1ELi1EEEJNS0_3AbsIiEEEEEvT_T0_DpT1_, .Lfunc_end330-_ZN2at6native12_GLOBAL__N_125multi_tensor_apply_kernelINS1_18TensorListMetadataILi2EEENS1_14UnaryOpFunctorIiLi2ELi1ELi1EEEJNS0_3AbsIiEEEEEvT_T0_DpT1_
                                        ; -- End function
	.section	.AMDGPU.csdata,"",@progbits
; Kernel info:
; codeLenInByte = 1280
; NumSgprs: 26
; NumVgprs: 30
; NumAgprs: 0
; TotalNumVgprs: 30
; ScratchSize: 0
; MemoryBound: 0
; FloatMode: 240
; IeeeMode: 1
; LDSByteSize: 0 bytes/workgroup (compile time only)
; SGPRBlocks: 3
; VGPRBlocks: 3
; NumSGPRsForWavesPerEU: 26
; NumVGPRsForWavesPerEU: 30
; AccumOffset: 32
; Occupancy: 8
; WaveLimiterHint : 0
; COMPUTE_PGM_RSRC2:SCRATCH_EN: 0
; COMPUTE_PGM_RSRC2:USER_SGPR: 6
; COMPUTE_PGM_RSRC2:TRAP_HANDLER: 0
; COMPUTE_PGM_RSRC2:TGID_X_EN: 1
; COMPUTE_PGM_RSRC2:TGID_Y_EN: 0
; COMPUTE_PGM_RSRC2:TGID_Z_EN: 0
; COMPUTE_PGM_RSRC2:TIDIG_COMP_CNT: 0
; COMPUTE_PGM_RSRC3_GFX90A:ACCUM_OFFSET: 7
; COMPUTE_PGM_RSRC3_GFX90A:TG_SPLIT: 0
	.section	.text._ZN2at6native12_GLOBAL__N_125multi_tensor_apply_kernelINS1_18TensorListMetadataILi2EEENS1_14UnaryOpFunctorIlLi2ELi1ELi1EEEJNS0_3AbsIlEEEEEvT_T0_DpT1_,"axG",@progbits,_ZN2at6native12_GLOBAL__N_125multi_tensor_apply_kernelINS1_18TensorListMetadataILi2EEENS1_14UnaryOpFunctorIlLi2ELi1ELi1EEEJNS0_3AbsIlEEEEEvT_T0_DpT1_,comdat
	.globl	_ZN2at6native12_GLOBAL__N_125multi_tensor_apply_kernelINS1_18TensorListMetadataILi2EEENS1_14UnaryOpFunctorIlLi2ELi1ELi1EEEJNS0_3AbsIlEEEEEvT_T0_DpT1_ ; -- Begin function _ZN2at6native12_GLOBAL__N_125multi_tensor_apply_kernelINS1_18TensorListMetadataILi2EEENS1_14UnaryOpFunctorIlLi2ELi1ELi1EEEJNS0_3AbsIlEEEEEvT_T0_DpT1_
	.p2align	8
	.type	_ZN2at6native12_GLOBAL__N_125multi_tensor_apply_kernelINS1_18TensorListMetadataILi2EEENS1_14UnaryOpFunctorIlLi2ELi1ELi1EEEJNS0_3AbsIlEEEEEvT_T0_DpT1_,@function
_ZN2at6native12_GLOBAL__N_125multi_tensor_apply_kernelINS1_18TensorListMetadataILi2EEENS1_14UnaryOpFunctorIlLi2ELi1ELi1EEEJNS0_3AbsIlEEEEEvT_T0_DpT1_: ; @_ZN2at6native12_GLOBAL__N_125multi_tensor_apply_kernelINS1_18TensorListMetadataILi2EEENS1_14UnaryOpFunctorIlLi2ELi1ELi1EEEJNS0_3AbsIlEEEEEvT_T0_DpT1_
; %bb.0:
	v_mov_b32_e32 v1, s6
	global_load_ubyte v1, v1, s[4:5] offset:1536
	s_add_u32 s0, s4, s6
	s_mul_hi_u32 s2, s6, 3
	s_mul_i32 s6, s6, 3
	s_addc_u32 s7, s5, 0
	s_add_u32 s6, s0, s6
	s_addc_u32 s7, s7, s2
	s_load_dword s12, s[6:7], 0x740
	s_mov_b32 s1, 0
	s_mov_b32 s11, s1
	;; [unrolled: 1-line block ×3, first 2 shown]
	s_waitcnt lgkmcnt(0)
	s_ashr_i32 s13, s12, 31
	s_lshl_b64 s[8:9], s[12:13], 19
	s_waitcnt vmcnt(0)
	v_readfirstlane_b32 s0, v1
	s_lshl_b32 s0, s0, 3
	s_load_dwordx2 s[14:15], s[4:5], s0 offset:0x0
	s_load_dwordx2 s[16:17], s[4:5], s0 offset:0x400
	s_load_dwordx2 s[6:7], s[4:5], s0 offset:0x200
	s_waitcnt lgkmcnt(0)
	s_add_u32 s20, s14, s8
	s_addc_u32 s21, s15, s9
	s_and_b32 s0, s20, 31
	s_add_u32 s22, s6, s8
	s_addc_u32 s23, s7, s9
	s_and_b32 s10, s16, 3
	s_and_b32 s2, s22, 31
	s_or_b64 s[10:11], s[0:1], s[10:11]
	s_or_b64 s[2:3], s[2:3], s[10:11]
	s_lshl_b64 s[10:11], s[12:13], 16
	s_sub_u32 s10, s16, s10
	s_subb_u32 s11, s17, s11
	s_cmp_eq_u64 s[2:3], 0
	s_mov_b64 s[2:3], -1
	s_cbranch_scc0 .LBB331_5
; %bb.1:
	v_mov_b32_e32 v3, 0
	v_lshlrev_b32_e32 v2, 2, v0
	v_cmp_gt_i64_e32 vcc, s[10:11], v[2:3]
	s_and_saveexec_b64 s[12:13], vcc
	s_cbranch_execz .LBB331_4
; %bb.2:
	s_load_dword s0, s[4:5], 0xc5c
	v_lshlrev_b32_e32 v4, 5, v0
	s_mov_b64 s[16:17], 0
	s_mov_b64 s[18:19], 0xffff
	v_mov_b32_e32 v1, s1
	s_waitcnt lgkmcnt(0)
	s_and_b32 s0, s0, 0xffff
	v_add_lshl_u32 v2, v0, s0, 2
	s_lshl_b32 s24, s0, 2
	s_lshl_b32 s25, s0, 5
.LBB331_3:                              ; =>This Inner Loop Header: Depth=1
	v_mov_b32_e32 v5, s21
	v_add_co_u32_e32 v14, vcc, s20, v4
	v_addc_co_u32_e32 v15, vcc, 0, v5, vcc
	global_load_dwordx4 v[6:9], v[14:15], off
	global_load_dwordx4 v[10:13], v[14:15], off offset:16
	v_cmp_le_i64_e32 vcc, s[10:11], v[2:3]
	v_cmp_lt_u64_e64 s[0:1], s[18:19], v[2:3]
	v_add_co_u32_e64 v2, s[2:3], s24, v2
	v_addc_co_u32_e64 v3, s[2:3], v3, v1, s[2:3]
	v_mov_b32_e32 v5, s23
	v_add_co_u32_e64 v14, s[2:3], s22, v4
	v_addc_co_u32_e64 v15, s[2:3], 0, v5, s[2:3]
	s_or_b64 s[0:1], vcc, s[0:1]
	s_add_u32 s20, s20, s25
	s_addc_u32 s21, s21, 0
	s_add_u32 s22, s22, s25
	s_addc_u32 s23, s23, 0
	s_and_b64 s[0:1], exec, s[0:1]
	s_or_b64 s[16:17], s[0:1], s[16:17]
	s_waitcnt vmcnt(1)
	v_ashrrev_i32_e32 v5, 31, v7
	v_xor_b32_e32 v6, v6, v5
	v_ashrrev_i32_e32 v16, 31, v9
	v_xor_b32_e32 v7, v7, v5
	v_sub_co_u32_e32 v6, vcc, v6, v5
	v_xor_b32_e32 v8, v8, v16
	v_subb_co_u32_e32 v7, vcc, v7, v5, vcc
	s_waitcnt vmcnt(0)
	v_ashrrev_i32_e32 v17, 31, v11
	v_xor_b32_e32 v9, v9, v16
	v_sub_co_u32_e32 v8, vcc, v8, v16
	v_xor_b32_e32 v10, v10, v17
	v_subb_co_u32_e32 v9, vcc, v9, v16, vcc
	v_ashrrev_i32_e32 v18, 31, v13
	v_xor_b32_e32 v11, v11, v17
	v_sub_co_u32_e32 v10, vcc, v10, v17
	v_xor_b32_e32 v12, v12, v18
	v_subb_co_u32_e32 v11, vcc, v11, v17, vcc
	v_xor_b32_e32 v13, v13, v18
	v_sub_co_u32_e32 v12, vcc, v12, v18
	v_subb_co_u32_e32 v13, vcc, v13, v18, vcc
	global_store_dwordx4 v[14:15], v[6:9], off
	global_store_dwordx4 v[14:15], v[10:13], off offset:16
	s_andn2_b64 exec, exec, s[16:17]
	s_cbranch_execnz .LBB331_3
.LBB331_4:
	s_or_b64 exec, exec, s[12:13]
	s_mov_b64 s[2:3], 0
.LBB331_5:
	s_andn2_b64 vcc, exec, s[2:3]
	s_cbranch_vccnz .LBB331_25
; %bb.6:
	v_cmp_lt_i64_e64 s[0:1], s[10:11], 1
	s_and_b64 vcc, exec, s[0:1]
	s_cbranch_vccnz .LBB331_25
; %bb.7:
	s_load_dword s0, s[4:5], 0xc5c
	v_mov_b32_e32 v2, 0x10000
	v_mov_b32_e32 v3, 0
	v_cmp_lt_u64_e32 vcc, s[10:11], v[2:3]
	v_lshlrev_b32_e32 v10, 3, v0
	s_waitcnt lgkmcnt(0)
	s_and_b32 s2, s0, 0xffff
	s_and_b64 s[0:1], vcc, exec
	v_mov_b32_e32 v13, s15
	v_add_co_u32_e32 v2, vcc, s14, v10
	v_addc_co_u32_e32 v1, vcc, 0, v13, vcc
	v_mov_b32_e32 v11, 0
	v_mov_b32_e32 v15, s7
	v_add_co_u32_e32 v4, vcc, s6, v10
	v_addc_co_u32_e32 v3, vcc, 0, v15, vcc
	v_mad_u64_u32 v[8:9], s[0:1], s2, 24, v[10:11]
	v_add_co_u32_e32 v6, vcc, s14, v8
	v_addc_co_u32_e32 v5, vcc, v13, v9, vcc
	v_add_co_u32_e32 v8, vcc, s6, v8
	s_mul_i32 s4, s2, 3
	v_addc_co_u32_e32 v7, vcc, v15, v9, vcc
	v_add_co_u32_e32 v17, vcc, s4, v0
	v_addc_co_u32_e64 v26, s[0:1], 0, 0, vcc
	s_cselect_b32 s13, s11, 0
	s_cselect_b32 s12, s10, 0x10000
	s_lshl_b32 s0, s2, 4
	v_add_co_u32_e32 v11, vcc, s0, v10
	v_addc_co_u32_e64 v14, s[0:1], 0, 0, vcc
	v_add_co_u32_e32 v10, vcc, s14, v11
	v_addc_co_u32_e32 v9, vcc, v13, v14, vcc
	v_add_co_u32_e32 v12, vcc, s6, v11
	s_lshl_b32 s3, s2, 1
	v_addc_co_u32_e32 v11, vcc, v15, v14, vcc
	v_add_co_u32_e32 v27, vcc, s3, v0
	v_addc_co_u32_e64 v28, s[0:1], 0, 0, vcc
	v_add_co_u32_e32 v29, vcc, s2, v0
	v_lshlrev_b32_e32 v16, 3, v29
	v_addc_co_u32_e64 v30, s[0:1], 0, 0, vcc
	v_add_co_u32_e32 v14, vcc, s14, v16
	v_addc_co_u32_e32 v13, vcc, 0, v13, vcc
	v_add_co_u32_e32 v16, vcc, s6, v16
	s_mov_b32 s18, 0
	s_lshl_b32 s19, s2, 2
	s_lshl_b32 s20, s2, 5
	v_addc_co_u32_e32 v15, vcc, 0, v15, vcc
	s_mov_b64 s[14:15], 0
	s_branch .LBB331_9
.LBB331_8:                              ;   in Loop: Header=BB331_9 Depth=1
	s_or_b64 exec, exec, s[0:1]
	s_add_u32 s14, s14, s19
	s_addc_u32 s15, s15, 0
	s_waitcnt vmcnt(0)
	v_pk_mov_b32 v[18:19], s[10:11], s[10:11] op_sel:[0,1]
	v_cmp_ge_i64_e32 vcc, s[14:15], v[18:19]
	v_mov_b32_e32 v18, 0xffff
	v_mov_b32_e32 v19, 0
	v_cmp_gt_u64_e64 s[0:1], s[14:15], v[18:19]
	s_or_b64 s[0:1], vcc, s[0:1]
	v_mov_b32_e32 v18, s18
	v_add_co_u32_e32 v2, vcc, s20, v2
	v_addc_co_u32_e32 v1, vcc, v1, v18, vcc
	v_add_co_u32_e32 v4, vcc, s20, v4
	v_addc_co_u32_e32 v3, vcc, v3, v18, vcc
	;; [unrolled: 2-line block ×8, first 2 shown]
	s_and_b64 vcc, exec, s[0:1]
	s_cbranch_vccnz .LBB331_25
.LBB331_9:                              ; =>This Inner Loop Header: Depth=1
	v_mov_b32_e32 v19, s15
	v_add_co_u32_e32 v18, vcc, s14, v0
	v_addc_co_u32_e32 v19, vcc, 0, v19, vcc
	v_cmp_gt_u64_e32 vcc, s[12:13], v[18:19]
	v_pk_mov_b32 v[18:19], 0, 0
	v_pk_mov_b32 v[22:23], v[18:19], v[18:19] op_sel:[0,1]
	s_and_saveexec_b64 s[2:3], vcc
	s_cbranch_execz .LBB331_11
; %bb.10:                               ;   in Loop: Header=BB331_9 Depth=1
	v_mov_b32_e32 v21, s9
	v_add_co_u32_e64 v20, s[0:1], s8, v2
	v_addc_co_u32_e64 v21, s[0:1], v1, v21, s[0:1]
	global_load_dwordx2 v[22:23], v[20:21], off
.LBB331_11:                             ;   in Loop: Header=BB331_9 Depth=1
	s_or_b64 exec, exec, s[2:3]
	v_mov_b32_e32 v21, s15
	v_add_co_u32_e64 v20, s[0:1], s14, v29
	v_addc_co_u32_e64 v21, s[0:1], v30, v21, s[0:1]
	v_cmp_gt_u64_e64 s[0:1], s[12:13], v[20:21]
	s_and_saveexec_b64 s[4:5], s[0:1]
	s_cbranch_execz .LBB331_13
; %bb.12:                               ;   in Loop: Header=BB331_9 Depth=1
	v_mov_b32_e32 v19, s9
	v_add_co_u32_e64 v18, s[2:3], s8, v14
	v_addc_co_u32_e64 v19, s[2:3], v13, v19, s[2:3]
	global_load_dwordx2 v[18:19], v[18:19], off
.LBB331_13:                             ;   in Loop: Header=BB331_9 Depth=1
	s_or_b64 exec, exec, s[4:5]
	v_mov_b32_e32 v21, s15
	v_add_co_u32_e64 v20, s[2:3], s14, v27
	v_addc_co_u32_e64 v21, s[2:3], v28, v21, s[2:3]
	v_cmp_gt_u64_e64 s[2:3], s[12:13], v[20:21]
	v_pk_mov_b32 v[20:21], 0, 0
	v_pk_mov_b32 v[24:25], v[20:21], v[20:21] op_sel:[0,1]
	s_and_saveexec_b64 s[6:7], s[2:3]
	s_cbranch_execz .LBB331_15
; %bb.14:                               ;   in Loop: Header=BB331_9 Depth=1
	v_mov_b32_e32 v25, s9
	v_add_co_u32_e64 v24, s[4:5], s8, v10
	v_addc_co_u32_e64 v25, s[4:5], v9, v25, s[4:5]
	global_load_dwordx2 v[24:25], v[24:25], off
.LBB331_15:                             ;   in Loop: Header=BB331_9 Depth=1
	s_or_b64 exec, exec, s[6:7]
	v_mov_b32_e32 v31, s15
	v_add_co_u32_e64 v32, s[4:5], s14, v17
	v_addc_co_u32_e64 v33, s[4:5], v26, v31, s[4:5]
	v_cmp_gt_u64_e64 s[4:5], s[12:13], v[32:33]
	s_and_saveexec_b64 s[16:17], s[4:5]
	s_cbranch_execnz .LBB331_20
; %bb.16:                               ;   in Loop: Header=BB331_9 Depth=1
	s_or_b64 exec, exec, s[16:17]
	s_and_saveexec_b64 s[6:7], vcc
	s_cbranch_execnz .LBB331_21
.LBB331_17:                             ;   in Loop: Header=BB331_9 Depth=1
	s_or_b64 exec, exec, s[6:7]
	s_and_saveexec_b64 s[6:7], s[0:1]
	s_cbranch_execnz .LBB331_22
.LBB331_18:                             ;   in Loop: Header=BB331_9 Depth=1
	s_or_b64 exec, exec, s[6:7]
	s_and_saveexec_b64 s[0:1], s[2:3]
	s_cbranch_execnz .LBB331_23
.LBB331_19:                             ;   in Loop: Header=BB331_9 Depth=1
	s_or_b64 exec, exec, s[0:1]
	s_and_saveexec_b64 s[0:1], s[4:5]
	s_cbranch_execz .LBB331_8
	s_branch .LBB331_24
.LBB331_20:                             ;   in Loop: Header=BB331_9 Depth=1
	v_mov_b32_e32 v21, s9
	v_add_co_u32_e64 v20, s[6:7], s8, v6
	v_addc_co_u32_e64 v21, s[6:7], v5, v21, s[6:7]
	global_load_dwordx2 v[20:21], v[20:21], off
	s_or_b64 exec, exec, s[16:17]
	s_and_saveexec_b64 s[6:7], vcc
	s_cbranch_execz .LBB331_17
.LBB331_21:                             ;   in Loop: Header=BB331_9 Depth=1
	v_mov_b32_e32 v31, s9
	v_add_co_u32_e32 v32, vcc, s8, v4
	v_addc_co_u32_e32 v33, vcc, v3, v31, vcc
	s_waitcnt vmcnt(0)
	v_ashrrev_i32_e32 v31, 31, v23
	v_xor_b32_e32 v22, v22, v31
	v_xor_b32_e32 v23, v23, v31
	v_sub_co_u32_e32 v22, vcc, v22, v31
	v_subb_co_u32_e32 v23, vcc, v23, v31, vcc
	global_store_dwordx2 v[32:33], v[22:23], off
	s_or_b64 exec, exec, s[6:7]
	s_and_saveexec_b64 s[6:7], s[0:1]
	s_cbranch_execz .LBB331_18
.LBB331_22:                             ;   in Loop: Header=BB331_9 Depth=1
	s_waitcnt vmcnt(0)
	v_ashrrev_i32_e32 v22, 31, v19
	v_xor_b32_e32 v18, v18, v22
	v_xor_b32_e32 v19, v19, v22
	v_sub_co_u32_e32 v18, vcc, v18, v22
	v_subb_co_u32_e32 v19, vcc, v19, v22, vcc
	v_mov_b32_e32 v23, s9
	v_add_co_u32_e32 v22, vcc, s8, v16
	v_addc_co_u32_e32 v23, vcc, v15, v23, vcc
	global_store_dwordx2 v[22:23], v[18:19], off
	s_or_b64 exec, exec, s[6:7]
	s_and_saveexec_b64 s[0:1], s[2:3]
	s_cbranch_execz .LBB331_19
.LBB331_23:                             ;   in Loop: Header=BB331_9 Depth=1
	s_waitcnt vmcnt(0)
	v_ashrrev_i32_e32 v19, 31, v25
	v_xor_b32_e32 v18, v24, v19
	v_xor_b32_e32 v22, v25, v19
	v_sub_co_u32_e32 v18, vcc, v18, v19
	v_subb_co_u32_e32 v19, vcc, v22, v19, vcc
	v_mov_b32_e32 v23, s9
	v_add_co_u32_e32 v22, vcc, s8, v12
	v_addc_co_u32_e32 v23, vcc, v11, v23, vcc
	global_store_dwordx2 v[22:23], v[18:19], off
	s_or_b64 exec, exec, s[0:1]
	s_and_saveexec_b64 s[0:1], s[4:5]
	s_cbranch_execz .LBB331_8
.LBB331_24:                             ;   in Loop: Header=BB331_9 Depth=1
	s_waitcnt vmcnt(0)
	v_ashrrev_i32_e32 v19, 31, v21
	v_xor_b32_e32 v18, v20, v19
	v_xor_b32_e32 v21, v21, v19
	v_sub_co_u32_e32 v18, vcc, v18, v19
	v_subb_co_u32_e32 v19, vcc, v21, v19, vcc
	v_mov_b32_e32 v21, s9
	v_add_co_u32_e32 v20, vcc, s8, v8
	v_addc_co_u32_e32 v21, vcc, v7, v21, vcc
	global_store_dwordx2 v[20:21], v[18:19], off
	s_branch .LBB331_8
.LBB331_25:
	s_endpgm
	.section	.rodata,"a",@progbits
	.p2align	6, 0x0
	.amdhsa_kernel _ZN2at6native12_GLOBAL__N_125multi_tensor_apply_kernelINS1_18TensorListMetadataILi2EEENS1_14UnaryOpFunctorIlLi2ELi1ELi1EEEJNS0_3AbsIlEEEEEvT_T0_DpT1_
		.amdhsa_group_segment_fixed_size 0
		.amdhsa_private_segment_fixed_size 0
		.amdhsa_kernarg_size 3408
		.amdhsa_user_sgpr_count 6
		.amdhsa_user_sgpr_private_segment_buffer 1
		.amdhsa_user_sgpr_dispatch_ptr 0
		.amdhsa_user_sgpr_queue_ptr 0
		.amdhsa_user_sgpr_kernarg_segment_ptr 1
		.amdhsa_user_sgpr_dispatch_id 0
		.amdhsa_user_sgpr_flat_scratch_init 0
		.amdhsa_user_sgpr_kernarg_preload_length 0
		.amdhsa_user_sgpr_kernarg_preload_offset 0
		.amdhsa_user_sgpr_private_segment_size 0
		.amdhsa_uses_dynamic_stack 0
		.amdhsa_system_sgpr_private_segment_wavefront_offset 0
		.amdhsa_system_sgpr_workgroup_id_x 1
		.amdhsa_system_sgpr_workgroup_id_y 0
		.amdhsa_system_sgpr_workgroup_id_z 0
		.amdhsa_system_sgpr_workgroup_info 0
		.amdhsa_system_vgpr_workitem_id 0
		.amdhsa_next_free_vgpr 34
		.amdhsa_next_free_sgpr 26
		.amdhsa_accum_offset 36
		.amdhsa_reserve_vcc 1
		.amdhsa_reserve_flat_scratch 0
		.amdhsa_float_round_mode_32 0
		.amdhsa_float_round_mode_16_64 0
		.amdhsa_float_denorm_mode_32 3
		.amdhsa_float_denorm_mode_16_64 3
		.amdhsa_dx10_clamp 1
		.amdhsa_ieee_mode 1
		.amdhsa_fp16_overflow 0
		.amdhsa_tg_split 0
		.amdhsa_exception_fp_ieee_invalid_op 0
		.amdhsa_exception_fp_denorm_src 0
		.amdhsa_exception_fp_ieee_div_zero 0
		.amdhsa_exception_fp_ieee_overflow 0
		.amdhsa_exception_fp_ieee_underflow 0
		.amdhsa_exception_fp_ieee_inexact 0
		.amdhsa_exception_int_div_zero 0
	.end_amdhsa_kernel
	.section	.text._ZN2at6native12_GLOBAL__N_125multi_tensor_apply_kernelINS1_18TensorListMetadataILi2EEENS1_14UnaryOpFunctorIlLi2ELi1ELi1EEEJNS0_3AbsIlEEEEEvT_T0_DpT1_,"axG",@progbits,_ZN2at6native12_GLOBAL__N_125multi_tensor_apply_kernelINS1_18TensorListMetadataILi2EEENS1_14UnaryOpFunctorIlLi2ELi1ELi1EEEJNS0_3AbsIlEEEEEvT_T0_DpT1_,comdat
.Lfunc_end331:
	.size	_ZN2at6native12_GLOBAL__N_125multi_tensor_apply_kernelINS1_18TensorListMetadataILi2EEENS1_14UnaryOpFunctorIlLi2ELi1ELi1EEEJNS0_3AbsIlEEEEEvT_T0_DpT1_, .Lfunc_end331-_ZN2at6native12_GLOBAL__N_125multi_tensor_apply_kernelINS1_18TensorListMetadataILi2EEENS1_14UnaryOpFunctorIlLi2ELi1ELi1EEEJNS0_3AbsIlEEEEEvT_T0_DpT1_
                                        ; -- End function
	.section	.AMDGPU.csdata,"",@progbits
; Kernel info:
; codeLenInByte = 1416
; NumSgprs: 30
; NumVgprs: 34
; NumAgprs: 0
; TotalNumVgprs: 34
; ScratchSize: 0
; MemoryBound: 0
; FloatMode: 240
; IeeeMode: 1
; LDSByteSize: 0 bytes/workgroup (compile time only)
; SGPRBlocks: 3
; VGPRBlocks: 4
; NumSGPRsForWavesPerEU: 30
; NumVGPRsForWavesPerEU: 34
; AccumOffset: 36
; Occupancy: 8
; WaveLimiterHint : 0
; COMPUTE_PGM_RSRC2:SCRATCH_EN: 0
; COMPUTE_PGM_RSRC2:USER_SGPR: 6
; COMPUTE_PGM_RSRC2:TRAP_HANDLER: 0
; COMPUTE_PGM_RSRC2:TGID_X_EN: 1
; COMPUTE_PGM_RSRC2:TGID_Y_EN: 0
; COMPUTE_PGM_RSRC2:TGID_Z_EN: 0
; COMPUTE_PGM_RSRC2:TIDIG_COMP_CNT: 0
; COMPUTE_PGM_RSRC3_GFX90A:ACCUM_OFFSET: 8
; COMPUTE_PGM_RSRC3_GFX90A:TG_SPLIT: 0
	.section	.text._ZN2at6native12_GLOBAL__N_125multi_tensor_apply_kernelINS1_18TensorListMetadataILi2EEENS1_14UnaryOpFunctorIsLi2ELi1ELi1EEEJNS0_3AbsIsEEEEEvT_T0_DpT1_,"axG",@progbits,_ZN2at6native12_GLOBAL__N_125multi_tensor_apply_kernelINS1_18TensorListMetadataILi2EEENS1_14UnaryOpFunctorIsLi2ELi1ELi1EEEJNS0_3AbsIsEEEEEvT_T0_DpT1_,comdat
	.globl	_ZN2at6native12_GLOBAL__N_125multi_tensor_apply_kernelINS1_18TensorListMetadataILi2EEENS1_14UnaryOpFunctorIsLi2ELi1ELi1EEEJNS0_3AbsIsEEEEEvT_T0_DpT1_ ; -- Begin function _ZN2at6native12_GLOBAL__N_125multi_tensor_apply_kernelINS1_18TensorListMetadataILi2EEENS1_14UnaryOpFunctorIsLi2ELi1ELi1EEEJNS0_3AbsIsEEEEEvT_T0_DpT1_
	.p2align	8
	.type	_ZN2at6native12_GLOBAL__N_125multi_tensor_apply_kernelINS1_18TensorListMetadataILi2EEENS1_14UnaryOpFunctorIsLi2ELi1ELi1EEEJNS0_3AbsIsEEEEEvT_T0_DpT1_,@function
_ZN2at6native12_GLOBAL__N_125multi_tensor_apply_kernelINS1_18TensorListMetadataILi2EEENS1_14UnaryOpFunctorIsLi2ELi1ELi1EEEJNS0_3AbsIsEEEEEvT_T0_DpT1_: ; @_ZN2at6native12_GLOBAL__N_125multi_tensor_apply_kernelINS1_18TensorListMetadataILi2EEENS1_14UnaryOpFunctorIsLi2ELi1ELi1EEEJNS0_3AbsIsEEEEEvT_T0_DpT1_
; %bb.0:
	v_mov_b32_e32 v1, s6
	global_load_ubyte v1, v1, s[4:5] offset:1536
	s_add_u32 s0, s4, s6
	s_mul_hi_u32 s2, s6, 3
	s_mul_i32 s6, s6, 3
	s_addc_u32 s7, s5, 0
	s_add_u32 s8, s0, s6
	s_addc_u32 s9, s7, s2
	s_mov_b32 s1, 0
	s_mov_b32 s17, s1
	;; [unrolled: 1-line block ×3, first 2 shown]
	s_waitcnt vmcnt(0)
	v_readfirstlane_b32 s0, v1
	s_lshl_b32 s0, s0, 3
	s_load_dword s10, s[8:9], 0x740
	s_load_dwordx2 s[14:15], s[4:5], s0 offset:0x0
	s_load_dwordx2 s[12:13], s[4:5], s0 offset:0x400
	;; [unrolled: 1-line block ×3, first 2 shown]
	s_waitcnt lgkmcnt(0)
	s_ashr_i32 s11, s10, 31
	s_and_b32 s0, s14, 7
	s_and_b32 s16, s12, 3
	;; [unrolled: 1-line block ×3, first 2 shown]
	s_or_b64 s[16:17], s[0:1], s[16:17]
	s_lshl_b64 s[8:9], s[10:11], 17
	s_or_b64 s[2:3], s[2:3], s[16:17]
	s_lshl_b64 s[10:11], s[10:11], 16
	s_sub_u32 s10, s12, s10
	s_subb_u32 s11, s13, s11
	s_cmp_eq_u64 s[2:3], 0
	s_mov_b64 s[2:3], -1
	s_cbranch_scc0 .LBB332_5
; %bb.1:
	v_mov_b32_e32 v3, 0
	v_lshlrev_b32_e32 v2, 2, v0
	v_cmp_gt_i64_e32 vcc, s[10:11], v[2:3]
	s_and_saveexec_b64 s[12:13], vcc
	s_cbranch_execz .LBB332_4
; %bb.2:
	s_load_dword s0, s[4:5], 0xc5c
	v_lshlrev_b32_e32 v1, 3, v0
	v_mov_b32_e32 v2, s9
	v_add_co_u32_e32 v4, vcc, s8, v1
	s_waitcnt lgkmcnt(0)
	s_and_b32 s0, s0, 0xffff
	v_addc_co_u32_e32 v1, vcc, 0, v2, vcc
	v_add_lshl_u32 v2, v0, s0, 2
	s_lshl_b32 s20, s0, 3
	s_lshl_b32 s21, s0, 2
	s_mov_b64 s[16:17], 0
	v_mov_b32_e32 v5, s15
	v_mov_b32_e32 v8, s7
	s_mov_b64 s[18:19], 0xffff
	v_mov_b32_e32 v9, s1
	v_mov_b32_e32 v10, s1
	v_pk_mov_b32 v[6:7], v[2:3], v[2:3] op_sel:[0,1]
.LBB332_3:                              ; =>This Inner Loop Header: Depth=1
	v_add_co_u32_e32 v12, vcc, s14, v4
	v_addc_co_u32_e32 v13, vcc, v5, v1, vcc
	global_load_dwordx2 v[12:13], v[12:13], off
	v_add_co_u32_e32 v14, vcc, s6, v4
	v_addc_co_u32_e32 v15, vcc, v8, v1, vcc
	v_cmp_le_i64_e32 vcc, s[10:11], v[6:7]
	v_cmp_lt_u64_e64 s[0:1], s[18:19], v[6:7]
	v_add_co_u32_e64 v4, s[2:3], s20, v4
	v_addc_co_u32_e64 v1, s[2:3], v1, v9, s[2:3]
	s_or_b64 s[0:1], vcc, s[0:1]
	v_add_co_u32_e64 v6, s[2:3], s21, v6
	s_and_b64 s[0:1], exec, s[0:1]
	v_addc_co_u32_e64 v7, s[2:3], v7, v10, s[2:3]
	s_or_b64 s[16:17], s[0:1], s[16:17]
	s_waitcnt vmcnt(0)
	v_sub_u16_e32 v2, 0, v12
	v_sub_u16_sdwa v11, v3, v12 dst_sel:DWORD dst_unused:UNUSED_PAD src0_sel:DWORD src1_sel:WORD_1
	v_sub_u16_e32 v16, 0, v13
	v_sub_u16_sdwa v17, v3, v13 dst_sel:DWORD dst_unused:UNUSED_PAD src0_sel:DWORD src1_sel:WORD_1
	v_max_i16_sdwa v11, v12, v11 dst_sel:WORD_1 dst_unused:UNUSED_PAD src0_sel:WORD_1 src1_sel:DWORD
	v_max_i16_sdwa v17, v13, v17 dst_sel:WORD_1 dst_unused:UNUSED_PAD src0_sel:WORD_1 src1_sel:DWORD
	v_max_i16_e32 v13, v13, v16
	v_max_i16_e32 v2, v12, v2
	v_or_b32_e32 v13, v17, v13
	v_or_b32_e32 v12, v11, v2
	global_store_dwordx2 v[14:15], v[12:13], off
	s_andn2_b64 exec, exec, s[16:17]
	s_cbranch_execnz .LBB332_3
.LBB332_4:
	s_or_b64 exec, exec, s[12:13]
	s_mov_b64 s[2:3], 0
.LBB332_5:
	s_andn2_b64 vcc, exec, s[2:3]
	s_cbranch_vccnz .LBB332_25
; %bb.6:
	v_cmp_lt_i64_e64 s[0:1], s[10:11], 1
	s_and_b64 vcc, exec, s[0:1]
	s_cbranch_vccnz .LBB332_25
; %bb.7:
	s_load_dword s0, s[4:5], 0xc5c
	v_mov_b32_e32 v2, 0x10000
	v_mov_b32_e32 v3, 0
	v_cmp_lt_u64_e32 vcc, s[10:11], v[2:3]
	v_lshlrev_b32_e32 v10, 1, v0
	s_waitcnt lgkmcnt(0)
	s_and_b32 s2, s0, 0xffff
	s_and_b64 s[0:1], vcc, exec
	v_mov_b32_e32 v13, s15
	v_add_co_u32_e32 v2, vcc, s14, v10
	v_addc_co_u32_e32 v1, vcc, 0, v13, vcc
	v_mov_b32_e32 v11, 0
	v_mov_b32_e32 v15, s7
	v_add_co_u32_e32 v4, vcc, s6, v10
	v_addc_co_u32_e32 v3, vcc, 0, v15, vcc
	v_mad_u64_u32 v[8:9], s[0:1], s2, 6, v[10:11]
	v_add_co_u32_e32 v6, vcc, s14, v8
	v_addc_co_u32_e32 v5, vcc, v13, v9, vcc
	v_add_co_u32_e32 v8, vcc, s6, v8
	s_mul_i32 s4, s2, 3
	v_addc_co_u32_e32 v7, vcc, v15, v9, vcc
	s_cselect_b32 s13, s11, 0
	s_cselect_b32 s12, s10, 0x10000
	s_lshl_b32 s19, s2, 2
	v_add_co_u32_e32 v17, vcc, s4, v0
	v_addc_co_u32_e64 v18, s[0:1], 0, 0, vcc
	v_add_co_u32_e32 v11, vcc, s19, v10
	v_addc_co_u32_e64 v14, s[0:1], 0, 0, vcc
	v_add_co_u32_e32 v10, vcc, s14, v11
	v_addc_co_u32_e32 v9, vcc, v13, v14, vcc
	v_add_co_u32_e32 v12, vcc, s6, v11
	s_lshl_b32 s3, s2, 1
	v_addc_co_u32_e32 v11, vcc, v15, v14, vcc
	v_add_co_u32_e32 v19, vcc, s3, v0
	v_addc_co_u32_e64 v20, s[0:1], 0, 0, vcc
	v_add_co_u32_e32 v21, vcc, s2, v0
	v_lshlrev_b32_e32 v16, 1, v21
	v_addc_co_u32_e64 v22, s[0:1], 0, 0, vcc
	v_add_co_u32_e32 v14, vcc, s14, v16
	v_addc_co_u32_e32 v13, vcc, 0, v13, vcc
	v_add_co_u32_e32 v16, vcc, s6, v16
	s_mov_b32 s18, 0
	s_lshl_b32 s20, s2, 3
	v_addc_co_u32_e32 v15, vcc, 0, v15, vcc
	s_mov_b64 s[14:15], 0
	s_branch .LBB332_9
.LBB332_8:                              ;   in Loop: Header=BB332_9 Depth=1
	s_or_b64 exec, exec, s[0:1]
	s_add_u32 s14, s14, s19
	s_addc_u32 s15, s15, 0
	s_waitcnt vmcnt(0)
	v_pk_mov_b32 v[24:25], s[10:11], s[10:11] op_sel:[0,1]
	v_cmp_ge_i64_e32 vcc, s[14:15], v[24:25]
	v_mov_b32_e32 v24, 0xffff
	v_mov_b32_e32 v25, 0
	v_cmp_gt_u64_e64 s[0:1], s[14:15], v[24:25]
	s_or_b64 s[0:1], vcc, s[0:1]
	v_mov_b32_e32 v23, s18
	v_add_co_u32_e32 v2, vcc, s20, v2
	v_addc_co_u32_e32 v1, vcc, v1, v23, vcc
	v_add_co_u32_e32 v4, vcc, s20, v4
	v_addc_co_u32_e32 v3, vcc, v3, v23, vcc
	;; [unrolled: 2-line block ×8, first 2 shown]
	s_and_b64 vcc, exec, s[0:1]
	s_cbranch_vccnz .LBB332_25
.LBB332_9:                              ; =>This Inner Loop Header: Depth=1
	v_mov_b32_e32 v23, s15
	v_add_co_u32_e32 v24, vcc, s14, v0
	v_addc_co_u32_e32 v25, vcc, 0, v23, vcc
	v_cmp_gt_u64_e32 vcc, s[12:13], v[24:25]
	v_mov_b32_e32 v23, 0
	s_and_saveexec_b64 s[2:3], vcc
	s_cbranch_execz .LBB332_11
; %bb.10:                               ;   in Loop: Header=BB332_9 Depth=1
	v_mov_b32_e32 v23, s9
	v_add_co_u32_e64 v24, s[0:1], s8, v2
	v_addc_co_u32_e64 v25, s[0:1], v1, v23, s[0:1]
	global_load_ushort v23, v[24:25], off
.LBB332_11:                             ;   in Loop: Header=BB332_9 Depth=1
	s_or_b64 exec, exec, s[2:3]
	v_mov_b32_e32 v25, s15
	v_add_co_u32_e64 v24, s[0:1], s14, v21
	v_addc_co_u32_e64 v25, s[0:1], v22, v25, s[0:1]
	v_cmp_gt_u64_e64 s[0:1], s[12:13], v[24:25]
	v_mov_b32_e32 v25, 0
	s_and_saveexec_b64 s[4:5], s[0:1]
	s_cbranch_execz .LBB332_13
; %bb.12:                               ;   in Loop: Header=BB332_9 Depth=1
	v_mov_b32_e32 v25, s9
	v_add_co_u32_e64 v24, s[2:3], s8, v14
	v_addc_co_u32_e64 v25, s[2:3], v13, v25, s[2:3]
	global_load_ushort v25, v[24:25], off
.LBB332_13:                             ;   in Loop: Header=BB332_9 Depth=1
	s_or_b64 exec, exec, s[4:5]
	v_mov_b32_e32 v24, s15
	v_add_co_u32_e64 v26, s[2:3], s14, v19
	v_addc_co_u32_e64 v27, s[2:3], v20, v24, s[2:3]
	v_cmp_gt_u64_e64 s[2:3], s[12:13], v[26:27]
	v_mov_b32_e32 v24, 0
	v_mov_b32_e32 v26, 0
	s_and_saveexec_b64 s[6:7], s[2:3]
	s_cbranch_execz .LBB332_15
; %bb.14:                               ;   in Loop: Header=BB332_9 Depth=1
	v_mov_b32_e32 v27, s9
	v_add_co_u32_e64 v26, s[4:5], s8, v10
	v_addc_co_u32_e64 v27, s[4:5], v9, v27, s[4:5]
	global_load_ushort v26, v[26:27], off
.LBB332_15:                             ;   in Loop: Header=BB332_9 Depth=1
	s_or_b64 exec, exec, s[6:7]
	v_mov_b32_e32 v27, s15
	v_add_co_u32_e64 v28, s[4:5], s14, v17
	v_addc_co_u32_e64 v29, s[4:5], v18, v27, s[4:5]
	v_cmp_gt_u64_e64 s[4:5], s[12:13], v[28:29]
	s_and_saveexec_b64 s[16:17], s[4:5]
	s_cbranch_execnz .LBB332_20
; %bb.16:                               ;   in Loop: Header=BB332_9 Depth=1
	s_or_b64 exec, exec, s[16:17]
	s_and_saveexec_b64 s[6:7], vcc
	s_cbranch_execnz .LBB332_21
.LBB332_17:                             ;   in Loop: Header=BB332_9 Depth=1
	s_or_b64 exec, exec, s[6:7]
	s_and_saveexec_b64 s[6:7], s[0:1]
	s_cbranch_execnz .LBB332_22
.LBB332_18:                             ;   in Loop: Header=BB332_9 Depth=1
	s_or_b64 exec, exec, s[6:7]
	s_and_saveexec_b64 s[0:1], s[2:3]
	s_cbranch_execnz .LBB332_23
.LBB332_19:                             ;   in Loop: Header=BB332_9 Depth=1
	s_or_b64 exec, exec, s[0:1]
	s_and_saveexec_b64 s[0:1], s[4:5]
	s_cbranch_execz .LBB332_8
	s_branch .LBB332_24
.LBB332_20:                             ;   in Loop: Header=BB332_9 Depth=1
	v_mov_b32_e32 v24, s9
	v_add_co_u32_e64 v28, s[6:7], s8, v6
	v_addc_co_u32_e64 v29, s[6:7], v5, v24, s[6:7]
	global_load_ushort v24, v[28:29], off
	s_or_b64 exec, exec, s[16:17]
	s_and_saveexec_b64 s[6:7], vcc
	s_cbranch_execz .LBB332_17
.LBB332_21:                             ;   in Loop: Header=BB332_9 Depth=1
	v_mov_b32_e32 v27, s9
	v_add_co_u32_e32 v28, vcc, s8, v4
	v_addc_co_u32_e32 v29, vcc, v3, v27, vcc
	s_waitcnt vmcnt(0)
	v_sub_u16_e32 v27, 0, v23
	v_max_i16_e32 v23, v23, v27
	global_store_short v[28:29], v23, off
	s_or_b64 exec, exec, s[6:7]
	s_and_saveexec_b64 s[6:7], s[0:1]
	s_cbranch_execz .LBB332_18
.LBB332_22:                             ;   in Loop: Header=BB332_9 Depth=1
	s_waitcnt vmcnt(0)
	v_sub_u16_e32 v23, 0, v25
	v_max_i16_e32 v23, v25, v23
	v_mov_b32_e32 v25, s9
	v_add_co_u32_e32 v28, vcc, s8, v16
	v_addc_co_u32_e32 v29, vcc, v15, v25, vcc
	global_store_short v[28:29], v23, off
	s_or_b64 exec, exec, s[6:7]
	s_and_saveexec_b64 s[0:1], s[2:3]
	s_cbranch_execz .LBB332_19
.LBB332_23:                             ;   in Loop: Header=BB332_9 Depth=1
	s_waitcnt vmcnt(0)
	v_sub_u16_e32 v23, 0, v26
	v_max_i16_e32 v23, v26, v23
	v_mov_b32_e32 v25, s9
	v_add_co_u32_e32 v26, vcc, s8, v12
	v_addc_co_u32_e32 v27, vcc, v11, v25, vcc
	global_store_short v[26:27], v23, off
	s_or_b64 exec, exec, s[0:1]
	s_and_saveexec_b64 s[0:1], s[4:5]
	s_cbranch_execz .LBB332_8
.LBB332_24:                             ;   in Loop: Header=BB332_9 Depth=1
	s_waitcnt vmcnt(0)
	v_sub_u16_e32 v23, 0, v24
	v_max_i16_e32 v23, v24, v23
	v_mov_b32_e32 v25, s9
	v_add_co_u32_e32 v24, vcc, s8, v8
	v_addc_co_u32_e32 v25, vcc, v7, v25, vcc
	global_store_short v[24:25], v23, off
	s_branch .LBB332_8
.LBB332_25:
	s_endpgm
	.section	.rodata,"a",@progbits
	.p2align	6, 0x0
	.amdhsa_kernel _ZN2at6native12_GLOBAL__N_125multi_tensor_apply_kernelINS1_18TensorListMetadataILi2EEENS1_14UnaryOpFunctorIsLi2ELi1ELi1EEEJNS0_3AbsIsEEEEEvT_T0_DpT1_
		.amdhsa_group_segment_fixed_size 0
		.amdhsa_private_segment_fixed_size 0
		.amdhsa_kernarg_size 3408
		.amdhsa_user_sgpr_count 6
		.amdhsa_user_sgpr_private_segment_buffer 1
		.amdhsa_user_sgpr_dispatch_ptr 0
		.amdhsa_user_sgpr_queue_ptr 0
		.amdhsa_user_sgpr_kernarg_segment_ptr 1
		.amdhsa_user_sgpr_dispatch_id 0
		.amdhsa_user_sgpr_flat_scratch_init 0
		.amdhsa_user_sgpr_kernarg_preload_length 0
		.amdhsa_user_sgpr_kernarg_preload_offset 0
		.amdhsa_user_sgpr_private_segment_size 0
		.amdhsa_uses_dynamic_stack 0
		.amdhsa_system_sgpr_private_segment_wavefront_offset 0
		.amdhsa_system_sgpr_workgroup_id_x 1
		.amdhsa_system_sgpr_workgroup_id_y 0
		.amdhsa_system_sgpr_workgroup_id_z 0
		.amdhsa_system_sgpr_workgroup_info 0
		.amdhsa_system_vgpr_workitem_id 0
		.amdhsa_next_free_vgpr 30
		.amdhsa_next_free_sgpr 22
		.amdhsa_accum_offset 32
		.amdhsa_reserve_vcc 1
		.amdhsa_reserve_flat_scratch 0
		.amdhsa_float_round_mode_32 0
		.amdhsa_float_round_mode_16_64 0
		.amdhsa_float_denorm_mode_32 3
		.amdhsa_float_denorm_mode_16_64 3
		.amdhsa_dx10_clamp 1
		.amdhsa_ieee_mode 1
		.amdhsa_fp16_overflow 0
		.amdhsa_tg_split 0
		.amdhsa_exception_fp_ieee_invalid_op 0
		.amdhsa_exception_fp_denorm_src 0
		.amdhsa_exception_fp_ieee_div_zero 0
		.amdhsa_exception_fp_ieee_overflow 0
		.amdhsa_exception_fp_ieee_underflow 0
		.amdhsa_exception_fp_ieee_inexact 0
		.amdhsa_exception_int_div_zero 0
	.end_amdhsa_kernel
	.section	.text._ZN2at6native12_GLOBAL__N_125multi_tensor_apply_kernelINS1_18TensorListMetadataILi2EEENS1_14UnaryOpFunctorIsLi2ELi1ELi1EEEJNS0_3AbsIsEEEEEvT_T0_DpT1_,"axG",@progbits,_ZN2at6native12_GLOBAL__N_125multi_tensor_apply_kernelINS1_18TensorListMetadataILi2EEENS1_14UnaryOpFunctorIsLi2ELi1ELi1EEEJNS0_3AbsIsEEEEEvT_T0_DpT1_,comdat
.Lfunc_end332:
	.size	_ZN2at6native12_GLOBAL__N_125multi_tensor_apply_kernelINS1_18TensorListMetadataILi2EEENS1_14UnaryOpFunctorIsLi2ELi1ELi1EEEJNS0_3AbsIsEEEEEvT_T0_DpT1_, .Lfunc_end332-_ZN2at6native12_GLOBAL__N_125multi_tensor_apply_kernelINS1_18TensorListMetadataILi2EEENS1_14UnaryOpFunctorIsLi2ELi1ELi1EEEJNS0_3AbsIsEEEEEvT_T0_DpT1_
                                        ; -- End function
	.section	.AMDGPU.csdata,"",@progbits
; Kernel info:
; codeLenInByte = 1300
; NumSgprs: 26
; NumVgprs: 30
; NumAgprs: 0
; TotalNumVgprs: 30
; ScratchSize: 0
; MemoryBound: 0
; FloatMode: 240
; IeeeMode: 1
; LDSByteSize: 0 bytes/workgroup (compile time only)
; SGPRBlocks: 3
; VGPRBlocks: 3
; NumSGPRsForWavesPerEU: 26
; NumVGPRsForWavesPerEU: 30
; AccumOffset: 32
; Occupancy: 8
; WaveLimiterHint : 0
; COMPUTE_PGM_RSRC2:SCRATCH_EN: 0
; COMPUTE_PGM_RSRC2:USER_SGPR: 6
; COMPUTE_PGM_RSRC2:TRAP_HANDLER: 0
; COMPUTE_PGM_RSRC2:TGID_X_EN: 1
; COMPUTE_PGM_RSRC2:TGID_Y_EN: 0
; COMPUTE_PGM_RSRC2:TGID_Z_EN: 0
; COMPUTE_PGM_RSRC2:TIDIG_COMP_CNT: 0
; COMPUTE_PGM_RSRC3_GFX90A:ACCUM_OFFSET: 7
; COMPUTE_PGM_RSRC3_GFX90A:TG_SPLIT: 0
	.section	.text._ZN2at6native12_GLOBAL__N_125multi_tensor_apply_kernelINS1_18TensorListMetadataILi2EEENS1_14UnaryOpFunctorIdLi2ELi1ELi1EEEJNS0_3AbsIdEEEEEvT_T0_DpT1_,"axG",@progbits,_ZN2at6native12_GLOBAL__N_125multi_tensor_apply_kernelINS1_18TensorListMetadataILi2EEENS1_14UnaryOpFunctorIdLi2ELi1ELi1EEEJNS0_3AbsIdEEEEEvT_T0_DpT1_,comdat
	.globl	_ZN2at6native12_GLOBAL__N_125multi_tensor_apply_kernelINS1_18TensorListMetadataILi2EEENS1_14UnaryOpFunctorIdLi2ELi1ELi1EEEJNS0_3AbsIdEEEEEvT_T0_DpT1_ ; -- Begin function _ZN2at6native12_GLOBAL__N_125multi_tensor_apply_kernelINS1_18TensorListMetadataILi2EEENS1_14UnaryOpFunctorIdLi2ELi1ELi1EEEJNS0_3AbsIdEEEEEvT_T0_DpT1_
	.p2align	8
	.type	_ZN2at6native12_GLOBAL__N_125multi_tensor_apply_kernelINS1_18TensorListMetadataILi2EEENS1_14UnaryOpFunctorIdLi2ELi1ELi1EEEJNS0_3AbsIdEEEEEvT_T0_DpT1_,@function
_ZN2at6native12_GLOBAL__N_125multi_tensor_apply_kernelINS1_18TensorListMetadataILi2EEENS1_14UnaryOpFunctorIdLi2ELi1ELi1EEEJNS0_3AbsIdEEEEEvT_T0_DpT1_: ; @_ZN2at6native12_GLOBAL__N_125multi_tensor_apply_kernelINS1_18TensorListMetadataILi2EEENS1_14UnaryOpFunctorIdLi2ELi1ELi1EEEJNS0_3AbsIdEEEEEvT_T0_DpT1_
; %bb.0:
	v_mov_b32_e32 v1, s6
	global_load_ubyte v1, v1, s[4:5] offset:1536
	s_add_u32 s0, s4, s6
	s_mul_hi_u32 s2, s6, 3
	s_mul_i32 s6, s6, 3
	s_addc_u32 s7, s5, 0
	s_add_u32 s6, s0, s6
	s_addc_u32 s7, s7, s2
	s_load_dword s12, s[6:7], 0x740
	s_mov_b32 s1, 0
	s_mov_b32 s11, s1
	;; [unrolled: 1-line block ×3, first 2 shown]
	s_waitcnt lgkmcnt(0)
	s_ashr_i32 s13, s12, 31
	s_lshl_b64 s[8:9], s[12:13], 19
	s_waitcnt vmcnt(0)
	v_readfirstlane_b32 s0, v1
	s_lshl_b32 s0, s0, 3
	s_load_dwordx2 s[14:15], s[4:5], s0 offset:0x0
	s_load_dwordx2 s[16:17], s[4:5], s0 offset:0x400
	;; [unrolled: 1-line block ×3, first 2 shown]
	s_waitcnt lgkmcnt(0)
	s_add_u32 s20, s14, s8
	s_addc_u32 s21, s15, s9
	s_and_b32 s0, s20, 31
	s_add_u32 s22, s6, s8
	s_addc_u32 s23, s7, s9
	s_and_b32 s10, s16, 3
	s_and_b32 s2, s22, 31
	s_or_b64 s[10:11], s[0:1], s[10:11]
	s_or_b64 s[2:3], s[2:3], s[10:11]
	s_lshl_b64 s[10:11], s[12:13], 16
	s_sub_u32 s10, s16, s10
	s_subb_u32 s11, s17, s11
	s_cmp_eq_u64 s[2:3], 0
	s_mov_b64 s[2:3], -1
	s_cbranch_scc0 .LBB333_5
; %bb.1:
	v_mov_b32_e32 v3, 0
	v_lshlrev_b32_e32 v2, 2, v0
	v_cmp_gt_i64_e32 vcc, s[10:11], v[2:3]
	s_and_saveexec_b64 s[12:13], vcc
	s_cbranch_execz .LBB333_4
; %bb.2:
	s_load_dword s0, s[4:5], 0xc5c
	v_lshlrev_b32_e32 v4, 5, v0
	s_mov_b64 s[16:17], 0
	s_mov_b64 s[18:19], 0xffff
	v_mov_b32_e32 v1, s1
	s_waitcnt lgkmcnt(0)
	s_and_b32 s0, s0, 0xffff
	v_add_lshl_u32 v2, v0, s0, 2
	s_lshl_b32 s24, s0, 2
	s_lshl_b32 s25, s0, 5
.LBB333_3:                              ; =>This Inner Loop Header: Depth=1
	v_mov_b32_e32 v5, s21
	v_add_co_u32_e32 v14, vcc, s20, v4
	v_addc_co_u32_e32 v15, vcc, 0, v5, vcc
	global_load_dwordx4 v[6:9], v[14:15], off
	global_load_dwordx4 v[10:13], v[14:15], off offset:16
	v_cmp_le_i64_e32 vcc, s[10:11], v[2:3]
	v_cmp_lt_u64_e64 s[0:1], s[18:19], v[2:3]
	s_or_b64 s[0:1], vcc, s[0:1]
	v_add_co_u32_e64 v2, s[2:3], s24, v2
	s_add_u32 s20, s20, s25
	v_addc_co_u32_e64 v3, s[2:3], v3, v1, s[2:3]
	s_addc_u32 s21, s21, 0
	v_add_co_u32_e64 v14, s[2:3], s22, v4
	s_add_u32 s22, s22, s25
	v_mov_b32_e32 v5, s23
	s_addc_u32 s23, s23, 0
	s_and_b64 s[0:1], exec, s[0:1]
	v_addc_co_u32_e64 v15, s[2:3], 0, v5, s[2:3]
	s_or_b64 s[16:17], s[0:1], s[16:17]
	s_waitcnt vmcnt(1)
	v_and_b32_e32 v7, 0x7fffffff, v7
	v_and_b32_e32 v9, 0x7fffffff, v9
	s_waitcnt vmcnt(0)
	v_and_b32_e32 v11, 0x7fffffff, v11
	v_and_b32_e32 v13, 0x7fffffff, v13
	global_store_dwordx4 v[14:15], v[6:9], off
	global_store_dwordx4 v[14:15], v[10:13], off offset:16
	s_andn2_b64 exec, exec, s[16:17]
	s_cbranch_execnz .LBB333_3
.LBB333_4:
	s_or_b64 exec, exec, s[12:13]
	s_mov_b64 s[2:3], 0
.LBB333_5:
	s_andn2_b64 vcc, exec, s[2:3]
	s_cbranch_vccnz .LBB333_25
; %bb.6:
	v_cmp_lt_i64_e64 s[0:1], s[10:11], 1
	s_and_b64 vcc, exec, s[0:1]
	s_cbranch_vccnz .LBB333_25
; %bb.7:
	s_load_dword s0, s[4:5], 0xc5c
	v_mov_b32_e32 v2, 0x10000
	v_mov_b32_e32 v3, 0
	v_cmp_lt_u64_e32 vcc, s[10:11], v[2:3]
	v_lshlrev_b32_e32 v10, 3, v0
	s_waitcnt lgkmcnt(0)
	s_and_b32 s2, s0, 0xffff
	s_and_b64 s[0:1], vcc, exec
	v_mov_b32_e32 v13, s15
	v_add_co_u32_e32 v2, vcc, s14, v10
	v_addc_co_u32_e32 v1, vcc, 0, v13, vcc
	v_mov_b32_e32 v11, 0
	v_mov_b32_e32 v15, s7
	v_add_co_u32_e32 v4, vcc, s6, v10
	v_addc_co_u32_e32 v3, vcc, 0, v15, vcc
	v_mad_u64_u32 v[8:9], s[0:1], s2, 24, v[10:11]
	v_add_co_u32_e32 v6, vcc, s14, v8
	v_addc_co_u32_e32 v5, vcc, v13, v9, vcc
	v_add_co_u32_e32 v8, vcc, s6, v8
	s_mul_i32 s4, s2, 3
	v_addc_co_u32_e32 v7, vcc, v15, v9, vcc
	v_add_co_u32_e32 v17, vcc, s4, v0
	v_addc_co_u32_e64 v26, s[0:1], 0, 0, vcc
	s_cselect_b32 s13, s11, 0
	s_cselect_b32 s12, s10, 0x10000
	s_lshl_b32 s0, s2, 4
	v_add_co_u32_e32 v11, vcc, s0, v10
	v_addc_co_u32_e64 v14, s[0:1], 0, 0, vcc
	v_add_co_u32_e32 v10, vcc, s14, v11
	v_addc_co_u32_e32 v9, vcc, v13, v14, vcc
	v_add_co_u32_e32 v12, vcc, s6, v11
	s_lshl_b32 s3, s2, 1
	v_addc_co_u32_e32 v11, vcc, v15, v14, vcc
	v_add_co_u32_e32 v27, vcc, s3, v0
	v_addc_co_u32_e64 v28, s[0:1], 0, 0, vcc
	v_add_co_u32_e32 v29, vcc, s2, v0
	v_lshlrev_b32_e32 v16, 3, v29
	v_addc_co_u32_e64 v30, s[0:1], 0, 0, vcc
	v_add_co_u32_e32 v14, vcc, s14, v16
	v_addc_co_u32_e32 v13, vcc, 0, v13, vcc
	v_add_co_u32_e32 v16, vcc, s6, v16
	s_mov_b32 s18, 0
	s_lshl_b32 s19, s2, 2
	s_lshl_b32 s20, s2, 5
	v_addc_co_u32_e32 v15, vcc, 0, v15, vcc
	s_mov_b64 s[14:15], 0
	s_branch .LBB333_9
.LBB333_8:                              ;   in Loop: Header=BB333_9 Depth=1
	s_or_b64 exec, exec, s[0:1]
	s_add_u32 s14, s14, s19
	s_addc_u32 s15, s15, 0
	s_waitcnt vmcnt(0)
	v_pk_mov_b32 v[18:19], s[10:11], s[10:11] op_sel:[0,1]
	v_cmp_ge_i64_e32 vcc, s[14:15], v[18:19]
	v_mov_b32_e32 v18, 0xffff
	v_mov_b32_e32 v19, 0
	v_cmp_gt_u64_e64 s[0:1], s[14:15], v[18:19]
	s_or_b64 s[0:1], vcc, s[0:1]
	v_mov_b32_e32 v18, s18
	v_add_co_u32_e32 v2, vcc, s20, v2
	v_addc_co_u32_e32 v1, vcc, v1, v18, vcc
	v_add_co_u32_e32 v4, vcc, s20, v4
	v_addc_co_u32_e32 v3, vcc, v3, v18, vcc
	;; [unrolled: 2-line block ×8, first 2 shown]
	s_and_b64 vcc, exec, s[0:1]
	s_cbranch_vccnz .LBB333_25
.LBB333_9:                              ; =>This Inner Loop Header: Depth=1
	v_mov_b32_e32 v19, s15
	v_add_co_u32_e32 v18, vcc, s14, v0
	v_addc_co_u32_e32 v19, vcc, 0, v19, vcc
	v_cmp_gt_u64_e32 vcc, s[12:13], v[18:19]
	v_pk_mov_b32 v[18:19], 0, 0
	v_pk_mov_b32 v[22:23], v[18:19], v[18:19] op_sel:[0,1]
	s_and_saveexec_b64 s[2:3], vcc
	s_cbranch_execz .LBB333_11
; %bb.10:                               ;   in Loop: Header=BB333_9 Depth=1
	v_mov_b32_e32 v21, s9
	v_add_co_u32_e64 v20, s[0:1], s8, v2
	v_addc_co_u32_e64 v21, s[0:1], v1, v21, s[0:1]
	global_load_dwordx2 v[22:23], v[20:21], off
.LBB333_11:                             ;   in Loop: Header=BB333_9 Depth=1
	s_or_b64 exec, exec, s[2:3]
	v_mov_b32_e32 v21, s15
	v_add_co_u32_e64 v20, s[0:1], s14, v29
	v_addc_co_u32_e64 v21, s[0:1], v30, v21, s[0:1]
	v_cmp_gt_u64_e64 s[0:1], s[12:13], v[20:21]
	s_and_saveexec_b64 s[4:5], s[0:1]
	s_cbranch_execz .LBB333_13
; %bb.12:                               ;   in Loop: Header=BB333_9 Depth=1
	v_mov_b32_e32 v19, s9
	v_add_co_u32_e64 v18, s[2:3], s8, v14
	v_addc_co_u32_e64 v19, s[2:3], v13, v19, s[2:3]
	global_load_dwordx2 v[18:19], v[18:19], off
.LBB333_13:                             ;   in Loop: Header=BB333_9 Depth=1
	s_or_b64 exec, exec, s[4:5]
	v_mov_b32_e32 v21, s15
	v_add_co_u32_e64 v20, s[2:3], s14, v27
	v_addc_co_u32_e64 v21, s[2:3], v28, v21, s[2:3]
	v_cmp_gt_u64_e64 s[2:3], s[12:13], v[20:21]
	v_pk_mov_b32 v[20:21], 0, 0
	v_pk_mov_b32 v[24:25], v[20:21], v[20:21] op_sel:[0,1]
	s_and_saveexec_b64 s[6:7], s[2:3]
	s_cbranch_execz .LBB333_15
; %bb.14:                               ;   in Loop: Header=BB333_9 Depth=1
	v_mov_b32_e32 v25, s9
	v_add_co_u32_e64 v24, s[4:5], s8, v10
	v_addc_co_u32_e64 v25, s[4:5], v9, v25, s[4:5]
	global_load_dwordx2 v[24:25], v[24:25], off
.LBB333_15:                             ;   in Loop: Header=BB333_9 Depth=1
	s_or_b64 exec, exec, s[6:7]
	v_mov_b32_e32 v31, s15
	v_add_co_u32_e64 v32, s[4:5], s14, v17
	v_addc_co_u32_e64 v33, s[4:5], v26, v31, s[4:5]
	v_cmp_gt_u64_e64 s[4:5], s[12:13], v[32:33]
	s_and_saveexec_b64 s[16:17], s[4:5]
	s_cbranch_execnz .LBB333_20
; %bb.16:                               ;   in Loop: Header=BB333_9 Depth=1
	s_or_b64 exec, exec, s[16:17]
	s_and_saveexec_b64 s[6:7], vcc
	s_cbranch_execnz .LBB333_21
.LBB333_17:                             ;   in Loop: Header=BB333_9 Depth=1
	s_or_b64 exec, exec, s[6:7]
	s_and_saveexec_b64 s[6:7], s[0:1]
	s_cbranch_execnz .LBB333_22
.LBB333_18:                             ;   in Loop: Header=BB333_9 Depth=1
	s_or_b64 exec, exec, s[6:7]
	s_and_saveexec_b64 s[0:1], s[2:3]
	s_cbranch_execnz .LBB333_23
.LBB333_19:                             ;   in Loop: Header=BB333_9 Depth=1
	s_or_b64 exec, exec, s[0:1]
	s_and_saveexec_b64 s[0:1], s[4:5]
	s_cbranch_execz .LBB333_8
	s_branch .LBB333_24
.LBB333_20:                             ;   in Loop: Header=BB333_9 Depth=1
	v_mov_b32_e32 v21, s9
	v_add_co_u32_e64 v20, s[6:7], s8, v6
	v_addc_co_u32_e64 v21, s[6:7], v5, v21, s[6:7]
	global_load_dwordx2 v[20:21], v[20:21], off
	s_or_b64 exec, exec, s[16:17]
	s_and_saveexec_b64 s[6:7], vcc
	s_cbranch_execz .LBB333_17
.LBB333_21:                             ;   in Loop: Header=BB333_9 Depth=1
	v_mov_b32_e32 v31, s9
	v_add_co_u32_e32 v32, vcc, s8, v4
	v_addc_co_u32_e32 v33, vcc, v3, v31, vcc
	s_waitcnt vmcnt(0)
	v_and_b32_e32 v23, 0x7fffffff, v23
	global_store_dwordx2 v[32:33], v[22:23], off
	s_or_b64 exec, exec, s[6:7]
	s_and_saveexec_b64 s[6:7], s[0:1]
	s_cbranch_execz .LBB333_18
.LBB333_22:                             ;   in Loop: Header=BB333_9 Depth=1
	s_waitcnt vmcnt(0)
	v_mov_b32_e32 v23, s9
	v_add_co_u32_e32 v22, vcc, s8, v16
	v_and_b32_e32 v19, 0x7fffffff, v19
	v_addc_co_u32_e32 v23, vcc, v15, v23, vcc
	global_store_dwordx2 v[22:23], v[18:19], off
	s_or_b64 exec, exec, s[6:7]
	s_and_saveexec_b64 s[0:1], s[2:3]
	s_cbranch_execz .LBB333_19
.LBB333_23:                             ;   in Loop: Header=BB333_9 Depth=1
	s_waitcnt vmcnt(0)
	v_mov_b32_e32 v19, s9
	v_add_co_u32_e32 v18, vcc, s8, v12
	v_and_b32_e32 v25, 0x7fffffff, v25
	v_addc_co_u32_e32 v19, vcc, v11, v19, vcc
	global_store_dwordx2 v[18:19], v[24:25], off
	s_or_b64 exec, exec, s[0:1]
	s_and_saveexec_b64 s[0:1], s[4:5]
	s_cbranch_execz .LBB333_8
.LBB333_24:                             ;   in Loop: Header=BB333_9 Depth=1
	s_waitcnt vmcnt(0)
	v_mov_b32_e32 v19, s9
	v_add_co_u32_e32 v18, vcc, s8, v8
	v_and_b32_e32 v21, 0x7fffffff, v21
	v_addc_co_u32_e32 v19, vcc, v7, v19, vcc
	global_store_dwordx2 v[18:19], v[20:21], off
	s_branch .LBB333_8
.LBB333_25:
	s_endpgm
	.section	.rodata,"a",@progbits
	.p2align	6, 0x0
	.amdhsa_kernel _ZN2at6native12_GLOBAL__N_125multi_tensor_apply_kernelINS1_18TensorListMetadataILi2EEENS1_14UnaryOpFunctorIdLi2ELi1ELi1EEEJNS0_3AbsIdEEEEEvT_T0_DpT1_
		.amdhsa_group_segment_fixed_size 0
		.amdhsa_private_segment_fixed_size 0
		.amdhsa_kernarg_size 3408
		.amdhsa_user_sgpr_count 6
		.amdhsa_user_sgpr_private_segment_buffer 1
		.amdhsa_user_sgpr_dispatch_ptr 0
		.amdhsa_user_sgpr_queue_ptr 0
		.amdhsa_user_sgpr_kernarg_segment_ptr 1
		.amdhsa_user_sgpr_dispatch_id 0
		.amdhsa_user_sgpr_flat_scratch_init 0
		.amdhsa_user_sgpr_kernarg_preload_length 0
		.amdhsa_user_sgpr_kernarg_preload_offset 0
		.amdhsa_user_sgpr_private_segment_size 0
		.amdhsa_uses_dynamic_stack 0
		.amdhsa_system_sgpr_private_segment_wavefront_offset 0
		.amdhsa_system_sgpr_workgroup_id_x 1
		.amdhsa_system_sgpr_workgroup_id_y 0
		.amdhsa_system_sgpr_workgroup_id_z 0
		.amdhsa_system_sgpr_workgroup_info 0
		.amdhsa_system_vgpr_workitem_id 0
		.amdhsa_next_free_vgpr 34
		.amdhsa_next_free_sgpr 26
		.amdhsa_accum_offset 36
		.amdhsa_reserve_vcc 1
		.amdhsa_reserve_flat_scratch 0
		.amdhsa_float_round_mode_32 0
		.amdhsa_float_round_mode_16_64 0
		.amdhsa_float_denorm_mode_32 3
		.amdhsa_float_denorm_mode_16_64 3
		.amdhsa_dx10_clamp 1
		.amdhsa_ieee_mode 1
		.amdhsa_fp16_overflow 0
		.amdhsa_tg_split 0
		.amdhsa_exception_fp_ieee_invalid_op 0
		.amdhsa_exception_fp_denorm_src 0
		.amdhsa_exception_fp_ieee_div_zero 0
		.amdhsa_exception_fp_ieee_overflow 0
		.amdhsa_exception_fp_ieee_underflow 0
		.amdhsa_exception_fp_ieee_inexact 0
		.amdhsa_exception_int_div_zero 0
	.end_amdhsa_kernel
	.section	.text._ZN2at6native12_GLOBAL__N_125multi_tensor_apply_kernelINS1_18TensorListMetadataILi2EEENS1_14UnaryOpFunctorIdLi2ELi1ELi1EEEJNS0_3AbsIdEEEEEvT_T0_DpT1_,"axG",@progbits,_ZN2at6native12_GLOBAL__N_125multi_tensor_apply_kernelINS1_18TensorListMetadataILi2EEENS1_14UnaryOpFunctorIdLi2ELi1ELi1EEEJNS0_3AbsIdEEEEEvT_T0_DpT1_,comdat
.Lfunc_end333:
	.size	_ZN2at6native12_GLOBAL__N_125multi_tensor_apply_kernelINS1_18TensorListMetadataILi2EEENS1_14UnaryOpFunctorIdLi2ELi1ELi1EEEJNS0_3AbsIdEEEEEvT_T0_DpT1_, .Lfunc_end333-_ZN2at6native12_GLOBAL__N_125multi_tensor_apply_kernelINS1_18TensorListMetadataILi2EEENS1_14UnaryOpFunctorIdLi2ELi1ELi1EEEJNS0_3AbsIdEEEEEvT_T0_DpT1_
                                        ; -- End function
	.section	.AMDGPU.csdata,"",@progbits
; Kernel info:
; codeLenInByte = 1320
; NumSgprs: 30
; NumVgprs: 34
; NumAgprs: 0
; TotalNumVgprs: 34
; ScratchSize: 0
; MemoryBound: 0
; FloatMode: 240
; IeeeMode: 1
; LDSByteSize: 0 bytes/workgroup (compile time only)
; SGPRBlocks: 3
; VGPRBlocks: 4
; NumSGPRsForWavesPerEU: 30
; NumVGPRsForWavesPerEU: 34
; AccumOffset: 36
; Occupancy: 8
; WaveLimiterHint : 0
; COMPUTE_PGM_RSRC2:SCRATCH_EN: 0
; COMPUTE_PGM_RSRC2:USER_SGPR: 6
; COMPUTE_PGM_RSRC2:TRAP_HANDLER: 0
; COMPUTE_PGM_RSRC2:TGID_X_EN: 1
; COMPUTE_PGM_RSRC2:TGID_Y_EN: 0
; COMPUTE_PGM_RSRC2:TGID_Z_EN: 0
; COMPUTE_PGM_RSRC2:TIDIG_COMP_CNT: 0
; COMPUTE_PGM_RSRC3_GFX90A:ACCUM_OFFSET: 8
; COMPUTE_PGM_RSRC3_GFX90A:TG_SPLIT: 0
	.section	.text._ZN2at6native12_GLOBAL__N_125multi_tensor_apply_kernelINS1_18TensorListMetadataILi2EEENS1_14UnaryOpFunctorIfLi2ELi1ELi1EEEJNS0_3AbsIfEEEEEvT_T0_DpT1_,"axG",@progbits,_ZN2at6native12_GLOBAL__N_125multi_tensor_apply_kernelINS1_18TensorListMetadataILi2EEENS1_14UnaryOpFunctorIfLi2ELi1ELi1EEEJNS0_3AbsIfEEEEEvT_T0_DpT1_,comdat
	.globl	_ZN2at6native12_GLOBAL__N_125multi_tensor_apply_kernelINS1_18TensorListMetadataILi2EEENS1_14UnaryOpFunctorIfLi2ELi1ELi1EEEJNS0_3AbsIfEEEEEvT_T0_DpT1_ ; -- Begin function _ZN2at6native12_GLOBAL__N_125multi_tensor_apply_kernelINS1_18TensorListMetadataILi2EEENS1_14UnaryOpFunctorIfLi2ELi1ELi1EEEJNS0_3AbsIfEEEEEvT_T0_DpT1_
	.p2align	8
	.type	_ZN2at6native12_GLOBAL__N_125multi_tensor_apply_kernelINS1_18TensorListMetadataILi2EEENS1_14UnaryOpFunctorIfLi2ELi1ELi1EEEJNS0_3AbsIfEEEEEvT_T0_DpT1_,@function
_ZN2at6native12_GLOBAL__N_125multi_tensor_apply_kernelINS1_18TensorListMetadataILi2EEENS1_14UnaryOpFunctorIfLi2ELi1ELi1EEEJNS0_3AbsIfEEEEEvT_T0_DpT1_: ; @_ZN2at6native12_GLOBAL__N_125multi_tensor_apply_kernelINS1_18TensorListMetadataILi2EEENS1_14UnaryOpFunctorIfLi2ELi1ELi1EEEJNS0_3AbsIfEEEEEvT_T0_DpT1_
; %bb.0:
	v_mov_b32_e32 v1, s6
	global_load_ubyte v1, v1, s[4:5] offset:1536
	s_add_u32 s0, s4, s6
	s_mul_hi_u32 s2, s6, 3
	s_mul_i32 s6, s6, 3
	s_addc_u32 s7, s5, 0
	s_add_u32 s8, s0, s6
	s_addc_u32 s9, s7, s2
	s_mov_b32 s1, 0
	s_mov_b32 s17, s1
	;; [unrolled: 1-line block ×3, first 2 shown]
	s_waitcnt vmcnt(0)
	v_readfirstlane_b32 s0, v1
	s_lshl_b32 s0, s0, 3
	s_load_dword s10, s[8:9], 0x740
	s_load_dwordx2 s[14:15], s[4:5], s0 offset:0x0
	s_load_dwordx2 s[12:13], s[4:5], s0 offset:0x400
	;; [unrolled: 1-line block ×3, first 2 shown]
	s_waitcnt lgkmcnt(0)
	s_ashr_i32 s11, s10, 31
	s_and_b32 s0, s14, 15
	s_and_b32 s16, s12, 3
	;; [unrolled: 1-line block ×3, first 2 shown]
	s_or_b64 s[16:17], s[0:1], s[16:17]
	s_lshl_b64 s[8:9], s[10:11], 18
	s_or_b64 s[2:3], s[2:3], s[16:17]
	s_lshl_b64 s[10:11], s[10:11], 16
	s_sub_u32 s10, s12, s10
	s_subb_u32 s11, s13, s11
	s_cmp_eq_u64 s[2:3], 0
	s_mov_b64 s[2:3], -1
	s_cbranch_scc0 .LBB334_5
; %bb.1:
	v_mov_b32_e32 v3, 0
	v_lshlrev_b32_e32 v2, 2, v0
	v_cmp_gt_i64_e32 vcc, s[10:11], v[2:3]
	s_and_saveexec_b64 s[12:13], vcc
	s_cbranch_execz .LBB334_4
; %bb.2:
	s_load_dword s0, s[4:5], 0xc5c
	v_lshlrev_b32_e32 v1, 4, v0
	v_mov_b32_e32 v4, s9
	v_add_co_u32_e32 v1, vcc, s8, v1
	v_addc_co_u32_e32 v5, vcc, 0, v4, vcc
	s_waitcnt lgkmcnt(0)
	s_and_b32 s0, s0, 0xffff
	v_add_co_u32_e32 v4, vcc, 8, v1
	v_add_lshl_u32 v2, v0, s0, 2
	s_lshl_b32 s20, s0, 2
	v_addc_co_u32_e32 v1, vcc, 0, v5, vcc
	s_lshl_b32 s21, s0, 4
	s_mov_b64 s[16:17], 0
	v_mov_b32_e32 v5, s15
	v_mov_b32_e32 v6, s7
	s_mov_b64 s[18:19], 0xffff
	v_mov_b32_e32 v7, s1
	v_mov_b32_e32 v8, s1
.LBB334_3:                              ; =>This Inner Loop Header: Depth=1
	v_add_co_u32_e32 v10, vcc, s14, v4
	v_addc_co_u32_e32 v11, vcc, v5, v1, vcc
	global_load_dwordx4 v[10:13], v[10:11], off offset:-8
	v_add_co_u32_e32 v14, vcc, s6, v4
	v_addc_co_u32_e32 v15, vcc, v6, v1, vcc
	v_cmp_le_i64_e32 vcc, s[10:11], v[2:3]
	v_cmp_lt_u64_e64 s[0:1], s[18:19], v[2:3]
	v_add_co_u32_e64 v2, s[2:3], s20, v2
	v_addc_co_u32_e64 v3, s[2:3], v3, v7, s[2:3]
	s_or_b64 s[0:1], vcc, s[0:1]
	v_add_co_u32_e64 v4, s[2:3], s21, v4
	s_and_b64 s[0:1], exec, s[0:1]
	v_addc_co_u32_e64 v1, s[2:3], v1, v8, s[2:3]
	s_or_b64 s[16:17], s[0:1], s[16:17]
	s_waitcnt vmcnt(0)
	v_and_b32_e32 v11, 0x7fffffff, v11
	v_and_b32_e32 v10, 0x7fffffff, v10
	;; [unrolled: 1-line block ×4, first 2 shown]
	global_store_dwordx4 v[14:15], v[10:13], off offset:-8
	s_andn2_b64 exec, exec, s[16:17]
	s_cbranch_execnz .LBB334_3
.LBB334_4:
	s_or_b64 exec, exec, s[12:13]
	s_mov_b64 s[2:3], 0
.LBB334_5:
	s_andn2_b64 vcc, exec, s[2:3]
	s_cbranch_vccnz .LBB334_25
; %bb.6:
	v_cmp_lt_i64_e64 s[0:1], s[10:11], 1
	s_and_b64 vcc, exec, s[0:1]
	s_cbranch_vccnz .LBB334_25
; %bb.7:
	s_load_dword s0, s[4:5], 0xc5c
	v_mov_b32_e32 v2, 0x10000
	v_mov_b32_e32 v3, 0
	v_cmp_lt_u64_e32 vcc, s[10:11], v[2:3]
	v_lshlrev_b32_e32 v10, 2, v0
	s_waitcnt lgkmcnt(0)
	s_and_b32 s2, s0, 0xffff
	s_and_b64 s[0:1], vcc, exec
	v_mov_b32_e32 v13, s15
	v_add_co_u32_e32 v2, vcc, s14, v10
	v_addc_co_u32_e32 v1, vcc, 0, v13, vcc
	v_mov_b32_e32 v11, 0
	v_mov_b32_e32 v15, s7
	v_add_co_u32_e32 v4, vcc, s6, v10
	v_addc_co_u32_e32 v3, vcc, 0, v15, vcc
	v_mad_u64_u32 v[8:9], s[0:1], s2, 12, v[10:11]
	v_add_co_u32_e32 v6, vcc, s14, v8
	v_addc_co_u32_e32 v5, vcc, v13, v9, vcc
	v_add_co_u32_e32 v8, vcc, s6, v8
	s_mul_i32 s4, s2, 3
	v_addc_co_u32_e32 v7, vcc, v15, v9, vcc
	v_add_co_u32_e32 v17, vcc, s4, v0
	v_addc_co_u32_e64 v18, s[0:1], 0, 0, vcc
	s_cselect_b32 s13, s11, 0
	s_cselect_b32 s12, s10, 0x10000
	s_lshl_b32 s0, s2, 3
	v_add_co_u32_e32 v11, vcc, s0, v10
	v_addc_co_u32_e64 v14, s[0:1], 0, 0, vcc
	v_add_co_u32_e32 v10, vcc, s14, v11
	v_addc_co_u32_e32 v9, vcc, v13, v14, vcc
	v_add_co_u32_e32 v12, vcc, s6, v11
	s_lshl_b32 s3, s2, 1
	v_addc_co_u32_e32 v11, vcc, v15, v14, vcc
	v_add_co_u32_e32 v19, vcc, s3, v0
	v_addc_co_u32_e64 v20, s[0:1], 0, 0, vcc
	v_add_co_u32_e32 v21, vcc, s2, v0
	v_lshlrev_b32_e32 v16, 2, v21
	v_addc_co_u32_e64 v22, s[0:1], 0, 0, vcc
	v_add_co_u32_e32 v14, vcc, s14, v16
	v_addc_co_u32_e32 v13, vcc, 0, v13, vcc
	v_add_co_u32_e32 v16, vcc, s6, v16
	s_mov_b32 s18, 0
	s_lshl_b32 s19, s2, 2
	s_lshl_b32 s20, s2, 4
	v_addc_co_u32_e32 v15, vcc, 0, v15, vcc
	s_mov_b64 s[14:15], 0
	s_branch .LBB334_9
.LBB334_8:                              ;   in Loop: Header=BB334_9 Depth=1
	s_or_b64 exec, exec, s[0:1]
	s_add_u32 s14, s14, s19
	s_addc_u32 s15, s15, 0
	s_waitcnt vmcnt(0)
	v_pk_mov_b32 v[24:25], s[10:11], s[10:11] op_sel:[0,1]
	v_cmp_ge_i64_e32 vcc, s[14:15], v[24:25]
	v_mov_b32_e32 v24, 0xffff
	v_mov_b32_e32 v25, 0
	v_cmp_gt_u64_e64 s[0:1], s[14:15], v[24:25]
	s_or_b64 s[0:1], vcc, s[0:1]
	v_mov_b32_e32 v23, s18
	v_add_co_u32_e32 v2, vcc, s20, v2
	v_addc_co_u32_e32 v1, vcc, v1, v23, vcc
	v_add_co_u32_e32 v4, vcc, s20, v4
	v_addc_co_u32_e32 v3, vcc, v3, v23, vcc
	;; [unrolled: 2-line block ×8, first 2 shown]
	s_and_b64 vcc, exec, s[0:1]
	s_cbranch_vccnz .LBB334_25
.LBB334_9:                              ; =>This Inner Loop Header: Depth=1
	v_mov_b32_e32 v23, s15
	v_add_co_u32_e32 v24, vcc, s14, v0
	v_addc_co_u32_e32 v25, vcc, 0, v23, vcc
	v_cmp_gt_u64_e32 vcc, s[12:13], v[24:25]
	v_mov_b32_e32 v23, 0
	s_and_saveexec_b64 s[2:3], vcc
	s_cbranch_execz .LBB334_11
; %bb.10:                               ;   in Loop: Header=BB334_9 Depth=1
	v_mov_b32_e32 v23, s9
	v_add_co_u32_e64 v24, s[0:1], s8, v2
	v_addc_co_u32_e64 v25, s[0:1], v1, v23, s[0:1]
	global_load_dword v23, v[24:25], off
.LBB334_11:                             ;   in Loop: Header=BB334_9 Depth=1
	s_or_b64 exec, exec, s[2:3]
	v_mov_b32_e32 v25, s15
	v_add_co_u32_e64 v24, s[0:1], s14, v21
	v_addc_co_u32_e64 v25, s[0:1], v22, v25, s[0:1]
	v_cmp_gt_u64_e64 s[0:1], s[12:13], v[24:25]
	v_mov_b32_e32 v25, 0
	s_and_saveexec_b64 s[4:5], s[0:1]
	s_cbranch_execz .LBB334_13
; %bb.12:                               ;   in Loop: Header=BB334_9 Depth=1
	v_mov_b32_e32 v25, s9
	v_add_co_u32_e64 v24, s[2:3], s8, v14
	v_addc_co_u32_e64 v25, s[2:3], v13, v25, s[2:3]
	global_load_dword v25, v[24:25], off
.LBB334_13:                             ;   in Loop: Header=BB334_9 Depth=1
	s_or_b64 exec, exec, s[4:5]
	v_mov_b32_e32 v24, s15
	v_add_co_u32_e64 v26, s[2:3], s14, v19
	v_addc_co_u32_e64 v27, s[2:3], v20, v24, s[2:3]
	v_cmp_gt_u64_e64 s[2:3], s[12:13], v[26:27]
	v_mov_b32_e32 v24, 0
	v_mov_b32_e32 v26, 0
	s_and_saveexec_b64 s[6:7], s[2:3]
	s_cbranch_execz .LBB334_15
; %bb.14:                               ;   in Loop: Header=BB334_9 Depth=1
	v_mov_b32_e32 v27, s9
	v_add_co_u32_e64 v26, s[4:5], s8, v10
	v_addc_co_u32_e64 v27, s[4:5], v9, v27, s[4:5]
	global_load_dword v26, v[26:27], off
.LBB334_15:                             ;   in Loop: Header=BB334_9 Depth=1
	s_or_b64 exec, exec, s[6:7]
	v_mov_b32_e32 v27, s15
	v_add_co_u32_e64 v28, s[4:5], s14, v17
	v_addc_co_u32_e64 v29, s[4:5], v18, v27, s[4:5]
	v_cmp_gt_u64_e64 s[4:5], s[12:13], v[28:29]
	s_and_saveexec_b64 s[16:17], s[4:5]
	s_cbranch_execnz .LBB334_20
; %bb.16:                               ;   in Loop: Header=BB334_9 Depth=1
	s_or_b64 exec, exec, s[16:17]
	s_and_saveexec_b64 s[6:7], vcc
	s_cbranch_execnz .LBB334_21
.LBB334_17:                             ;   in Loop: Header=BB334_9 Depth=1
	s_or_b64 exec, exec, s[6:7]
	s_and_saveexec_b64 s[6:7], s[0:1]
	s_cbranch_execnz .LBB334_22
.LBB334_18:                             ;   in Loop: Header=BB334_9 Depth=1
	s_or_b64 exec, exec, s[6:7]
	s_and_saveexec_b64 s[0:1], s[2:3]
	s_cbranch_execnz .LBB334_23
.LBB334_19:                             ;   in Loop: Header=BB334_9 Depth=1
	s_or_b64 exec, exec, s[0:1]
	s_and_saveexec_b64 s[0:1], s[4:5]
	s_cbranch_execz .LBB334_8
	s_branch .LBB334_24
.LBB334_20:                             ;   in Loop: Header=BB334_9 Depth=1
	v_mov_b32_e32 v24, s9
	v_add_co_u32_e64 v28, s[6:7], s8, v6
	v_addc_co_u32_e64 v29, s[6:7], v5, v24, s[6:7]
	global_load_dword v24, v[28:29], off
	s_or_b64 exec, exec, s[16:17]
	s_and_saveexec_b64 s[6:7], vcc
	s_cbranch_execz .LBB334_17
.LBB334_21:                             ;   in Loop: Header=BB334_9 Depth=1
	v_mov_b32_e32 v27, s9
	v_add_co_u32_e32 v28, vcc, s8, v4
	v_addc_co_u32_e32 v29, vcc, v3, v27, vcc
	s_waitcnt vmcnt(0)
	v_and_b32_e32 v23, 0x7fffffff, v23
	global_store_dword v[28:29], v23, off
	s_or_b64 exec, exec, s[6:7]
	s_and_saveexec_b64 s[6:7], s[0:1]
	s_cbranch_execz .LBB334_18
.LBB334_22:                             ;   in Loop: Header=BB334_9 Depth=1
	s_waitcnt vmcnt(0)
	v_and_b32_e32 v23, 0x7fffffff, v25
	v_mov_b32_e32 v25, s9
	v_add_co_u32_e32 v28, vcc, s8, v16
	v_addc_co_u32_e32 v29, vcc, v15, v25, vcc
	global_store_dword v[28:29], v23, off
	s_or_b64 exec, exec, s[6:7]
	s_and_saveexec_b64 s[0:1], s[2:3]
	s_cbranch_execz .LBB334_19
.LBB334_23:                             ;   in Loop: Header=BB334_9 Depth=1
	s_waitcnt vmcnt(0)
	v_and_b32_e32 v23, 0x7fffffff, v26
	v_mov_b32_e32 v25, s9
	v_add_co_u32_e32 v26, vcc, s8, v12
	v_addc_co_u32_e32 v27, vcc, v11, v25, vcc
	global_store_dword v[26:27], v23, off
	s_or_b64 exec, exec, s[0:1]
	s_and_saveexec_b64 s[0:1], s[4:5]
	s_cbranch_execz .LBB334_8
.LBB334_24:                             ;   in Loop: Header=BB334_9 Depth=1
	s_waitcnt vmcnt(0)
	v_and_b32_e32 v23, 0x7fffffff, v24
	v_mov_b32_e32 v25, s9
	v_add_co_u32_e32 v24, vcc, s8, v8
	v_addc_co_u32_e32 v25, vcc, v7, v25, vcc
	global_store_dword v[24:25], v23, off
	s_branch .LBB334_8
.LBB334_25:
	s_endpgm
	.section	.rodata,"a",@progbits
	.p2align	6, 0x0
	.amdhsa_kernel _ZN2at6native12_GLOBAL__N_125multi_tensor_apply_kernelINS1_18TensorListMetadataILi2EEENS1_14UnaryOpFunctorIfLi2ELi1ELi1EEEJNS0_3AbsIfEEEEEvT_T0_DpT1_
		.amdhsa_group_segment_fixed_size 0
		.amdhsa_private_segment_fixed_size 0
		.amdhsa_kernarg_size 3408
		.amdhsa_user_sgpr_count 6
		.amdhsa_user_sgpr_private_segment_buffer 1
		.amdhsa_user_sgpr_dispatch_ptr 0
		.amdhsa_user_sgpr_queue_ptr 0
		.amdhsa_user_sgpr_kernarg_segment_ptr 1
		.amdhsa_user_sgpr_dispatch_id 0
		.amdhsa_user_sgpr_flat_scratch_init 0
		.amdhsa_user_sgpr_kernarg_preload_length 0
		.amdhsa_user_sgpr_kernarg_preload_offset 0
		.amdhsa_user_sgpr_private_segment_size 0
		.amdhsa_uses_dynamic_stack 0
		.amdhsa_system_sgpr_private_segment_wavefront_offset 0
		.amdhsa_system_sgpr_workgroup_id_x 1
		.amdhsa_system_sgpr_workgroup_id_y 0
		.amdhsa_system_sgpr_workgroup_id_z 0
		.amdhsa_system_sgpr_workgroup_info 0
		.amdhsa_system_vgpr_workitem_id 0
		.amdhsa_next_free_vgpr 30
		.amdhsa_next_free_sgpr 22
		.amdhsa_accum_offset 32
		.amdhsa_reserve_vcc 1
		.amdhsa_reserve_flat_scratch 0
		.amdhsa_float_round_mode_32 0
		.amdhsa_float_round_mode_16_64 0
		.amdhsa_float_denorm_mode_32 3
		.amdhsa_float_denorm_mode_16_64 3
		.amdhsa_dx10_clamp 1
		.amdhsa_ieee_mode 1
		.amdhsa_fp16_overflow 0
		.amdhsa_tg_split 0
		.amdhsa_exception_fp_ieee_invalid_op 0
		.amdhsa_exception_fp_denorm_src 0
		.amdhsa_exception_fp_ieee_div_zero 0
		.amdhsa_exception_fp_ieee_overflow 0
		.amdhsa_exception_fp_ieee_underflow 0
		.amdhsa_exception_fp_ieee_inexact 0
		.amdhsa_exception_int_div_zero 0
	.end_amdhsa_kernel
	.section	.text._ZN2at6native12_GLOBAL__N_125multi_tensor_apply_kernelINS1_18TensorListMetadataILi2EEENS1_14UnaryOpFunctorIfLi2ELi1ELi1EEEJNS0_3AbsIfEEEEEvT_T0_DpT1_,"axG",@progbits,_ZN2at6native12_GLOBAL__N_125multi_tensor_apply_kernelINS1_18TensorListMetadataILi2EEENS1_14UnaryOpFunctorIfLi2ELi1ELi1EEEJNS0_3AbsIfEEEEEvT_T0_DpT1_,comdat
.Lfunc_end334:
	.size	_ZN2at6native12_GLOBAL__N_125multi_tensor_apply_kernelINS1_18TensorListMetadataILi2EEENS1_14UnaryOpFunctorIfLi2ELi1ELi1EEEJNS0_3AbsIfEEEEEvT_T0_DpT1_, .Lfunc_end334-_ZN2at6native12_GLOBAL__N_125multi_tensor_apply_kernelINS1_18TensorListMetadataILi2EEENS1_14UnaryOpFunctorIfLi2ELi1ELi1EEEJNS0_3AbsIfEEEEEvT_T0_DpT1_
                                        ; -- End function
	.section	.AMDGPU.csdata,"",@progbits
; Kernel info:
; codeLenInByte = 1280
; NumSgprs: 26
; NumVgprs: 30
; NumAgprs: 0
; TotalNumVgprs: 30
; ScratchSize: 0
; MemoryBound: 0
; FloatMode: 240
; IeeeMode: 1
; LDSByteSize: 0 bytes/workgroup (compile time only)
; SGPRBlocks: 3
; VGPRBlocks: 3
; NumSGPRsForWavesPerEU: 26
; NumVGPRsForWavesPerEU: 30
; AccumOffset: 32
; Occupancy: 8
; WaveLimiterHint : 0
; COMPUTE_PGM_RSRC2:SCRATCH_EN: 0
; COMPUTE_PGM_RSRC2:USER_SGPR: 6
; COMPUTE_PGM_RSRC2:TRAP_HANDLER: 0
; COMPUTE_PGM_RSRC2:TGID_X_EN: 1
; COMPUTE_PGM_RSRC2:TGID_Y_EN: 0
; COMPUTE_PGM_RSRC2:TGID_Z_EN: 0
; COMPUTE_PGM_RSRC2:TIDIG_COMP_CNT: 0
; COMPUTE_PGM_RSRC3_GFX90A:ACCUM_OFFSET: 7
; COMPUTE_PGM_RSRC3_GFX90A:TG_SPLIT: 0
	.section	.text._ZN2at6native12_GLOBAL__N_125multi_tensor_apply_kernelINS1_18TensorListMetadataILi2EEENS1_14UnaryOpFunctorIN3c107complexIdEELi2ELi1ELi1EEEJNS0_3AbsIS8_EEEEEvT_T0_DpT1_,"axG",@progbits,_ZN2at6native12_GLOBAL__N_125multi_tensor_apply_kernelINS1_18TensorListMetadataILi2EEENS1_14UnaryOpFunctorIN3c107complexIdEELi2ELi1ELi1EEEJNS0_3AbsIS8_EEEEEvT_T0_DpT1_,comdat
	.globl	_ZN2at6native12_GLOBAL__N_125multi_tensor_apply_kernelINS1_18TensorListMetadataILi2EEENS1_14UnaryOpFunctorIN3c107complexIdEELi2ELi1ELi1EEEJNS0_3AbsIS8_EEEEEvT_T0_DpT1_ ; -- Begin function _ZN2at6native12_GLOBAL__N_125multi_tensor_apply_kernelINS1_18TensorListMetadataILi2EEENS1_14UnaryOpFunctorIN3c107complexIdEELi2ELi1ELi1EEEJNS0_3AbsIS8_EEEEEvT_T0_DpT1_
	.p2align	8
	.type	_ZN2at6native12_GLOBAL__N_125multi_tensor_apply_kernelINS1_18TensorListMetadataILi2EEENS1_14UnaryOpFunctorIN3c107complexIdEELi2ELi1ELi1EEEJNS0_3AbsIS8_EEEEEvT_T0_DpT1_,@function
_ZN2at6native12_GLOBAL__N_125multi_tensor_apply_kernelINS1_18TensorListMetadataILi2EEENS1_14UnaryOpFunctorIN3c107complexIdEELi2ELi1ELi1EEEJNS0_3AbsIS8_EEEEEvT_T0_DpT1_: ; @_ZN2at6native12_GLOBAL__N_125multi_tensor_apply_kernelINS1_18TensorListMetadataILi2EEENS1_14UnaryOpFunctorIN3c107complexIdEELi2ELi1ELi1EEEJNS0_3AbsIS8_EEEEEvT_T0_DpT1_
; %bb.0:
	v_mov_b32_e32 v1, s6
	global_load_ubyte v1, v1, s[4:5] offset:1536
	s_add_u32 s0, s4, s6
	s_mul_hi_u32 s2, s6, 3
	s_mul_i32 s6, s6, 3
	s_addc_u32 s7, s5, 0
	s_add_u32 s6, s0, s6
	s_addc_u32 s7, s7, s2
	s_load_dword s6, s[6:7], 0x740
	s_mov_b32 s1, 0
	s_mov_b32 s3, s1
	;; [unrolled: 1-line block ×3, first 2 shown]
	s_waitcnt lgkmcnt(0)
	s_ashr_i32 s7, s6, 31
	s_lshl_b64 s[8:9], s[6:7], 20
	s_waitcnt vmcnt(0)
	v_readfirstlane_b32 s0, v1
	s_lshl_b32 s0, s0, 3
	s_load_dwordx2 s[14:15], s[4:5], s0 offset:0x0
	s_load_dwordx2 s[10:11], s[4:5], s0 offset:0x400
	;; [unrolled: 1-line block ×3, first 2 shown]
	s_waitcnt lgkmcnt(0)
	s_add_u32 s22, s14, s8
	s_addc_u32 s23, s15, s9
	s_add_u32 s24, s12, s8
	s_addc_u32 s25, s13, s9
	s_and_b32 s2, s22, 63
	s_and_b32 s16, s10, 3
	s_and_b32 s0, s24, 63
	s_or_b64 s[2:3], s[2:3], s[16:17]
	s_lshl_b64 s[6:7], s[6:7], 16
	s_or_b64 s[2:3], s[0:1], s[2:3]
	s_sub_u32 s10, s10, s6
	s_subb_u32 s11, s11, s7
	s_cmp_eq_u64 s[2:3], 0
	s_mov_b64 s[2:3], -1
	s_cbranch_scc0 .LBB335_5
; %bb.1:
	v_mov_b32_e32 v4, 0
	v_lshlrev_b32_e32 v2, 2, v0
	v_mov_b32_e32 v3, v4
	v_cmp_gt_i64_e32 vcc, s[10:11], v[2:3]
	s_and_saveexec_b64 s[16:17], vcc
	s_cbranch_execz .LBB335_4
; %bb.2:
	s_load_dword s0, s[4:5], 0xc5c
	v_mov_b32_e32 v7, v4
	v_lshlrev_b32_e32 v8, 6, v0
	s_mov_b64 s[18:19], 0
	v_mov_b32_e32 v1, 0x7ff80000
	s_waitcnt lgkmcnt(0)
	s_and_b32 s0, s0, 0xffff
	v_add_lshl_u32 v6, v0, s0, 2
	s_lshl_b32 s26, s0, 2
	s_lshl_b32 s27, s0, 6
	s_movk_i32 s28, 0x204
	v_mov_b32_e32 v9, 0x7ff00000
	s_mov_b64 s[20:21], 0xffff
	v_mov_b32_e32 v10, s1
.LBB335_3:                              ; =>This Inner Loop Header: Depth=1
	v_mov_b32_e32 v3, s23
	v_add_co_u32_e32 v2, vcc, s22, v8
	v_addc_co_u32_e32 v3, vcc, 0, v3, vcc
	global_load_dwordx4 v[20:23], v[2:3], off
	global_load_dwordx4 v[24:27], v[2:3], off offset:16
	global_load_dwordx4 v[28:31], v[2:3], off offset:32
	;; [unrolled: 1-line block ×3, first 2 shown]
	v_cmp_lt_u64_e64 s[0:1], s[20:21], v[6:7]
	v_mov_b32_e32 v11, s25
	v_mov_b32_e32 v5, v4
	;; [unrolled: 1-line block ×6, first 2 shown]
	s_waitcnt vmcnt(3)
	v_max_f64 v[2:3], |v[22:23]|, |v[22:23]|
	v_max_f64 v[12:13], |v[20:21]|, |v[20:21]|
	s_waitcnt vmcnt(2)
	v_max_f64 v[16:17], |v[26:27]|, |v[26:27]|
	v_max_f64 v[36:37], |v[24:25]|, |v[24:25]|
	v_max_f64 v[2:3], v[12:13], v[2:3]
	v_max_f64 v[12:13], v[36:37], v[16:17]
	v_frexp_exp_i32_f64_e32 v50, v[2:3]
	v_frexp_exp_i32_f64_e32 v51, v[12:13]
	v_sub_u32_e32 v12, 0, v50
	v_ldexp_f64 v[2:3], |v[20:21]|, v12
	v_ldexp_f64 v[12:13], |v[22:23]|, v12
	s_waitcnt vmcnt(0)
	v_max_f64 v[42:43], |v[34:35]|, |v[34:35]|
	v_max_f64 v[44:45], |v[32:33]|, |v[32:33]|
	v_mul_f64 v[12:13], v[12:13], v[12:13]
	v_max_f64 v[38:39], |v[30:31]|, |v[30:31]|
	v_max_f64 v[40:41], |v[28:29]|, |v[28:29]|
	v_max_f64 v[36:37], v[44:45], v[42:43]
	v_fmac_f64_e32 v[12:13], v[2:3], v[2:3]
	v_max_f64 v[16:17], v[40:41], v[38:39]
	v_frexp_exp_i32_f64_e32 v53, v[36:37]
	v_sub_u32_e32 v36, 0, v51
	v_rsq_f64_e32 v[2:3], v[12:13]
	v_frexp_exp_i32_f64_e32 v52, v[16:17]
	v_sub_u32_e32 v44, 0, v53
	v_ldexp_f64 v[16:17], |v[24:25]|, v36
	v_ldexp_f64 v[36:37], |v[26:27]|, v36
	;; [unrolled: 1-line block ×4, first 2 shown]
	v_mul_f64 v[46:47], v[36:37], v[36:37]
	v_mul_f64 v[44:45], v[44:45], v[44:45]
	v_fmac_f64_e32 v[46:47], v[16:17], v[16:17]
	v_sub_u32_e32 v40, 0, v52
	v_fmac_f64_e32 v[44:45], v[42:43], v[42:43]
	v_rsq_f64_e32 v[16:17], v[46:47]
	v_mul_f64 v[42:43], v[12:13], v[2:3]
	v_mul_f64 v[2:3], v[2:3], 0.5
	v_ldexp_f64 v[38:39], |v[28:29]|, v40
	v_ldexp_f64 v[40:41], |v[30:31]|, v40
	v_fma_f64 v[48:49], -v[2:3], v[42:43], 0.5
	v_mul_f64 v[40:41], v[40:41], v[40:41]
	v_fmac_f64_e32 v[42:43], v[42:43], v[48:49]
	v_fmac_f64_e32 v[40:41], v[38:39], v[38:39]
	;; [unrolled: 1-line block ×3, first 2 shown]
	v_fma_f64 v[48:49], -v[42:43], v[42:43], v[12:13]
	v_rsq_f64_e32 v[36:37], v[40:41]
	v_fmac_f64_e32 v[42:43], v[48:49], v[2:3]
	v_mul_f64 v[2:3], v[46:47], v[16:17]
	v_mul_f64 v[16:17], v[16:17], 0.5
	v_fma_f64 v[48:49], -v[16:17], v[2:3], 0.5
	v_fmac_f64_e32 v[2:3], v[2:3], v[48:49]
	v_fmac_f64_e32 v[16:17], v[16:17], v[48:49]
	v_fma_f64 v[48:49], -v[2:3], v[2:3], v[46:47]
	v_rsq_f64_e32 v[38:39], v[44:45]
	v_fmac_f64_e32 v[2:3], v[48:49], v[16:17]
	v_mul_f64 v[16:17], v[40:41], v[36:37]
	v_mul_f64 v[36:37], v[36:37], 0.5
	v_fma_f64 v[48:49], -v[36:37], v[16:17], 0.5
	v_fmac_f64_e32 v[16:17], v[16:17], v[48:49]
	v_fmac_f64_e32 v[36:37], v[36:37], v[48:49]
	v_fma_f64 v[48:49], -v[16:17], v[16:17], v[40:41]
	v_fmac_f64_e32 v[16:17], v[48:49], v[36:37]
	v_mul_f64 v[48:49], v[44:45], v[38:39]
	v_mul_f64 v[36:37], v[38:39], 0.5
	v_cmp_eq_f64_e32 vcc, 0, v[12:13]
	v_fma_f64 v[38:39], -v[36:37], v[48:49], 0.5
	v_cndmask_b32_e32 v13, v43, v13, vcc
	v_cndmask_b32_e32 v12, v42, v12, vcc
	v_cmp_le_i64_e32 vcc, s[10:11], v[6:7]
	v_add_co_u32_e64 v6, s[2:3], s26, v6
	v_fmac_f64_e32 v[48:49], v[48:49], v[38:39]
	v_addc_co_u32_e64 v7, s[2:3], v7, v10, s[2:3]
	v_fmac_f64_e32 v[36:37], v[36:37], v[38:39]
	v_fma_f64 v[38:39], -v[48:49], v[48:49], v[44:45]
	v_cmp_eq_f64_e64 s[2:3], 0, v[46:47]
	v_fmac_f64_e32 v[48:49], v[38:39], v[36:37]
	v_cndmask_b32_e64 v3, v3, v47, s[2:3]
	v_cndmask_b32_e64 v2, v2, v46, s[2:3]
	v_add_co_u32_e64 v38, s[2:3], s24, v8
	s_or_b64 s[30:31], vcc, s[0:1]
	v_cmp_eq_f64_e32 vcc, 0, v[44:45]
	v_cmp_eq_f64_e64 s[0:1], 0, v[40:41]
	v_addc_co_u32_e64 v39, s[2:3], 0, v11, s[2:3]
	v_cndmask_b32_e64 v17, v17, v41, s[0:1]
	v_cndmask_b32_e64 v16, v16, v40, s[0:1]
	v_cndmask_b32_e32 v41, v49, v45, vcc
	v_cndmask_b32_e32 v40, v48, v44, vcc
	v_cmp_class_f64_e64 s[34:35], v[20:21], s28
	v_cmp_class_f64_e64 s[36:37], v[22:23], s28
	;; [unrolled: 1-line block ×8, first 2 shown]
	v_ldexp_f64 v[12:13], v[12:13], v50
	v_ldexp_f64 v[2:3], v[2:3], v51
	v_cmp_o_f64_e32 vcc, v[24:25], v[26:27]
	v_ldexp_f64 v[16:17], v[16:17], v52
	v_cmp_o_f64_e64 s[0:1], v[28:29], v[30:31]
	v_ldexp_f64 v[24:25], v[40:41], v53
	v_cmp_o_f64_e64 s[2:3], v[32:33], v[34:35]
	v_cmp_o_f64_e64 s[6:7], v[20:21], v[22:23]
	v_cndmask_b32_e64 v11, 0, v12, s[6:7]
	v_cndmask_b32_e64 v12, v1, v13, s[6:7]
	v_cndmask_b32_e32 v20, 0, v2, vcc
	v_cndmask_b32_e32 v13, v1, v3, vcc
	s_or_b64 vcc, s[38:39], s[40:41]
	v_cndmask_b32_e64 v16, 0, v16, s[0:1]
	v_cndmask_b32_e64 v17, v1, v17, s[0:1]
	s_or_b64 s[0:1], s[42:43], s[44:45]
	v_cndmask_b32_e64 v21, 0, v24, s[2:3]
	v_cndmask_b32_e64 v22, v1, v25, s[2:3]
	s_or_b64 s[2:3], s[46:47], s[48:49]
	s_or_b64 s[6:7], s[34:35], s[36:37]
	s_add_u32 s22, s22, s27
	s_addc_u32 s23, s23, 0
	s_add_u32 s24, s24, s27
	s_addc_u32 s25, s25, 0
	v_cndmask_b32_e64 v17, v17, v9, s[0:1]
	v_cndmask_b32_e64 v16, v16, 0, s[0:1]
	s_and_b64 s[0:1], exec, s[30:31]
	v_mov_b32_e32 v36, v4
	v_mov_b32_e32 v37, v4
	v_cndmask_b32_e64 v3, v12, v9, s[6:7]
	v_cndmask_b32_e64 v2, v11, 0, s[6:7]
	;; [unrolled: 1-line block ×4, first 2 shown]
	s_or_b64 s[18:19], s[0:1], s[18:19]
	v_cndmask_b32_e32 v13, v13, v9, vcc
	v_cndmask_b32_e64 v12, v20, 0, vcc
	global_store_dwordx4 v[38:39], v[2:5], off
	global_store_dwordx4 v[38:39], v[12:15], off offset:16
	global_store_dwordx4 v[38:39], v[16:19], off offset:32
	;; [unrolled: 1-line block ×3, first 2 shown]
	s_andn2_b64 exec, exec, s[18:19]
	s_cbranch_execnz .LBB335_3
.LBB335_4:
	s_or_b64 exec, exec, s[16:17]
	s_mov_b64 s[2:3], 0
.LBB335_5:
	s_andn2_b64 vcc, exec, s[2:3]
	s_cbranch_vccnz .LBB335_25
; %bb.6:
	v_cmp_lt_i64_e64 s[0:1], s[10:11], 1
	s_and_b64 vcc, exec, s[0:1]
	s_cbranch_vccnz .LBB335_25
; %bb.7:
	s_load_dword s0, s[4:5], 0xc5c
	v_mov_b32_e32 v2, 0x10000
	v_mov_b32_e32 v3, 0
	v_cmp_lt_u64_e32 vcc, s[10:11], v[2:3]
	v_lshl_or_b32 v2, v0, 4, 8
	s_waitcnt lgkmcnt(0)
	s_and_b32 s21, s0, 0xffff
	s_and_b64 s[0:1], vcc, exec
	v_mov_b32_e32 v5, s15
	v_add_co_u32_e32 v22, vcc, s14, v2
	v_addc_co_u32_e32 v23, vcc, 0, v5, vcc
	v_mov_b32_e32 v8, s13
	v_add_co_u32_e32 v24, vcc, s12, v2
	v_mov_b32_e32 v4, 0
	v_addc_co_u32_e32 v25, vcc, 0, v8, vcc
	v_add_lshl_u32 v9, v0, s21, 4
	v_mov_b32_e32 v3, v4
	v_add_co_u32_e32 v26, vcc, s12, v9
	v_addc_co_u32_e32 v27, vcc, 0, v8, vcc
	v_mad_u64_u32 v[6:7], s[0:1], s21, 48, v[2:3]
	v_add_co_u32_e32 v28, vcc, s14, v6
	v_addc_co_u32_e32 v29, vcc, v5, v7, vcc
	v_add_co_u32_e32 v30, vcc, s14, v9
	v_addc_co_u32_e32 v31, vcc, 0, v5, vcc
	v_add_co_u32_e32 v32, vcc, s12, v6
	s_cselect_b32 s17, s11, 0
	s_cselect_b32 s16, s10, 0x10000
	v_addc_co_u32_e32 v33, vcc, v8, v7, vcc
	s_lshl_b32 s0, s21, 5
	v_add_co_u32_e32 v2, vcc, s0, v2
	v_addc_co_u32_e64 v3, s[0:1], 0, 0, vcc
	v_add_co_u32_e32 v34, vcc, s14, v2
	s_mov_b32 s20, 0
	v_addc_co_u32_e32 v35, vcc, v5, v3, vcc
	s_lshl_b32 s18, s21, 2
	s_mov_b32 s19, s20
	v_add_co_u32_e32 v36, vcc, s12, v2
	v_mov_b32_e32 v1, v4
	s_lshl_b32 s22, s21, 1
	s_mov_b32 s23, s20
	s_mul_i32 s24, s21, 3
	s_mov_b32 s25, s20
	s_lshl_b32 s26, s21, 6
	s_mov_b32 s27, s20
	v_addc_co_u32_e32 v37, vcc, v8, v3, vcc
	s_movk_i32 s28, 0x204
	v_mov_b32_e32 v38, 0x7ff80000
	v_mov_b32_e32 v39, 0x7ff00000
	s_mov_b64 s[12:13], s[18:19]
	s_branch .LBB335_9
.LBB335_8:                              ;   in Loop: Header=BB335_9 Depth=1
	s_or_b64 exec, exec, s[0:1]
	v_pk_mov_b32 v[2:3], s[10:11], s[10:11] op_sel:[0,1]
	v_cmp_ge_i64_e32 vcc, s[12:13], v[2:3]
	v_mov_b32_e32 v2, 0xffff
	v_mov_b32_e32 v3, 0
	v_cmp_gt_u64_e64 s[0:1], s[12:13], v[2:3]
	s_or_b64 s[0:1], vcc, s[0:1]
	v_mov_b32_e32 v2, s19
	v_add_co_u32_e32 v0, vcc, s18, v0
	v_addc_co_u32_e32 v1, vcc, v1, v2, vcc
	v_mov_b32_e32 v2, s27
	v_add_co_u32_e32 v22, vcc, s26, v22
	v_addc_co_u32_e32 v23, vcc, v23, v2, vcc
	v_add_co_u32_e32 v24, vcc, s26, v24
	v_addc_co_u32_e32 v25, vcc, v25, v2, vcc
	;; [unrolled: 2-line block ×7, first 2 shown]
	v_add_co_u32_e32 v36, vcc, s26, v36
	s_add_u32 s12, s12, s18
	v_addc_co_u32_e32 v37, vcc, v37, v2, vcc
	s_addc_u32 s13, s13, 0
	s_and_b64 vcc, exec, s[0:1]
	s_cbranch_vccnz .LBB335_25
.LBB335_9:                              ; =>This Inner Loop Header: Depth=1
	s_waitcnt vmcnt(0)
	v_pk_mov_b32 v[12:13], 0, 0
	v_cmp_gt_u64_e64 s[4:5], s[16:17], v[0:1]
	v_pk_mov_b32 v[20:21], v[12:13], v[12:13] op_sel:[0,1]
	v_pk_mov_b32 v[18:19], v[12:13], v[12:13] op_sel:[0,1]
	s_and_saveexec_b64 s[0:1], s[4:5]
	s_cbranch_execz .LBB335_11
; %bb.10:                               ;   in Loop: Header=BB335_9 Depth=1
	v_mov_b32_e32 v3, s9
	v_add_co_u32_e32 v2, vcc, s8, v22
	v_addc_co_u32_e32 v3, vcc, v23, v3, vcc
	global_load_dwordx4 v[18:21], v[2:3], off offset:-8
.LBB335_11:                             ;   in Loop: Header=BB335_9 Depth=1
	s_or_b64 exec, exec, s[0:1]
	v_mov_b32_e32 v3, s20
	v_add_co_u32_e32 v2, vcc, s21, v0
	v_addc_co_u32_e32 v3, vcc, v3, v1, vcc
	v_cmp_gt_u64_e64 s[2:3], s[16:17], v[2:3]
	v_pk_mov_b32 v[10:11], v[12:13], v[12:13] op_sel:[0,1]
	s_and_saveexec_b64 s[0:1], s[2:3]
	s_cbranch_execz .LBB335_13
; %bb.12:                               ;   in Loop: Header=BB335_9 Depth=1
	v_mov_b32_e32 v3, s9
	v_add_co_u32_e32 v2, vcc, s8, v30
	v_addc_co_u32_e32 v3, vcc, v31, v3, vcc
	global_load_dwordx4 v[10:13], v[2:3], off
.LBB335_13:                             ;   in Loop: Header=BB335_9 Depth=1
	s_or_b64 exec, exec, s[0:1]
	v_mov_b32_e32 v3, s23
	v_add_co_u32_e32 v2, vcc, s22, v0
	v_addc_co_u32_e32 v3, vcc, v3, v1, vcc
	v_pk_mov_b32 v[8:9], 0, 0
	v_cmp_gt_u64_e64 s[0:1], s[16:17], v[2:3]
	v_pk_mov_b32 v[16:17], v[8:9], v[8:9] op_sel:[0,1]
	v_pk_mov_b32 v[14:15], v[8:9], v[8:9] op_sel:[0,1]
	s_and_saveexec_b64 s[6:7], s[0:1]
	s_cbranch_execz .LBB335_15
; %bb.14:                               ;   in Loop: Header=BB335_9 Depth=1
	v_mov_b32_e32 v3, s9
	v_add_co_u32_e32 v2, vcc, s8, v34
	v_addc_co_u32_e32 v3, vcc, v35, v3, vcc
	global_load_dwordx4 v[14:17], v[2:3], off offset:-8
.LBB335_15:                             ;   in Loop: Header=BB335_9 Depth=1
	s_or_b64 exec, exec, s[6:7]
	v_mov_b32_e32 v3, s25
	v_add_co_u32_e32 v2, vcc, s24, v0
	v_addc_co_u32_e32 v3, vcc, v3, v1, vcc
	v_cmp_gt_u64_e32 vcc, s[16:17], v[2:3]
	v_pk_mov_b32 v[6:7], v[8:9], v[8:9] op_sel:[0,1]
	s_and_saveexec_b64 s[14:15], vcc
	s_cbranch_execnz .LBB335_20
; %bb.16:                               ;   in Loop: Header=BB335_9 Depth=1
	s_or_b64 exec, exec, s[14:15]
	s_and_saveexec_b64 s[6:7], s[4:5]
	s_cbranch_execnz .LBB335_21
.LBB335_17:                             ;   in Loop: Header=BB335_9 Depth=1
	s_or_b64 exec, exec, s[6:7]
	s_and_saveexec_b64 s[4:5], s[2:3]
	s_cbranch_execnz .LBB335_22
.LBB335_18:                             ;   in Loop: Header=BB335_9 Depth=1
	s_or_b64 exec, exec, s[4:5]
	s_and_saveexec_b64 s[2:3], s[0:1]
	s_cbranch_execnz .LBB335_23
.LBB335_19:                             ;   in Loop: Header=BB335_9 Depth=1
	s_or_b64 exec, exec, s[2:3]
	s_and_saveexec_b64 s[0:1], vcc
	s_cbranch_execz .LBB335_8
	s_branch .LBB335_24
.LBB335_20:                             ;   in Loop: Header=BB335_9 Depth=1
	v_mov_b32_e32 v3, s9
	v_add_co_u32_e64 v2, s[6:7], s8, v28
	v_addc_co_u32_e64 v3, s[6:7], v29, v3, s[6:7]
	global_load_dwordx4 v[6:9], v[2:3], off offset:-8
	s_or_b64 exec, exec, s[14:15]
	s_and_saveexec_b64 s[6:7], s[4:5]
	s_cbranch_execz .LBB335_17
.LBB335_21:                             ;   in Loop: Header=BB335_9 Depth=1
	s_waitcnt vmcnt(0)
	v_max_f64 v[2:3], |v[20:21]|, |v[20:21]|
	v_max_f64 v[40:41], |v[18:19]|, |v[18:19]|
	v_max_f64 v[2:3], v[40:41], v[2:3]
	v_frexp_exp_i32_f64_e32 v5, v[2:3]
	v_sub_u32_e32 v40, 0, v5
	v_ldexp_f64 v[2:3], |v[18:19]|, v40
	v_ldexp_f64 v[40:41], |v[20:21]|, v40
	v_mul_f64 v[40:41], v[40:41], v[40:41]
	v_fmac_f64_e32 v[40:41], v[2:3], v[2:3]
	v_rsq_f64_e32 v[2:3], v[40:41]
	v_cmp_eq_f64_e64 s[4:5], 0, v[40:41]
	v_cmp_class_f64_e64 s[14:15], v[18:19], s28
	v_cmp_class_f64_e64 s[30:31], v[20:21], s28
	v_mul_f64 v[42:43], v[40:41], v[2:3]
	v_mul_f64 v[2:3], v[2:3], 0.5
	v_fma_f64 v[44:45], -v[2:3], v[42:43], 0.5
	v_fmac_f64_e32 v[42:43], v[42:43], v[44:45]
	v_fma_f64 v[46:47], -v[42:43], v[42:43], v[40:41]
	v_fmac_f64_e32 v[2:3], v[2:3], v[44:45]
	v_fmac_f64_e32 v[42:43], v[46:47], v[2:3]
	v_cndmask_b32_e64 v3, v43, v41, s[4:5]
	v_cndmask_b32_e64 v2, v42, v40, s[4:5]
	v_ldexp_f64 v[2:3], v[2:3], v5
	v_cmp_o_f64_e64 s[4:5], v[18:19], v[20:21]
	v_cndmask_b32_e64 v2, 0, v2, s[4:5]
	v_cndmask_b32_e64 v3, v38, v3, s[4:5]
	s_or_b64 s[4:5], s[30:31], s[14:15]
	v_cndmask_b32_e64 v3, v3, v39, s[4:5]
	v_cndmask_b32_e64 v2, v2, 0, s[4:5]
	v_mov_b32_e32 v5, s9
	v_add_co_u32_e64 v18, s[4:5], s8, v24
	v_addc_co_u32_e64 v19, s[4:5], v25, v5, s[4:5]
	v_mov_b32_e32 v5, v4
	global_store_dwordx4 v[18:19], v[2:5], off offset:-8
	s_or_b64 exec, exec, s[6:7]
	s_and_saveexec_b64 s[4:5], s[2:3]
	s_cbranch_execz .LBB335_18
.LBB335_22:                             ;   in Loop: Header=BB335_9 Depth=1
	s_waitcnt vmcnt(0)
	v_max_f64 v[2:3], |v[12:13]|, |v[12:13]|
	v_max_f64 v[18:19], |v[10:11]|, |v[10:11]|
	v_max_f64 v[2:3], v[18:19], v[2:3]
	v_frexp_exp_i32_f64_e32 v5, v[2:3]
	v_sub_u32_e32 v18, 0, v5
	v_ldexp_f64 v[2:3], |v[10:11]|, v18
	v_ldexp_f64 v[18:19], |v[12:13]|, v18
	v_mul_f64 v[18:19], v[18:19], v[18:19]
	v_fmac_f64_e32 v[18:19], v[2:3], v[2:3]
	v_rsq_f64_e32 v[2:3], v[18:19]
	v_cmp_eq_f64_e64 s[2:3], 0, v[18:19]
	v_cmp_class_f64_e64 s[6:7], v[12:13], s28
	v_mul_f64 v[20:21], v[18:19], v[2:3]
	v_mul_f64 v[2:3], v[2:3], 0.5
	v_fma_f64 v[40:41], -v[2:3], v[20:21], 0.5
	v_fmac_f64_e32 v[20:21], v[20:21], v[40:41]
	v_fmac_f64_e32 v[2:3], v[2:3], v[40:41]
	v_fma_f64 v[40:41], -v[20:21], v[20:21], v[18:19]
	v_fmac_f64_e32 v[20:21], v[40:41], v[2:3]
	v_cndmask_b32_e64 v3, v21, v19, s[2:3]
	v_cndmask_b32_e64 v2, v20, v18, s[2:3]
	v_ldexp_f64 v[2:3], v[2:3], v5
	v_cmp_o_f64_e64 s[2:3], v[10:11], v[12:13]
	v_cndmask_b32_e64 v2, 0, v2, s[2:3]
	v_cndmask_b32_e64 v3, v38, v3, s[2:3]
	v_cmp_class_f64_e64 s[2:3], v[10:11], s28
	s_or_b64 s[2:3], s[6:7], s[2:3]
	v_cndmask_b32_e64 v3, v3, v39, s[2:3]
	v_cndmask_b32_e64 v2, v2, 0, s[2:3]
	v_mov_b32_e32 v5, s9
	v_add_co_u32_e64 v10, s[2:3], s8, v26
	v_addc_co_u32_e64 v11, s[2:3], v27, v5, s[2:3]
	v_mov_b32_e32 v5, v4
	global_store_dwordx4 v[10:11], v[2:5], off
	s_or_b64 exec, exec, s[4:5]
	s_and_saveexec_b64 s[2:3], s[0:1]
	s_cbranch_execz .LBB335_19
.LBB335_23:                             ;   in Loop: Header=BB335_9 Depth=1
	s_waitcnt vmcnt(0)
	v_max_f64 v[2:3], |v[16:17]|, |v[16:17]|
	v_max_f64 v[10:11], |v[14:15]|, |v[14:15]|
	v_max_f64 v[2:3], v[10:11], v[2:3]
	v_frexp_exp_i32_f64_e32 v5, v[2:3]
	v_sub_u32_e32 v10, 0, v5
	v_ldexp_f64 v[2:3], |v[14:15]|, v10
	v_ldexp_f64 v[10:11], |v[16:17]|, v10
	v_mul_f64 v[10:11], v[10:11], v[10:11]
	v_fmac_f64_e32 v[10:11], v[2:3], v[2:3]
	v_rsq_f64_e32 v[2:3], v[10:11]
	v_cmp_eq_f64_e64 s[0:1], 0, v[10:11]
	v_cmp_class_f64_e64 s[4:5], v[16:17], s28
	v_mul_f64 v[12:13], v[10:11], v[2:3]
	v_mul_f64 v[2:3], v[2:3], 0.5
	v_fma_f64 v[18:19], -v[2:3], v[12:13], 0.5
	v_fmac_f64_e32 v[12:13], v[12:13], v[18:19]
	v_fmac_f64_e32 v[2:3], v[2:3], v[18:19]
	v_fma_f64 v[18:19], -v[12:13], v[12:13], v[10:11]
	v_fmac_f64_e32 v[12:13], v[18:19], v[2:3]
	v_cndmask_b32_e64 v3, v13, v11, s[0:1]
	v_cndmask_b32_e64 v2, v12, v10, s[0:1]
	v_ldexp_f64 v[2:3], v[2:3], v5
	v_cmp_o_f64_e64 s[0:1], v[14:15], v[16:17]
	v_cndmask_b32_e64 v2, 0, v2, s[0:1]
	v_cndmask_b32_e64 v3, v38, v3, s[0:1]
	v_cmp_class_f64_e64 s[0:1], v[14:15], s28
	s_or_b64 s[0:1], s[4:5], s[0:1]
	v_cndmask_b32_e64 v3, v3, v39, s[0:1]
	v_cndmask_b32_e64 v2, v2, 0, s[0:1]
	v_mov_b32_e32 v5, s9
	v_add_co_u32_e64 v10, s[0:1], s8, v36
	v_addc_co_u32_e64 v11, s[0:1], v37, v5, s[0:1]
	v_mov_b32_e32 v5, v4
	global_store_dwordx4 v[10:11], v[2:5], off offset:-8
	s_or_b64 exec, exec, s[2:3]
	s_and_saveexec_b64 s[0:1], vcc
	s_cbranch_execz .LBB335_8
.LBB335_24:                             ;   in Loop: Header=BB335_9 Depth=1
	s_waitcnt vmcnt(0)
	v_max_f64 v[2:3], |v[8:9]|, |v[8:9]|
	v_max_f64 v[10:11], |v[6:7]|, |v[6:7]|
	v_max_f64 v[2:3], v[10:11], v[2:3]
	v_frexp_exp_i32_f64_e32 v5, v[2:3]
	v_sub_u32_e32 v10, 0, v5
	v_ldexp_f64 v[2:3], |v[6:7]|, v10
	v_ldexp_f64 v[10:11], |v[8:9]|, v10
	v_mul_f64 v[10:11], v[10:11], v[10:11]
	v_fmac_f64_e32 v[10:11], v[2:3], v[2:3]
	v_rsq_f64_e32 v[2:3], v[10:11]
	v_cmp_eq_f64_e32 vcc, 0, v[10:11]
	v_cmp_class_f64_e64 s[2:3], v[6:7], s28
	v_cmp_class_f64_e64 s[4:5], v[8:9], s28
	v_mul_f64 v[12:13], v[10:11], v[2:3]
	v_mul_f64 v[2:3], v[2:3], 0.5
	v_fma_f64 v[14:15], -v[2:3], v[12:13], 0.5
	v_fmac_f64_e32 v[12:13], v[12:13], v[14:15]
	v_fmac_f64_e32 v[2:3], v[2:3], v[14:15]
	v_fma_f64 v[14:15], -v[12:13], v[12:13], v[10:11]
	v_fmac_f64_e32 v[12:13], v[14:15], v[2:3]
	v_cndmask_b32_e32 v3, v13, v11, vcc
	v_cndmask_b32_e32 v2, v12, v10, vcc
	v_ldexp_f64 v[2:3], v[2:3], v5
	v_cmp_o_f64_e32 vcc, v[6:7], v[8:9]
	v_cndmask_b32_e32 v2, 0, v2, vcc
	v_cndmask_b32_e32 v3, v38, v3, vcc
	s_or_b64 vcc, s[4:5], s[2:3]
	v_cndmask_b32_e32 v3, v3, v39, vcc
	v_cndmask_b32_e64 v2, v2, 0, vcc
	v_mov_b32_e32 v5, s9
	v_add_co_u32_e32 v6, vcc, s8, v32
	v_addc_co_u32_e32 v7, vcc, v33, v5, vcc
	v_mov_b32_e32 v5, v4
	global_store_dwordx4 v[6:7], v[2:5], off offset:-8
	s_branch .LBB335_8
.LBB335_25:
	s_endpgm
	.section	.rodata,"a",@progbits
	.p2align	6, 0x0
	.amdhsa_kernel _ZN2at6native12_GLOBAL__N_125multi_tensor_apply_kernelINS1_18TensorListMetadataILi2EEENS1_14UnaryOpFunctorIN3c107complexIdEELi2ELi1ELi1EEEJNS0_3AbsIS8_EEEEEvT_T0_DpT1_
		.amdhsa_group_segment_fixed_size 0
		.amdhsa_private_segment_fixed_size 0
		.amdhsa_kernarg_size 3408
		.amdhsa_user_sgpr_count 6
		.amdhsa_user_sgpr_private_segment_buffer 1
		.amdhsa_user_sgpr_dispatch_ptr 0
		.amdhsa_user_sgpr_queue_ptr 0
		.amdhsa_user_sgpr_kernarg_segment_ptr 1
		.amdhsa_user_sgpr_dispatch_id 0
		.amdhsa_user_sgpr_flat_scratch_init 0
		.amdhsa_user_sgpr_kernarg_preload_length 0
		.amdhsa_user_sgpr_kernarg_preload_offset 0
		.amdhsa_user_sgpr_private_segment_size 0
		.amdhsa_uses_dynamic_stack 0
		.amdhsa_system_sgpr_private_segment_wavefront_offset 0
		.amdhsa_system_sgpr_workgroup_id_x 1
		.amdhsa_system_sgpr_workgroup_id_y 0
		.amdhsa_system_sgpr_workgroup_id_z 0
		.amdhsa_system_sgpr_workgroup_info 0
		.amdhsa_system_vgpr_workitem_id 0
		.amdhsa_next_free_vgpr 54
		.amdhsa_next_free_sgpr 50
		.amdhsa_accum_offset 56
		.amdhsa_reserve_vcc 1
		.amdhsa_reserve_flat_scratch 0
		.amdhsa_float_round_mode_32 0
		.amdhsa_float_round_mode_16_64 0
		.amdhsa_float_denorm_mode_32 3
		.amdhsa_float_denorm_mode_16_64 3
		.amdhsa_dx10_clamp 1
		.amdhsa_ieee_mode 1
		.amdhsa_fp16_overflow 0
		.amdhsa_tg_split 0
		.amdhsa_exception_fp_ieee_invalid_op 0
		.amdhsa_exception_fp_denorm_src 0
		.amdhsa_exception_fp_ieee_div_zero 0
		.amdhsa_exception_fp_ieee_overflow 0
		.amdhsa_exception_fp_ieee_underflow 0
		.amdhsa_exception_fp_ieee_inexact 0
		.amdhsa_exception_int_div_zero 0
	.end_amdhsa_kernel
	.section	.text._ZN2at6native12_GLOBAL__N_125multi_tensor_apply_kernelINS1_18TensorListMetadataILi2EEENS1_14UnaryOpFunctorIN3c107complexIdEELi2ELi1ELi1EEEJNS0_3AbsIS8_EEEEEvT_T0_DpT1_,"axG",@progbits,_ZN2at6native12_GLOBAL__N_125multi_tensor_apply_kernelINS1_18TensorListMetadataILi2EEENS1_14UnaryOpFunctorIN3c107complexIdEELi2ELi1ELi1EEEJNS0_3AbsIS8_EEEEEvT_T0_DpT1_,comdat
.Lfunc_end335:
	.size	_ZN2at6native12_GLOBAL__N_125multi_tensor_apply_kernelINS1_18TensorListMetadataILi2EEENS1_14UnaryOpFunctorIN3c107complexIdEELi2ELi1ELi1EEEJNS0_3AbsIS8_EEEEEvT_T0_DpT1_, .Lfunc_end335-_ZN2at6native12_GLOBAL__N_125multi_tensor_apply_kernelINS1_18TensorListMetadataILi2EEENS1_14UnaryOpFunctorIN3c107complexIdEELi2ELi1ELi1EEEJNS0_3AbsIS8_EEEEEvT_T0_DpT1_
                                        ; -- End function
	.section	.AMDGPU.csdata,"",@progbits
; Kernel info:
; codeLenInByte = 2920
; NumSgprs: 54
; NumVgprs: 54
; NumAgprs: 0
; TotalNumVgprs: 54
; ScratchSize: 0
; MemoryBound: 1
; FloatMode: 240
; IeeeMode: 1
; LDSByteSize: 0 bytes/workgroup (compile time only)
; SGPRBlocks: 6
; VGPRBlocks: 6
; NumSGPRsForWavesPerEU: 54
; NumVGPRsForWavesPerEU: 54
; AccumOffset: 56
; Occupancy: 8
; WaveLimiterHint : 0
; COMPUTE_PGM_RSRC2:SCRATCH_EN: 0
; COMPUTE_PGM_RSRC2:USER_SGPR: 6
; COMPUTE_PGM_RSRC2:TRAP_HANDLER: 0
; COMPUTE_PGM_RSRC2:TGID_X_EN: 1
; COMPUTE_PGM_RSRC2:TGID_Y_EN: 0
; COMPUTE_PGM_RSRC2:TGID_Z_EN: 0
; COMPUTE_PGM_RSRC2:TIDIG_COMP_CNT: 0
; COMPUTE_PGM_RSRC3_GFX90A:ACCUM_OFFSET: 13
; COMPUTE_PGM_RSRC3_GFX90A:TG_SPLIT: 0
	.section	.text._ZN2at6native12_GLOBAL__N_125multi_tensor_apply_kernelINS1_18TensorListMetadataILi2EEENS1_14UnaryOpFunctorIN3c107complexIfEELi2ELi1ELi1EEEJNS0_3AbsIS8_EEEEEvT_T0_DpT1_,"axG",@progbits,_ZN2at6native12_GLOBAL__N_125multi_tensor_apply_kernelINS1_18TensorListMetadataILi2EEENS1_14UnaryOpFunctorIN3c107complexIfEELi2ELi1ELi1EEEJNS0_3AbsIS8_EEEEEvT_T0_DpT1_,comdat
	.globl	_ZN2at6native12_GLOBAL__N_125multi_tensor_apply_kernelINS1_18TensorListMetadataILi2EEENS1_14UnaryOpFunctorIN3c107complexIfEELi2ELi1ELi1EEEJNS0_3AbsIS8_EEEEEvT_T0_DpT1_ ; -- Begin function _ZN2at6native12_GLOBAL__N_125multi_tensor_apply_kernelINS1_18TensorListMetadataILi2EEENS1_14UnaryOpFunctorIN3c107complexIfEELi2ELi1ELi1EEEJNS0_3AbsIS8_EEEEEvT_T0_DpT1_
	.p2align	8
	.type	_ZN2at6native12_GLOBAL__N_125multi_tensor_apply_kernelINS1_18TensorListMetadataILi2EEENS1_14UnaryOpFunctorIN3c107complexIfEELi2ELi1ELi1EEEJNS0_3AbsIS8_EEEEEvT_T0_DpT1_,@function
_ZN2at6native12_GLOBAL__N_125multi_tensor_apply_kernelINS1_18TensorListMetadataILi2EEENS1_14UnaryOpFunctorIN3c107complexIfEELi2ELi1ELi1EEEJNS0_3AbsIS8_EEEEEvT_T0_DpT1_: ; @_ZN2at6native12_GLOBAL__N_125multi_tensor_apply_kernelINS1_18TensorListMetadataILi2EEENS1_14UnaryOpFunctorIN3c107complexIfEELi2ELi1ELi1EEEJNS0_3AbsIS8_EEEEEvT_T0_DpT1_
; %bb.0:
	v_mov_b32_e32 v1, s6
	global_load_ubyte v1, v1, s[4:5] offset:1536
	s_add_u32 s0, s4, s6
	s_mul_hi_u32 s2, s6, 3
	s_mul_i32 s6, s6, 3
	s_addc_u32 s7, s5, 0
	s_add_u32 s6, s0, s6
	s_addc_u32 s7, s7, s2
	s_load_dword s6, s[6:7], 0x740
	s_mov_b32 s1, 0
	s_mov_b32 s3, s1
	;; [unrolled: 1-line block ×3, first 2 shown]
	s_waitcnt lgkmcnt(0)
	s_ashr_i32 s7, s6, 31
	s_lshl_b64 s[8:9], s[6:7], 19
	s_waitcnt vmcnt(0)
	v_readfirstlane_b32 s0, v1
	s_lshl_b32 s0, s0, 3
	s_load_dwordx2 s[16:17], s[4:5], s0 offset:0x0
	s_load_dwordx2 s[10:11], s[4:5], s0 offset:0x400
	;; [unrolled: 1-line block ×3, first 2 shown]
	s_waitcnt lgkmcnt(0)
	s_add_u32 s22, s16, s8
	s_addc_u32 s23, s17, s9
	s_add_u32 s24, s14, s8
	s_addc_u32 s25, s15, s9
	s_and_b32 s2, s22, 31
	s_and_b32 s12, s10, 3
	;; [unrolled: 1-line block ×3, first 2 shown]
	s_or_b64 s[2:3], s[2:3], s[12:13]
	s_lshl_b64 s[6:7], s[6:7], 16
	s_or_b64 s[2:3], s[0:1], s[2:3]
	s_sub_u32 s10, s10, s6
	s_subb_u32 s11, s11, s7
	s_cmp_eq_u64 s[2:3], 0
	s_mov_b64 s[2:3], -1
	s_cbranch_scc0 .LBB336_5
; %bb.1:
	v_mov_b32_e32 v3, 0
	v_lshlrev_b32_e32 v2, 2, v0
	v_cmp_gt_i64_e32 vcc, s[10:11], v[2:3]
	s_and_saveexec_b64 s[12:13], vcc
	s_cbranch_execz .LBB336_4
; %bb.2:
	s_load_dword s0, s[4:5], 0xc5c
	v_lshlrev_b32_e32 v6, 5, v0
	s_mov_b64 s[18:19], 0
	s_mov_b32 s28, 0x7f800000
	v_mov_b32_e32 v1, 0x7f800000
	s_waitcnt lgkmcnt(0)
	s_and_b32 s0, s0, 0xffff
	v_add_lshl_u32 v2, v0, s0, 2
	s_lshl_b32 s26, s0, 2
	s_lshl_b32 s27, s0, 5
	s_mov_b64 s[20:21], 0xffff
	v_mov_b32_e32 v7, s1
	v_pk_mov_b32 v[8:9], v[2:3], v[2:3] op_sel:[0,1]
.LBB336_3:                              ; =>This Inner Loop Header: Depth=1
	v_mov_b32_e32 v2, s23
	v_add_co_u32_e32 v4, vcc, s22, v6
	v_addc_co_u32_e32 v5, vcc, 0, v2, vcc
	global_load_dwordx4 v[10:13], v[4:5], off
	global_load_dwordx4 v[14:17], v[4:5], off offset:16
	v_cmp_le_i64_e32 vcc, s[10:11], v[8:9]
	v_cmp_lt_u64_e64 s[0:1], s[20:21], v[8:9]
	v_add_co_u32_e64 v8, s[2:3], s26, v8
	v_addc_co_u32_e64 v9, s[2:3], v9, v7, s[2:3]
	v_mov_b32_e32 v2, s25
	v_add_co_u32_e64 v22, s[2:3], s24, v6
	v_addc_co_u32_e64 v23, s[2:3], 0, v2, s[2:3]
	s_or_b64 s[0:1], vcc, s[0:1]
	s_add_u32 s22, s22, s27
	s_addc_u32 s23, s23, 0
	s_add_u32 s24, s24, s27
	s_addc_u32 s25, s25, 0
	s_and_b64 s[0:1], exec, s[0:1]
	v_mov_b32_e32 v5, v3
	s_or_b64 s[18:19], s[0:1], s[18:19]
	v_mov_b32_e32 v19, v3
	v_mov_b32_e32 v21, v3
	s_waitcnt vmcnt(1)
	v_max_f32_e64 v2, |v11|, |v11|
	v_max_f32_e64 v4, |v10|, |v10|
	v_max_f32_e64 v18, |v13|, |v13|
	v_max_f32_e64 v20, |v12|, |v12|
	s_waitcnt vmcnt(0)
	v_max_f32_e64 v24, |v15|, |v15|
	v_max_f32_e64 v25, |v14|, |v14|
	;; [unrolled: 1-line block ×4, first 2 shown]
	v_max_f32_e32 v2, v4, v2
	v_max_f32_e32 v4, v20, v18
	;; [unrolled: 1-line block ×4, first 2 shown]
	v_cvt_f64_f32_e32 v[24:25], v2
	v_cvt_f64_f32_e32 v[26:27], v4
	;; [unrolled: 1-line block ×4, first 2 shown]
	v_frexp_exp_i32_f64_e32 v24, v[24:25]
	v_frexp_exp_i32_f64_e32 v25, v[26:27]
	;; [unrolled: 1-line block ×4, first 2 shown]
	v_sub_u32_e32 v28, 0, v24
	v_sub_u32_e32 v29, 0, v25
	;; [unrolled: 1-line block ×4, first 2 shown]
	v_ldexp_f32 v11, |v11|, v28
	v_ldexp_f32 v13, |v13|, v29
	;; [unrolled: 1-line block ×6, first 2 shown]
	v_mul_f32_e32 v11, v11, v11
	v_mul_f32_e32 v13, v13, v13
	v_ldexp_f32 v14, |v14|, v30
	v_ldexp_f32 v16, |v16|, v31
	v_mul_f32_e32 v15, v15, v15
	v_mul_f32_e32 v17, v17, v17
	v_fmac_f32_e32 v11, v10, v10
	v_fmac_f32_e32 v13, v12, v12
	v_fmac_f32_e32 v15, v14, v14
	v_fmac_f32_e32 v17, v16, v16
	v_sqrt_f32_e32 v10, v11
	v_sqrt_f32_e32 v11, v13
	;; [unrolled: 1-line block ×4, first 2 shown]
	v_ldexp_f32 v10, v10, v24
	v_ldexp_f32 v11, v11, v25
	v_cmp_neq_f32_e32 vcc, s28, v4
	v_cmp_neq_f32_e64 s[6:7], s28, v2
	v_ldexp_f32 v12, v12, v26
	v_cmp_neq_f32_e64 s[0:1], s28, v18
	v_ldexp_f32 v13, v13, v27
	v_cmp_neq_f32_e64 s[2:3], s28, v20
	v_cndmask_b32_e64 v2, v1, v10, s[6:7]
	v_cndmask_b32_e32 v4, v1, v11, vcc
	v_cndmask_b32_e64 v18, v1, v12, s[0:1]
	v_cndmask_b32_e64 v20, v1, v13, s[2:3]
	global_store_dwordx4 v[22:23], v[2:5], off
	global_store_dwordx4 v[22:23], v[18:21], off offset:16
	s_andn2_b64 exec, exec, s[18:19]
	s_cbranch_execnz .LBB336_3
.LBB336_4:
	s_or_b64 exec, exec, s[12:13]
	s_mov_b64 s[2:3], 0
.LBB336_5:
	s_andn2_b64 vcc, exec, s[2:3]
	s_cbranch_vccnz .LBB336_25
; %bb.6:
	v_cmp_lt_i64_e64 s[0:1], s[10:11], 1
	s_and_b64 vcc, exec, s[0:1]
	s_cbranch_vccnz .LBB336_25
; %bb.7:
	s_load_dword s0, s[4:5], 0xc5c
	v_mov_b32_e32 v4, 0x10000
	v_mov_b32_e32 v5, 0
	v_cmp_lt_u64_e32 vcc, s[10:11], v[4:5]
	v_lshlrev_b32_e32 v2, 3, v0
	s_waitcnt lgkmcnt(0)
	s_and_b32 s2, s0, 0xffff
	s_and_b64 s[0:1], vcc, exec
	v_mov_b32_e32 v15, s17
	v_add_co_u32_e32 v4, vcc, s16, v2
	v_addc_co_u32_e32 v1, vcc, 0, v15, vcc
	v_mov_b32_e32 v3, 0
	v_mov_b32_e32 v17, s15
	v_add_co_u32_e32 v6, vcc, s14, v2
	v_addc_co_u32_e32 v5, vcc, 0, v17, vcc
	v_mad_u64_u32 v[10:11], s[0:1], s2, 24, v[2:3]
	v_add_co_u32_e32 v8, vcc, s16, v10
	v_addc_co_u32_e32 v7, vcc, v15, v11, vcc
	v_add_co_u32_e32 v10, vcc, s14, v10
	s_mul_i32 s4, s2, 3
	v_addc_co_u32_e32 v9, vcc, v17, v11, vcc
	v_add_co_u32_e32 v19, vcc, s4, v0
	v_addc_co_u32_e64 v28, s[0:1], 0, 0, vcc
	s_cselect_b32 s13, s11, 0
	s_cselect_b32 s12, s10, 0x10000
	s_lshl_b32 s0, s2, 4
	v_add_co_u32_e32 v2, vcc, s0, v2
	v_addc_co_u32_e64 v13, s[0:1], 0, 0, vcc
	v_add_co_u32_e32 v12, vcc, s16, v2
	v_addc_co_u32_e32 v11, vcc, v15, v13, vcc
	v_add_co_u32_e32 v14, vcc, s14, v2
	s_lshl_b32 s3, s2, 1
	v_addc_co_u32_e32 v13, vcc, v17, v13, vcc
	v_add_co_u32_e32 v29, vcc, s3, v0
	v_addc_co_u32_e64 v30, s[0:1], 0, 0, vcc
	v_add_co_u32_e32 v31, vcc, s2, v0
	v_lshlrev_b32_e32 v2, 3, v31
	v_addc_co_u32_e64 v32, s[0:1], 0, 0, vcc
	v_add_co_u32_e32 v16, vcc, s16, v2
	v_addc_co_u32_e32 v15, vcc, 0, v15, vcc
	v_add_co_u32_e32 v18, vcc, s14, v2
	s_mov_b32 s18, 0
	s_lshl_b32 s19, s2, 2
	s_lshl_b32 s20, s2, 5
	v_addc_co_u32_e32 v17, vcc, 0, v17, vcc
	s_mov_b64 s[14:15], 0
	s_mov_b32 s21, 0x7f800000
	v_mov_b32_e32 v33, 0x7f800000
	s_branch .LBB336_9
.LBB336_8:                              ;   in Loop: Header=BB336_9 Depth=1
	s_or_b64 exec, exec, s[0:1]
	s_add_u32 s14, s14, s19
	s_addc_u32 s15, s15, 0
	s_waitcnt vmcnt(0)
	v_pk_mov_b32 v[20:21], s[10:11], s[10:11] op_sel:[0,1]
	v_cmp_ge_i64_e32 vcc, s[14:15], v[20:21]
	v_mov_b32_e32 v20, 0xffff
	v_mov_b32_e32 v21, 0
	v_cmp_gt_u64_e64 s[0:1], s[14:15], v[20:21]
	s_or_b64 s[0:1], vcc, s[0:1]
	v_mov_b32_e32 v2, s18
	v_add_co_u32_e32 v4, vcc, s20, v4
	v_addc_co_u32_e32 v1, vcc, v1, v2, vcc
	v_add_co_u32_e32 v6, vcc, s20, v6
	v_addc_co_u32_e32 v5, vcc, v5, v2, vcc
	;; [unrolled: 2-line block ×8, first 2 shown]
	s_and_b64 vcc, exec, s[0:1]
	s_cbranch_vccnz .LBB336_25
.LBB336_9:                              ; =>This Inner Loop Header: Depth=1
	v_mov_b32_e32 v2, s15
	v_add_co_u32_e32 v20, vcc, s14, v0
	v_addc_co_u32_e32 v21, vcc, 0, v2, vcc
	v_cmp_gt_u64_e64 s[4:5], s[12:13], v[20:21]
	v_mov_b32_e32 v26, 0
	v_mov_b32_e32 v27, 0
	s_and_saveexec_b64 s[0:1], s[4:5]
	s_cbranch_execz .LBB336_11
; %bb.10:                               ;   in Loop: Header=BB336_9 Depth=1
	v_mov_b32_e32 v2, s9
	v_add_co_u32_e32 v20, vcc, s8, v4
	v_addc_co_u32_e32 v21, vcc, v1, v2, vcc
	global_load_dwordx2 v[26:27], v[20:21], off
.LBB336_11:                             ;   in Loop: Header=BB336_9 Depth=1
	s_or_b64 exec, exec, s[0:1]
	v_mov_b32_e32 v2, s15
	v_add_co_u32_e32 v20, vcc, s14, v31
	v_addc_co_u32_e32 v21, vcc, v32, v2, vcc
	v_cmp_gt_u64_e64 s[2:3], s[12:13], v[20:21]
	v_mov_b32_e32 v20, 0
	v_mov_b32_e32 v24, 0
	;; [unrolled: 1-line block ×3, first 2 shown]
	s_and_saveexec_b64 s[0:1], s[2:3]
	s_cbranch_execz .LBB336_13
; %bb.12:                               ;   in Loop: Header=BB336_9 Depth=1
	v_mov_b32_e32 v2, s9
	v_add_co_u32_e32 v22, vcc, s8, v16
	v_addc_co_u32_e32 v23, vcc, v15, v2, vcc
	global_load_dwordx2 v[24:25], v[22:23], off
.LBB336_13:                             ;   in Loop: Header=BB336_9 Depth=1
	s_or_b64 exec, exec, s[0:1]
	v_mov_b32_e32 v2, s15
	v_add_co_u32_e32 v22, vcc, s14, v29
	v_addc_co_u32_e32 v23, vcc, v30, v2, vcc
	v_cmp_gt_u64_e64 s[0:1], s[12:13], v[22:23]
	v_mov_b32_e32 v21, 0
	s_and_saveexec_b64 s[6:7], s[0:1]
	s_cbranch_execz .LBB336_15
; %bb.14:                               ;   in Loop: Header=BB336_9 Depth=1
	v_mov_b32_e32 v2, s9
	v_add_co_u32_e32 v20, vcc, s8, v12
	v_addc_co_u32_e32 v21, vcc, v11, v2, vcc
	global_load_dwordx2 v[20:21], v[20:21], off
.LBB336_15:                             ;   in Loop: Header=BB336_9 Depth=1
	s_or_b64 exec, exec, s[6:7]
	v_mov_b32_e32 v2, s15
	v_add_co_u32_e32 v22, vcc, s14, v19
	v_addc_co_u32_e32 v23, vcc, v28, v2, vcc
	v_cmp_gt_u64_e32 vcc, s[12:13], v[22:23]
	v_mov_b32_e32 v22, 0
	v_mov_b32_e32 v23, 0
	s_and_saveexec_b64 s[16:17], vcc
	s_cbranch_execnz .LBB336_20
; %bb.16:                               ;   in Loop: Header=BB336_9 Depth=1
	s_or_b64 exec, exec, s[16:17]
	s_and_saveexec_b64 s[6:7], s[4:5]
	s_cbranch_execnz .LBB336_21
.LBB336_17:                             ;   in Loop: Header=BB336_9 Depth=1
	s_or_b64 exec, exec, s[6:7]
	s_and_saveexec_b64 s[4:5], s[2:3]
	s_cbranch_execnz .LBB336_22
.LBB336_18:                             ;   in Loop: Header=BB336_9 Depth=1
	s_or_b64 exec, exec, s[4:5]
	s_and_saveexec_b64 s[2:3], s[0:1]
	s_cbranch_execnz .LBB336_23
.LBB336_19:                             ;   in Loop: Header=BB336_9 Depth=1
	s_or_b64 exec, exec, s[2:3]
	s_and_saveexec_b64 s[0:1], vcc
	s_cbranch_execz .LBB336_8
	s_branch .LBB336_24
.LBB336_20:                             ;   in Loop: Header=BB336_9 Depth=1
	v_mov_b32_e32 v2, s9
	v_add_co_u32_e64 v22, s[6:7], s8, v8
	v_addc_co_u32_e64 v23, s[6:7], v7, v2, s[6:7]
	global_load_dwordx2 v[22:23], v[22:23], off
	s_or_b64 exec, exec, s[16:17]
	s_and_saveexec_b64 s[6:7], s[4:5]
	s_cbranch_execz .LBB336_17
.LBB336_21:                             ;   in Loop: Header=BB336_9 Depth=1
	s_waitcnt vmcnt(0)
	v_max_f32_e64 v2, |v27|, |v27|
	v_max_f32_e64 v34, |v26|, |v26|
	v_max_f32_e32 v2, v34, v2
	v_cvt_f64_f32_e32 v[34:35], v2
	v_frexp_exp_i32_f64_e32 v34, v[34:35]
	v_sub_u32_e32 v35, 0, v34
	v_ldexp_f32 v27, |v27|, v35
	v_ldexp_f32 v26, |v26|, v35
	v_mul_f32_e32 v27, v27, v27
	v_fmac_f32_e32 v27, v26, v26
	v_sqrt_f32_e32 v26, v27
	v_cmp_neq_f32_e64 s[4:5], s21, v2
	v_mov_b32_e32 v27, s9
	v_ldexp_f32 v26, v26, v34
	v_cndmask_b32_e64 v2, v33, v26, s[4:5]
	v_add_co_u32_e64 v26, s[4:5], s8, v6
	v_addc_co_u32_e64 v27, s[4:5], v5, v27, s[4:5]
	global_store_dwordx2 v[26:27], v[2:3], off
	s_or_b64 exec, exec, s[6:7]
	s_and_saveexec_b64 s[4:5], s[2:3]
	s_cbranch_execz .LBB336_18
.LBB336_22:                             ;   in Loop: Header=BB336_9 Depth=1
	s_waitcnt vmcnt(0)
	v_max_f32_e64 v2, |v25|, |v25|
	v_max_f32_e64 v26, |v24|, |v24|
	v_max_f32_e32 v2, v26, v2
	v_cvt_f64_f32_e32 v[26:27], v2
	v_frexp_exp_i32_f64_e32 v26, v[26:27]
	v_sub_u32_e32 v27, 0, v26
	v_ldexp_f32 v25, |v25|, v27
	v_ldexp_f32 v24, |v24|, v27
	v_mul_f32_e32 v25, v25, v25
	v_fmac_f32_e32 v25, v24, v24
	v_sqrt_f32_e32 v24, v25
	v_cmp_neq_f32_e64 s[2:3], s21, v2
	v_mov_b32_e32 v25, s9
	v_ldexp_f32 v24, v24, v26
	v_cndmask_b32_e64 v2, v33, v24, s[2:3]
	v_add_co_u32_e64 v24, s[2:3], s8, v18
	v_addc_co_u32_e64 v25, s[2:3], v17, v25, s[2:3]
	global_store_dwordx2 v[24:25], v[2:3], off
	s_or_b64 exec, exec, s[4:5]
	s_and_saveexec_b64 s[2:3], s[0:1]
	s_cbranch_execz .LBB336_19
.LBB336_23:                             ;   in Loop: Header=BB336_9 Depth=1
	s_waitcnt vmcnt(0)
	v_max_f32_e64 v2, |v21|, |v21|
	v_max_f32_e64 v24, |v20|, |v20|
	v_max_f32_e32 v2, v24, v2
	v_cvt_f64_f32_e32 v[24:25], v2
	v_frexp_exp_i32_f64_e32 v24, v[24:25]
	v_sub_u32_e32 v25, 0, v24
	v_ldexp_f32 v21, |v21|, v25
	v_ldexp_f32 v20, |v20|, v25
	v_mul_f32_e32 v21, v21, v21
	v_fmac_f32_e32 v21, v20, v20
	v_sqrt_f32_e32 v20, v21
	v_cmp_neq_f32_e64 s[0:1], s21, v2
	v_mov_b32_e32 v21, s9
	v_ldexp_f32 v20, v20, v24
	v_cndmask_b32_e64 v2, v33, v20, s[0:1]
	v_add_co_u32_e64 v20, s[0:1], s8, v14
	v_addc_co_u32_e64 v21, s[0:1], v13, v21, s[0:1]
	global_store_dwordx2 v[20:21], v[2:3], off
	s_or_b64 exec, exec, s[2:3]
	s_and_saveexec_b64 s[0:1], vcc
	s_cbranch_execz .LBB336_8
.LBB336_24:                             ;   in Loop: Header=BB336_9 Depth=1
	s_waitcnt vmcnt(0)
	v_max_f32_e64 v2, |v23|, |v23|
	v_max_f32_e64 v20, |v22|, |v22|
	v_max_f32_e32 v2, v20, v2
	v_cvt_f64_f32_e32 v[20:21], v2
	v_frexp_exp_i32_f64_e32 v20, v[20:21]
	v_sub_u32_e32 v21, 0, v20
	v_ldexp_f32 v22, |v22|, v21
	v_ldexp_f32 v21, |v23|, v21
	v_mul_f32_e32 v21, v21, v21
	v_fmac_f32_e32 v21, v22, v22
	v_sqrt_f32_e32 v21, v21
	v_cmp_neq_f32_e32 vcc, s21, v2
	v_ldexp_f32 v20, v21, v20
	v_cndmask_b32_e32 v2, v33, v20, vcc
	v_mov_b32_e32 v21, s9
	v_add_co_u32_e32 v20, vcc, s8, v10
	v_addc_co_u32_e32 v21, vcc, v9, v21, vcc
	global_store_dwordx2 v[20:21], v[2:3], off
	s_branch .LBB336_8
.LBB336_25:
	s_endpgm
	.section	.rodata,"a",@progbits
	.p2align	6, 0x0
	.amdhsa_kernel _ZN2at6native12_GLOBAL__N_125multi_tensor_apply_kernelINS1_18TensorListMetadataILi2EEENS1_14UnaryOpFunctorIN3c107complexIfEELi2ELi1ELi1EEEJNS0_3AbsIS8_EEEEEvT_T0_DpT1_
		.amdhsa_group_segment_fixed_size 0
		.amdhsa_private_segment_fixed_size 0
		.amdhsa_kernarg_size 3408
		.amdhsa_user_sgpr_count 6
		.amdhsa_user_sgpr_private_segment_buffer 1
		.amdhsa_user_sgpr_dispatch_ptr 0
		.amdhsa_user_sgpr_queue_ptr 0
		.amdhsa_user_sgpr_kernarg_segment_ptr 1
		.amdhsa_user_sgpr_dispatch_id 0
		.amdhsa_user_sgpr_flat_scratch_init 0
		.amdhsa_user_sgpr_kernarg_preload_length 0
		.amdhsa_user_sgpr_kernarg_preload_offset 0
		.amdhsa_user_sgpr_private_segment_size 0
		.amdhsa_uses_dynamic_stack 0
		.amdhsa_system_sgpr_private_segment_wavefront_offset 0
		.amdhsa_system_sgpr_workgroup_id_x 1
		.amdhsa_system_sgpr_workgroup_id_y 0
		.amdhsa_system_sgpr_workgroup_id_z 0
		.amdhsa_system_sgpr_workgroup_info 0
		.amdhsa_system_vgpr_workitem_id 0
		.amdhsa_next_free_vgpr 36
		.amdhsa_next_free_sgpr 29
		.amdhsa_accum_offset 36
		.amdhsa_reserve_vcc 1
		.amdhsa_reserve_flat_scratch 0
		.amdhsa_float_round_mode_32 0
		.amdhsa_float_round_mode_16_64 0
		.amdhsa_float_denorm_mode_32 3
		.amdhsa_float_denorm_mode_16_64 3
		.amdhsa_dx10_clamp 1
		.amdhsa_ieee_mode 1
		.amdhsa_fp16_overflow 0
		.amdhsa_tg_split 0
		.amdhsa_exception_fp_ieee_invalid_op 0
		.amdhsa_exception_fp_denorm_src 0
		.amdhsa_exception_fp_ieee_div_zero 0
		.amdhsa_exception_fp_ieee_overflow 0
		.amdhsa_exception_fp_ieee_underflow 0
		.amdhsa_exception_fp_ieee_inexact 0
		.amdhsa_exception_int_div_zero 0
	.end_amdhsa_kernel
	.section	.text._ZN2at6native12_GLOBAL__N_125multi_tensor_apply_kernelINS1_18TensorListMetadataILi2EEENS1_14UnaryOpFunctorIN3c107complexIfEELi2ELi1ELi1EEEJNS0_3AbsIS8_EEEEEvT_T0_DpT1_,"axG",@progbits,_ZN2at6native12_GLOBAL__N_125multi_tensor_apply_kernelINS1_18TensorListMetadataILi2EEENS1_14UnaryOpFunctorIN3c107complexIfEELi2ELi1ELi1EEEJNS0_3AbsIS8_EEEEEvT_T0_DpT1_,comdat
.Lfunc_end336:
	.size	_ZN2at6native12_GLOBAL__N_125multi_tensor_apply_kernelINS1_18TensorListMetadataILi2EEENS1_14UnaryOpFunctorIN3c107complexIfEELi2ELi1ELi1EEEJNS0_3AbsIS8_EEEEEvT_T0_DpT1_, .Lfunc_end336-_ZN2at6native12_GLOBAL__N_125multi_tensor_apply_kernelINS1_18TensorListMetadataILi2EEENS1_14UnaryOpFunctorIN3c107complexIfEELi2ELi1ELi1EEEJNS0_3AbsIS8_EEEEEvT_T0_DpT1_
                                        ; -- End function
	.section	.AMDGPU.csdata,"",@progbits
; Kernel info:
; codeLenInByte = 1940
; NumSgprs: 33
; NumVgprs: 36
; NumAgprs: 0
; TotalNumVgprs: 36
; ScratchSize: 0
; MemoryBound: 0
; FloatMode: 240
; IeeeMode: 1
; LDSByteSize: 0 bytes/workgroup (compile time only)
; SGPRBlocks: 4
; VGPRBlocks: 4
; NumSGPRsForWavesPerEU: 33
; NumVGPRsForWavesPerEU: 36
; AccumOffset: 36
; Occupancy: 8
; WaveLimiterHint : 0
; COMPUTE_PGM_RSRC2:SCRATCH_EN: 0
; COMPUTE_PGM_RSRC2:USER_SGPR: 6
; COMPUTE_PGM_RSRC2:TRAP_HANDLER: 0
; COMPUTE_PGM_RSRC2:TGID_X_EN: 1
; COMPUTE_PGM_RSRC2:TGID_Y_EN: 0
; COMPUTE_PGM_RSRC2:TGID_Z_EN: 0
; COMPUTE_PGM_RSRC2:TIDIG_COMP_CNT: 0
; COMPUTE_PGM_RSRC3_GFX90A:ACCUM_OFFSET: 8
; COMPUTE_PGM_RSRC3_GFX90A:TG_SPLIT: 0
	.section	.text._ZN2at6native12_GLOBAL__N_125multi_tensor_apply_kernelINS1_18TensorListMetadataILi2EEENS1_14UnaryOpFunctorIN3c104HalfELi2ELi1ELi1EEEJNS0_3AbsIfEEEEEvT_T0_DpT1_,"axG",@progbits,_ZN2at6native12_GLOBAL__N_125multi_tensor_apply_kernelINS1_18TensorListMetadataILi2EEENS1_14UnaryOpFunctorIN3c104HalfELi2ELi1ELi1EEEJNS0_3AbsIfEEEEEvT_T0_DpT1_,comdat
	.globl	_ZN2at6native12_GLOBAL__N_125multi_tensor_apply_kernelINS1_18TensorListMetadataILi2EEENS1_14UnaryOpFunctorIN3c104HalfELi2ELi1ELi1EEEJNS0_3AbsIfEEEEEvT_T0_DpT1_ ; -- Begin function _ZN2at6native12_GLOBAL__N_125multi_tensor_apply_kernelINS1_18TensorListMetadataILi2EEENS1_14UnaryOpFunctorIN3c104HalfELi2ELi1ELi1EEEJNS0_3AbsIfEEEEEvT_T0_DpT1_
	.p2align	8
	.type	_ZN2at6native12_GLOBAL__N_125multi_tensor_apply_kernelINS1_18TensorListMetadataILi2EEENS1_14UnaryOpFunctorIN3c104HalfELi2ELi1ELi1EEEJNS0_3AbsIfEEEEEvT_T0_DpT1_,@function
_ZN2at6native12_GLOBAL__N_125multi_tensor_apply_kernelINS1_18TensorListMetadataILi2EEENS1_14UnaryOpFunctorIN3c104HalfELi2ELi1ELi1EEEJNS0_3AbsIfEEEEEvT_T0_DpT1_: ; @_ZN2at6native12_GLOBAL__N_125multi_tensor_apply_kernelINS1_18TensorListMetadataILi2EEENS1_14UnaryOpFunctorIN3c104HalfELi2ELi1ELi1EEEJNS0_3AbsIfEEEEEvT_T0_DpT1_
; %bb.0:
	v_mov_b32_e32 v1, s6
	global_load_ubyte v1, v1, s[4:5] offset:1536
	s_add_u32 s0, s4, s6
	s_mul_hi_u32 s2, s6, 3
	s_mul_i32 s6, s6, 3
	s_addc_u32 s7, s5, 0
	s_add_u32 s8, s0, s6
	s_addc_u32 s9, s7, s2
	s_mov_b32 s1, 0
	s_mov_b32 s17, s1
	;; [unrolled: 1-line block ×3, first 2 shown]
	s_waitcnt vmcnt(0)
	v_readfirstlane_b32 s0, v1
	s_lshl_b32 s0, s0, 3
	s_load_dword s10, s[8:9], 0x740
	s_load_dwordx2 s[14:15], s[4:5], s0 offset:0x0
	s_load_dwordx2 s[12:13], s[4:5], s0 offset:0x400
	;; [unrolled: 1-line block ×3, first 2 shown]
	s_waitcnt lgkmcnt(0)
	s_ashr_i32 s11, s10, 31
	s_and_b32 s0, s14, 7
	s_and_b32 s16, s12, 3
	;; [unrolled: 1-line block ×3, first 2 shown]
	s_or_b64 s[16:17], s[0:1], s[16:17]
	s_lshl_b64 s[8:9], s[10:11], 17
	s_or_b64 s[2:3], s[2:3], s[16:17]
	s_lshl_b64 s[10:11], s[10:11], 16
	s_sub_u32 s10, s12, s10
	s_subb_u32 s11, s13, s11
	s_cmp_eq_u64 s[2:3], 0
	s_mov_b64 s[2:3], -1
	s_cbranch_scc0 .LBB337_5
; %bb.1:
	v_mov_b32_e32 v3, 0
	v_lshlrev_b32_e32 v2, 2, v0
	v_cmp_gt_i64_e32 vcc, s[10:11], v[2:3]
	s_and_saveexec_b64 s[12:13], vcc
	s_cbranch_execz .LBB337_4
; %bb.2:
	s_load_dword s0, s[4:5], 0xc5c
	v_lshlrev_b32_e32 v1, 3, v0
	v_mov_b32_e32 v2, s9
	v_add_co_u32_e32 v4, vcc, s8, v1
	s_waitcnt lgkmcnt(0)
	s_and_b32 s0, s0, 0xffff
	v_addc_co_u32_e32 v1, vcc, 0, v2, vcc
	s_lshl_b32 s20, s0, 3
	v_add_lshl_u32 v2, v0, s0, 2
	s_lshl_b32 s21, s0, 2
	s_mov_b64 s[16:17], 0
	v_mov_b32_e32 v5, s15
	v_mov_b32_e32 v6, s7
	s_mov_b64 s[18:19], 0xffff
	v_mov_b32_e32 v7, s1
	v_mov_b32_e32 v8, s1
.LBB337_3:                              ; =>This Inner Loop Header: Depth=1
	v_add_co_u32_e32 v10, vcc, s14, v4
	v_addc_co_u32_e32 v11, vcc, v5, v1, vcc
	global_load_dwordx2 v[10:11], v[10:11], off
	v_add_co_u32_e32 v12, vcc, s6, v4
	v_addc_co_u32_e32 v13, vcc, v6, v1, vcc
	v_cmp_le_i64_e32 vcc, s[10:11], v[2:3]
	v_cmp_lt_u64_e64 s[0:1], s[18:19], v[2:3]
	v_add_co_u32_e64 v4, s[2:3], s20, v4
	v_addc_co_u32_e64 v1, s[2:3], v1, v7, s[2:3]
	s_or_b64 s[0:1], vcc, s[0:1]
	v_add_co_u32_e64 v2, s[2:3], s21, v2
	s_and_b64 s[0:1], exec, s[0:1]
	v_addc_co_u32_e64 v3, s[2:3], v3, v8, s[2:3]
	s_or_b64 s[16:17], s[0:1], s[16:17]
	s_waitcnt vmcnt(0)
	v_and_b32_e32 v11, 0x7fff7fff, v11
	v_and_b32_e32 v10, 0x7fff7fff, v10
	global_store_dwordx2 v[12:13], v[10:11], off
	s_andn2_b64 exec, exec, s[16:17]
	s_cbranch_execnz .LBB337_3
.LBB337_4:
	s_or_b64 exec, exec, s[12:13]
	s_mov_b64 s[2:3], 0
.LBB337_5:
	s_andn2_b64 vcc, exec, s[2:3]
	s_cbranch_vccnz .LBB337_25
; %bb.6:
	v_cmp_lt_i64_e64 s[0:1], s[10:11], 1
	s_and_b64 vcc, exec, s[0:1]
	s_cbranch_vccnz .LBB337_25
; %bb.7:
	s_load_dword s0, s[4:5], 0xc5c
	v_mov_b32_e32 v2, 0x10000
	v_mov_b32_e32 v3, 0
	v_cmp_lt_u64_e32 vcc, s[10:11], v[2:3]
	v_lshlrev_b32_e32 v10, 1, v0
	s_waitcnt lgkmcnt(0)
	s_and_b32 s2, s0, 0xffff
	s_and_b64 s[0:1], vcc, exec
	v_mov_b32_e32 v13, s15
	v_add_co_u32_e32 v2, vcc, s14, v10
	v_addc_co_u32_e32 v1, vcc, 0, v13, vcc
	v_mov_b32_e32 v11, 0
	v_mov_b32_e32 v15, s7
	v_add_co_u32_e32 v4, vcc, s6, v10
	v_addc_co_u32_e32 v3, vcc, 0, v15, vcc
	v_mad_u64_u32 v[8:9], s[0:1], s2, 6, v[10:11]
	v_add_co_u32_e32 v6, vcc, s14, v8
	v_addc_co_u32_e32 v5, vcc, v13, v9, vcc
	v_add_co_u32_e32 v8, vcc, s6, v8
	s_mul_i32 s4, s2, 3
	v_addc_co_u32_e32 v7, vcc, v15, v9, vcc
	s_cselect_b32 s13, s11, 0
	s_cselect_b32 s12, s10, 0x10000
	s_lshl_b32 s19, s2, 2
	v_add_co_u32_e32 v17, vcc, s4, v0
	v_addc_co_u32_e64 v18, s[0:1], 0, 0, vcc
	v_add_co_u32_e32 v11, vcc, s19, v10
	v_addc_co_u32_e64 v14, s[0:1], 0, 0, vcc
	v_add_co_u32_e32 v10, vcc, s14, v11
	v_addc_co_u32_e32 v9, vcc, v13, v14, vcc
	v_add_co_u32_e32 v12, vcc, s6, v11
	s_lshl_b32 s3, s2, 1
	v_addc_co_u32_e32 v11, vcc, v15, v14, vcc
	v_add_co_u32_e32 v19, vcc, s3, v0
	v_addc_co_u32_e64 v20, s[0:1], 0, 0, vcc
	v_add_co_u32_e32 v21, vcc, s2, v0
	v_lshlrev_b32_e32 v16, 1, v21
	v_addc_co_u32_e64 v22, s[0:1], 0, 0, vcc
	v_add_co_u32_e32 v14, vcc, s14, v16
	v_addc_co_u32_e32 v13, vcc, 0, v13, vcc
	v_add_co_u32_e32 v16, vcc, s6, v16
	s_mov_b32 s18, 0
	s_lshl_b32 s20, s2, 3
	v_addc_co_u32_e32 v15, vcc, 0, v15, vcc
	s_mov_b64 s[14:15], 0
	s_branch .LBB337_9
.LBB337_8:                              ;   in Loop: Header=BB337_9 Depth=1
	s_or_b64 exec, exec, s[0:1]
	s_add_u32 s14, s14, s19
	s_addc_u32 s15, s15, 0
	s_waitcnt vmcnt(0)
	v_pk_mov_b32 v[24:25], s[10:11], s[10:11] op_sel:[0,1]
	v_cmp_ge_i64_e32 vcc, s[14:15], v[24:25]
	v_mov_b32_e32 v24, 0xffff
	v_mov_b32_e32 v25, 0
	v_cmp_gt_u64_e64 s[0:1], s[14:15], v[24:25]
	s_or_b64 s[0:1], vcc, s[0:1]
	v_mov_b32_e32 v23, s18
	v_add_co_u32_e32 v2, vcc, s20, v2
	v_addc_co_u32_e32 v1, vcc, v1, v23, vcc
	v_add_co_u32_e32 v4, vcc, s20, v4
	v_addc_co_u32_e32 v3, vcc, v3, v23, vcc
	;; [unrolled: 2-line block ×8, first 2 shown]
	s_and_b64 vcc, exec, s[0:1]
	s_cbranch_vccnz .LBB337_25
.LBB337_9:                              ; =>This Inner Loop Header: Depth=1
	v_mov_b32_e32 v23, s15
	v_add_co_u32_e32 v24, vcc, s14, v0
	v_addc_co_u32_e32 v25, vcc, 0, v23, vcc
	v_cmp_gt_u64_e32 vcc, s[12:13], v[24:25]
	v_mov_b32_e32 v23, 0
	s_and_saveexec_b64 s[2:3], vcc
	s_cbranch_execz .LBB337_11
; %bb.10:                               ;   in Loop: Header=BB337_9 Depth=1
	v_mov_b32_e32 v23, s9
	v_add_co_u32_e64 v24, s[0:1], s8, v2
	v_addc_co_u32_e64 v25, s[0:1], v1, v23, s[0:1]
	global_load_ushort v23, v[24:25], off
.LBB337_11:                             ;   in Loop: Header=BB337_9 Depth=1
	s_or_b64 exec, exec, s[2:3]
	v_mov_b32_e32 v25, s15
	v_add_co_u32_e64 v24, s[0:1], s14, v21
	v_addc_co_u32_e64 v25, s[0:1], v22, v25, s[0:1]
	v_cmp_gt_u64_e64 s[0:1], s[12:13], v[24:25]
	v_mov_b32_e32 v25, 0
	s_and_saveexec_b64 s[4:5], s[0:1]
	s_cbranch_execz .LBB337_13
; %bb.12:                               ;   in Loop: Header=BB337_9 Depth=1
	v_mov_b32_e32 v25, s9
	v_add_co_u32_e64 v24, s[2:3], s8, v14
	v_addc_co_u32_e64 v25, s[2:3], v13, v25, s[2:3]
	global_load_ushort v25, v[24:25], off
.LBB337_13:                             ;   in Loop: Header=BB337_9 Depth=1
	s_or_b64 exec, exec, s[4:5]
	v_mov_b32_e32 v24, s15
	v_add_co_u32_e64 v26, s[2:3], s14, v19
	v_addc_co_u32_e64 v27, s[2:3], v20, v24, s[2:3]
	v_cmp_gt_u64_e64 s[2:3], s[12:13], v[26:27]
	v_mov_b32_e32 v24, 0
	v_mov_b32_e32 v26, 0
	s_and_saveexec_b64 s[6:7], s[2:3]
	s_cbranch_execz .LBB337_15
; %bb.14:                               ;   in Loop: Header=BB337_9 Depth=1
	v_mov_b32_e32 v27, s9
	v_add_co_u32_e64 v26, s[4:5], s8, v10
	v_addc_co_u32_e64 v27, s[4:5], v9, v27, s[4:5]
	global_load_ushort v26, v[26:27], off
.LBB337_15:                             ;   in Loop: Header=BB337_9 Depth=1
	s_or_b64 exec, exec, s[6:7]
	v_mov_b32_e32 v27, s15
	v_add_co_u32_e64 v28, s[4:5], s14, v17
	v_addc_co_u32_e64 v29, s[4:5], v18, v27, s[4:5]
	v_cmp_gt_u64_e64 s[4:5], s[12:13], v[28:29]
	s_and_saveexec_b64 s[16:17], s[4:5]
	s_cbranch_execnz .LBB337_20
; %bb.16:                               ;   in Loop: Header=BB337_9 Depth=1
	s_or_b64 exec, exec, s[16:17]
	s_and_saveexec_b64 s[6:7], vcc
	s_cbranch_execnz .LBB337_21
.LBB337_17:                             ;   in Loop: Header=BB337_9 Depth=1
	s_or_b64 exec, exec, s[6:7]
	s_and_saveexec_b64 s[6:7], s[0:1]
	s_cbranch_execnz .LBB337_22
.LBB337_18:                             ;   in Loop: Header=BB337_9 Depth=1
	s_or_b64 exec, exec, s[6:7]
	s_and_saveexec_b64 s[0:1], s[2:3]
	s_cbranch_execnz .LBB337_23
.LBB337_19:                             ;   in Loop: Header=BB337_9 Depth=1
	s_or_b64 exec, exec, s[0:1]
	s_and_saveexec_b64 s[0:1], s[4:5]
	s_cbranch_execz .LBB337_8
	s_branch .LBB337_24
.LBB337_20:                             ;   in Loop: Header=BB337_9 Depth=1
	v_mov_b32_e32 v24, s9
	v_add_co_u32_e64 v28, s[6:7], s8, v6
	v_addc_co_u32_e64 v29, s[6:7], v5, v24, s[6:7]
	global_load_ushort v24, v[28:29], off
	s_or_b64 exec, exec, s[16:17]
	s_and_saveexec_b64 s[6:7], vcc
	s_cbranch_execz .LBB337_17
.LBB337_21:                             ;   in Loop: Header=BB337_9 Depth=1
	v_mov_b32_e32 v27, s9
	v_add_co_u32_e32 v28, vcc, s8, v4
	v_addc_co_u32_e32 v29, vcc, v3, v27, vcc
	s_waitcnt vmcnt(0)
	v_and_b32_e32 v23, 0x7fff, v23
	global_store_short v[28:29], v23, off
	s_or_b64 exec, exec, s[6:7]
	s_and_saveexec_b64 s[6:7], s[0:1]
	s_cbranch_execz .LBB337_18
.LBB337_22:                             ;   in Loop: Header=BB337_9 Depth=1
	s_waitcnt vmcnt(0)
	v_and_b32_e32 v23, 0x7fff, v25
	v_mov_b32_e32 v25, s9
	v_add_co_u32_e32 v28, vcc, s8, v16
	v_addc_co_u32_e32 v29, vcc, v15, v25, vcc
	global_store_short v[28:29], v23, off
	s_or_b64 exec, exec, s[6:7]
	s_and_saveexec_b64 s[0:1], s[2:3]
	s_cbranch_execz .LBB337_19
.LBB337_23:                             ;   in Loop: Header=BB337_9 Depth=1
	s_waitcnt vmcnt(0)
	v_and_b32_e32 v23, 0x7fff, v26
	v_mov_b32_e32 v25, s9
	v_add_co_u32_e32 v26, vcc, s8, v12
	v_addc_co_u32_e32 v27, vcc, v11, v25, vcc
	global_store_short v[26:27], v23, off
	s_or_b64 exec, exec, s[0:1]
	s_and_saveexec_b64 s[0:1], s[4:5]
	s_cbranch_execz .LBB337_8
.LBB337_24:                             ;   in Loop: Header=BB337_9 Depth=1
	s_waitcnt vmcnt(0)
	v_and_b32_e32 v23, 0x7fff, v24
	v_mov_b32_e32 v25, s9
	v_add_co_u32_e32 v24, vcc, s8, v8
	v_addc_co_u32_e32 v25, vcc, v7, v25, vcc
	global_store_short v[24:25], v23, off
	s_branch .LBB337_8
.LBB337_25:
	s_endpgm
	.section	.rodata,"a",@progbits
	.p2align	6, 0x0
	.amdhsa_kernel _ZN2at6native12_GLOBAL__N_125multi_tensor_apply_kernelINS1_18TensorListMetadataILi2EEENS1_14UnaryOpFunctorIN3c104HalfELi2ELi1ELi1EEEJNS0_3AbsIfEEEEEvT_T0_DpT1_
		.amdhsa_group_segment_fixed_size 0
		.amdhsa_private_segment_fixed_size 0
		.amdhsa_kernarg_size 3408
		.amdhsa_user_sgpr_count 6
		.amdhsa_user_sgpr_private_segment_buffer 1
		.amdhsa_user_sgpr_dispatch_ptr 0
		.amdhsa_user_sgpr_queue_ptr 0
		.amdhsa_user_sgpr_kernarg_segment_ptr 1
		.amdhsa_user_sgpr_dispatch_id 0
		.amdhsa_user_sgpr_flat_scratch_init 0
		.amdhsa_user_sgpr_kernarg_preload_length 0
		.amdhsa_user_sgpr_kernarg_preload_offset 0
		.amdhsa_user_sgpr_private_segment_size 0
		.amdhsa_uses_dynamic_stack 0
		.amdhsa_system_sgpr_private_segment_wavefront_offset 0
		.amdhsa_system_sgpr_workgroup_id_x 1
		.amdhsa_system_sgpr_workgroup_id_y 0
		.amdhsa_system_sgpr_workgroup_id_z 0
		.amdhsa_system_sgpr_workgroup_info 0
		.amdhsa_system_vgpr_workitem_id 0
		.amdhsa_next_free_vgpr 30
		.amdhsa_next_free_sgpr 22
		.amdhsa_accum_offset 32
		.amdhsa_reserve_vcc 1
		.amdhsa_reserve_flat_scratch 0
		.amdhsa_float_round_mode_32 0
		.amdhsa_float_round_mode_16_64 0
		.amdhsa_float_denorm_mode_32 3
		.amdhsa_float_denorm_mode_16_64 3
		.amdhsa_dx10_clamp 1
		.amdhsa_ieee_mode 1
		.amdhsa_fp16_overflow 0
		.amdhsa_tg_split 0
		.amdhsa_exception_fp_ieee_invalid_op 0
		.amdhsa_exception_fp_denorm_src 0
		.amdhsa_exception_fp_ieee_div_zero 0
		.amdhsa_exception_fp_ieee_overflow 0
		.amdhsa_exception_fp_ieee_underflow 0
		.amdhsa_exception_fp_ieee_inexact 0
		.amdhsa_exception_int_div_zero 0
	.end_amdhsa_kernel
	.section	.text._ZN2at6native12_GLOBAL__N_125multi_tensor_apply_kernelINS1_18TensorListMetadataILi2EEENS1_14UnaryOpFunctorIN3c104HalfELi2ELi1ELi1EEEJNS0_3AbsIfEEEEEvT_T0_DpT1_,"axG",@progbits,_ZN2at6native12_GLOBAL__N_125multi_tensor_apply_kernelINS1_18TensorListMetadataILi2EEENS1_14UnaryOpFunctorIN3c104HalfELi2ELi1ELi1EEEJNS0_3AbsIfEEEEEvT_T0_DpT1_,comdat
.Lfunc_end337:
	.size	_ZN2at6native12_GLOBAL__N_125multi_tensor_apply_kernelINS1_18TensorListMetadataILi2EEENS1_14UnaryOpFunctorIN3c104HalfELi2ELi1ELi1EEEJNS0_3AbsIfEEEEEvT_T0_DpT1_, .Lfunc_end337-_ZN2at6native12_GLOBAL__N_125multi_tensor_apply_kernelINS1_18TensorListMetadataILi2EEENS1_14UnaryOpFunctorIN3c104HalfELi2ELi1ELi1EEEJNS0_3AbsIfEEEEEvT_T0_DpT1_
                                        ; -- End function
	.section	.AMDGPU.csdata,"",@progbits
; Kernel info:
; codeLenInByte = 1252
; NumSgprs: 26
; NumVgprs: 30
; NumAgprs: 0
; TotalNumVgprs: 30
; ScratchSize: 0
; MemoryBound: 0
; FloatMode: 240
; IeeeMode: 1
; LDSByteSize: 0 bytes/workgroup (compile time only)
; SGPRBlocks: 3
; VGPRBlocks: 3
; NumSGPRsForWavesPerEU: 26
; NumVGPRsForWavesPerEU: 30
; AccumOffset: 32
; Occupancy: 8
; WaveLimiterHint : 0
; COMPUTE_PGM_RSRC2:SCRATCH_EN: 0
; COMPUTE_PGM_RSRC2:USER_SGPR: 6
; COMPUTE_PGM_RSRC2:TRAP_HANDLER: 0
; COMPUTE_PGM_RSRC2:TGID_X_EN: 1
; COMPUTE_PGM_RSRC2:TGID_Y_EN: 0
; COMPUTE_PGM_RSRC2:TGID_Z_EN: 0
; COMPUTE_PGM_RSRC2:TIDIG_COMP_CNT: 0
; COMPUTE_PGM_RSRC3_GFX90A:ACCUM_OFFSET: 7
; COMPUTE_PGM_RSRC3_GFX90A:TG_SPLIT: 0
	.section	.text._ZN2at6native12_GLOBAL__N_125multi_tensor_apply_kernelINS1_18TensorListMetadataILi2EEENS1_14UnaryOpFunctorIN3c108BFloat16ELi2ELi1ELi1EEEJNS0_3AbsIfEEEEEvT_T0_DpT1_,"axG",@progbits,_ZN2at6native12_GLOBAL__N_125multi_tensor_apply_kernelINS1_18TensorListMetadataILi2EEENS1_14UnaryOpFunctorIN3c108BFloat16ELi2ELi1ELi1EEEJNS0_3AbsIfEEEEEvT_T0_DpT1_,comdat
	.globl	_ZN2at6native12_GLOBAL__N_125multi_tensor_apply_kernelINS1_18TensorListMetadataILi2EEENS1_14UnaryOpFunctorIN3c108BFloat16ELi2ELi1ELi1EEEJNS0_3AbsIfEEEEEvT_T0_DpT1_ ; -- Begin function _ZN2at6native12_GLOBAL__N_125multi_tensor_apply_kernelINS1_18TensorListMetadataILi2EEENS1_14UnaryOpFunctorIN3c108BFloat16ELi2ELi1ELi1EEEJNS0_3AbsIfEEEEEvT_T0_DpT1_
	.p2align	8
	.type	_ZN2at6native12_GLOBAL__N_125multi_tensor_apply_kernelINS1_18TensorListMetadataILi2EEENS1_14UnaryOpFunctorIN3c108BFloat16ELi2ELi1ELi1EEEJNS0_3AbsIfEEEEEvT_T0_DpT1_,@function
_ZN2at6native12_GLOBAL__N_125multi_tensor_apply_kernelINS1_18TensorListMetadataILi2EEENS1_14UnaryOpFunctorIN3c108BFloat16ELi2ELi1ELi1EEEJNS0_3AbsIfEEEEEvT_T0_DpT1_: ; @_ZN2at6native12_GLOBAL__N_125multi_tensor_apply_kernelINS1_18TensorListMetadataILi2EEENS1_14UnaryOpFunctorIN3c108BFloat16ELi2ELi1ELi1EEEJNS0_3AbsIfEEEEEvT_T0_DpT1_
; %bb.0:
	v_mov_b32_e32 v1, s6
	global_load_ubyte v1, v1, s[4:5] offset:1536
	s_add_u32 s0, s4, s6
	s_mul_hi_u32 s2, s6, 3
	s_mul_i32 s6, s6, 3
	s_addc_u32 s7, s5, 0
	s_add_u32 s8, s0, s6
	s_addc_u32 s9, s7, s2
	s_mov_b32 s1, 0
	s_mov_b32 s17, s1
	;; [unrolled: 1-line block ×3, first 2 shown]
	s_waitcnt vmcnt(0)
	v_readfirstlane_b32 s0, v1
	s_lshl_b32 s0, s0, 3
	s_load_dword s10, s[8:9], 0x740
	s_load_dwordx2 s[14:15], s[4:5], s0 offset:0x0
	s_load_dwordx2 s[12:13], s[4:5], s0 offset:0x400
	;; [unrolled: 1-line block ×3, first 2 shown]
	s_waitcnt lgkmcnt(0)
	s_ashr_i32 s11, s10, 31
	s_and_b32 s0, s14, 7
	s_and_b32 s16, s12, 3
	;; [unrolled: 1-line block ×3, first 2 shown]
	s_or_b64 s[16:17], s[0:1], s[16:17]
	s_lshl_b64 s[8:9], s[10:11], 17
	s_or_b64 s[2:3], s[2:3], s[16:17]
	s_lshl_b64 s[10:11], s[10:11], 16
	s_sub_u32 s10, s12, s10
	s_subb_u32 s11, s13, s11
	s_cmp_eq_u64 s[2:3], 0
	s_mov_b64 s[2:3], -1
	s_cbranch_scc0 .LBB338_5
; %bb.1:
	v_mov_b32_e32 v3, 0
	v_lshlrev_b32_e32 v2, 2, v0
	v_cmp_gt_i64_e32 vcc, s[10:11], v[2:3]
	s_and_saveexec_b64 s[12:13], vcc
	s_cbranch_execz .LBB338_4
; %bb.2:
	s_load_dword s0, s[4:5], 0xc5c
	v_lshlrev_b32_e32 v1, 3, v0
	v_mov_b32_e32 v2, s9
	v_add_co_u32_e32 v4, vcc, s8, v1
	s_waitcnt lgkmcnt(0)
	s_and_b32 s0, s0, 0xffff
	v_addc_co_u32_e32 v1, vcc, 0, v2, vcc
	s_lshl_b32 s20, s0, 3
	v_add_lshl_u32 v2, v0, s0, 2
	s_lshl_b32 s21, s0, 2
	s_mov_b64 s[16:17], 0
	v_mov_b32_e32 v5, s15
	s_movk_i32 s22, 0x7fff
	v_mov_b32_e32 v6, s7
	v_mov_b32_e32 v7, 0x7fc00000
	;; [unrolled: 1-line block ×3, first 2 shown]
	s_mov_b64 s[18:19], 0xffff
	v_mov_b32_e32 v9, s1
	v_mov_b32_e32 v10, s1
.LBB338_3:                              ; =>This Inner Loop Header: Depth=1
	v_add_co_u32_e32 v12, vcc, s14, v4
	v_addc_co_u32_e32 v13, vcc, v5, v1, vcc
	global_load_dwordx2 v[12:13], v[12:13], off
	v_add_co_u32_e32 v14, vcc, s6, v4
	v_addc_co_u32_e32 v15, vcc, v6, v1, vcc
	v_cmp_le_i64_e32 vcc, s[10:11], v[2:3]
	v_cmp_lt_u64_e64 s[0:1], s[18:19], v[2:3]
	v_add_co_u32_e64 v4, s[2:3], s20, v4
	v_addc_co_u32_e64 v1, s[2:3], v1, v9, s[2:3]
	s_or_b64 s[0:1], vcc, s[0:1]
	v_add_co_u32_e64 v2, s[2:3], s21, v2
	s_and_b64 s[0:1], exec, s[0:1]
	v_addc_co_u32_e64 v3, s[2:3], v3, v10, s[2:3]
	s_or_b64 s[16:17], s[0:1], s[16:17]
	s_waitcnt vmcnt(0)
	v_and_b32_e32 v11, 0xffff0000, v12
	v_lshlrev_b32_e32 v16, 16, v12
	v_alignbit_b32 v12, v13, v12, 16
	v_and_b32_e32 v13, 0xffff0000, v13
	v_and_b32_e32 v17, 0x7fffffff, v16
	;; [unrolled: 1-line block ×5, first 2 shown]
	v_bfe_u32 v20, v17, 16, 1
	v_bfe_u32 v21, v18, 16, 1
	v_and_b32_e32 v22, 0x7fffffff, v12
	v_bfe_u32 v23, v19, 16, 1
	v_add3_u32 v17, v17, v20, s22
	v_add3_u32 v18, v18, v21, s22
	v_bfe_u32 v20, v22, 16, 1
	v_add3_u32 v19, v19, v23, s22
	v_lshrrev_b32_e32 v17, 16, v17
	v_and_b32_e32 v18, 0xffff0000, v18
	v_add3_u32 v20, v22, v20, s22
	v_cmp_o_f32_e32 vcc, v11, v11
	v_cmp_o_f32_e64 s[0:1], v16, v16
	v_and_b32_e32 v19, 0xffff0000, v19
	v_cmp_o_f32_e64 s[2:3], v13, v13
	v_lshrrev_b32_e32 v11, 16, v20
	v_cndmask_b32_e32 v16, v7, v18, vcc
	v_cndmask_b32_e64 v17, v8, v17, s[0:1]
	v_cmp_o_f32_e32 vcc, v12, v12
	v_cndmask_b32_e64 v13, v7, v19, s[2:3]
	v_cndmask_b32_e32 v11, v8, v11, vcc
	v_or_b32_e32 v12, v17, v16
	v_or3_b32 v13, 0, v11, v13
	v_or3_b32 v12, v12, 0, 0
	global_store_dwordx2 v[14:15], v[12:13], off
	s_andn2_b64 exec, exec, s[16:17]
	s_cbranch_execnz .LBB338_3
.LBB338_4:
	s_or_b64 exec, exec, s[12:13]
	s_mov_b64 s[2:3], 0
.LBB338_5:
	s_andn2_b64 vcc, exec, s[2:3]
	s_cbranch_vccnz .LBB338_25
; %bb.6:
	v_cmp_lt_i64_e64 s[0:1], s[10:11], 1
	s_and_b64 vcc, exec, s[0:1]
	s_cbranch_vccnz .LBB338_25
; %bb.7:
	s_load_dword s0, s[4:5], 0xc5c
	v_mov_b32_e32 v2, 0x10000
	v_mov_b32_e32 v3, 0
	v_cmp_lt_u64_e32 vcc, s[10:11], v[2:3]
	v_lshlrev_b32_e32 v10, 1, v0
	s_waitcnt lgkmcnt(0)
	s_and_b32 s2, s0, 0xffff
	s_and_b64 s[0:1], vcc, exec
	v_mov_b32_e32 v13, s15
	v_add_co_u32_e32 v2, vcc, s14, v10
	v_addc_co_u32_e32 v1, vcc, 0, v13, vcc
	v_mov_b32_e32 v11, 0
	v_mov_b32_e32 v15, s7
	v_add_co_u32_e32 v4, vcc, s6, v10
	v_addc_co_u32_e32 v3, vcc, 0, v15, vcc
	v_mad_u64_u32 v[8:9], s[0:1], s2, 6, v[10:11]
	v_add_co_u32_e32 v6, vcc, s14, v8
	v_addc_co_u32_e32 v5, vcc, v13, v9, vcc
	v_add_co_u32_e32 v8, vcc, s6, v8
	s_mul_i32 s4, s2, 3
	v_addc_co_u32_e32 v7, vcc, v15, v9, vcc
	s_cselect_b32 s13, s11, 0
	s_cselect_b32 s12, s10, 0x10000
	s_lshl_b32 s19, s2, 2
	v_add_co_u32_e32 v17, vcc, s4, v0
	v_addc_co_u32_e64 v18, s[0:1], 0, 0, vcc
	v_add_co_u32_e32 v11, vcc, s19, v10
	v_addc_co_u32_e64 v14, s[0:1], 0, 0, vcc
	v_add_co_u32_e32 v10, vcc, s14, v11
	v_addc_co_u32_e32 v9, vcc, v13, v14, vcc
	v_add_co_u32_e32 v12, vcc, s6, v11
	s_lshl_b32 s3, s2, 1
	v_addc_co_u32_e32 v11, vcc, v15, v14, vcc
	v_add_co_u32_e32 v19, vcc, s3, v0
	v_addc_co_u32_e64 v20, s[0:1], 0, 0, vcc
	v_add_co_u32_e32 v21, vcc, s2, v0
	v_lshlrev_b32_e32 v16, 1, v21
	v_addc_co_u32_e64 v22, s[0:1], 0, 0, vcc
	v_add_co_u32_e32 v14, vcc, s14, v16
	v_addc_co_u32_e32 v13, vcc, 0, v13, vcc
	v_add_co_u32_e32 v16, vcc, s6, v16
	s_mov_b32 s18, 0
	s_lshl_b32 s20, s2, 3
	v_addc_co_u32_e32 v15, vcc, 0, v15, vcc
	s_mov_b64 s[14:15], 0
	s_movk_i32 s21, 0x7fff
	v_mov_b32_e32 v23, 0x7fc0
	s_branch .LBB338_9
.LBB338_8:                              ;   in Loop: Header=BB338_9 Depth=1
	s_or_b64 exec, exec, s[0:1]
	s_add_u32 s14, s14, s19
	s_addc_u32 s15, s15, 0
	s_waitcnt vmcnt(0)
	v_pk_mov_b32 v[24:25], s[10:11], s[10:11] op_sel:[0,1]
	v_cmp_ge_i64_e32 vcc, s[14:15], v[24:25]
	v_mov_b32_e32 v24, 0xffff
	v_mov_b32_e32 v25, 0
	v_cmp_gt_u64_e64 s[0:1], s[14:15], v[24:25]
	s_or_b64 s[0:1], vcc, s[0:1]
	v_mov_b32_e32 v24, s18
	v_add_co_u32_e32 v2, vcc, s20, v2
	v_addc_co_u32_e32 v1, vcc, v1, v24, vcc
	v_add_co_u32_e32 v4, vcc, s20, v4
	v_addc_co_u32_e32 v3, vcc, v3, v24, vcc
	;; [unrolled: 2-line block ×8, first 2 shown]
	s_and_b64 vcc, exec, s[0:1]
	s_cbranch_vccnz .LBB338_25
.LBB338_9:                              ; =>This Inner Loop Header: Depth=1
	v_mov_b32_e32 v25, s15
	v_add_co_u32_e32 v24, vcc, s14, v0
	v_addc_co_u32_e32 v25, vcc, 0, v25, vcc
	v_cmp_gt_u64_e32 vcc, s[12:13], v[24:25]
	v_mov_b32_e32 v25, 0
	s_and_saveexec_b64 s[2:3], vcc
	s_cbranch_execz .LBB338_11
; %bb.10:                               ;   in Loop: Header=BB338_9 Depth=1
	v_mov_b32_e32 v25, s9
	v_add_co_u32_e64 v24, s[0:1], s8, v2
	v_addc_co_u32_e64 v25, s[0:1], v1, v25, s[0:1]
	global_load_ushort v25, v[24:25], off
.LBB338_11:                             ;   in Loop: Header=BB338_9 Depth=1
	s_or_b64 exec, exec, s[2:3]
	v_mov_b32_e32 v24, s15
	v_add_co_u32_e64 v26, s[0:1], s14, v21
	v_addc_co_u32_e64 v27, s[0:1], v22, v24, s[0:1]
	v_cmp_gt_u64_e64 s[0:1], s[12:13], v[26:27]
	v_mov_b32_e32 v26, 0
	s_and_saveexec_b64 s[4:5], s[0:1]
	s_cbranch_execz .LBB338_13
; %bb.12:                               ;   in Loop: Header=BB338_9 Depth=1
	v_mov_b32_e32 v24, s9
	v_add_co_u32_e64 v26, s[2:3], s8, v14
	v_addc_co_u32_e64 v27, s[2:3], v13, v24, s[2:3]
	global_load_ushort v26, v[26:27], off
.LBB338_13:                             ;   in Loop: Header=BB338_9 Depth=1
	s_or_b64 exec, exec, s[4:5]
	v_mov_b32_e32 v24, s15
	v_add_co_u32_e64 v28, s[2:3], s14, v19
	v_addc_co_u32_e64 v29, s[2:3], v20, v24, s[2:3]
	v_cmp_gt_u64_e64 s[2:3], s[12:13], v[28:29]
	v_mov_b32_e32 v24, 0
	v_mov_b32_e32 v27, 0
	s_and_saveexec_b64 s[6:7], s[2:3]
	s_cbranch_execz .LBB338_15
; %bb.14:                               ;   in Loop: Header=BB338_9 Depth=1
	v_mov_b32_e32 v27, s9
	v_add_co_u32_e64 v28, s[4:5], s8, v10
	v_addc_co_u32_e64 v29, s[4:5], v9, v27, s[4:5]
	global_load_ushort v27, v[28:29], off
.LBB338_15:                             ;   in Loop: Header=BB338_9 Depth=1
	s_or_b64 exec, exec, s[6:7]
	v_mov_b32_e32 v29, s15
	v_add_co_u32_e64 v28, s[4:5], s14, v17
	v_addc_co_u32_e64 v29, s[4:5], v18, v29, s[4:5]
	v_cmp_gt_u64_e64 s[4:5], s[12:13], v[28:29]
	s_and_saveexec_b64 s[16:17], s[4:5]
	s_cbranch_execnz .LBB338_20
; %bb.16:                               ;   in Loop: Header=BB338_9 Depth=1
	s_or_b64 exec, exec, s[16:17]
	s_and_saveexec_b64 s[6:7], vcc
	s_cbranch_execnz .LBB338_21
.LBB338_17:                             ;   in Loop: Header=BB338_9 Depth=1
	s_or_b64 exec, exec, s[6:7]
	s_and_saveexec_b64 s[6:7], s[0:1]
	s_cbranch_execnz .LBB338_22
.LBB338_18:                             ;   in Loop: Header=BB338_9 Depth=1
	s_or_b64 exec, exec, s[6:7]
	s_and_saveexec_b64 s[0:1], s[2:3]
	s_cbranch_execnz .LBB338_23
.LBB338_19:                             ;   in Loop: Header=BB338_9 Depth=1
	s_or_b64 exec, exec, s[0:1]
	s_and_saveexec_b64 s[0:1], s[4:5]
	s_cbranch_execz .LBB338_8
	s_branch .LBB338_24
.LBB338_20:                             ;   in Loop: Header=BB338_9 Depth=1
	v_mov_b32_e32 v24, s9
	v_add_co_u32_e64 v28, s[6:7], s8, v6
	v_addc_co_u32_e64 v29, s[6:7], v5, v24, s[6:7]
	global_load_ushort v24, v[28:29], off
	s_or_b64 exec, exec, s[16:17]
	s_and_saveexec_b64 s[6:7], vcc
	s_cbranch_execz .LBB338_17
.LBB338_21:                             ;   in Loop: Header=BB338_9 Depth=1
	s_waitcnt vmcnt(0)
	v_lshlrev_b32_e32 v25, 16, v25
	v_and_b32_e32 v28, 0x7fffffff, v25
	v_bfe_u32 v29, v28, 16, 1
	v_add3_u32 v28, v28, v29, s21
	v_lshrrev_b32_e32 v28, 16, v28
	v_cmp_o_f32_e32 vcc, v25, v25
	v_cndmask_b32_e32 v25, v23, v28, vcc
	v_mov_b32_e32 v29, s9
	v_add_co_u32_e32 v28, vcc, s8, v4
	v_addc_co_u32_e32 v29, vcc, v3, v29, vcc
	global_store_short v[28:29], v25, off
	s_or_b64 exec, exec, s[6:7]
	s_and_saveexec_b64 s[6:7], s[0:1]
	s_cbranch_execz .LBB338_18
.LBB338_22:                             ;   in Loop: Header=BB338_9 Depth=1
	s_waitcnt vmcnt(0)
	v_lshlrev_b32_e32 v25, 16, v26
	v_and_b32_e32 v26, 0x7fffffff, v25
	v_bfe_u32 v28, v26, 16, 1
	v_add3_u32 v26, v26, v28, s21
	v_lshrrev_b32_e32 v26, 16, v26
	v_cmp_o_f32_e32 vcc, v25, v25
	v_cndmask_b32_e32 v25, v23, v26, vcc
	v_mov_b32_e32 v26, s9
	v_add_co_u32_e32 v28, vcc, s8, v16
	v_addc_co_u32_e32 v29, vcc, v15, v26, vcc
	global_store_short v[28:29], v25, off
	s_or_b64 exec, exec, s[6:7]
	s_and_saveexec_b64 s[0:1], s[2:3]
	s_cbranch_execz .LBB338_19
.LBB338_23:                             ;   in Loop: Header=BB338_9 Depth=1
	s_waitcnt vmcnt(0)
	v_lshlrev_b32_e32 v25, 16, v27
	v_and_b32_e32 v26, 0x7fffffff, v25
	v_bfe_u32 v27, v26, 16, 1
	v_add3_u32 v26, v26, v27, s21
	v_lshrrev_b32_e32 v26, 16, v26
	v_cmp_o_f32_e32 vcc, v25, v25
	v_cndmask_b32_e32 v25, v23, v26, vcc
	v_mov_b32_e32 v27, s9
	v_add_co_u32_e32 v26, vcc, s8, v12
	v_addc_co_u32_e32 v27, vcc, v11, v27, vcc
	global_store_short v[26:27], v25, off
	s_or_b64 exec, exec, s[0:1]
	s_and_saveexec_b64 s[0:1], s[4:5]
	s_cbranch_execz .LBB338_8
.LBB338_24:                             ;   in Loop: Header=BB338_9 Depth=1
	s_waitcnt vmcnt(0)
	v_lshlrev_b32_e32 v24, 16, v24
	v_and_b32_e32 v25, 0x7fffffff, v24
	v_bfe_u32 v26, v25, 16, 1
	v_add3_u32 v25, v25, v26, s21
	v_lshrrev_b32_e32 v25, 16, v25
	v_cmp_o_f32_e32 vcc, v24, v24
	v_cndmask_b32_e32 v26, v23, v25, vcc
	v_mov_b32_e32 v25, s9
	v_add_co_u32_e32 v24, vcc, s8, v8
	v_addc_co_u32_e32 v25, vcc, v7, v25, vcc
	global_store_short v[24:25], v26, off
	s_branch .LBB338_8
.LBB338_25:
	s_endpgm
	.section	.rodata,"a",@progbits
	.p2align	6, 0x0
	.amdhsa_kernel _ZN2at6native12_GLOBAL__N_125multi_tensor_apply_kernelINS1_18TensorListMetadataILi2EEENS1_14UnaryOpFunctorIN3c108BFloat16ELi2ELi1ELi1EEEJNS0_3AbsIfEEEEEvT_T0_DpT1_
		.amdhsa_group_segment_fixed_size 0
		.amdhsa_private_segment_fixed_size 0
		.amdhsa_kernarg_size 3408
		.amdhsa_user_sgpr_count 6
		.amdhsa_user_sgpr_private_segment_buffer 1
		.amdhsa_user_sgpr_dispatch_ptr 0
		.amdhsa_user_sgpr_queue_ptr 0
		.amdhsa_user_sgpr_kernarg_segment_ptr 1
		.amdhsa_user_sgpr_dispatch_id 0
		.amdhsa_user_sgpr_flat_scratch_init 0
		.amdhsa_user_sgpr_kernarg_preload_length 0
		.amdhsa_user_sgpr_kernarg_preload_offset 0
		.amdhsa_user_sgpr_private_segment_size 0
		.amdhsa_uses_dynamic_stack 0
		.amdhsa_system_sgpr_private_segment_wavefront_offset 0
		.amdhsa_system_sgpr_workgroup_id_x 1
		.amdhsa_system_sgpr_workgroup_id_y 0
		.amdhsa_system_sgpr_workgroup_id_z 0
		.amdhsa_system_sgpr_workgroup_info 0
		.amdhsa_system_vgpr_workitem_id 0
		.amdhsa_next_free_vgpr 30
		.amdhsa_next_free_sgpr 23
		.amdhsa_accum_offset 32
		.amdhsa_reserve_vcc 1
		.amdhsa_reserve_flat_scratch 0
		.amdhsa_float_round_mode_32 0
		.amdhsa_float_round_mode_16_64 0
		.amdhsa_float_denorm_mode_32 3
		.amdhsa_float_denorm_mode_16_64 3
		.amdhsa_dx10_clamp 1
		.amdhsa_ieee_mode 1
		.amdhsa_fp16_overflow 0
		.amdhsa_tg_split 0
		.amdhsa_exception_fp_ieee_invalid_op 0
		.amdhsa_exception_fp_denorm_src 0
		.amdhsa_exception_fp_ieee_div_zero 0
		.amdhsa_exception_fp_ieee_overflow 0
		.amdhsa_exception_fp_ieee_underflow 0
		.amdhsa_exception_fp_ieee_inexact 0
		.amdhsa_exception_int_div_zero 0
	.end_amdhsa_kernel
	.section	.text._ZN2at6native12_GLOBAL__N_125multi_tensor_apply_kernelINS1_18TensorListMetadataILi2EEENS1_14UnaryOpFunctorIN3c108BFloat16ELi2ELi1ELi1EEEJNS0_3AbsIfEEEEEvT_T0_DpT1_,"axG",@progbits,_ZN2at6native12_GLOBAL__N_125multi_tensor_apply_kernelINS1_18TensorListMetadataILi2EEENS1_14UnaryOpFunctorIN3c108BFloat16ELi2ELi1ELi1EEEJNS0_3AbsIfEEEEEvT_T0_DpT1_,comdat
.Lfunc_end338:
	.size	_ZN2at6native12_GLOBAL__N_125multi_tensor_apply_kernelINS1_18TensorListMetadataILi2EEENS1_14UnaryOpFunctorIN3c108BFloat16ELi2ELi1ELi1EEEJNS0_3AbsIfEEEEEvT_T0_DpT1_, .Lfunc_end338-_ZN2at6native12_GLOBAL__N_125multi_tensor_apply_kernelINS1_18TensorListMetadataILi2EEENS1_14UnaryOpFunctorIN3c108BFloat16ELi2ELi1ELi1EEEJNS0_3AbsIfEEEEEvT_T0_DpT1_
                                        ; -- End function
	.section	.AMDGPU.csdata,"",@progbits
; Kernel info:
; codeLenInByte = 1620
; NumSgprs: 27
; NumVgprs: 30
; NumAgprs: 0
; TotalNumVgprs: 30
; ScratchSize: 0
; MemoryBound: 0
; FloatMode: 240
; IeeeMode: 1
; LDSByteSize: 0 bytes/workgroup (compile time only)
; SGPRBlocks: 3
; VGPRBlocks: 3
; NumSGPRsForWavesPerEU: 27
; NumVGPRsForWavesPerEU: 30
; AccumOffset: 32
; Occupancy: 8
; WaveLimiterHint : 0
; COMPUTE_PGM_RSRC2:SCRATCH_EN: 0
; COMPUTE_PGM_RSRC2:USER_SGPR: 6
; COMPUTE_PGM_RSRC2:TRAP_HANDLER: 0
; COMPUTE_PGM_RSRC2:TGID_X_EN: 1
; COMPUTE_PGM_RSRC2:TGID_Y_EN: 0
; COMPUTE_PGM_RSRC2:TGID_Z_EN: 0
; COMPUTE_PGM_RSRC2:TIDIG_COMP_CNT: 0
; COMPUTE_PGM_RSRC3_GFX90A:ACCUM_OFFSET: 7
; COMPUTE_PGM_RSRC3_GFX90A:TG_SPLIT: 0
	.section	.text._ZN2at6native12_GLOBAL__N_125multi_tensor_apply_kernelINS1_18TensorListMetadataILi2EEENS1_14UnaryOpFunctorIbLi2ELi1ELi1EEEJNS0_3AbsIbEEEEEvT_T0_DpT1_,"axG",@progbits,_ZN2at6native12_GLOBAL__N_125multi_tensor_apply_kernelINS1_18TensorListMetadataILi2EEENS1_14UnaryOpFunctorIbLi2ELi1ELi1EEEJNS0_3AbsIbEEEEEvT_T0_DpT1_,comdat
	.globl	_ZN2at6native12_GLOBAL__N_125multi_tensor_apply_kernelINS1_18TensorListMetadataILi2EEENS1_14UnaryOpFunctorIbLi2ELi1ELi1EEEJNS0_3AbsIbEEEEEvT_T0_DpT1_ ; -- Begin function _ZN2at6native12_GLOBAL__N_125multi_tensor_apply_kernelINS1_18TensorListMetadataILi2EEENS1_14UnaryOpFunctorIbLi2ELi1ELi1EEEJNS0_3AbsIbEEEEEvT_T0_DpT1_
	.p2align	8
	.type	_ZN2at6native12_GLOBAL__N_125multi_tensor_apply_kernelINS1_18TensorListMetadataILi2EEENS1_14UnaryOpFunctorIbLi2ELi1ELi1EEEJNS0_3AbsIbEEEEEvT_T0_DpT1_,@function
_ZN2at6native12_GLOBAL__N_125multi_tensor_apply_kernelINS1_18TensorListMetadataILi2EEENS1_14UnaryOpFunctorIbLi2ELi1ELi1EEEJNS0_3AbsIbEEEEEvT_T0_DpT1_: ; @_ZN2at6native12_GLOBAL__N_125multi_tensor_apply_kernelINS1_18TensorListMetadataILi2EEENS1_14UnaryOpFunctorIbLi2ELi1ELi1EEEJNS0_3AbsIbEEEEEvT_T0_DpT1_
; %bb.0:
	v_mov_b32_e32 v1, s6
	global_load_ubyte v1, v1, s[4:5] offset:1536
	s_add_u32 s0, s4, s6
	s_mul_hi_u32 s1, s6, 3
	s_mul_i32 s6, s6, 3
	s_addc_u32 s2, s5, 0
	s_add_u32 s0, s0, s6
	s_addc_u32 s1, s2, s1
	s_load_dword s0, s[0:1], 0x740
	s_waitcnt vmcnt(0)
	v_readfirstlane_b32 s2, v1
	s_lshl_b32 s1, s2, 3
	s_load_dwordx2 s[2:3], s[4:5], s1 offset:0x0
	s_load_dwordx2 s[12:13], s[4:5], s1 offset:0x400
	;; [unrolled: 1-line block ×3, first 2 shown]
	s_waitcnt lgkmcnt(0)
	s_ashr_i32 s1, s0, 31
	s_lshl_b64 s[10:11], s[0:1], 16
	s_add_u32 s8, s2, s10
	s_addc_u32 s9, s3, s11
	s_add_u32 s20, s6, s10
	s_addc_u32 s18, s7, s11
	s_or_b64 s[0:1], s[12:13], s[8:9]
	s_or_b32 s0, s20, s0
	s_and_b32 s0, s0, 3
	s_sub_u32 s12, s12, s10
	s_subb_u32 s13, s13, s11
	s_cmp_eq_u32 s0, 0
	s_mov_b64 s[0:1], -1
	s_cbranch_scc0 .LBB339_5
; %bb.1:
	v_lshlrev_b32_e32 v2, 2, v0
	v_mov_b32_e32 v3, 0
	v_cmp_gt_i64_e32 vcc, s[12:13], v[2:3]
	s_and_saveexec_b64 s[14:15], vcc
	s_cbranch_execz .LBB339_4
; %bb.2:
	s_load_dword s0, s[4:5], 0xc5c
	s_mov_b32 s1, 0
	s_mov_b64 s[16:17], 0
	v_mov_b32_e32 v1, s9
	v_mov_b32_e32 v4, s18
	s_waitcnt lgkmcnt(0)
	s_and_b32 s0, s0, 0xffff
	s_lshl_b32 s9, s0, 2
	v_mov_b32_e32 v5, s1
	s_mov_b64 s[18:19], 0xffff
.LBB339_3:                              ; =>This Inner Loop Header: Depth=1
	v_add_co_u32_e32 v6, vcc, s8, v2
	v_addc_co_u32_e32 v7, vcc, v1, v3, vcc
	global_load_dword v8, v[6:7], off
	v_add_co_u32_e32 v6, vcc, s20, v2
	v_addc_co_u32_e32 v7, vcc, v4, v3, vcc
	v_add_co_u32_e32 v2, vcc, s9, v2
	v_addc_co_u32_e32 v3, vcc, v5, v3, vcc
	v_cmp_le_i64_e32 vcc, s[12:13], v[2:3]
	v_cmp_lt_u64_e64 s[0:1], s[18:19], v[2:3]
	s_or_b64 s[0:1], vcc, s[0:1]
	s_and_b64 s[0:1], exec, s[0:1]
	s_or_b64 s[16:17], s[0:1], s[16:17]
	s_waitcnt vmcnt(0)
	global_store_dword v[6:7], v8, off
	s_andn2_b64 exec, exec, s[16:17]
	s_cbranch_execnz .LBB339_3
.LBB339_4:
	s_or_b64 exec, exec, s[14:15]
	s_mov_b64 s[0:1], 0
.LBB339_5:
	s_andn2_b64 vcc, exec, s[0:1]
	s_cbranch_vccnz .LBB339_25
; %bb.6:
	v_cmp_lt_i64_e64 s[0:1], s[12:13], 1
	s_and_b64 vcc, exec, s[0:1]
	s_cbranch_vccnz .LBB339_25
; %bb.7:
	s_load_dword s0, s[4:5], 0xc5c
	v_mov_b32_e32 v2, 0x10000
	v_mov_b32_e32 v3, 0
	v_cmp_lt_u64_e32 vcc, s[12:13], v[2:3]
	v_mov_b32_e32 v1, s11
	s_waitcnt lgkmcnt(0)
	s_and_b32 s4, s0, 0xffff
	s_and_b64 s[0:1], vcc, exec
	v_add_co_u32_e32 v2, vcc, s10, v0
	v_addc_co_u32_e32 v3, vcc, 0, v1, vcc
	v_mov_b32_e32 v20, s3
	v_add_co_u32_e32 v1, vcc, s2, v2
	s_cselect_b32 s9, s13, 0
	s_cselect_b32 s8, s12, 0x10000
	s_lshl_b32 s5, s4, 1
	s_mul_i32 s0, s4, 3
	s_lshl_b32 s14, s4, 2
	v_addc_co_u32_e32 v4, vcc, v20, v3, vcc
	v_mov_b32_e32 v22, s7
	v_add_co_u32_e32 v5, vcc, s6, v2
	s_add_u32 s1, s10, s0
	v_addc_co_u32_e32 v6, vcc, v22, v3, vcc
	s_addc_u32 s3, s11, 0
	v_mov_b32_e32 v7, s3
	v_add_co_u32_e32 v9, vcc, s1, v0
	v_addc_co_u32_e32 v10, vcc, 0, v7, vcc
	v_add_co_u32_e32 v7, vcc, s2, v9
	v_addc_co_u32_e32 v8, vcc, v20, v10, vcc
	;; [unrolled: 2-line block ×3, first 2 shown]
	v_add_co_u32_e32 v11, vcc, s0, v0
	v_addc_co_u32_e64 v12, s[0:1], 0, 0, vcc
	s_add_u32 s0, s10, s5
	s_addc_u32 s1, s11, 0
	v_mov_b32_e32 v13, s1
	v_add_co_u32_e32 v15, vcc, s0, v0
	v_addc_co_u32_e32 v16, vcc, 0, v13, vcc
	v_add_co_u32_e32 v13, vcc, s2, v15
	v_addc_co_u32_e32 v14, vcc, v20, v16, vcc
	;; [unrolled: 2-line block ×3, first 2 shown]
	v_add_co_u32_e32 v17, vcc, s5, v0
	v_addc_co_u32_e64 v18, s[0:1], 0, 0, vcc
	v_add_co_u32_e32 v2, vcc, s4, v2
	v_addc_co_u32_e32 v3, vcc, 0, v3, vcc
	v_add_co_u32_e32 v19, vcc, s2, v2
	v_addc_co_u32_e32 v20, vcc, v20, v3, vcc
	;; [unrolled: 2-line block ×3, first 2 shown]
	v_add_co_u32_e32 v23, vcc, s4, v0
	v_addc_co_u32_e64 v24, s[0:1], 0, 0, vcc
	s_mov_b64 s[10:11], 0
	v_pk_mov_b32 v[2:3], s[12:13], s[12:13] op_sel:[0,1]
	s_branch .LBB339_9
.LBB339_8:                              ;   in Loop: Header=BB339_9 Depth=1
	s_or_b64 exec, exec, s[0:1]
	s_add_u32 s10, s10, s14
	s_waitcnt vmcnt(0)
	v_mov_b32_e32 v26, 0xffff
	s_addc_u32 s11, s11, 0
	v_mov_b32_e32 v27, 0
	v_cmp_ge_i64_e32 vcc, s[10:11], v[2:3]
	v_cmp_gt_u64_e64 s[0:1], s[10:11], v[26:27]
	s_or_b64 s[0:1], vcc, s[0:1]
	s_and_b64 vcc, exec, s[0:1]
	s_cbranch_vccnz .LBB339_25
.LBB339_9:                              ; =>This Inner Loop Header: Depth=1
	v_mov_b32_e32 v25, s11
	v_add_co_u32_e32 v26, vcc, s10, v0
	v_addc_co_u32_e32 v27, vcc, 0, v25, vcc
	v_cmp_gt_u64_e32 vcc, s[8:9], v[26:27]
	v_mov_b32_e32 v25, 0
	s_and_saveexec_b64 s[2:3], vcc
	s_cbranch_execz .LBB339_11
; %bb.10:                               ;   in Loop: Header=BB339_9 Depth=1
	v_mov_b32_e32 v25, s11
	v_add_co_u32_e64 v26, s[0:1], s10, v1
	v_addc_co_u32_e64 v27, s[0:1], v4, v25, s[0:1]
	global_load_ubyte v25, v[26:27], off
.LBB339_11:                             ;   in Loop: Header=BB339_9 Depth=1
	s_or_b64 exec, exec, s[2:3]
	v_mov_b32_e32 v27, s11
	v_add_co_u32_e64 v26, s[0:1], s10, v23
	v_addc_co_u32_e64 v27, s[0:1], v24, v27, s[0:1]
	v_cmp_gt_u64_e64 s[0:1], s[8:9], v[26:27]
	v_mov_b32_e32 v27, 0
	s_and_saveexec_b64 s[4:5], s[0:1]
	s_cbranch_execz .LBB339_13
; %bb.12:                               ;   in Loop: Header=BB339_9 Depth=1
	v_mov_b32_e32 v27, s11
	v_add_co_u32_e64 v26, s[2:3], s10, v19
	v_addc_co_u32_e64 v27, s[2:3], v20, v27, s[2:3]
	global_load_ubyte v27, v[26:27], off
.LBB339_13:                             ;   in Loop: Header=BB339_9 Depth=1
	s_or_b64 exec, exec, s[4:5]
	v_mov_b32_e32 v26, s11
	v_add_co_u32_e64 v28, s[2:3], s10, v17
	v_addc_co_u32_e64 v29, s[2:3], v18, v26, s[2:3]
	v_cmp_gt_u64_e64 s[2:3], s[8:9], v[28:29]
	v_mov_b32_e32 v26, 0
	v_mov_b32_e32 v28, 0
	s_and_saveexec_b64 s[6:7], s[2:3]
	s_cbranch_execz .LBB339_15
; %bb.14:                               ;   in Loop: Header=BB339_9 Depth=1
	v_mov_b32_e32 v29, s11
	v_add_co_u32_e64 v28, s[4:5], s10, v13
	v_addc_co_u32_e64 v29, s[4:5], v14, v29, s[4:5]
	global_load_ubyte v28, v[28:29], off
.LBB339_15:                             ;   in Loop: Header=BB339_9 Depth=1
	s_or_b64 exec, exec, s[6:7]
	v_mov_b32_e32 v29, s11
	v_add_co_u32_e64 v30, s[4:5], s10, v11
	v_addc_co_u32_e64 v31, s[4:5], v12, v29, s[4:5]
	v_cmp_gt_u64_e64 s[4:5], s[8:9], v[30:31]
	s_and_saveexec_b64 s[12:13], s[4:5]
	s_cbranch_execnz .LBB339_20
; %bb.16:                               ;   in Loop: Header=BB339_9 Depth=1
	s_or_b64 exec, exec, s[12:13]
	s_and_saveexec_b64 s[6:7], vcc
	s_cbranch_execnz .LBB339_21
.LBB339_17:                             ;   in Loop: Header=BB339_9 Depth=1
	s_or_b64 exec, exec, s[6:7]
	s_and_saveexec_b64 s[6:7], s[0:1]
	s_cbranch_execnz .LBB339_22
.LBB339_18:                             ;   in Loop: Header=BB339_9 Depth=1
	s_or_b64 exec, exec, s[6:7]
	s_and_saveexec_b64 s[0:1], s[2:3]
	s_cbranch_execnz .LBB339_23
.LBB339_19:                             ;   in Loop: Header=BB339_9 Depth=1
	s_or_b64 exec, exec, s[0:1]
	s_and_saveexec_b64 s[0:1], s[4:5]
	s_cbranch_execz .LBB339_8
	s_branch .LBB339_24
.LBB339_20:                             ;   in Loop: Header=BB339_9 Depth=1
	v_mov_b32_e32 v26, s11
	v_add_co_u32_e64 v30, s[6:7], s10, v7
	v_addc_co_u32_e64 v31, s[6:7], v8, v26, s[6:7]
	global_load_ubyte v26, v[30:31], off
	s_or_b64 exec, exec, s[12:13]
	s_and_saveexec_b64 s[6:7], vcc
	s_cbranch_execz .LBB339_17
.LBB339_21:                             ;   in Loop: Header=BB339_9 Depth=1
	v_mov_b32_e32 v29, s11
	v_add_co_u32_e32 v30, vcc, s10, v5
	v_addc_co_u32_e32 v31, vcc, v6, v29, vcc
	s_waitcnt vmcnt(0)
	global_store_byte v[30:31], v25, off
	s_or_b64 exec, exec, s[6:7]
	s_and_saveexec_b64 s[6:7], s[0:1]
	s_cbranch_execz .LBB339_18
.LBB339_22:                             ;   in Loop: Header=BB339_9 Depth=1
	s_waitcnt vmcnt(0)
	v_mov_b32_e32 v25, s11
	v_add_co_u32_e32 v30, vcc, s10, v21
	v_addc_co_u32_e32 v31, vcc, v22, v25, vcc
	global_store_byte v[30:31], v27, off
	s_or_b64 exec, exec, s[6:7]
	s_and_saveexec_b64 s[0:1], s[2:3]
	s_cbranch_execz .LBB339_19
.LBB339_23:                             ;   in Loop: Header=BB339_9 Depth=1
	s_waitcnt vmcnt(0)
	v_mov_b32_e32 v25, s11
	v_add_co_u32_e32 v30, vcc, s10, v15
	v_addc_co_u32_e32 v31, vcc, v16, v25, vcc
	global_store_byte v[30:31], v28, off
	s_or_b64 exec, exec, s[0:1]
	s_and_saveexec_b64 s[0:1], s[4:5]
	s_cbranch_execz .LBB339_8
.LBB339_24:                             ;   in Loop: Header=BB339_9 Depth=1
	s_waitcnt vmcnt(0)
	v_mov_b32_e32 v25, s11
	v_add_co_u32_e32 v28, vcc, s10, v9
	v_addc_co_u32_e32 v29, vcc, v10, v25, vcc
	global_store_byte v[28:29], v26, off
	s_branch .LBB339_8
.LBB339_25:
	s_endpgm
	.section	.rodata,"a",@progbits
	.p2align	6, 0x0
	.amdhsa_kernel _ZN2at6native12_GLOBAL__N_125multi_tensor_apply_kernelINS1_18TensorListMetadataILi2EEENS1_14UnaryOpFunctorIbLi2ELi1ELi1EEEJNS0_3AbsIbEEEEEvT_T0_DpT1_
		.amdhsa_group_segment_fixed_size 0
		.amdhsa_private_segment_fixed_size 0
		.amdhsa_kernarg_size 3408
		.amdhsa_user_sgpr_count 6
		.amdhsa_user_sgpr_private_segment_buffer 1
		.amdhsa_user_sgpr_dispatch_ptr 0
		.amdhsa_user_sgpr_queue_ptr 0
		.amdhsa_user_sgpr_kernarg_segment_ptr 1
		.amdhsa_user_sgpr_dispatch_id 0
		.amdhsa_user_sgpr_flat_scratch_init 0
		.amdhsa_user_sgpr_kernarg_preload_length 0
		.amdhsa_user_sgpr_kernarg_preload_offset 0
		.amdhsa_user_sgpr_private_segment_size 0
		.amdhsa_uses_dynamic_stack 0
		.amdhsa_system_sgpr_private_segment_wavefront_offset 0
		.amdhsa_system_sgpr_workgroup_id_x 1
		.amdhsa_system_sgpr_workgroup_id_y 0
		.amdhsa_system_sgpr_workgroup_id_z 0
		.amdhsa_system_sgpr_workgroup_info 0
		.amdhsa_system_vgpr_workitem_id 0
		.amdhsa_next_free_vgpr 32
		.amdhsa_next_free_sgpr 21
		.amdhsa_accum_offset 32
		.amdhsa_reserve_vcc 1
		.amdhsa_reserve_flat_scratch 0
		.amdhsa_float_round_mode_32 0
		.amdhsa_float_round_mode_16_64 0
		.amdhsa_float_denorm_mode_32 3
		.amdhsa_float_denorm_mode_16_64 3
		.amdhsa_dx10_clamp 1
		.amdhsa_ieee_mode 1
		.amdhsa_fp16_overflow 0
		.amdhsa_tg_split 0
		.amdhsa_exception_fp_ieee_invalid_op 0
		.amdhsa_exception_fp_denorm_src 0
		.amdhsa_exception_fp_ieee_div_zero 0
		.amdhsa_exception_fp_ieee_overflow 0
		.amdhsa_exception_fp_ieee_underflow 0
		.amdhsa_exception_fp_ieee_inexact 0
		.amdhsa_exception_int_div_zero 0
	.end_amdhsa_kernel
	.section	.text._ZN2at6native12_GLOBAL__N_125multi_tensor_apply_kernelINS1_18TensorListMetadataILi2EEENS1_14UnaryOpFunctorIbLi2ELi1ELi1EEEJNS0_3AbsIbEEEEEvT_T0_DpT1_,"axG",@progbits,_ZN2at6native12_GLOBAL__N_125multi_tensor_apply_kernelINS1_18TensorListMetadataILi2EEENS1_14UnaryOpFunctorIbLi2ELi1ELi1EEEJNS0_3AbsIbEEEEEvT_T0_DpT1_,comdat
.Lfunc_end339:
	.size	_ZN2at6native12_GLOBAL__N_125multi_tensor_apply_kernelINS1_18TensorListMetadataILi2EEENS1_14UnaryOpFunctorIbLi2ELi1ELi1EEEJNS0_3AbsIbEEEEEvT_T0_DpT1_, .Lfunc_end339-_ZN2at6native12_GLOBAL__N_125multi_tensor_apply_kernelINS1_18TensorListMetadataILi2EEENS1_14UnaryOpFunctorIbLi2ELi1ELi1EEEJNS0_3AbsIbEEEEEvT_T0_DpT1_
                                        ; -- End function
	.section	.AMDGPU.csdata,"",@progbits
; Kernel info:
; codeLenInByte = 1096
; NumSgprs: 25
; NumVgprs: 32
; NumAgprs: 0
; TotalNumVgprs: 32
; ScratchSize: 0
; MemoryBound: 0
; FloatMode: 240
; IeeeMode: 1
; LDSByteSize: 0 bytes/workgroup (compile time only)
; SGPRBlocks: 3
; VGPRBlocks: 3
; NumSGPRsForWavesPerEU: 25
; NumVGPRsForWavesPerEU: 32
; AccumOffset: 32
; Occupancy: 8
; WaveLimiterHint : 0
; COMPUTE_PGM_RSRC2:SCRATCH_EN: 0
; COMPUTE_PGM_RSRC2:USER_SGPR: 6
; COMPUTE_PGM_RSRC2:TRAP_HANDLER: 0
; COMPUTE_PGM_RSRC2:TGID_X_EN: 1
; COMPUTE_PGM_RSRC2:TGID_Y_EN: 0
; COMPUTE_PGM_RSRC2:TGID_Z_EN: 0
; COMPUTE_PGM_RSRC2:TIDIG_COMP_CNT: 0
; COMPUTE_PGM_RSRC3_GFX90A:ACCUM_OFFSET: 7
; COMPUTE_PGM_RSRC3_GFX90A:TG_SPLIT: 0
	.section	.text._ZN2at6native12_GLOBAL__N_125multi_tensor_apply_kernelINS1_18TensorListMetadataILi1EEENS1_14UnaryOpFunctorIhLi1ELi1ELi0EEEJNS0_3AbsIhEEEEEvT_T0_DpT1_,"axG",@progbits,_ZN2at6native12_GLOBAL__N_125multi_tensor_apply_kernelINS1_18TensorListMetadataILi1EEENS1_14UnaryOpFunctorIhLi1ELi1ELi0EEEJNS0_3AbsIhEEEEEvT_T0_DpT1_,comdat
	.globl	_ZN2at6native12_GLOBAL__N_125multi_tensor_apply_kernelINS1_18TensorListMetadataILi1EEENS1_14UnaryOpFunctorIhLi1ELi1ELi0EEEJNS0_3AbsIhEEEEEvT_T0_DpT1_ ; -- Begin function _ZN2at6native12_GLOBAL__N_125multi_tensor_apply_kernelINS1_18TensorListMetadataILi1EEENS1_14UnaryOpFunctorIhLi1ELi1ELi0EEEJNS0_3AbsIhEEEEEvT_T0_DpT1_
	.p2align	8
	.type	_ZN2at6native12_GLOBAL__N_125multi_tensor_apply_kernelINS1_18TensorListMetadataILi1EEENS1_14UnaryOpFunctorIhLi1ELi1ELi0EEEJNS0_3AbsIhEEEEEvT_T0_DpT1_,@function
_ZN2at6native12_GLOBAL__N_125multi_tensor_apply_kernelINS1_18TensorListMetadataILi1EEENS1_14UnaryOpFunctorIhLi1ELi1ELi0EEEJNS0_3AbsIhEEEEEvT_T0_DpT1_: ; @_ZN2at6native12_GLOBAL__N_125multi_tensor_apply_kernelINS1_18TensorListMetadataILi1EEENS1_14UnaryOpFunctorIhLi1ELi1ELi0EEEJNS0_3AbsIhEEEEEvT_T0_DpT1_
; %bb.0:
	v_mov_b32_e32 v1, s6
	global_load_ubyte v1, v1, s[4:5] offset:1760
	s_add_u32 s0, s4, s6
	s_mul_hi_u32 s1, s6, 3
	s_mul_i32 s6, s6, 3
	s_addc_u32 s2, s5, 0
	s_add_u32 s0, s0, s6
	s_addc_u32 s1, s2, s1
	s_load_dword s0, s[0:1], 0x820
	s_waitcnt vmcnt(0)
	v_readfirstlane_b32 s2, v1
	s_lshl_b32 s1, s2, 3
	s_load_dwordx2 s[8:9], s[4:5], s1 offset:0x370
	s_load_dwordx2 s[2:3], s[4:5], s1 offset:0x0
	s_waitcnt lgkmcnt(0)
	s_ashr_i32 s1, s0, 31
	s_lshl_b64 s[6:7], s[0:1], 16
	s_sub_u32 s0, s8, s6
	s_subb_u32 s1, s9, s7
	s_or_b32 s8, s8, s2
	s_and_b32 s10, s8, 3
	s_cmp_lg_u32 s10, 0
	v_cmp_gt_i64_e64 s[8:9], s[0:1], 0
	s_cselect_b64 s[10:11], -1, 0
	s_and_b64 s[8:9], s[10:11], s[8:9]
	s_andn2_b64 vcc, exec, s[8:9]
	s_mov_b64 s[8:9], 0
	s_cbranch_vccnz .LBB340_19
; %bb.1:
	s_load_dword s4, s[4:5], 0xd3c
	v_mov_b32_e32 v2, 0x10000
	v_mov_b32_e32 v3, 0
	v_cmp_lt_u64_e32 vcc, s[0:1], v[2:3]
	v_mov_b32_e32 v1, s7
	s_waitcnt lgkmcnt(0)
	s_and_b32 s12, s4, 0xffff
	s_and_b64 s[4:5], vcc, exec
	s_cselect_b32 s11, s1, 0
	s_cselect_b32 s10, s0, 0x10000
	s_lshl_b32 s13, s12, 1
	s_mul_i32 s4, s12, 3
	s_lshl_b32 s14, s12, 2
	v_add_co_u32_e32 v4, vcc, s6, v0
	s_add_u32 s5, s6, s4
	v_addc_co_u32_e32 v5, vcc, 0, v1, vcc
	s_addc_u32 s15, s7, 0
	v_mov_b32_e32 v6, s3
	v_add_co_u32_e32 v1, vcc, s2, v4
	s_add_u32 s5, s2, s5
	v_addc_co_u32_e32 v6, vcc, v6, v5, vcc
	s_addc_u32 s15, s3, s15
	v_mov_b32_e32 v8, s15
	v_add_co_u32_e32 v7, vcc, s5, v0
	v_addc_co_u32_e32 v8, vcc, 0, v8, vcc
	v_add_co_u32_e32 v9, vcc, s4, v0
	v_addc_co_u32_e64 v10, s[4:5], 0, 0, vcc
	s_add_u32 s4, s6, s13
	s_addc_u32 s5, s7, 0
	s_add_u32 s4, s2, s4
	s_addc_u32 s5, s3, s5
	v_mov_b32_e32 v12, s5
	v_add_co_u32_e32 v11, vcc, s4, v0
	v_addc_co_u32_e32 v12, vcc, 0, v12, vcc
	s_add_u32 s2, s2, s12
	v_add_co_u32_e32 v13, vcc, s13, v0
	s_addc_u32 s3, s3, 0
	v_addc_co_u32_e64 v14, s[4:5], 0, 0, vcc
	v_mov_b32_e32 v16, s3
	v_add_co_u32_e32 v15, vcc, s2, v4
	v_addc_co_u32_e32 v16, vcc, v16, v5, vcc
	v_add_co_u32_e32 v17, vcc, s12, v0
	v_addc_co_u32_e64 v18, s[2:3], 0, 0, vcc
	v_pk_mov_b32 v[4:5], s[0:1], s[0:1] op_sel:[0,1]
	s_branch .LBB340_3
.LBB340_2:                              ;   in Loop: Header=BB340_3 Depth=1
	s_or_b64 exec, exec, s[0:1]
	s_add_u32 s8, s8, s14
	s_addc_u32 s9, s9, 0
	v_cmp_lt_i64_e32 vcc, s[8:9], v[4:5]
	v_cmp_lt_u64_e64 s[0:1], s[8:9], v[2:3]
	s_and_b64 s[0:1], vcc, s[0:1]
	s_and_b64 vcc, exec, s[0:1]
	s_cbranch_vccz .LBB340_19
.LBB340_3:                              ; =>This Inner Loop Header: Depth=1
	s_waitcnt vmcnt(0)
	v_mov_b32_e32 v19, s9
	v_add_co_u32_e32 v20, vcc, s8, v0
	v_addc_co_u32_e32 v21, vcc, 0, v19, vcc
	v_cmp_gt_u64_e32 vcc, s[10:11], v[20:21]
	v_mov_b32_e32 v19, 0
	s_and_saveexec_b64 s[2:3], vcc
	s_cbranch_execz .LBB340_5
; %bb.4:                                ;   in Loop: Header=BB340_3 Depth=1
	v_mov_b32_e32 v19, s9
	v_add_co_u32_e64 v20, s[0:1], s8, v1
	v_addc_co_u32_e64 v21, s[0:1], v6, v19, s[0:1]
	global_load_ubyte v19, v[20:21], off
.LBB340_5:                              ;   in Loop: Header=BB340_3 Depth=1
	s_or_b64 exec, exec, s[2:3]
	v_mov_b32_e32 v21, s9
	v_add_co_u32_e64 v20, s[0:1], s8, v17
	v_addc_co_u32_e64 v21, s[0:1], v18, v21, s[0:1]
	v_cmp_gt_u64_e64 s[0:1], s[10:11], v[20:21]
	v_mov_b32_e32 v21, 0
	s_and_saveexec_b64 s[4:5], s[0:1]
	s_cbranch_execz .LBB340_7
; %bb.6:                                ;   in Loop: Header=BB340_3 Depth=1
	v_mov_b32_e32 v21, s9
	v_add_co_u32_e64 v20, s[2:3], s8, v15
	v_addc_co_u32_e64 v21, s[2:3], v16, v21, s[2:3]
	global_load_ubyte v21, v[20:21], off
.LBB340_7:                              ;   in Loop: Header=BB340_3 Depth=1
	s_or_b64 exec, exec, s[4:5]
	v_mov_b32_e32 v20, s9
	v_add_co_u32_e64 v22, s[2:3], s8, v13
	v_addc_co_u32_e64 v23, s[2:3], v14, v20, s[2:3]
	v_cmp_gt_u64_e64 s[2:3], s[10:11], v[22:23]
	v_mov_b32_e32 v20, 0
	v_mov_b32_e32 v22, 0
	s_and_saveexec_b64 s[6:7], s[2:3]
	s_cbranch_execz .LBB340_9
; %bb.8:                                ;   in Loop: Header=BB340_3 Depth=1
	v_mov_b32_e32 v23, s9
	v_add_co_u32_e64 v22, s[4:5], s8, v11
	v_addc_co_u32_e64 v23, s[4:5], v12, v23, s[4:5]
	global_load_ubyte v22, v[22:23], off
.LBB340_9:                              ;   in Loop: Header=BB340_3 Depth=1
	s_or_b64 exec, exec, s[6:7]
	v_mov_b32_e32 v23, s9
	v_add_co_u32_e64 v24, s[4:5], s8, v9
	v_addc_co_u32_e64 v25, s[4:5], v10, v23, s[4:5]
	v_cmp_gt_u64_e64 s[4:5], s[10:11], v[24:25]
	s_and_saveexec_b64 s[12:13], s[4:5]
	s_cbranch_execnz .LBB340_14
; %bb.10:                               ;   in Loop: Header=BB340_3 Depth=1
	s_or_b64 exec, exec, s[12:13]
	s_and_saveexec_b64 s[6:7], vcc
	s_cbranch_execnz .LBB340_15
.LBB340_11:                             ;   in Loop: Header=BB340_3 Depth=1
	s_or_b64 exec, exec, s[6:7]
	s_and_saveexec_b64 s[6:7], s[0:1]
	s_cbranch_execnz .LBB340_16
.LBB340_12:                             ;   in Loop: Header=BB340_3 Depth=1
	s_or_b64 exec, exec, s[6:7]
	s_and_saveexec_b64 s[0:1], s[2:3]
	s_cbranch_execnz .LBB340_17
.LBB340_13:                             ;   in Loop: Header=BB340_3 Depth=1
	s_or_b64 exec, exec, s[0:1]
	s_and_saveexec_b64 s[0:1], s[4:5]
	s_cbranch_execz .LBB340_2
	s_branch .LBB340_18
.LBB340_14:                             ;   in Loop: Header=BB340_3 Depth=1
	v_mov_b32_e32 v20, s9
	v_add_co_u32_e64 v24, s[6:7], s8, v7
	v_addc_co_u32_e64 v25, s[6:7], v8, v20, s[6:7]
	global_load_ubyte v20, v[24:25], off
	s_or_b64 exec, exec, s[12:13]
	s_and_saveexec_b64 s[6:7], vcc
	s_cbranch_execz .LBB340_11
.LBB340_15:                             ;   in Loop: Header=BB340_3 Depth=1
	v_mov_b32_e32 v23, s9
	v_add_co_u32_e32 v24, vcc, s8, v1
	v_addc_co_u32_e32 v25, vcc, v6, v23, vcc
	s_waitcnt vmcnt(0)
	global_store_byte v[24:25], v19, off
	s_or_b64 exec, exec, s[6:7]
	s_and_saveexec_b64 s[6:7], s[0:1]
	s_cbranch_execz .LBB340_12
.LBB340_16:                             ;   in Loop: Header=BB340_3 Depth=1
	s_waitcnt vmcnt(0)
	v_mov_b32_e32 v19, s9
	v_add_co_u32_e32 v24, vcc, s8, v15
	v_addc_co_u32_e32 v25, vcc, v16, v19, vcc
	global_store_byte v[24:25], v21, off
	s_or_b64 exec, exec, s[6:7]
	s_and_saveexec_b64 s[0:1], s[2:3]
	s_cbranch_execz .LBB340_13
.LBB340_17:                             ;   in Loop: Header=BB340_3 Depth=1
	s_waitcnt vmcnt(0)
	v_mov_b32_e32 v19, s9
	v_add_co_u32_e32 v24, vcc, s8, v11
	v_addc_co_u32_e32 v25, vcc, v12, v19, vcc
	global_store_byte v[24:25], v22, off
	s_or_b64 exec, exec, s[0:1]
	s_and_saveexec_b64 s[0:1], s[4:5]
	s_cbranch_execz .LBB340_2
.LBB340_18:                             ;   in Loop: Header=BB340_3 Depth=1
	s_waitcnt vmcnt(0)
	v_mov_b32_e32 v19, s9
	v_add_co_u32_e32 v22, vcc, s8, v7
	v_addc_co_u32_e32 v23, vcc, v8, v19, vcc
	global_store_byte v[22:23], v20, off
	s_branch .LBB340_2
.LBB340_19:
	s_endpgm
	.section	.rodata,"a",@progbits
	.p2align	6, 0x0
	.amdhsa_kernel _ZN2at6native12_GLOBAL__N_125multi_tensor_apply_kernelINS1_18TensorListMetadataILi1EEENS1_14UnaryOpFunctorIhLi1ELi1ELi0EEEJNS0_3AbsIhEEEEEvT_T0_DpT1_
		.amdhsa_group_segment_fixed_size 0
		.amdhsa_private_segment_fixed_size 0
		.amdhsa_kernarg_size 3632
		.amdhsa_user_sgpr_count 6
		.amdhsa_user_sgpr_private_segment_buffer 1
		.amdhsa_user_sgpr_dispatch_ptr 0
		.amdhsa_user_sgpr_queue_ptr 0
		.amdhsa_user_sgpr_kernarg_segment_ptr 1
		.amdhsa_user_sgpr_dispatch_id 0
		.amdhsa_user_sgpr_flat_scratch_init 0
		.amdhsa_user_sgpr_kernarg_preload_length 0
		.amdhsa_user_sgpr_kernarg_preload_offset 0
		.amdhsa_user_sgpr_private_segment_size 0
		.amdhsa_uses_dynamic_stack 0
		.amdhsa_system_sgpr_private_segment_wavefront_offset 0
		.amdhsa_system_sgpr_workgroup_id_x 1
		.amdhsa_system_sgpr_workgroup_id_y 0
		.amdhsa_system_sgpr_workgroup_id_z 0
		.amdhsa_system_sgpr_workgroup_info 0
		.amdhsa_system_vgpr_workitem_id 0
		.amdhsa_next_free_vgpr 26
		.amdhsa_next_free_sgpr 16
		.amdhsa_accum_offset 28
		.amdhsa_reserve_vcc 1
		.amdhsa_reserve_flat_scratch 0
		.amdhsa_float_round_mode_32 0
		.amdhsa_float_round_mode_16_64 0
		.amdhsa_float_denorm_mode_32 3
		.amdhsa_float_denorm_mode_16_64 3
		.amdhsa_dx10_clamp 1
		.amdhsa_ieee_mode 1
		.amdhsa_fp16_overflow 0
		.amdhsa_tg_split 0
		.amdhsa_exception_fp_ieee_invalid_op 0
		.amdhsa_exception_fp_denorm_src 0
		.amdhsa_exception_fp_ieee_div_zero 0
		.amdhsa_exception_fp_ieee_overflow 0
		.amdhsa_exception_fp_ieee_underflow 0
		.amdhsa_exception_fp_ieee_inexact 0
		.amdhsa_exception_int_div_zero 0
	.end_amdhsa_kernel
	.section	.text._ZN2at6native12_GLOBAL__N_125multi_tensor_apply_kernelINS1_18TensorListMetadataILi1EEENS1_14UnaryOpFunctorIhLi1ELi1ELi0EEEJNS0_3AbsIhEEEEEvT_T0_DpT1_,"axG",@progbits,_ZN2at6native12_GLOBAL__N_125multi_tensor_apply_kernelINS1_18TensorListMetadataILi1EEENS1_14UnaryOpFunctorIhLi1ELi1ELi0EEEJNS0_3AbsIhEEEEEvT_T0_DpT1_,comdat
.Lfunc_end340:
	.size	_ZN2at6native12_GLOBAL__N_125multi_tensor_apply_kernelINS1_18TensorListMetadataILi1EEENS1_14UnaryOpFunctorIhLi1ELi1ELi0EEEJNS0_3AbsIhEEEEEvT_T0_DpT1_, .Lfunc_end340-_ZN2at6native12_GLOBAL__N_125multi_tensor_apply_kernelINS1_18TensorListMetadataILi1EEENS1_14UnaryOpFunctorIhLi1ELi1ELi0EEEJNS0_3AbsIhEEEEEvT_T0_DpT1_
                                        ; -- End function
	.section	.AMDGPU.csdata,"",@progbits
; Kernel info:
; codeLenInByte = 860
; NumSgprs: 20
; NumVgprs: 26
; NumAgprs: 0
; TotalNumVgprs: 26
; ScratchSize: 0
; MemoryBound: 0
; FloatMode: 240
; IeeeMode: 1
; LDSByteSize: 0 bytes/workgroup (compile time only)
; SGPRBlocks: 2
; VGPRBlocks: 3
; NumSGPRsForWavesPerEU: 20
; NumVGPRsForWavesPerEU: 26
; AccumOffset: 28
; Occupancy: 8
; WaveLimiterHint : 0
; COMPUTE_PGM_RSRC2:SCRATCH_EN: 0
; COMPUTE_PGM_RSRC2:USER_SGPR: 6
; COMPUTE_PGM_RSRC2:TRAP_HANDLER: 0
; COMPUTE_PGM_RSRC2:TGID_X_EN: 1
; COMPUTE_PGM_RSRC2:TGID_Y_EN: 0
; COMPUTE_PGM_RSRC2:TGID_Z_EN: 0
; COMPUTE_PGM_RSRC2:TIDIG_COMP_CNT: 0
; COMPUTE_PGM_RSRC3_GFX90A:ACCUM_OFFSET: 6
; COMPUTE_PGM_RSRC3_GFX90A:TG_SPLIT: 0
	.section	.text._ZN2at6native12_GLOBAL__N_125multi_tensor_apply_kernelINS1_18TensorListMetadataILi1EEENS1_14UnaryOpFunctorIaLi1ELi1ELi0EEEJNS0_3AbsIaEEEEEvT_T0_DpT1_,"axG",@progbits,_ZN2at6native12_GLOBAL__N_125multi_tensor_apply_kernelINS1_18TensorListMetadataILi1EEENS1_14UnaryOpFunctorIaLi1ELi1ELi0EEEJNS0_3AbsIaEEEEEvT_T0_DpT1_,comdat
	.globl	_ZN2at6native12_GLOBAL__N_125multi_tensor_apply_kernelINS1_18TensorListMetadataILi1EEENS1_14UnaryOpFunctorIaLi1ELi1ELi0EEEJNS0_3AbsIaEEEEEvT_T0_DpT1_ ; -- Begin function _ZN2at6native12_GLOBAL__N_125multi_tensor_apply_kernelINS1_18TensorListMetadataILi1EEENS1_14UnaryOpFunctorIaLi1ELi1ELi0EEEJNS0_3AbsIaEEEEEvT_T0_DpT1_
	.p2align	8
	.type	_ZN2at6native12_GLOBAL__N_125multi_tensor_apply_kernelINS1_18TensorListMetadataILi1EEENS1_14UnaryOpFunctorIaLi1ELi1ELi0EEEJNS0_3AbsIaEEEEEvT_T0_DpT1_,@function
_ZN2at6native12_GLOBAL__N_125multi_tensor_apply_kernelINS1_18TensorListMetadataILi1EEENS1_14UnaryOpFunctorIaLi1ELi1ELi0EEEJNS0_3AbsIaEEEEEvT_T0_DpT1_: ; @_ZN2at6native12_GLOBAL__N_125multi_tensor_apply_kernelINS1_18TensorListMetadataILi1EEENS1_14UnaryOpFunctorIaLi1ELi1ELi0EEEJNS0_3AbsIaEEEEEvT_T0_DpT1_
; %bb.0:
	v_mov_b32_e32 v1, s6
	global_load_ubyte v1, v1, s[4:5] offset:1760
	s_add_u32 s0, s4, s6
	s_mul_hi_u32 s1, s6, 3
	s_mul_i32 s6, s6, 3
	s_addc_u32 s2, s5, 0
	s_add_u32 s0, s0, s6
	s_addc_u32 s1, s2, s1
	s_load_dword s2, s[0:1], 0x820
	s_waitcnt vmcnt(0)
	v_readfirstlane_b32 s0, v1
	s_lshl_b32 s3, s0, 3
	s_load_dwordx2 s[0:1], s[4:5], s3 offset:0x0
	s_load_dwordx2 s[6:7], s[4:5], s3 offset:0x370
	s_waitcnt lgkmcnt(0)
	s_ashr_i32 s3, s2, 31
	s_lshl_b64 s[2:3], s[2:3], 16
	s_add_u32 s18, s0, s2
	s_addc_u32 s19, s1, s3
	s_sub_u32 s10, s6, s2
	s_subb_u32 s11, s7, s3
	s_or_b32 s6, s6, s18
	s_and_b32 s6, s6, 3
	s_cmp_eq_u32 s6, 0
	s_cbranch_scc1 .LBB341_21
; %bb.1:
	v_cmp_lt_i64_e64 s[6:7], s[10:11], 1
	s_and_b64 vcc, exec, s[6:7]
	s_cbranch_vccnz .LBB341_20
; %bb.2:
	s_load_dword s6, s[4:5], 0xd3c
	v_mov_b32_e32 v2, 0x10000
	v_mov_b32_e32 v3, 0
	v_cmp_lt_u64_e32 vcc, s[10:11], v[2:3]
	v_mov_b32_e32 v4, s3
	s_waitcnt lgkmcnt(0)
	s_and_b32 s8, s6, 0xffff
	s_and_b64 s[6:7], vcc, exec
	s_cselect_b32 s13, s11, 0
	s_cselect_b32 s12, s10, 0x10000
	s_lshl_b32 s9, s8, 1
	s_mul_i32 s6, s8, 3
	s_lshl_b32 s20, s8, 2
	s_add_u32 s7, s2, s6
	v_add_co_u32_e32 v5, vcc, s2, v0
	s_addc_u32 s14, s3, 0
	v_addc_co_u32_e32 v4, vcc, 0, v4, vcc
	s_add_u32 s7, s0, s7
	v_mov_b32_e32 v7, s1
	v_add_co_u32_e32 v6, vcc, s0, v5
	s_addc_u32 s14, s1, s14
	v_addc_co_u32_e32 v7, vcc, v7, v4, vcc
	s_add_u32 s2, s2, s9
	v_mov_b32_e32 v9, s14
	v_add_co_u32_e32 v8, vcc, s7, v0
	s_addc_u32 s3, s3, 0
	v_addc_co_u32_e32 v9, vcc, 0, v9, vcc
	s_add_u32 s2, s0, s2
	v_add_co_u32_e32 v10, vcc, s6, v0
	s_addc_u32 s3, s1, s3
	v_addc_co_u32_e64 v11, s[6:7], 0, 0, vcc
	v_mov_b32_e32 v13, s3
	v_add_co_u32_e32 v12, vcc, s2, v0
	v_addc_co_u32_e32 v13, vcc, 0, v13, vcc
	s_add_u32 s0, s0, s8
	v_add_co_u32_e32 v14, vcc, s9, v0
	s_addc_u32 s1, s1, 0
	v_addc_co_u32_e64 v15, s[2:3], 0, 0, vcc
	v_mov_b32_e32 v17, s1
	v_add_co_u32_e32 v16, vcc, s0, v5
	v_addc_co_u32_e32 v17, vcc, v17, v4, vcc
	v_add_co_u32_e32 v18, vcc, s8, v0
	v_mov_b32_e32 v1, 0
	v_addc_co_u32_e64 v19, s[0:1], 0, 0, vcc
	s_mov_b64 s[14:15], 0
	v_pk_mov_b32 v[4:5], s[10:11], s[10:11] op_sel:[0,1]
	s_branch .LBB341_4
.LBB341_3:                              ;   in Loop: Header=BB341_4 Depth=1
	s_or_b64 exec, exec, s[0:1]
	s_add_u32 s14, s14, s20
	s_addc_u32 s15, s15, 0
	v_cmp_lt_i64_e32 vcc, s[14:15], v[4:5]
	v_cmp_lt_u64_e64 s[0:1], s[14:15], v[2:3]
	s_and_b64 s[0:1], vcc, s[0:1]
	s_and_b64 vcc, exec, s[0:1]
	s_cbranch_vccz .LBB341_20
.LBB341_4:                              ; =>This Inner Loop Header: Depth=1
	s_waitcnt vmcnt(0)
	v_mov_b32_e32 v21, s15
	v_add_co_u32_e32 v20, vcc, s14, v0
	v_addc_co_u32_e32 v21, vcc, 0, v21, vcc
	v_cmp_gt_u64_e32 vcc, s[12:13], v[20:21]
	v_mov_b32_e32 v20, 0
	s_and_saveexec_b64 s[2:3], vcc
	s_cbranch_execz .LBB341_6
; %bb.5:                                ;   in Loop: Header=BB341_4 Depth=1
	v_mov_b32_e32 v21, s15
	v_add_co_u32_e64 v20, s[0:1], s14, v6
	v_addc_co_u32_e64 v21, s[0:1], v7, v21, s[0:1]
	global_load_ubyte v20, v[20:21], off
.LBB341_6:                              ;   in Loop: Header=BB341_4 Depth=1
	s_or_b64 exec, exec, s[2:3]
	v_mov_b32_e32 v21, s15
	v_add_co_u32_e64 v22, s[0:1], s14, v18
	v_addc_co_u32_e64 v23, s[0:1], v19, v21, s[0:1]
	v_cmp_gt_u64_e64 s[0:1], s[12:13], v[22:23]
	v_mov_b32_e32 v22, 0
	s_and_saveexec_b64 s[6:7], s[0:1]
	s_cbranch_execz .LBB341_8
; %bb.7:                                ;   in Loop: Header=BB341_4 Depth=1
	v_mov_b32_e32 v21, s15
	v_add_co_u32_e64 v22, s[2:3], s14, v16
	v_addc_co_u32_e64 v23, s[2:3], v17, v21, s[2:3]
	global_load_ubyte v22, v[22:23], off
.LBB341_8:                              ;   in Loop: Header=BB341_4 Depth=1
	s_or_b64 exec, exec, s[6:7]
	v_mov_b32_e32 v21, s15
	v_add_co_u32_e64 v24, s[2:3], s14, v14
	v_addc_co_u32_e64 v25, s[2:3], v15, v21, s[2:3]
	v_cmp_gt_u64_e64 s[2:3], s[12:13], v[24:25]
	v_mov_b32_e32 v21, 0
	v_mov_b32_e32 v23, 0
	s_and_saveexec_b64 s[8:9], s[2:3]
	s_cbranch_execz .LBB341_10
; %bb.9:                                ;   in Loop: Header=BB341_4 Depth=1
	v_mov_b32_e32 v23, s15
	v_add_co_u32_e64 v24, s[6:7], s14, v12
	v_addc_co_u32_e64 v25, s[6:7], v13, v23, s[6:7]
	global_load_ubyte v23, v[24:25], off
.LBB341_10:                             ;   in Loop: Header=BB341_4 Depth=1
	s_or_b64 exec, exec, s[8:9]
	v_mov_b32_e32 v25, s15
	v_add_co_u32_e64 v24, s[6:7], s14, v10
	v_addc_co_u32_e64 v25, s[6:7], v11, v25, s[6:7]
	v_cmp_gt_u64_e64 s[6:7], s[12:13], v[24:25]
	s_and_saveexec_b64 s[16:17], s[6:7]
	s_cbranch_execnz .LBB341_15
; %bb.11:                               ;   in Loop: Header=BB341_4 Depth=1
	s_or_b64 exec, exec, s[16:17]
	s_and_saveexec_b64 s[8:9], vcc
	s_cbranch_execnz .LBB341_16
.LBB341_12:                             ;   in Loop: Header=BB341_4 Depth=1
	s_or_b64 exec, exec, s[8:9]
	s_and_saveexec_b64 s[8:9], s[0:1]
	s_cbranch_execnz .LBB341_17
.LBB341_13:                             ;   in Loop: Header=BB341_4 Depth=1
	s_or_b64 exec, exec, s[8:9]
	s_and_saveexec_b64 s[0:1], s[2:3]
	s_cbranch_execnz .LBB341_18
.LBB341_14:                             ;   in Loop: Header=BB341_4 Depth=1
	s_or_b64 exec, exec, s[0:1]
	s_and_saveexec_b64 s[0:1], s[6:7]
	s_cbranch_execz .LBB341_3
	s_branch .LBB341_19
.LBB341_15:                             ;   in Loop: Header=BB341_4 Depth=1
	v_mov_b32_e32 v21, s15
	v_add_co_u32_e64 v24, s[8:9], s14, v8
	v_addc_co_u32_e64 v25, s[8:9], v9, v21, s[8:9]
	global_load_ubyte v21, v[24:25], off
	s_or_b64 exec, exec, s[16:17]
	s_and_saveexec_b64 s[8:9], vcc
	s_cbranch_execz .LBB341_12
.LBB341_16:                             ;   in Loop: Header=BB341_4 Depth=1
	v_mov_b32_e32 v25, s15
	v_add_co_u32_e32 v24, vcc, s14, v6
	s_waitcnt vmcnt(0)
	v_sub_u16_sdwa v26, v1, sext(v20) dst_sel:DWORD dst_unused:UNUSED_PAD src0_sel:DWORD src1_sel:BYTE_0
	v_addc_co_u32_e32 v25, vcc, v7, v25, vcc
	v_max_i16_sdwa v20, sext(v20), v26 dst_sel:DWORD dst_unused:UNUSED_PAD src0_sel:BYTE_0 src1_sel:DWORD
	global_store_byte v[24:25], v20, off
	s_or_b64 exec, exec, s[8:9]
	s_and_saveexec_b64 s[8:9], s[0:1]
	s_cbranch_execz .LBB341_13
.LBB341_17:                             ;   in Loop: Header=BB341_4 Depth=1
	s_waitcnt vmcnt(0)
	v_sub_u16_sdwa v20, v1, sext(v22) dst_sel:DWORD dst_unused:UNUSED_PAD src0_sel:DWORD src1_sel:BYTE_0
	v_max_i16_sdwa v20, sext(v22), v20 dst_sel:DWORD dst_unused:UNUSED_PAD src0_sel:BYTE_0 src1_sel:DWORD
	v_mov_b32_e32 v22, s15
	v_add_co_u32_e32 v24, vcc, s14, v16
	v_addc_co_u32_e32 v25, vcc, v17, v22, vcc
	global_store_byte v[24:25], v20, off
	s_or_b64 exec, exec, s[8:9]
	s_and_saveexec_b64 s[0:1], s[2:3]
	s_cbranch_execz .LBB341_14
.LBB341_18:                             ;   in Loop: Header=BB341_4 Depth=1
	s_waitcnt vmcnt(0)
	v_sub_u16_sdwa v20, v1, sext(v23) dst_sel:DWORD dst_unused:UNUSED_PAD src0_sel:DWORD src1_sel:BYTE_0
	v_max_i16_sdwa v20, sext(v23), v20 dst_sel:DWORD dst_unused:UNUSED_PAD src0_sel:BYTE_0 src1_sel:DWORD
	v_mov_b32_e32 v23, s15
	v_add_co_u32_e32 v22, vcc, s14, v12
	v_addc_co_u32_e32 v23, vcc, v13, v23, vcc
	global_store_byte v[22:23], v20, off
	s_or_b64 exec, exec, s[0:1]
	s_and_saveexec_b64 s[0:1], s[6:7]
	s_cbranch_execz .LBB341_3
.LBB341_19:                             ;   in Loop: Header=BB341_4 Depth=1
	s_waitcnt vmcnt(0)
	v_sub_u16_sdwa v20, v1, sext(v21) dst_sel:DWORD dst_unused:UNUSED_PAD src0_sel:DWORD src1_sel:BYTE_0
	v_max_i16_sdwa v22, sext(v21), v20 dst_sel:DWORD dst_unused:UNUSED_PAD src0_sel:BYTE_0 src1_sel:DWORD
	v_mov_b32_e32 v21, s15
	v_add_co_u32_e32 v20, vcc, s14, v8
	v_addc_co_u32_e32 v21, vcc, v9, v21, vcc
	global_store_byte v[20:21], v22, off
	s_branch .LBB341_3
.LBB341_20:
	s_cbranch_execz .LBB341_22
	s_branch .LBB341_25
.LBB341_21:
.LBB341_22:
	v_lshlrev_b32_e32 v0, 2, v0
	v_mov_b32_e32 v1, 0
	v_cmp_gt_i64_e32 vcc, s[10:11], v[0:1]
	s_and_saveexec_b64 s[0:1], vcc
	s_cbranch_execz .LBB341_25
; %bb.23:
	s_load_dword s0, s[4:5], 0xd3c
	s_mov_b32 s1, 0
	s_mov_b64 s[2:3], 0
	v_mov_b32_e32 v4, s19
	v_mov_b32_e32 v5, s1
	s_waitcnt lgkmcnt(0)
	s_and_b32 s0, s0, 0xffff
	s_lshl_b32 s6, s0, 2
	s_mov_b64 s[4:5], 0xffff
	v_pk_mov_b32 v[2:3], v[0:1], v[0:1] op_sel:[0,1]
.LBB341_24:                             ; =>This Inner Loop Header: Depth=1
	v_add_co_u32_e32 v6, vcc, s18, v2
	v_addc_co_u32_e32 v7, vcc, v4, v3, vcc
	global_load_dword v0, v[6:7], off
	v_add_co_u32_e32 v2, vcc, s6, v2
	v_addc_co_u32_e32 v3, vcc, v5, v3, vcc
	v_cmp_le_i64_e32 vcc, s[10:11], v[2:3]
	v_cmp_lt_u64_e64 s[0:1], s[4:5], v[2:3]
	s_or_b64 s[0:1], vcc, s[0:1]
	s_and_b64 s[0:1], exec, s[0:1]
	s_or_b64 s[2:3], s[0:1], s[2:3]
	s_waitcnt vmcnt(0)
	v_lshrrev_b32_e32 v8, 16, v0
	v_lshrrev_b32_e32 v9, 24, v0
	v_sub_u16_sdwa v11, v1, sext(v0) dst_sel:DWORD dst_unused:UNUSED_PAD src0_sel:DWORD src1_sel:BYTE_1
	v_sub_u16_sdwa v12, v1, sext(v8) dst_sel:DWORD dst_unused:UNUSED_PAD src0_sel:DWORD src1_sel:BYTE_0
	v_sub_u16_sdwa v13, v1, sext(v9) dst_sel:DWORD dst_unused:UNUSED_PAD src0_sel:DWORD src1_sel:BYTE_0
	;; [unrolled: 1-line block ×3, first 2 shown]
	v_max_i16_sdwa v11, sext(v0), v11 dst_sel:DWORD dst_unused:UNUSED_PAD src0_sel:BYTE_1 src1_sel:DWORD
	v_max_i16_sdwa v8, sext(v8), v12 dst_sel:WORD_1 dst_unused:UNUSED_PAD src0_sel:BYTE_0 src1_sel:DWORD
	v_max_i16_sdwa v9, sext(v9), v13 dst_sel:DWORD dst_unused:UNUSED_PAD src0_sel:BYTE_0 src1_sel:DWORD
	v_max_i16_sdwa v0, sext(v0), v10 dst_sel:DWORD dst_unused:UNUSED_PAD src0_sel:BYTE_0 src1_sel:DWORD
	v_lshlrev_b32_e32 v10, 8, v11
	v_lshl_or_b32 v8, v9, 24, v8
	v_or3_b32 v0, v8, v10, v0
	global_store_dword v[6:7], v0, off
	s_andn2_b64 exec, exec, s[2:3]
	s_cbranch_execnz .LBB341_24
.LBB341_25:
	s_endpgm
	.section	.rodata,"a",@progbits
	.p2align	6, 0x0
	.amdhsa_kernel _ZN2at6native12_GLOBAL__N_125multi_tensor_apply_kernelINS1_18TensorListMetadataILi1EEENS1_14UnaryOpFunctorIaLi1ELi1ELi0EEEJNS0_3AbsIaEEEEEvT_T0_DpT1_
		.amdhsa_group_segment_fixed_size 0
		.amdhsa_private_segment_fixed_size 0
		.amdhsa_kernarg_size 3632
		.amdhsa_user_sgpr_count 6
		.amdhsa_user_sgpr_private_segment_buffer 1
		.amdhsa_user_sgpr_dispatch_ptr 0
		.amdhsa_user_sgpr_queue_ptr 0
		.amdhsa_user_sgpr_kernarg_segment_ptr 1
		.amdhsa_user_sgpr_dispatch_id 0
		.amdhsa_user_sgpr_flat_scratch_init 0
		.amdhsa_user_sgpr_kernarg_preload_length 0
		.amdhsa_user_sgpr_kernarg_preload_offset 0
		.amdhsa_user_sgpr_private_segment_size 0
		.amdhsa_uses_dynamic_stack 0
		.amdhsa_system_sgpr_private_segment_wavefront_offset 0
		.amdhsa_system_sgpr_workgroup_id_x 1
		.amdhsa_system_sgpr_workgroup_id_y 0
		.amdhsa_system_sgpr_workgroup_id_z 0
		.amdhsa_system_sgpr_workgroup_info 0
		.amdhsa_system_vgpr_workitem_id 0
		.amdhsa_next_free_vgpr 27
		.amdhsa_next_free_sgpr 21
		.amdhsa_accum_offset 28
		.amdhsa_reserve_vcc 1
		.amdhsa_reserve_flat_scratch 0
		.amdhsa_float_round_mode_32 0
		.amdhsa_float_round_mode_16_64 0
		.amdhsa_float_denorm_mode_32 3
		.amdhsa_float_denorm_mode_16_64 3
		.amdhsa_dx10_clamp 1
		.amdhsa_ieee_mode 1
		.amdhsa_fp16_overflow 0
		.amdhsa_tg_split 0
		.amdhsa_exception_fp_ieee_invalid_op 0
		.amdhsa_exception_fp_denorm_src 0
		.amdhsa_exception_fp_ieee_div_zero 0
		.amdhsa_exception_fp_ieee_overflow 0
		.amdhsa_exception_fp_ieee_underflow 0
		.amdhsa_exception_fp_ieee_inexact 0
		.amdhsa_exception_int_div_zero 0
	.end_amdhsa_kernel
	.section	.text._ZN2at6native12_GLOBAL__N_125multi_tensor_apply_kernelINS1_18TensorListMetadataILi1EEENS1_14UnaryOpFunctorIaLi1ELi1ELi0EEEJNS0_3AbsIaEEEEEvT_T0_DpT1_,"axG",@progbits,_ZN2at6native12_GLOBAL__N_125multi_tensor_apply_kernelINS1_18TensorListMetadataILi1EEENS1_14UnaryOpFunctorIaLi1ELi1ELi0EEEJNS0_3AbsIaEEEEEvT_T0_DpT1_,comdat
.Lfunc_end341:
	.size	_ZN2at6native12_GLOBAL__N_125multi_tensor_apply_kernelINS1_18TensorListMetadataILi1EEENS1_14UnaryOpFunctorIaLi1ELi1ELi0EEEJNS0_3AbsIaEEEEEvT_T0_DpT1_, .Lfunc_end341-_ZN2at6native12_GLOBAL__N_125multi_tensor_apply_kernelINS1_18TensorListMetadataILi1EEENS1_14UnaryOpFunctorIaLi1ELi1ELi0EEEJNS0_3AbsIaEEEEEvT_T0_DpT1_
                                        ; -- End function
	.section	.AMDGPU.csdata,"",@progbits
; Kernel info:
; codeLenInByte = 1176
; NumSgprs: 25
; NumVgprs: 27
; NumAgprs: 0
; TotalNumVgprs: 27
; ScratchSize: 0
; MemoryBound: 0
; FloatMode: 240
; IeeeMode: 1
; LDSByteSize: 0 bytes/workgroup (compile time only)
; SGPRBlocks: 3
; VGPRBlocks: 3
; NumSGPRsForWavesPerEU: 25
; NumVGPRsForWavesPerEU: 27
; AccumOffset: 28
; Occupancy: 8
; WaveLimiterHint : 0
; COMPUTE_PGM_RSRC2:SCRATCH_EN: 0
; COMPUTE_PGM_RSRC2:USER_SGPR: 6
; COMPUTE_PGM_RSRC2:TRAP_HANDLER: 0
; COMPUTE_PGM_RSRC2:TGID_X_EN: 1
; COMPUTE_PGM_RSRC2:TGID_Y_EN: 0
; COMPUTE_PGM_RSRC2:TGID_Z_EN: 0
; COMPUTE_PGM_RSRC2:TIDIG_COMP_CNT: 0
; COMPUTE_PGM_RSRC3_GFX90A:ACCUM_OFFSET: 6
; COMPUTE_PGM_RSRC3_GFX90A:TG_SPLIT: 0
	.section	.text._ZN2at6native12_GLOBAL__N_125multi_tensor_apply_kernelINS1_18TensorListMetadataILi1EEENS1_14UnaryOpFunctorIiLi1ELi1ELi0EEEJNS0_3AbsIiEEEEEvT_T0_DpT1_,"axG",@progbits,_ZN2at6native12_GLOBAL__N_125multi_tensor_apply_kernelINS1_18TensorListMetadataILi1EEENS1_14UnaryOpFunctorIiLi1ELi1ELi0EEEJNS0_3AbsIiEEEEEvT_T0_DpT1_,comdat
	.globl	_ZN2at6native12_GLOBAL__N_125multi_tensor_apply_kernelINS1_18TensorListMetadataILi1EEENS1_14UnaryOpFunctorIiLi1ELi1ELi0EEEJNS0_3AbsIiEEEEEvT_T0_DpT1_ ; -- Begin function _ZN2at6native12_GLOBAL__N_125multi_tensor_apply_kernelINS1_18TensorListMetadataILi1EEENS1_14UnaryOpFunctorIiLi1ELi1ELi0EEEJNS0_3AbsIiEEEEEvT_T0_DpT1_
	.p2align	8
	.type	_ZN2at6native12_GLOBAL__N_125multi_tensor_apply_kernelINS1_18TensorListMetadataILi1EEENS1_14UnaryOpFunctorIiLi1ELi1ELi0EEEJNS0_3AbsIiEEEEEvT_T0_DpT1_,@function
_ZN2at6native12_GLOBAL__N_125multi_tensor_apply_kernelINS1_18TensorListMetadataILi1EEENS1_14UnaryOpFunctorIiLi1ELi1ELi0EEEJNS0_3AbsIiEEEEEvT_T0_DpT1_: ; @_ZN2at6native12_GLOBAL__N_125multi_tensor_apply_kernelINS1_18TensorListMetadataILi1EEENS1_14UnaryOpFunctorIiLi1ELi1ELi0EEEJNS0_3AbsIiEEEEEvT_T0_DpT1_
; %bb.0:
	v_mov_b32_e32 v1, s6
	global_load_ubyte v1, v1, s[4:5] offset:1760
	s_add_u32 s0, s4, s6
	s_mul_hi_u32 s1, s6, 3
	s_mul_i32 s6, s6, 3
	s_addc_u32 s2, s5, 0
	s_add_u32 s0, s0, s6
	s_addc_u32 s1, s2, s1
	s_load_dword s0, s[0:1], 0x820
	s_mov_b32 s7, 0
	s_waitcnt vmcnt(0)
	v_readfirstlane_b32 s2, v1
	s_lshl_b32 s1, s2, 3
	s_load_dwordx2 s[2:3], s[4:5], s1 offset:0x370
	s_load_dwordx2 s[12:13], s[4:5], s1 offset:0x0
	s_waitcnt lgkmcnt(0)
	s_ashr_i32 s1, s0, 31
	s_lshl_b64 s[14:15], s[0:1], 18
	s_lshl_b64 s[0:1], s[0:1], 16
	s_and_b32 s6, s12, 15
	s_sub_u32 s10, s2, s0
	s_subb_u32 s11, s3, s1
	s_and_b32 s0, s2, 3
	s_mov_b32 s1, s7
	s_or_b64 s[0:1], s[6:7], s[0:1]
	s_cmp_eq_u64 s[0:1], 0
	s_cbranch_scc1 .LBB342_21
; %bb.1:
	v_cmp_lt_i64_e64 s[0:1], s[10:11], 1
	s_and_b64 vcc, exec, s[0:1]
	s_cbranch_vccnz .LBB342_20
; %bb.2:
	s_load_dword s0, s[4:5], 0xd3c
	v_mov_b32_e32 v2, 0x10000
	v_mov_b32_e32 v3, 0
	v_cmp_lt_u64_e32 vcc, s[10:11], v[2:3]
	v_lshlrev_b32_e32 v1, 2, v0
	s_waitcnt lgkmcnt(0)
	s_and_b32 s3, s0, 0xffff
	s_and_b64 s[0:1], vcc, exec
	s_cselect_b32 s17, s11, 0
	s_cselect_b32 s16, s10, 0x10000
	s_lshl_b32 s6, s3, 1
	s_lshl_b32 s22, s3, 2
	s_add_u32 s7, s12, s14
	s_addc_u32 s8, s13, s15
	v_mov_b32_e32 v5, s8
	v_add_co_u32_e32 v4, vcc, s7, v1
	s_mul_i32 s0, s3, 3
	v_addc_co_u32_e32 v5, vcc, 0, v5, vcc
	v_add_co_u32_e32 v1, vcc, s0, v0
	v_addc_co_u32_e64 v10, s[0:1], 0, 0, vcc
	v_add_co_u32_e32 v11, vcc, s6, v0
	v_addc_co_u32_e64 v12, s[0:1], 0, 0, vcc
	v_add_co_u32_e32 v13, vcc, s3, v0
	v_lshlrev_b32_e32 v6, 2, v13
	s_mov_b32 s2, 0
	v_addc_co_u32_e64 v14, s[0:1], 0, 0, vcc
	v_mov_b32_e32 v7, s8
	v_add_co_u32_e32 v6, vcc, s7, v6
	s_lshl_b32 s23, s3, 4
	s_mul_i32 s24, s3, 12
	s_mov_b32 s25, s2
	s_lshl_b32 s26, s3, 3
	s_mov_b32 s27, s2
	v_addc_co_u32_e32 v7, vcc, 0, v7, vcc
	s_mov_b64 s[18:19], 0
	v_pk_mov_b32 v[8:9], s[10:11], s[10:11] op_sel:[0,1]
	v_mov_b32_e32 v15, s2
	s_branch .LBB342_4
.LBB342_3:                              ;   in Loop: Header=BB342_4 Depth=1
	s_or_b64 exec, exec, s[0:1]
	s_add_u32 s18, s18, s22
	s_addc_u32 s19, s19, 0
	v_cmp_lt_i64_e32 vcc, s[18:19], v[8:9]
	v_cmp_lt_u64_e64 s[0:1], s[18:19], v[2:3]
	s_and_b64 s[0:1], vcc, s[0:1]
	v_add_co_u32_e32 v4, vcc, s23, v4
	v_addc_co_u32_e32 v5, vcc, v5, v15, vcc
	v_add_co_u32_e32 v6, vcc, s23, v6
	v_addc_co_u32_e32 v7, vcc, v7, v15, vcc
	s_and_b64 vcc, exec, s[0:1]
	s_cbranch_vccz .LBB342_20
.LBB342_4:                              ; =>This Inner Loop Header: Depth=1
	s_waitcnt vmcnt(0)
	v_mov_b32_e32 v17, s19
	v_add_co_u32_e32 v16, vcc, s18, v0
	v_addc_co_u32_e32 v17, vcc, 0, v17, vcc
	v_cmp_gt_u64_e32 vcc, s[16:17], v[16:17]
	v_mov_b32_e32 v16, 0
	s_and_saveexec_b64 s[0:1], vcc
	s_cbranch_execz .LBB342_6
; %bb.5:                                ;   in Loop: Header=BB342_4 Depth=1
	global_load_dword v16, v[4:5], off
.LBB342_6:                              ;   in Loop: Header=BB342_4 Depth=1
	s_or_b64 exec, exec, s[0:1]
	v_mov_b32_e32 v17, s19
	v_add_co_u32_e64 v18, s[0:1], s18, v13
	v_addc_co_u32_e64 v19, s[0:1], v14, v17, s[0:1]
	v_cmp_gt_u64_e64 s[0:1], s[16:17], v[18:19]
	v_mov_b32_e32 v18, 0
	s_and_saveexec_b64 s[2:3], s[0:1]
	s_cbranch_execz .LBB342_8
; %bb.7:                                ;   in Loop: Header=BB342_4 Depth=1
	global_load_dword v18, v[6:7], off
.LBB342_8:                              ;   in Loop: Header=BB342_4 Depth=1
	s_or_b64 exec, exec, s[2:3]
	v_mov_b32_e32 v17, s19
	v_add_co_u32_e64 v20, s[2:3], s18, v11
	v_addc_co_u32_e64 v21, s[2:3], v12, v17, s[2:3]
	v_cmp_gt_u64_e64 s[2:3], s[16:17], v[20:21]
	v_mov_b32_e32 v17, 0
	v_mov_b32_e32 v19, 0
	s_and_saveexec_b64 s[8:9], s[2:3]
	s_cbranch_execz .LBB342_10
; %bb.9:                                ;   in Loop: Header=BB342_4 Depth=1
	v_mov_b32_e32 v19, s27
	v_add_co_u32_e64 v20, s[6:7], s26, v4
	v_addc_co_u32_e64 v21, s[6:7], v5, v19, s[6:7]
	global_load_dword v19, v[20:21], off
.LBB342_10:                             ;   in Loop: Header=BB342_4 Depth=1
	s_or_b64 exec, exec, s[8:9]
	v_mov_b32_e32 v21, s19
	v_add_co_u32_e64 v20, s[6:7], s18, v1
	v_addc_co_u32_e64 v21, s[6:7], v10, v21, s[6:7]
	v_cmp_gt_u64_e64 s[6:7], s[16:17], v[20:21]
	s_and_saveexec_b64 s[20:21], s[6:7]
	s_cbranch_execnz .LBB342_15
; %bb.11:                               ;   in Loop: Header=BB342_4 Depth=1
	s_or_b64 exec, exec, s[20:21]
	s_and_saveexec_b64 s[8:9], vcc
	s_cbranch_execnz .LBB342_16
.LBB342_12:                             ;   in Loop: Header=BB342_4 Depth=1
	s_or_b64 exec, exec, s[8:9]
	s_and_saveexec_b64 s[8:9], s[0:1]
	s_cbranch_execnz .LBB342_17
.LBB342_13:                             ;   in Loop: Header=BB342_4 Depth=1
	s_or_b64 exec, exec, s[8:9]
	s_and_saveexec_b64 s[0:1], s[2:3]
	s_cbranch_execnz .LBB342_18
.LBB342_14:                             ;   in Loop: Header=BB342_4 Depth=1
	s_or_b64 exec, exec, s[0:1]
	s_and_saveexec_b64 s[0:1], s[6:7]
	s_cbranch_execz .LBB342_3
	s_branch .LBB342_19
.LBB342_15:                             ;   in Loop: Header=BB342_4 Depth=1
	v_mov_b32_e32 v17, s25
	v_add_co_u32_e64 v20, s[8:9], s24, v4
	v_addc_co_u32_e64 v21, s[8:9], v5, v17, s[8:9]
	global_load_dword v17, v[20:21], off
	s_or_b64 exec, exec, s[20:21]
	s_and_saveexec_b64 s[8:9], vcc
	s_cbranch_execz .LBB342_12
.LBB342_16:                             ;   in Loop: Header=BB342_4 Depth=1
	s_waitcnt vmcnt(0)
	v_sub_u32_e32 v20, 0, v16
	v_max_i32_e32 v16, v16, v20
	global_store_dword v[4:5], v16, off
	s_or_b64 exec, exec, s[8:9]
	s_and_saveexec_b64 s[8:9], s[0:1]
	s_cbranch_execz .LBB342_13
.LBB342_17:                             ;   in Loop: Header=BB342_4 Depth=1
	s_waitcnt vmcnt(0)
	v_sub_u32_e32 v16, 0, v18
	v_max_i32_e32 v16, v18, v16
	global_store_dword v[6:7], v16, off
	s_or_b64 exec, exec, s[8:9]
	s_and_saveexec_b64 s[0:1], s[2:3]
	s_cbranch_execz .LBB342_14
.LBB342_18:                             ;   in Loop: Header=BB342_4 Depth=1
	s_waitcnt vmcnt(0)
	v_sub_u32_e32 v16, 0, v19
	v_max_i32_e32 v16, v19, v16
	v_mov_b32_e32 v19, s27
	v_add_co_u32_e32 v18, vcc, s26, v4
	v_addc_co_u32_e32 v19, vcc, v5, v19, vcc
	global_store_dword v[18:19], v16, off
	s_or_b64 exec, exec, s[0:1]
	s_and_saveexec_b64 s[0:1], s[6:7]
	s_cbranch_execz .LBB342_3
.LBB342_19:                             ;   in Loop: Header=BB342_4 Depth=1
	s_waitcnt vmcnt(0)
	v_sub_u32_e32 v16, 0, v17
	v_max_i32_e32 v18, v17, v16
	v_mov_b32_e32 v17, s25
	v_add_co_u32_e32 v16, vcc, s24, v4
	v_addc_co_u32_e32 v17, vcc, v5, v17, vcc
	global_store_dword v[16:17], v18, off
	s_branch .LBB342_3
.LBB342_20:
	s_cbranch_execz .LBB342_22
	s_branch .LBB342_25
.LBB342_21:
.LBB342_22:
	v_mov_b32_e32 v3, 0
	v_lshlrev_b32_e32 v2, 2, v0
	s_mov_b32 s0, 0
	v_cmp_gt_i64_e32 vcc, s[10:11], v[2:3]
	s_and_saveexec_b64 s[2:3], vcc
	s_cbranch_execz .LBB342_25
; %bb.23:
	s_load_dword s1, s[4:5], 0xd3c
	v_lshlrev_b32_e32 v1, 4, v0
	s_mov_b64 s[4:5], 0xffff
	s_waitcnt lgkmcnt(0)
	s_and_b32 s1, s1, 0xffff
	s_add_u32 s2, s12, s14
	s_addc_u32 s3, s13, s15
	v_mov_b32_e32 v2, s3
	v_add_co_u32_e32 v1, vcc, s2, v1
	v_addc_co_u32_e32 v2, vcc, 0, v2, vcc
	v_add_co_u32_e32 v4, vcc, 8, v1
	v_addc_co_u32_e32 v5, vcc, 0, v2, vcc
	s_lshl_b32 s6, s1, 4
	v_add_lshl_u32 v2, v0, s1, 2
	s_lshl_b32 s7, s1, 2
	s_mov_b64 s[2:3], 0
	v_mov_b32_e32 v0, s0
	v_mov_b32_e32 v1, s0
.LBB342_24:                             ; =>This Inner Loop Header: Depth=1
	global_load_dwordx4 v[6:9], v[4:5], off offset:-8
	v_cmp_le_i64_e32 vcc, s[10:11], v[2:3]
	v_cmp_lt_u64_e64 s[0:1], s[4:5], v[2:3]
	s_or_b64 s[0:1], vcc, s[0:1]
	s_and_b64 s[0:1], exec, s[0:1]
	s_or_b64 s[2:3], s[0:1], s[2:3]
	s_waitcnt vmcnt(0)
	v_sub_u32_e32 v10, 0, v7
	v_sub_u32_e32 v11, 0, v6
	;; [unrolled: 1-line block ×4, first 2 shown]
	v_max_i32_e32 v7, v7, v10
	v_max_i32_e32 v6, v6, v11
	v_max_i32_e32 v9, v9, v12
	v_max_i32_e32 v8, v8, v13
	global_store_dwordx4 v[4:5], v[6:9], off offset:-8
	v_add_co_u32_e32 v4, vcc, s6, v4
	v_addc_co_u32_e32 v5, vcc, v5, v0, vcc
	v_add_co_u32_e32 v2, vcc, s7, v2
	v_addc_co_u32_e32 v3, vcc, v3, v1, vcc
	s_andn2_b64 exec, exec, s[2:3]
	s_cbranch_execnz .LBB342_24
.LBB342_25:
	s_endpgm
	.section	.rodata,"a",@progbits
	.p2align	6, 0x0
	.amdhsa_kernel _ZN2at6native12_GLOBAL__N_125multi_tensor_apply_kernelINS1_18TensorListMetadataILi1EEENS1_14UnaryOpFunctorIiLi1ELi1ELi0EEEJNS0_3AbsIiEEEEEvT_T0_DpT1_
		.amdhsa_group_segment_fixed_size 0
		.amdhsa_private_segment_fixed_size 0
		.amdhsa_kernarg_size 3632
		.amdhsa_user_sgpr_count 6
		.amdhsa_user_sgpr_private_segment_buffer 1
		.amdhsa_user_sgpr_dispatch_ptr 0
		.amdhsa_user_sgpr_queue_ptr 0
		.amdhsa_user_sgpr_kernarg_segment_ptr 1
		.amdhsa_user_sgpr_dispatch_id 0
		.amdhsa_user_sgpr_flat_scratch_init 0
		.amdhsa_user_sgpr_kernarg_preload_length 0
		.amdhsa_user_sgpr_kernarg_preload_offset 0
		.amdhsa_user_sgpr_private_segment_size 0
		.amdhsa_uses_dynamic_stack 0
		.amdhsa_system_sgpr_private_segment_wavefront_offset 0
		.amdhsa_system_sgpr_workgroup_id_x 1
		.amdhsa_system_sgpr_workgroup_id_y 0
		.amdhsa_system_sgpr_workgroup_id_z 0
		.amdhsa_system_sgpr_workgroup_info 0
		.amdhsa_system_vgpr_workitem_id 0
		.amdhsa_next_free_vgpr 22
		.amdhsa_next_free_sgpr 28
		.amdhsa_accum_offset 24
		.amdhsa_reserve_vcc 1
		.amdhsa_reserve_flat_scratch 0
		.amdhsa_float_round_mode_32 0
		.amdhsa_float_round_mode_16_64 0
		.amdhsa_float_denorm_mode_32 3
		.amdhsa_float_denorm_mode_16_64 3
		.amdhsa_dx10_clamp 1
		.amdhsa_ieee_mode 1
		.amdhsa_fp16_overflow 0
		.amdhsa_tg_split 0
		.amdhsa_exception_fp_ieee_invalid_op 0
		.amdhsa_exception_fp_denorm_src 0
		.amdhsa_exception_fp_ieee_div_zero 0
		.amdhsa_exception_fp_ieee_overflow 0
		.amdhsa_exception_fp_ieee_underflow 0
		.amdhsa_exception_fp_ieee_inexact 0
		.amdhsa_exception_int_div_zero 0
	.end_amdhsa_kernel
	.section	.text._ZN2at6native12_GLOBAL__N_125multi_tensor_apply_kernelINS1_18TensorListMetadataILi1EEENS1_14UnaryOpFunctorIiLi1ELi1ELi0EEEJNS0_3AbsIiEEEEEvT_T0_DpT1_,"axG",@progbits,_ZN2at6native12_GLOBAL__N_125multi_tensor_apply_kernelINS1_18TensorListMetadataILi1EEENS1_14UnaryOpFunctorIiLi1ELi1ELi0EEEJNS0_3AbsIiEEEEEvT_T0_DpT1_,comdat
.Lfunc_end342:
	.size	_ZN2at6native12_GLOBAL__N_125multi_tensor_apply_kernelINS1_18TensorListMetadataILi1EEENS1_14UnaryOpFunctorIiLi1ELi1ELi0EEEJNS0_3AbsIiEEEEEvT_T0_DpT1_, .Lfunc_end342-_ZN2at6native12_GLOBAL__N_125multi_tensor_apply_kernelINS1_18TensorListMetadataILi1EEENS1_14UnaryOpFunctorIiLi1ELi1ELi0EEEJNS0_3AbsIiEEEEEvT_T0_DpT1_
                                        ; -- End function
	.section	.AMDGPU.csdata,"",@progbits
; Kernel info:
; codeLenInByte = 1044
; NumSgprs: 32
; NumVgprs: 22
; NumAgprs: 0
; TotalNumVgprs: 22
; ScratchSize: 0
; MemoryBound: 0
; FloatMode: 240
; IeeeMode: 1
; LDSByteSize: 0 bytes/workgroup (compile time only)
; SGPRBlocks: 3
; VGPRBlocks: 2
; NumSGPRsForWavesPerEU: 32
; NumVGPRsForWavesPerEU: 22
; AccumOffset: 24
; Occupancy: 8
; WaveLimiterHint : 0
; COMPUTE_PGM_RSRC2:SCRATCH_EN: 0
; COMPUTE_PGM_RSRC2:USER_SGPR: 6
; COMPUTE_PGM_RSRC2:TRAP_HANDLER: 0
; COMPUTE_PGM_RSRC2:TGID_X_EN: 1
; COMPUTE_PGM_RSRC2:TGID_Y_EN: 0
; COMPUTE_PGM_RSRC2:TGID_Z_EN: 0
; COMPUTE_PGM_RSRC2:TIDIG_COMP_CNT: 0
; COMPUTE_PGM_RSRC3_GFX90A:ACCUM_OFFSET: 5
; COMPUTE_PGM_RSRC3_GFX90A:TG_SPLIT: 0
	.section	.text._ZN2at6native12_GLOBAL__N_125multi_tensor_apply_kernelINS1_18TensorListMetadataILi1EEENS1_14UnaryOpFunctorIlLi1ELi1ELi0EEEJNS0_3AbsIlEEEEEvT_T0_DpT1_,"axG",@progbits,_ZN2at6native12_GLOBAL__N_125multi_tensor_apply_kernelINS1_18TensorListMetadataILi1EEENS1_14UnaryOpFunctorIlLi1ELi1ELi0EEEJNS0_3AbsIlEEEEEvT_T0_DpT1_,comdat
	.globl	_ZN2at6native12_GLOBAL__N_125multi_tensor_apply_kernelINS1_18TensorListMetadataILi1EEENS1_14UnaryOpFunctorIlLi1ELi1ELi0EEEJNS0_3AbsIlEEEEEvT_T0_DpT1_ ; -- Begin function _ZN2at6native12_GLOBAL__N_125multi_tensor_apply_kernelINS1_18TensorListMetadataILi1EEENS1_14UnaryOpFunctorIlLi1ELi1ELi0EEEJNS0_3AbsIlEEEEEvT_T0_DpT1_
	.p2align	8
	.type	_ZN2at6native12_GLOBAL__N_125multi_tensor_apply_kernelINS1_18TensorListMetadataILi1EEENS1_14UnaryOpFunctorIlLi1ELi1ELi0EEEJNS0_3AbsIlEEEEEvT_T0_DpT1_,@function
_ZN2at6native12_GLOBAL__N_125multi_tensor_apply_kernelINS1_18TensorListMetadataILi1EEENS1_14UnaryOpFunctorIlLi1ELi1ELi0EEEJNS0_3AbsIlEEEEEvT_T0_DpT1_: ; @_ZN2at6native12_GLOBAL__N_125multi_tensor_apply_kernelINS1_18TensorListMetadataILi1EEENS1_14UnaryOpFunctorIlLi1ELi1ELi0EEEJNS0_3AbsIlEEEEEvT_T0_DpT1_
; %bb.0:
	v_mov_b32_e32 v1, s6
	global_load_ubyte v1, v1, s[4:5] offset:1760
	s_add_u32 s0, s4, s6
	s_mul_hi_u32 s1, s6, 3
	s_mul_i32 s6, s6, 3
	s_addc_u32 s2, s5, 0
	s_add_u32 s0, s0, s6
	s_addc_u32 s1, s2, s1
	s_load_dword s0, s[0:1], 0x820
	s_mov_b32 s7, 0
	s_waitcnt vmcnt(0)
	v_readfirstlane_b32 s2, v1
	s_lshl_b32 s1, s2, 3
	s_load_dwordx2 s[2:3], s[4:5], s1 offset:0x370
	s_load_dwordx2 s[12:13], s[4:5], s1 offset:0x0
	s_waitcnt lgkmcnt(0)
	s_ashr_i32 s1, s0, 31
	s_lshl_b64 s[14:15], s[0:1], 19
	s_lshl_b64 s[0:1], s[0:1], 16
	s_and_b32 s6, s12, 31
	s_sub_u32 s10, s2, s0
	s_subb_u32 s11, s3, s1
	s_and_b32 s0, s2, 3
	s_mov_b32 s1, s7
	s_or_b64 s[0:1], s[6:7], s[0:1]
	s_cmp_eq_u64 s[0:1], 0
	s_cbranch_scc1 .LBB343_21
; %bb.1:
	v_cmp_lt_i64_e64 s[0:1], s[10:11], 1
	s_and_b64 vcc, exec, s[0:1]
	s_cbranch_vccnz .LBB343_20
; %bb.2:
	s_load_dword s0, s[4:5], 0xd3c
	v_mov_b32_e32 v2, 0x10000
	v_mov_b32_e32 v3, 0
	v_cmp_lt_u64_e32 vcc, s[10:11], v[2:3]
	v_lshlrev_b32_e32 v1, 3, v0
	s_waitcnt lgkmcnt(0)
	s_and_b32 s3, s0, 0xffff
	s_and_b64 s[0:1], vcc, exec
	s_cselect_b32 s17, s11, 0
	s_cselect_b32 s16, s10, 0x10000
	s_lshl_b32 s6, s3, 1
	s_lshl_b32 s22, s3, 2
	s_add_u32 s7, s12, s14
	s_addc_u32 s8, s13, s15
	v_mov_b32_e32 v3, s8
	v_add_co_u32_e32 v2, vcc, s7, v1
	s_mul_i32 s0, s3, 3
	v_addc_co_u32_e32 v3, vcc, 0, v3, vcc
	v_add_co_u32_e32 v1, vcc, s0, v0
	v_addc_co_u32_e64 v16, s[0:1], 0, 0, vcc
	v_add_co_u32_e32 v17, vcc, s6, v0
	v_addc_co_u32_e64 v18, s[0:1], 0, 0, vcc
	v_add_co_u32_e32 v19, vcc, s3, v0
	v_lshlrev_b32_e32 v4, 3, v19
	s_mov_b32 s2, 0
	v_addc_co_u32_e64 v20, s[0:1], 0, 0, vcc
	v_mov_b32_e32 v5, s8
	v_add_co_u32_e32 v4, vcc, s7, v4
	s_lshl_b32 s23, s3, 5
	s_mul_i32 s24, s3, 24
	s_mov_b32 s25, s2
	s_lshl_b32 s26, s3, 4
	s_mov_b32 s27, s2
	v_addc_co_u32_e32 v5, vcc, 0, v5, vcc
	s_mov_b64 s[18:19], 0
	v_pk_mov_b32 v[6:7], s[10:11], s[10:11] op_sel:[0,1]
	v_mov_b32_e32 v21, s2
	s_branch .LBB343_4
.LBB343_3:                              ;   in Loop: Header=BB343_4 Depth=1
	s_or_b64 exec, exec, s[0:1]
	s_add_u32 s18, s18, s22
	s_waitcnt vmcnt(0)
	v_mov_b32_e32 v8, 0x10000
	s_addc_u32 s19, s19, 0
	v_mov_b32_e32 v9, 0
	v_cmp_lt_i64_e32 vcc, s[18:19], v[6:7]
	v_cmp_lt_u64_e64 s[0:1], s[18:19], v[8:9]
	s_and_b64 s[0:1], vcc, s[0:1]
	v_add_co_u32_e32 v2, vcc, s23, v2
	v_addc_co_u32_e32 v3, vcc, v3, v21, vcc
	v_add_co_u32_e32 v4, vcc, s23, v4
	v_addc_co_u32_e32 v5, vcc, v5, v21, vcc
	s_and_b64 vcc, exec, s[0:1]
	s_cbranch_vccz .LBB343_20
.LBB343_4:                              ; =>This Inner Loop Header: Depth=1
	v_mov_b32_e32 v9, s19
	v_add_co_u32_e32 v8, vcc, s18, v0
	v_addc_co_u32_e32 v9, vcc, 0, v9, vcc
	v_cmp_gt_u64_e32 vcc, s[16:17], v[8:9]
	v_pk_mov_b32 v[8:9], 0, 0
	v_pk_mov_b32 v[12:13], v[8:9], v[8:9] op_sel:[0,1]
	s_and_saveexec_b64 s[0:1], vcc
	s_cbranch_execz .LBB343_6
; %bb.5:                                ;   in Loop: Header=BB343_4 Depth=1
	global_load_dwordx2 v[12:13], v[2:3], off
.LBB343_6:                              ;   in Loop: Header=BB343_4 Depth=1
	s_or_b64 exec, exec, s[0:1]
	v_mov_b32_e32 v11, s19
	v_add_co_u32_e64 v10, s[0:1], s18, v19
	v_addc_co_u32_e64 v11, s[0:1], v20, v11, s[0:1]
	v_cmp_gt_u64_e64 s[0:1], s[16:17], v[10:11]
	s_and_saveexec_b64 s[2:3], s[0:1]
	s_cbranch_execz .LBB343_8
; %bb.7:                                ;   in Loop: Header=BB343_4 Depth=1
	global_load_dwordx2 v[8:9], v[4:5], off
.LBB343_8:                              ;   in Loop: Header=BB343_4 Depth=1
	s_or_b64 exec, exec, s[2:3]
	v_mov_b32_e32 v11, s19
	v_add_co_u32_e64 v10, s[2:3], s18, v17
	v_addc_co_u32_e64 v11, s[2:3], v18, v11, s[2:3]
	v_cmp_gt_u64_e64 s[2:3], s[16:17], v[10:11]
	v_pk_mov_b32 v[10:11], 0, 0
	v_pk_mov_b32 v[14:15], v[10:11], v[10:11] op_sel:[0,1]
	s_and_saveexec_b64 s[8:9], s[2:3]
	s_cbranch_execz .LBB343_10
; %bb.9:                                ;   in Loop: Header=BB343_4 Depth=1
	v_mov_b32_e32 v15, s27
	v_add_co_u32_e64 v14, s[6:7], s26, v2
	v_addc_co_u32_e64 v15, s[6:7], v3, v15, s[6:7]
	global_load_dwordx2 v[14:15], v[14:15], off
.LBB343_10:                             ;   in Loop: Header=BB343_4 Depth=1
	s_or_b64 exec, exec, s[8:9]
	v_mov_b32_e32 v23, s19
	v_add_co_u32_e64 v22, s[6:7], s18, v1
	v_addc_co_u32_e64 v23, s[6:7], v16, v23, s[6:7]
	v_cmp_gt_u64_e64 s[6:7], s[16:17], v[22:23]
	s_and_saveexec_b64 s[20:21], s[6:7]
	s_cbranch_execnz .LBB343_15
; %bb.11:                               ;   in Loop: Header=BB343_4 Depth=1
	s_or_b64 exec, exec, s[20:21]
	s_and_saveexec_b64 s[8:9], vcc
	s_cbranch_execnz .LBB343_16
.LBB343_12:                             ;   in Loop: Header=BB343_4 Depth=1
	s_or_b64 exec, exec, s[8:9]
	s_and_saveexec_b64 s[8:9], s[0:1]
	s_cbranch_execnz .LBB343_17
.LBB343_13:                             ;   in Loop: Header=BB343_4 Depth=1
	s_or_b64 exec, exec, s[8:9]
	s_and_saveexec_b64 s[0:1], s[2:3]
	s_cbranch_execnz .LBB343_18
.LBB343_14:                             ;   in Loop: Header=BB343_4 Depth=1
	s_or_b64 exec, exec, s[0:1]
	s_and_saveexec_b64 s[0:1], s[6:7]
	s_cbranch_execz .LBB343_3
	s_branch .LBB343_19
.LBB343_15:                             ;   in Loop: Header=BB343_4 Depth=1
	v_mov_b32_e32 v11, s25
	v_add_co_u32_e64 v10, s[8:9], s24, v2
	v_addc_co_u32_e64 v11, s[8:9], v3, v11, s[8:9]
	global_load_dwordx2 v[10:11], v[10:11], off
	s_or_b64 exec, exec, s[20:21]
	s_and_saveexec_b64 s[8:9], vcc
	s_cbranch_execz .LBB343_12
.LBB343_16:                             ;   in Loop: Header=BB343_4 Depth=1
	s_waitcnt vmcnt(0)
	v_ashrrev_i32_e32 v22, 31, v13
	v_xor_b32_e32 v12, v12, v22
	v_xor_b32_e32 v13, v13, v22
	v_sub_co_u32_e32 v12, vcc, v12, v22
	v_subb_co_u32_e32 v13, vcc, v13, v22, vcc
	global_store_dwordx2 v[2:3], v[12:13], off
	s_or_b64 exec, exec, s[8:9]
	s_and_saveexec_b64 s[8:9], s[0:1]
	s_cbranch_execz .LBB343_13
.LBB343_17:                             ;   in Loop: Header=BB343_4 Depth=1
	s_waitcnt vmcnt(0)
	v_ashrrev_i32_e32 v12, 31, v9
	v_xor_b32_e32 v8, v8, v12
	v_xor_b32_e32 v9, v9, v12
	v_sub_co_u32_e32 v8, vcc, v8, v12
	v_subb_co_u32_e32 v9, vcc, v9, v12, vcc
	global_store_dwordx2 v[4:5], v[8:9], off
	s_or_b64 exec, exec, s[8:9]
	s_and_saveexec_b64 s[0:1], s[2:3]
	s_cbranch_execz .LBB343_14
.LBB343_18:                             ;   in Loop: Header=BB343_4 Depth=1
	s_waitcnt vmcnt(0)
	v_ashrrev_i32_e32 v9, 31, v15
	v_xor_b32_e32 v8, v14, v9
	v_xor_b32_e32 v12, v15, v9
	v_sub_co_u32_e32 v8, vcc, v8, v9
	v_subb_co_u32_e32 v9, vcc, v12, v9, vcc
	v_mov_b32_e32 v13, s27
	v_add_co_u32_e32 v12, vcc, s26, v2
	v_addc_co_u32_e32 v13, vcc, v3, v13, vcc
	global_store_dwordx2 v[12:13], v[8:9], off
	s_or_b64 exec, exec, s[0:1]
	s_and_saveexec_b64 s[0:1], s[6:7]
	s_cbranch_execz .LBB343_3
.LBB343_19:                             ;   in Loop: Header=BB343_4 Depth=1
	s_waitcnt vmcnt(0)
	v_ashrrev_i32_e32 v9, 31, v11
	v_xor_b32_e32 v8, v10, v9
	v_xor_b32_e32 v11, v11, v9
	v_sub_co_u32_e32 v8, vcc, v8, v9
	v_subb_co_u32_e32 v9, vcc, v11, v9, vcc
	v_mov_b32_e32 v11, s25
	v_add_co_u32_e32 v10, vcc, s24, v2
	v_addc_co_u32_e32 v11, vcc, v3, v11, vcc
	global_store_dwordx2 v[10:11], v[8:9], off
	s_branch .LBB343_3
.LBB343_20:
	s_cbranch_execz .LBB343_22
	s_branch .LBB343_25
.LBB343_21:
.LBB343_22:
	v_mov_b32_e32 v3, 0
	v_lshlrev_b32_e32 v2, 2, v0
	s_mov_b32 s0, 0
	v_cmp_gt_i64_e32 vcc, s[10:11], v[2:3]
	s_and_saveexec_b64 s[2:3], vcc
	s_cbranch_execz .LBB343_25
; %bb.23:
	s_load_dword s1, s[4:5], 0xd3c
	v_lshlrev_b32_e32 v1, 5, v0
	s_mov_b64 s[4:5], 0
	s_mov_b64 s[6:7], 0xffff
	v_mov_b32_e32 v5, s0
	s_waitcnt lgkmcnt(0)
	s_and_b32 s1, s1, 0xffff
	s_lshl_b32 s8, s1, 2
	s_add_u32 s2, s12, s14
	s_addc_u32 s3, s13, s15
	v_add_lshl_u32 v2, v0, s1, 2
	v_mov_b32_e32 v0, s3
	v_add_co_u32_e32 v1, vcc, s2, v1
	v_addc_co_u32_e32 v4, vcc, 0, v0, vcc
	v_add_co_u32_e32 v0, vcc, 16, v1
	v_addc_co_u32_e32 v1, vcc, 0, v4, vcc
	s_lshl_b32 s9, s1, 5
	v_mov_b32_e32 v4, s0
.LBB343_24:                             ; =>This Inner Loop Header: Depth=1
	global_load_dwordx4 v[6:9], v[0:1], off offset:-16
	global_load_dwordx4 v[10:13], v[0:1], off
	v_cmp_le_i64_e32 vcc, s[10:11], v[2:3]
	v_cmp_lt_u64_e64 s[0:1], s[6:7], v[2:3]
	s_or_b64 s[0:1], vcc, s[0:1]
	v_add_co_u32_e64 v2, s[2:3], s8, v2
	s_and_b64 s[0:1], exec, s[0:1]
	v_addc_co_u32_e64 v3, s[2:3], v3, v4, s[2:3]
	s_or_b64 s[4:5], s[0:1], s[4:5]
	s_waitcnt vmcnt(1)
	v_ashrrev_i32_e32 v14, 31, v7
	v_xor_b32_e32 v6, v6, v14
	v_ashrrev_i32_e32 v15, 31, v9
	v_xor_b32_e32 v7, v7, v14
	v_sub_co_u32_e32 v6, vcc, v6, v14
	v_xor_b32_e32 v8, v8, v15
	v_subb_co_u32_e32 v7, vcc, v7, v14, vcc
	s_waitcnt vmcnt(0)
	v_ashrrev_i32_e32 v16, 31, v11
	v_xor_b32_e32 v9, v9, v15
	v_sub_co_u32_e32 v8, vcc, v8, v15
	v_xor_b32_e32 v10, v10, v16
	v_subb_co_u32_e32 v9, vcc, v9, v15, vcc
	v_ashrrev_i32_e32 v17, 31, v13
	v_xor_b32_e32 v11, v11, v16
	v_sub_co_u32_e32 v10, vcc, v10, v16
	v_xor_b32_e32 v12, v12, v17
	v_subb_co_u32_e32 v11, vcc, v11, v16, vcc
	v_xor_b32_e32 v13, v13, v17
	v_sub_co_u32_e32 v12, vcc, v12, v17
	v_subb_co_u32_e32 v13, vcc, v13, v17, vcc
	global_store_dwordx4 v[0:1], v[6:9], off offset:-16
	global_store_dwordx4 v[0:1], v[10:13], off
	v_add_co_u32_e32 v0, vcc, s9, v0
	v_addc_co_u32_e32 v1, vcc, v1, v5, vcc
	s_andn2_b64 exec, exec, s[4:5]
	s_cbranch_execnz .LBB343_24
.LBB343_25:
	s_endpgm
	.section	.rodata,"a",@progbits
	.p2align	6, 0x0
	.amdhsa_kernel _ZN2at6native12_GLOBAL__N_125multi_tensor_apply_kernelINS1_18TensorListMetadataILi1EEENS1_14UnaryOpFunctorIlLi1ELi1ELi0EEEJNS0_3AbsIlEEEEEvT_T0_DpT1_
		.amdhsa_group_segment_fixed_size 0
		.amdhsa_private_segment_fixed_size 0
		.amdhsa_kernarg_size 3632
		.amdhsa_user_sgpr_count 6
		.amdhsa_user_sgpr_private_segment_buffer 1
		.amdhsa_user_sgpr_dispatch_ptr 0
		.amdhsa_user_sgpr_queue_ptr 0
		.amdhsa_user_sgpr_kernarg_segment_ptr 1
		.amdhsa_user_sgpr_dispatch_id 0
		.amdhsa_user_sgpr_flat_scratch_init 0
		.amdhsa_user_sgpr_kernarg_preload_length 0
		.amdhsa_user_sgpr_kernarg_preload_offset 0
		.amdhsa_user_sgpr_private_segment_size 0
		.amdhsa_uses_dynamic_stack 0
		.amdhsa_system_sgpr_private_segment_wavefront_offset 0
		.amdhsa_system_sgpr_workgroup_id_x 1
		.amdhsa_system_sgpr_workgroup_id_y 0
		.amdhsa_system_sgpr_workgroup_id_z 0
		.amdhsa_system_sgpr_workgroup_info 0
		.amdhsa_system_vgpr_workitem_id 0
		.amdhsa_next_free_vgpr 24
		.amdhsa_next_free_sgpr 28
		.amdhsa_accum_offset 24
		.amdhsa_reserve_vcc 1
		.amdhsa_reserve_flat_scratch 0
		.amdhsa_float_round_mode_32 0
		.amdhsa_float_round_mode_16_64 0
		.amdhsa_float_denorm_mode_32 3
		.amdhsa_float_denorm_mode_16_64 3
		.amdhsa_dx10_clamp 1
		.amdhsa_ieee_mode 1
		.amdhsa_fp16_overflow 0
		.amdhsa_tg_split 0
		.amdhsa_exception_fp_ieee_invalid_op 0
		.amdhsa_exception_fp_denorm_src 0
		.amdhsa_exception_fp_ieee_div_zero 0
		.amdhsa_exception_fp_ieee_overflow 0
		.amdhsa_exception_fp_ieee_underflow 0
		.amdhsa_exception_fp_ieee_inexact 0
		.amdhsa_exception_int_div_zero 0
	.end_amdhsa_kernel
	.section	.text._ZN2at6native12_GLOBAL__N_125multi_tensor_apply_kernelINS1_18TensorListMetadataILi1EEENS1_14UnaryOpFunctorIlLi1ELi1ELi0EEEJNS0_3AbsIlEEEEEvT_T0_DpT1_,"axG",@progbits,_ZN2at6native12_GLOBAL__N_125multi_tensor_apply_kernelINS1_18TensorListMetadataILi1EEENS1_14UnaryOpFunctorIlLi1ELi1ELi0EEEJNS0_3AbsIlEEEEEvT_T0_DpT1_,comdat
.Lfunc_end343:
	.size	_ZN2at6native12_GLOBAL__N_125multi_tensor_apply_kernelINS1_18TensorListMetadataILi1EEENS1_14UnaryOpFunctorIlLi1ELi1ELi0EEEJNS0_3AbsIlEEEEEvT_T0_DpT1_, .Lfunc_end343-_ZN2at6native12_GLOBAL__N_125multi_tensor_apply_kernelINS1_18TensorListMetadataILi1EEENS1_14UnaryOpFunctorIlLi1ELi1ELi0EEEJNS0_3AbsIlEEEEEvT_T0_DpT1_
                                        ; -- End function
	.section	.AMDGPU.csdata,"",@progbits
; Kernel info:
; codeLenInByte = 1196
; NumSgprs: 32
; NumVgprs: 24
; NumAgprs: 0
; TotalNumVgprs: 24
; ScratchSize: 0
; MemoryBound: 0
; FloatMode: 240
; IeeeMode: 1
; LDSByteSize: 0 bytes/workgroup (compile time only)
; SGPRBlocks: 3
; VGPRBlocks: 2
; NumSGPRsForWavesPerEU: 32
; NumVGPRsForWavesPerEU: 24
; AccumOffset: 24
; Occupancy: 8
; WaveLimiterHint : 0
; COMPUTE_PGM_RSRC2:SCRATCH_EN: 0
; COMPUTE_PGM_RSRC2:USER_SGPR: 6
; COMPUTE_PGM_RSRC2:TRAP_HANDLER: 0
; COMPUTE_PGM_RSRC2:TGID_X_EN: 1
; COMPUTE_PGM_RSRC2:TGID_Y_EN: 0
; COMPUTE_PGM_RSRC2:TGID_Z_EN: 0
; COMPUTE_PGM_RSRC2:TIDIG_COMP_CNT: 0
; COMPUTE_PGM_RSRC3_GFX90A:ACCUM_OFFSET: 5
; COMPUTE_PGM_RSRC3_GFX90A:TG_SPLIT: 0
	.section	.text._ZN2at6native12_GLOBAL__N_125multi_tensor_apply_kernelINS1_18TensorListMetadataILi1EEENS1_14UnaryOpFunctorIsLi1ELi1ELi0EEEJNS0_3AbsIsEEEEEvT_T0_DpT1_,"axG",@progbits,_ZN2at6native12_GLOBAL__N_125multi_tensor_apply_kernelINS1_18TensorListMetadataILi1EEENS1_14UnaryOpFunctorIsLi1ELi1ELi0EEEJNS0_3AbsIsEEEEEvT_T0_DpT1_,comdat
	.globl	_ZN2at6native12_GLOBAL__N_125multi_tensor_apply_kernelINS1_18TensorListMetadataILi1EEENS1_14UnaryOpFunctorIsLi1ELi1ELi0EEEJNS0_3AbsIsEEEEEvT_T0_DpT1_ ; -- Begin function _ZN2at6native12_GLOBAL__N_125multi_tensor_apply_kernelINS1_18TensorListMetadataILi1EEENS1_14UnaryOpFunctorIsLi1ELi1ELi0EEEJNS0_3AbsIsEEEEEvT_T0_DpT1_
	.p2align	8
	.type	_ZN2at6native12_GLOBAL__N_125multi_tensor_apply_kernelINS1_18TensorListMetadataILi1EEENS1_14UnaryOpFunctorIsLi1ELi1ELi0EEEJNS0_3AbsIsEEEEEvT_T0_DpT1_,@function
_ZN2at6native12_GLOBAL__N_125multi_tensor_apply_kernelINS1_18TensorListMetadataILi1EEENS1_14UnaryOpFunctorIsLi1ELi1ELi0EEEJNS0_3AbsIsEEEEEvT_T0_DpT1_: ; @_ZN2at6native12_GLOBAL__N_125multi_tensor_apply_kernelINS1_18TensorListMetadataILi1EEENS1_14UnaryOpFunctorIsLi1ELi1ELi0EEEJNS0_3AbsIsEEEEEvT_T0_DpT1_
; %bb.0:
	v_mov_b32_e32 v1, s6
	global_load_ubyte v1, v1, s[4:5] offset:1760
	s_add_u32 s0, s4, s6
	s_mul_hi_u32 s1, s6, 3
	s_mul_i32 s6, s6, 3
	s_addc_u32 s2, s5, 0
	s_add_u32 s0, s0, s6
	s_addc_u32 s1, s2, s1
	s_load_dword s0, s[0:1], 0x820
	s_mov_b32 s7, 0
	s_waitcnt vmcnt(0)
	v_readfirstlane_b32 s2, v1
	s_lshl_b32 s1, s2, 3
	s_load_dwordx2 s[2:3], s[4:5], s1 offset:0x370
	s_load_dwordx2 s[12:13], s[4:5], s1 offset:0x0
	s_waitcnt lgkmcnt(0)
	s_ashr_i32 s1, s0, 31
	s_lshl_b64 s[14:15], s[0:1], 17
	s_lshl_b64 s[0:1], s[0:1], 16
	s_and_b32 s6, s12, 7
	s_sub_u32 s10, s2, s0
	s_subb_u32 s11, s3, s1
	s_and_b32 s0, s2, 3
	s_mov_b32 s1, s7
	s_or_b64 s[0:1], s[6:7], s[0:1]
	s_cmp_eq_u64 s[0:1], 0
	s_cbranch_scc1 .LBB344_21
; %bb.1:
	v_cmp_lt_i64_e64 s[0:1], s[10:11], 1
	s_and_b64 vcc, exec, s[0:1]
	s_cbranch_vccnz .LBB344_20
; %bb.2:
	s_load_dword s0, s[4:5], 0xd3c
	v_mov_b32_e32 v2, 0x10000
	v_mov_b32_e32 v3, 0
	v_cmp_lt_u64_e32 vcc, s[10:11], v[2:3]
	v_lshlrev_b32_e32 v1, 1, v0
	s_waitcnt lgkmcnt(0)
	s_and_b32 s2, s0, 0xffff
	s_and_b64 s[0:1], vcc, exec
	s_cselect_b32 s17, s11, 0
	s_cselect_b32 s16, s10, 0x10000
	s_lshl_b32 s3, s2, 1
	s_lshl_b32 s23, s2, 2
	s_add_u32 s6, s12, s14
	s_addc_u32 s7, s13, s15
	v_mov_b32_e32 v5, s7
	v_add_co_u32_e32 v4, vcc, s6, v1
	s_mul_i32 s0, s2, 3
	v_addc_co_u32_e32 v5, vcc, 0, v5, vcc
	v_add_co_u32_e32 v1, vcc, s0, v0
	v_addc_co_u32_e64 v10, s[0:1], 0, 0, vcc
	v_add_co_u32_e32 v11, vcc, s3, v0
	v_addc_co_u32_e64 v12, s[0:1], 0, 0, vcc
	v_add_co_u32_e32 v13, vcc, s2, v0
	v_lshlrev_b32_e32 v6, 1, v13
	s_mov_b32 s22, 0
	v_addc_co_u32_e64 v14, s[0:1], 0, 0, vcc
	v_mov_b32_e32 v7, s7
	v_add_co_u32_e32 v6, vcc, s6, v6
	s_lshl_b32 s24, s2, 3
	s_mul_i32 s25, s2, 6
	s_mov_b32 s26, s22
	v_addc_co_u32_e32 v7, vcc, 0, v7, vcc
	s_mov_b64 s[18:19], 0
	v_pk_mov_b32 v[8:9], s[10:11], s[10:11] op_sel:[0,1]
	v_mov_b32_e32 v15, s22
	s_branch .LBB344_4
.LBB344_3:                              ;   in Loop: Header=BB344_4 Depth=1
	s_or_b64 exec, exec, s[0:1]
	s_add_u32 s18, s18, s23
	s_addc_u32 s19, s19, 0
	v_cmp_lt_i64_e32 vcc, s[18:19], v[8:9]
	v_cmp_lt_u64_e64 s[0:1], s[18:19], v[2:3]
	s_and_b64 s[0:1], vcc, s[0:1]
	v_add_co_u32_e32 v4, vcc, s24, v4
	v_addc_co_u32_e32 v5, vcc, v5, v15, vcc
	v_add_co_u32_e32 v6, vcc, s24, v6
	v_addc_co_u32_e32 v7, vcc, v7, v15, vcc
	s_and_b64 vcc, exec, s[0:1]
	s_cbranch_vccz .LBB344_20
.LBB344_4:                              ; =>This Inner Loop Header: Depth=1
	s_waitcnt vmcnt(0)
	v_mov_b32_e32 v17, s19
	v_add_co_u32_e32 v16, vcc, s18, v0
	v_addc_co_u32_e32 v17, vcc, 0, v17, vcc
	v_cmp_gt_u64_e32 vcc, s[16:17], v[16:17]
	v_mov_b32_e32 v16, 0
	s_and_saveexec_b64 s[0:1], vcc
	s_cbranch_execz .LBB344_6
; %bb.5:                                ;   in Loop: Header=BB344_4 Depth=1
	global_load_ushort v16, v[4:5], off
.LBB344_6:                              ;   in Loop: Header=BB344_4 Depth=1
	s_or_b64 exec, exec, s[0:1]
	v_mov_b32_e32 v17, s19
	v_add_co_u32_e64 v18, s[0:1], s18, v13
	v_addc_co_u32_e64 v19, s[0:1], v14, v17, s[0:1]
	v_cmp_gt_u64_e64 s[0:1], s[16:17], v[18:19]
	v_mov_b32_e32 v18, 0
	s_and_saveexec_b64 s[2:3], s[0:1]
	s_cbranch_execz .LBB344_8
; %bb.7:                                ;   in Loop: Header=BB344_4 Depth=1
	global_load_ushort v18, v[6:7], off
.LBB344_8:                              ;   in Loop: Header=BB344_4 Depth=1
	s_or_b64 exec, exec, s[2:3]
	v_mov_b32_e32 v17, s19
	v_add_co_u32_e64 v20, s[2:3], s18, v11
	v_addc_co_u32_e64 v21, s[2:3], v12, v17, s[2:3]
	v_cmp_gt_u64_e64 s[2:3], s[16:17], v[20:21]
	v_mov_b32_e32 v17, 0
	v_mov_b32_e32 v19, 0
	s_and_saveexec_b64 s[8:9], s[2:3]
	s_cbranch_execz .LBB344_10
; %bb.9:                                ;   in Loop: Header=BB344_4 Depth=1
	v_mov_b32_e32 v19, s22
	v_add_co_u32_e64 v20, s[6:7], s23, v4
	v_addc_co_u32_e64 v21, s[6:7], v5, v19, s[6:7]
	global_load_ushort v19, v[20:21], off
.LBB344_10:                             ;   in Loop: Header=BB344_4 Depth=1
	s_or_b64 exec, exec, s[8:9]
	v_mov_b32_e32 v21, s19
	v_add_co_u32_e64 v20, s[6:7], s18, v1
	v_addc_co_u32_e64 v21, s[6:7], v10, v21, s[6:7]
	v_cmp_gt_u64_e64 s[6:7], s[16:17], v[20:21]
	s_and_saveexec_b64 s[20:21], s[6:7]
	s_cbranch_execnz .LBB344_15
; %bb.11:                               ;   in Loop: Header=BB344_4 Depth=1
	s_or_b64 exec, exec, s[20:21]
	s_and_saveexec_b64 s[8:9], vcc
	s_cbranch_execnz .LBB344_16
.LBB344_12:                             ;   in Loop: Header=BB344_4 Depth=1
	s_or_b64 exec, exec, s[8:9]
	s_and_saveexec_b64 s[8:9], s[0:1]
	s_cbranch_execnz .LBB344_17
.LBB344_13:                             ;   in Loop: Header=BB344_4 Depth=1
	s_or_b64 exec, exec, s[8:9]
	s_and_saveexec_b64 s[0:1], s[2:3]
	s_cbranch_execnz .LBB344_18
.LBB344_14:                             ;   in Loop: Header=BB344_4 Depth=1
	s_or_b64 exec, exec, s[0:1]
	s_and_saveexec_b64 s[0:1], s[6:7]
	s_cbranch_execz .LBB344_3
	s_branch .LBB344_19
.LBB344_15:                             ;   in Loop: Header=BB344_4 Depth=1
	v_mov_b32_e32 v17, s26
	v_add_co_u32_e64 v20, s[8:9], s25, v4
	v_addc_co_u32_e64 v21, s[8:9], v5, v17, s[8:9]
	global_load_ushort v17, v[20:21], off
	s_or_b64 exec, exec, s[20:21]
	s_and_saveexec_b64 s[8:9], vcc
	s_cbranch_execz .LBB344_12
.LBB344_16:                             ;   in Loop: Header=BB344_4 Depth=1
	s_waitcnt vmcnt(0)
	v_sub_u16_e32 v20, 0, v16
	v_max_i16_e32 v16, v16, v20
	global_store_short v[4:5], v16, off
	s_or_b64 exec, exec, s[8:9]
	s_and_saveexec_b64 s[8:9], s[0:1]
	s_cbranch_execz .LBB344_13
.LBB344_17:                             ;   in Loop: Header=BB344_4 Depth=1
	s_waitcnt vmcnt(0)
	v_sub_u16_e32 v16, 0, v18
	v_max_i16_e32 v16, v18, v16
	global_store_short v[6:7], v16, off
	s_or_b64 exec, exec, s[8:9]
	s_and_saveexec_b64 s[0:1], s[2:3]
	s_cbranch_execz .LBB344_14
.LBB344_18:                             ;   in Loop: Header=BB344_4 Depth=1
	s_waitcnt vmcnt(0)
	v_sub_u16_e32 v16, 0, v19
	v_max_i16_e32 v16, v19, v16
	v_mov_b32_e32 v19, s22
	v_add_co_u32_e32 v18, vcc, s23, v4
	v_addc_co_u32_e32 v19, vcc, v5, v19, vcc
	global_store_short v[18:19], v16, off
	s_or_b64 exec, exec, s[0:1]
	s_and_saveexec_b64 s[0:1], s[6:7]
	s_cbranch_execz .LBB344_3
.LBB344_19:                             ;   in Loop: Header=BB344_4 Depth=1
	s_waitcnt vmcnt(0)
	v_sub_u16_e32 v16, 0, v17
	v_max_i16_e32 v18, v17, v16
	v_mov_b32_e32 v17, s26
	v_add_co_u32_e32 v16, vcc, s25, v4
	v_addc_co_u32_e32 v17, vcc, v5, v17, vcc
	global_store_short v[16:17], v18, off
	s_branch .LBB344_3
.LBB344_20:
	s_cbranch_execz .LBB344_22
	s_branch .LBB344_25
.LBB344_21:
.LBB344_22:
	v_mov_b32_e32 v3, 0
	v_lshlrev_b32_e32 v2, 2, v0
	s_mov_b32 s0, 0
	v_cmp_gt_i64_e32 vcc, s[10:11], v[2:3]
	s_and_saveexec_b64 s[2:3], vcc
	s_cbranch_execz .LBB344_25
; %bb.23:
	s_load_dword s1, s[4:5], 0xd3c
	v_lshlrev_b32_e32 v1, 3, v0
	s_mov_b64 s[4:5], 0xffff
	v_mov_b32_e32 v6, s0
	v_mov_b32_e32 v7, s0
	s_waitcnt lgkmcnt(0)
	s_and_b32 s1, s1, 0xffff
	s_add_u32 s2, s12, s14
	s_addc_u32 s3, s13, s15
	v_mov_b32_e32 v2, s3
	v_add_co_u32_e32 v4, vcc, s2, v1
	v_addc_co_u32_e32 v5, vcc, 0, v2, vcc
	v_add_lshl_u32 v2, v0, s1, 2
	s_lshl_b32 s6, s1, 3
	s_lshl_b32 s7, s1, 2
	s_mov_b64 s[2:3], 0
	v_pk_mov_b32 v[0:1], v[2:3], v[2:3] op_sel:[0,1]
.LBB344_24:                             ; =>This Inner Loop Header: Depth=1
	global_load_dwordx2 v[8:9], v[4:5], off
	v_cmp_le_i64_e32 vcc, s[10:11], v[0:1]
	v_cmp_lt_u64_e64 s[0:1], s[4:5], v[0:1]
	s_or_b64 s[0:1], vcc, s[0:1]
	s_and_b64 s[0:1], exec, s[0:1]
	s_or_b64 s[2:3], s[0:1], s[2:3]
	s_waitcnt vmcnt(0)
	v_sub_u16_e32 v2, 0, v8
	v_sub_u16_sdwa v10, v3, v8 dst_sel:DWORD dst_unused:UNUSED_PAD src0_sel:DWORD src1_sel:WORD_1
	v_sub_u16_e32 v11, 0, v9
	v_sub_u16_sdwa v12, v3, v9 dst_sel:DWORD dst_unused:UNUSED_PAD src0_sel:DWORD src1_sel:WORD_1
	v_max_i16_sdwa v10, v8, v10 dst_sel:WORD_1 dst_unused:UNUSED_PAD src0_sel:WORD_1 src1_sel:DWORD
	v_max_i16_sdwa v12, v9, v12 dst_sel:WORD_1 dst_unused:UNUSED_PAD src0_sel:WORD_1 src1_sel:DWORD
	v_max_i16_e32 v9, v9, v11
	v_max_i16_e32 v2, v8, v2
	v_or_b32_e32 v9, v12, v9
	v_or_b32_e32 v8, v10, v2
	global_store_dwordx2 v[4:5], v[8:9], off
	v_add_co_u32_e32 v4, vcc, s6, v4
	v_addc_co_u32_e32 v5, vcc, v5, v6, vcc
	v_add_co_u32_e32 v0, vcc, s7, v0
	v_addc_co_u32_e32 v1, vcc, v1, v7, vcc
	s_andn2_b64 exec, exec, s[2:3]
	s_cbranch_execnz .LBB344_24
.LBB344_25:
	s_endpgm
	.section	.rodata,"a",@progbits
	.p2align	6, 0x0
	.amdhsa_kernel _ZN2at6native12_GLOBAL__N_125multi_tensor_apply_kernelINS1_18TensorListMetadataILi1EEENS1_14UnaryOpFunctorIsLi1ELi1ELi0EEEJNS0_3AbsIsEEEEEvT_T0_DpT1_
		.amdhsa_group_segment_fixed_size 0
		.amdhsa_private_segment_fixed_size 0
		.amdhsa_kernarg_size 3632
		.amdhsa_user_sgpr_count 6
		.amdhsa_user_sgpr_private_segment_buffer 1
		.amdhsa_user_sgpr_dispatch_ptr 0
		.amdhsa_user_sgpr_queue_ptr 0
		.amdhsa_user_sgpr_kernarg_segment_ptr 1
		.amdhsa_user_sgpr_dispatch_id 0
		.amdhsa_user_sgpr_flat_scratch_init 0
		.amdhsa_user_sgpr_kernarg_preload_length 0
		.amdhsa_user_sgpr_kernarg_preload_offset 0
		.amdhsa_user_sgpr_private_segment_size 0
		.amdhsa_uses_dynamic_stack 0
		.amdhsa_system_sgpr_private_segment_wavefront_offset 0
		.amdhsa_system_sgpr_workgroup_id_x 1
		.amdhsa_system_sgpr_workgroup_id_y 0
		.amdhsa_system_sgpr_workgroup_id_z 0
		.amdhsa_system_sgpr_workgroup_info 0
		.amdhsa_system_vgpr_workitem_id 0
		.amdhsa_next_free_vgpr 22
		.amdhsa_next_free_sgpr 27
		.amdhsa_accum_offset 24
		.amdhsa_reserve_vcc 1
		.amdhsa_reserve_flat_scratch 0
		.amdhsa_float_round_mode_32 0
		.amdhsa_float_round_mode_16_64 0
		.amdhsa_float_denorm_mode_32 3
		.amdhsa_float_denorm_mode_16_64 3
		.amdhsa_dx10_clamp 1
		.amdhsa_ieee_mode 1
		.amdhsa_fp16_overflow 0
		.amdhsa_tg_split 0
		.amdhsa_exception_fp_ieee_invalid_op 0
		.amdhsa_exception_fp_denorm_src 0
		.amdhsa_exception_fp_ieee_div_zero 0
		.amdhsa_exception_fp_ieee_overflow 0
		.amdhsa_exception_fp_ieee_underflow 0
		.amdhsa_exception_fp_ieee_inexact 0
		.amdhsa_exception_int_div_zero 0
	.end_amdhsa_kernel
	.section	.text._ZN2at6native12_GLOBAL__N_125multi_tensor_apply_kernelINS1_18TensorListMetadataILi1EEENS1_14UnaryOpFunctorIsLi1ELi1ELi0EEEJNS0_3AbsIsEEEEEvT_T0_DpT1_,"axG",@progbits,_ZN2at6native12_GLOBAL__N_125multi_tensor_apply_kernelINS1_18TensorListMetadataILi1EEENS1_14UnaryOpFunctorIsLi1ELi1ELi0EEEJNS0_3AbsIsEEEEEvT_T0_DpT1_,comdat
.Lfunc_end344:
	.size	_ZN2at6native12_GLOBAL__N_125multi_tensor_apply_kernelINS1_18TensorListMetadataILi1EEENS1_14UnaryOpFunctorIsLi1ELi1ELi0EEEJNS0_3AbsIsEEEEEvT_T0_DpT1_, .Lfunc_end344-_ZN2at6native12_GLOBAL__N_125multi_tensor_apply_kernelINS1_18TensorListMetadataILi1EEENS1_14UnaryOpFunctorIsLi1ELi1ELi0EEEJNS0_3AbsIsEEEEEvT_T0_DpT1_
                                        ; -- End function
	.section	.AMDGPU.csdata,"",@progbits
; Kernel info:
; codeLenInByte = 1060
; NumSgprs: 31
; NumVgprs: 22
; NumAgprs: 0
; TotalNumVgprs: 22
; ScratchSize: 0
; MemoryBound: 0
; FloatMode: 240
; IeeeMode: 1
; LDSByteSize: 0 bytes/workgroup (compile time only)
; SGPRBlocks: 3
; VGPRBlocks: 2
; NumSGPRsForWavesPerEU: 31
; NumVGPRsForWavesPerEU: 22
; AccumOffset: 24
; Occupancy: 8
; WaveLimiterHint : 0
; COMPUTE_PGM_RSRC2:SCRATCH_EN: 0
; COMPUTE_PGM_RSRC2:USER_SGPR: 6
; COMPUTE_PGM_RSRC2:TRAP_HANDLER: 0
; COMPUTE_PGM_RSRC2:TGID_X_EN: 1
; COMPUTE_PGM_RSRC2:TGID_Y_EN: 0
; COMPUTE_PGM_RSRC2:TGID_Z_EN: 0
; COMPUTE_PGM_RSRC2:TIDIG_COMP_CNT: 0
; COMPUTE_PGM_RSRC3_GFX90A:ACCUM_OFFSET: 5
; COMPUTE_PGM_RSRC3_GFX90A:TG_SPLIT: 0
	.section	.text._ZN2at6native12_GLOBAL__N_125multi_tensor_apply_kernelINS1_18TensorListMetadataILi1EEENS1_14UnaryOpFunctorIdLi1ELi1ELi0EEEJNS0_3AbsIdEEEEEvT_T0_DpT1_,"axG",@progbits,_ZN2at6native12_GLOBAL__N_125multi_tensor_apply_kernelINS1_18TensorListMetadataILi1EEENS1_14UnaryOpFunctorIdLi1ELi1ELi0EEEJNS0_3AbsIdEEEEEvT_T0_DpT1_,comdat
	.globl	_ZN2at6native12_GLOBAL__N_125multi_tensor_apply_kernelINS1_18TensorListMetadataILi1EEENS1_14UnaryOpFunctorIdLi1ELi1ELi0EEEJNS0_3AbsIdEEEEEvT_T0_DpT1_ ; -- Begin function _ZN2at6native12_GLOBAL__N_125multi_tensor_apply_kernelINS1_18TensorListMetadataILi1EEENS1_14UnaryOpFunctorIdLi1ELi1ELi0EEEJNS0_3AbsIdEEEEEvT_T0_DpT1_
	.p2align	8
	.type	_ZN2at6native12_GLOBAL__N_125multi_tensor_apply_kernelINS1_18TensorListMetadataILi1EEENS1_14UnaryOpFunctorIdLi1ELi1ELi0EEEJNS0_3AbsIdEEEEEvT_T0_DpT1_,@function
_ZN2at6native12_GLOBAL__N_125multi_tensor_apply_kernelINS1_18TensorListMetadataILi1EEENS1_14UnaryOpFunctorIdLi1ELi1ELi0EEEJNS0_3AbsIdEEEEEvT_T0_DpT1_: ; @_ZN2at6native12_GLOBAL__N_125multi_tensor_apply_kernelINS1_18TensorListMetadataILi1EEENS1_14UnaryOpFunctorIdLi1ELi1ELi0EEEJNS0_3AbsIdEEEEEvT_T0_DpT1_
; %bb.0:
	v_mov_b32_e32 v1, s6
	global_load_ubyte v1, v1, s[4:5] offset:1760
	s_add_u32 s0, s4, s6
	s_mul_hi_u32 s1, s6, 3
	s_mul_i32 s6, s6, 3
	s_addc_u32 s2, s5, 0
	s_add_u32 s0, s0, s6
	s_addc_u32 s1, s2, s1
	s_load_dword s0, s[0:1], 0x820
	s_mov_b32 s7, 0
	s_waitcnt vmcnt(0)
	v_readfirstlane_b32 s2, v1
	s_lshl_b32 s1, s2, 3
	s_load_dwordx2 s[2:3], s[4:5], s1 offset:0x370
	s_load_dwordx2 s[12:13], s[4:5], s1 offset:0x0
	s_waitcnt lgkmcnt(0)
	s_ashr_i32 s1, s0, 31
	s_lshl_b64 s[14:15], s[0:1], 19
	s_lshl_b64 s[0:1], s[0:1], 16
	s_and_b32 s6, s12, 31
	s_sub_u32 s10, s2, s0
	s_subb_u32 s11, s3, s1
	s_and_b32 s0, s2, 3
	s_mov_b32 s1, s7
	s_or_b64 s[0:1], s[6:7], s[0:1]
	s_cmp_eq_u64 s[0:1], 0
	s_cbranch_scc1 .LBB345_21
; %bb.1:
	v_cmp_lt_i64_e64 s[0:1], s[10:11], 1
	s_and_b64 vcc, exec, s[0:1]
	s_cbranch_vccnz .LBB345_20
; %bb.2:
	s_load_dword s0, s[4:5], 0xd3c
	v_mov_b32_e32 v2, 0x10000
	v_mov_b32_e32 v3, 0
	v_cmp_lt_u64_e32 vcc, s[10:11], v[2:3]
	v_lshlrev_b32_e32 v1, 3, v0
	s_waitcnt lgkmcnt(0)
	s_and_b32 s3, s0, 0xffff
	s_and_b64 s[0:1], vcc, exec
	s_cselect_b32 s17, s11, 0
	s_cselect_b32 s16, s10, 0x10000
	s_lshl_b32 s6, s3, 1
	s_lshl_b32 s22, s3, 2
	s_add_u32 s7, s12, s14
	s_addc_u32 s8, s13, s15
	v_mov_b32_e32 v3, s8
	v_add_co_u32_e32 v2, vcc, s7, v1
	s_mul_i32 s0, s3, 3
	v_addc_co_u32_e32 v3, vcc, 0, v3, vcc
	v_add_co_u32_e32 v1, vcc, s0, v0
	v_addc_co_u32_e64 v16, s[0:1], 0, 0, vcc
	v_add_co_u32_e32 v17, vcc, s6, v0
	v_addc_co_u32_e64 v18, s[0:1], 0, 0, vcc
	v_add_co_u32_e32 v19, vcc, s3, v0
	v_lshlrev_b32_e32 v4, 3, v19
	s_mov_b32 s2, 0
	v_addc_co_u32_e64 v20, s[0:1], 0, 0, vcc
	v_mov_b32_e32 v5, s8
	v_add_co_u32_e32 v4, vcc, s7, v4
	s_lshl_b32 s23, s3, 5
	s_mul_i32 s24, s3, 24
	s_mov_b32 s25, s2
	s_lshl_b32 s26, s3, 4
	s_mov_b32 s27, s2
	v_addc_co_u32_e32 v5, vcc, 0, v5, vcc
	s_mov_b64 s[18:19], 0
	v_pk_mov_b32 v[6:7], s[10:11], s[10:11] op_sel:[0,1]
	v_mov_b32_e32 v21, s2
	s_branch .LBB345_4
.LBB345_3:                              ;   in Loop: Header=BB345_4 Depth=1
	s_or_b64 exec, exec, s[0:1]
	s_add_u32 s18, s18, s22
	s_waitcnt vmcnt(0)
	v_mov_b32_e32 v8, 0x10000
	s_addc_u32 s19, s19, 0
	v_mov_b32_e32 v9, 0
	v_cmp_lt_i64_e32 vcc, s[18:19], v[6:7]
	v_cmp_lt_u64_e64 s[0:1], s[18:19], v[8:9]
	s_and_b64 s[0:1], vcc, s[0:1]
	v_add_co_u32_e32 v2, vcc, s23, v2
	v_addc_co_u32_e32 v3, vcc, v3, v21, vcc
	v_add_co_u32_e32 v4, vcc, s23, v4
	v_addc_co_u32_e32 v5, vcc, v5, v21, vcc
	s_and_b64 vcc, exec, s[0:1]
	s_cbranch_vccz .LBB345_20
.LBB345_4:                              ; =>This Inner Loop Header: Depth=1
	v_mov_b32_e32 v9, s19
	v_add_co_u32_e32 v8, vcc, s18, v0
	v_addc_co_u32_e32 v9, vcc, 0, v9, vcc
	v_cmp_gt_u64_e32 vcc, s[16:17], v[8:9]
	v_pk_mov_b32 v[8:9], 0, 0
	v_pk_mov_b32 v[12:13], v[8:9], v[8:9] op_sel:[0,1]
	s_and_saveexec_b64 s[0:1], vcc
	s_cbranch_execz .LBB345_6
; %bb.5:                                ;   in Loop: Header=BB345_4 Depth=1
	global_load_dwordx2 v[12:13], v[2:3], off
.LBB345_6:                              ;   in Loop: Header=BB345_4 Depth=1
	s_or_b64 exec, exec, s[0:1]
	v_mov_b32_e32 v11, s19
	v_add_co_u32_e64 v10, s[0:1], s18, v19
	v_addc_co_u32_e64 v11, s[0:1], v20, v11, s[0:1]
	v_cmp_gt_u64_e64 s[0:1], s[16:17], v[10:11]
	s_and_saveexec_b64 s[2:3], s[0:1]
	s_cbranch_execz .LBB345_8
; %bb.7:                                ;   in Loop: Header=BB345_4 Depth=1
	global_load_dwordx2 v[8:9], v[4:5], off
.LBB345_8:                              ;   in Loop: Header=BB345_4 Depth=1
	s_or_b64 exec, exec, s[2:3]
	v_mov_b32_e32 v11, s19
	v_add_co_u32_e64 v10, s[2:3], s18, v17
	v_addc_co_u32_e64 v11, s[2:3], v18, v11, s[2:3]
	v_cmp_gt_u64_e64 s[2:3], s[16:17], v[10:11]
	v_pk_mov_b32 v[10:11], 0, 0
	v_pk_mov_b32 v[14:15], v[10:11], v[10:11] op_sel:[0,1]
	s_and_saveexec_b64 s[8:9], s[2:3]
	s_cbranch_execz .LBB345_10
; %bb.9:                                ;   in Loop: Header=BB345_4 Depth=1
	v_mov_b32_e32 v15, s27
	v_add_co_u32_e64 v14, s[6:7], s26, v2
	v_addc_co_u32_e64 v15, s[6:7], v3, v15, s[6:7]
	global_load_dwordx2 v[14:15], v[14:15], off
.LBB345_10:                             ;   in Loop: Header=BB345_4 Depth=1
	s_or_b64 exec, exec, s[8:9]
	v_mov_b32_e32 v23, s19
	v_add_co_u32_e64 v22, s[6:7], s18, v1
	v_addc_co_u32_e64 v23, s[6:7], v16, v23, s[6:7]
	v_cmp_gt_u64_e64 s[6:7], s[16:17], v[22:23]
	s_and_saveexec_b64 s[20:21], s[6:7]
	s_cbranch_execnz .LBB345_15
; %bb.11:                               ;   in Loop: Header=BB345_4 Depth=1
	s_or_b64 exec, exec, s[20:21]
	s_and_saveexec_b64 s[8:9], vcc
	s_cbranch_execnz .LBB345_16
.LBB345_12:                             ;   in Loop: Header=BB345_4 Depth=1
	s_or_b64 exec, exec, s[8:9]
	s_and_saveexec_b64 s[8:9], s[0:1]
	s_cbranch_execnz .LBB345_17
.LBB345_13:                             ;   in Loop: Header=BB345_4 Depth=1
	s_or_b64 exec, exec, s[8:9]
	s_and_saveexec_b64 s[0:1], s[2:3]
	s_cbranch_execnz .LBB345_18
.LBB345_14:                             ;   in Loop: Header=BB345_4 Depth=1
	s_or_b64 exec, exec, s[0:1]
	s_and_saveexec_b64 s[0:1], s[6:7]
	s_cbranch_execz .LBB345_3
	s_branch .LBB345_19
.LBB345_15:                             ;   in Loop: Header=BB345_4 Depth=1
	v_mov_b32_e32 v11, s25
	v_add_co_u32_e64 v10, s[8:9], s24, v2
	v_addc_co_u32_e64 v11, s[8:9], v3, v11, s[8:9]
	global_load_dwordx2 v[10:11], v[10:11], off
	s_or_b64 exec, exec, s[20:21]
	s_and_saveexec_b64 s[8:9], vcc
	s_cbranch_execz .LBB345_12
.LBB345_16:                             ;   in Loop: Header=BB345_4 Depth=1
	s_waitcnt vmcnt(0)
	v_and_b32_e32 v13, 0x7fffffff, v13
	global_store_dwordx2 v[2:3], v[12:13], off
	s_or_b64 exec, exec, s[8:9]
	s_and_saveexec_b64 s[8:9], s[0:1]
	s_cbranch_execz .LBB345_13
.LBB345_17:                             ;   in Loop: Header=BB345_4 Depth=1
	s_waitcnt vmcnt(0)
	v_and_b32_e32 v9, 0x7fffffff, v9
	global_store_dwordx2 v[4:5], v[8:9], off
	s_or_b64 exec, exec, s[8:9]
	s_and_saveexec_b64 s[0:1], s[2:3]
	s_cbranch_execz .LBB345_14
.LBB345_18:                             ;   in Loop: Header=BB345_4 Depth=1
	s_waitcnt vmcnt(0)
	v_mov_b32_e32 v9, s27
	v_add_co_u32_e32 v8, vcc, s26, v2
	v_and_b32_e32 v15, 0x7fffffff, v15
	v_addc_co_u32_e32 v9, vcc, v3, v9, vcc
	global_store_dwordx2 v[8:9], v[14:15], off
	s_or_b64 exec, exec, s[0:1]
	s_and_saveexec_b64 s[0:1], s[6:7]
	s_cbranch_execz .LBB345_3
.LBB345_19:                             ;   in Loop: Header=BB345_4 Depth=1
	s_waitcnt vmcnt(0)
	v_mov_b32_e32 v9, s25
	v_add_co_u32_e32 v8, vcc, s24, v2
	v_and_b32_e32 v11, 0x7fffffff, v11
	v_addc_co_u32_e32 v9, vcc, v3, v9, vcc
	global_store_dwordx2 v[8:9], v[10:11], off
	s_branch .LBB345_3
.LBB345_20:
	s_cbranch_execz .LBB345_22
	s_branch .LBB345_25
.LBB345_21:
.LBB345_22:
	v_mov_b32_e32 v3, 0
	v_lshlrev_b32_e32 v2, 2, v0
	s_mov_b32 s0, 0
	v_cmp_gt_i64_e32 vcc, s[10:11], v[2:3]
	s_and_saveexec_b64 s[2:3], vcc
	s_cbranch_execz .LBB345_25
; %bb.23:
	s_load_dword s1, s[4:5], 0xd3c
	v_lshlrev_b32_e32 v1, 5, v0
	s_mov_b64 s[4:5], 0
	s_mov_b64 s[6:7], 0xffff
	v_mov_b32_e32 v5, s0
	s_waitcnt lgkmcnt(0)
	s_and_b32 s1, s1, 0xffff
	s_lshl_b32 s8, s1, 2
	s_add_u32 s2, s12, s14
	s_addc_u32 s3, s13, s15
	v_add_lshl_u32 v2, v0, s1, 2
	v_mov_b32_e32 v0, s3
	v_add_co_u32_e32 v1, vcc, s2, v1
	v_addc_co_u32_e32 v4, vcc, 0, v0, vcc
	v_add_co_u32_e32 v0, vcc, 16, v1
	v_addc_co_u32_e32 v1, vcc, 0, v4, vcc
	s_lshl_b32 s9, s1, 5
	v_mov_b32_e32 v4, s0
.LBB345_24:                             ; =>This Inner Loop Header: Depth=1
	global_load_dwordx4 v[6:9], v[0:1], off offset:-16
	global_load_dwordx4 v[10:13], v[0:1], off
	v_cmp_le_i64_e32 vcc, s[10:11], v[2:3]
	v_cmp_lt_u64_e64 s[0:1], s[6:7], v[2:3]
	s_or_b64 s[0:1], vcc, s[0:1]
	v_add_co_u32_e64 v2, s[2:3], s8, v2
	s_and_b64 s[0:1], exec, s[0:1]
	v_addc_co_u32_e64 v3, s[2:3], v3, v4, s[2:3]
	s_or_b64 s[4:5], s[0:1], s[4:5]
	s_waitcnt vmcnt(1)
	v_and_b32_e32 v7, 0x7fffffff, v7
	v_and_b32_e32 v9, 0x7fffffff, v9
	s_waitcnt vmcnt(0)
	v_and_b32_e32 v11, 0x7fffffff, v11
	v_and_b32_e32 v13, 0x7fffffff, v13
	global_store_dwordx4 v[0:1], v[6:9], off offset:-16
	global_store_dwordx4 v[0:1], v[10:13], off
	v_add_co_u32_e32 v0, vcc, s9, v0
	v_addc_co_u32_e32 v1, vcc, v1, v5, vcc
	s_andn2_b64 exec, exec, s[4:5]
	s_cbranch_execnz .LBB345_24
.LBB345_25:
	s_endpgm
	.section	.rodata,"a",@progbits
	.p2align	6, 0x0
	.amdhsa_kernel _ZN2at6native12_GLOBAL__N_125multi_tensor_apply_kernelINS1_18TensorListMetadataILi1EEENS1_14UnaryOpFunctorIdLi1ELi1ELi0EEEJNS0_3AbsIdEEEEEvT_T0_DpT1_
		.amdhsa_group_segment_fixed_size 0
		.amdhsa_private_segment_fixed_size 0
		.amdhsa_kernarg_size 3632
		.amdhsa_user_sgpr_count 6
		.amdhsa_user_sgpr_private_segment_buffer 1
		.amdhsa_user_sgpr_dispatch_ptr 0
		.amdhsa_user_sgpr_queue_ptr 0
		.amdhsa_user_sgpr_kernarg_segment_ptr 1
		.amdhsa_user_sgpr_dispatch_id 0
		.amdhsa_user_sgpr_flat_scratch_init 0
		.amdhsa_user_sgpr_kernarg_preload_length 0
		.amdhsa_user_sgpr_kernarg_preload_offset 0
		.amdhsa_user_sgpr_private_segment_size 0
		.amdhsa_uses_dynamic_stack 0
		.amdhsa_system_sgpr_private_segment_wavefront_offset 0
		.amdhsa_system_sgpr_workgroup_id_x 1
		.amdhsa_system_sgpr_workgroup_id_y 0
		.amdhsa_system_sgpr_workgroup_id_z 0
		.amdhsa_system_sgpr_workgroup_info 0
		.amdhsa_system_vgpr_workitem_id 0
		.amdhsa_next_free_vgpr 24
		.amdhsa_next_free_sgpr 28
		.amdhsa_accum_offset 24
		.amdhsa_reserve_vcc 1
		.amdhsa_reserve_flat_scratch 0
		.amdhsa_float_round_mode_32 0
		.amdhsa_float_round_mode_16_64 0
		.amdhsa_float_denorm_mode_32 3
		.amdhsa_float_denorm_mode_16_64 3
		.amdhsa_dx10_clamp 1
		.amdhsa_ieee_mode 1
		.amdhsa_fp16_overflow 0
		.amdhsa_tg_split 0
		.amdhsa_exception_fp_ieee_invalid_op 0
		.amdhsa_exception_fp_denorm_src 0
		.amdhsa_exception_fp_ieee_div_zero 0
		.amdhsa_exception_fp_ieee_overflow 0
		.amdhsa_exception_fp_ieee_underflow 0
		.amdhsa_exception_fp_ieee_inexact 0
		.amdhsa_exception_int_div_zero 0
	.end_amdhsa_kernel
	.section	.text._ZN2at6native12_GLOBAL__N_125multi_tensor_apply_kernelINS1_18TensorListMetadataILi1EEENS1_14UnaryOpFunctorIdLi1ELi1ELi0EEEJNS0_3AbsIdEEEEEvT_T0_DpT1_,"axG",@progbits,_ZN2at6native12_GLOBAL__N_125multi_tensor_apply_kernelINS1_18TensorListMetadataILi1EEENS1_14UnaryOpFunctorIdLi1ELi1ELi0EEEJNS0_3AbsIdEEEEEvT_T0_DpT1_,comdat
.Lfunc_end345:
	.size	_ZN2at6native12_GLOBAL__N_125multi_tensor_apply_kernelINS1_18TensorListMetadataILi1EEENS1_14UnaryOpFunctorIdLi1ELi1ELi0EEEJNS0_3AbsIdEEEEEvT_T0_DpT1_, .Lfunc_end345-_ZN2at6native12_GLOBAL__N_125multi_tensor_apply_kernelINS1_18TensorListMetadataILi1EEENS1_14UnaryOpFunctorIdLi1ELi1ELi0EEEJNS0_3AbsIdEEEEEvT_T0_DpT1_
                                        ; -- End function
	.section	.AMDGPU.csdata,"",@progbits
; Kernel info:
; codeLenInByte = 1100
; NumSgprs: 32
; NumVgprs: 24
; NumAgprs: 0
; TotalNumVgprs: 24
; ScratchSize: 0
; MemoryBound: 0
; FloatMode: 240
; IeeeMode: 1
; LDSByteSize: 0 bytes/workgroup (compile time only)
; SGPRBlocks: 3
; VGPRBlocks: 2
; NumSGPRsForWavesPerEU: 32
; NumVGPRsForWavesPerEU: 24
; AccumOffset: 24
; Occupancy: 8
; WaveLimiterHint : 0
; COMPUTE_PGM_RSRC2:SCRATCH_EN: 0
; COMPUTE_PGM_RSRC2:USER_SGPR: 6
; COMPUTE_PGM_RSRC2:TRAP_HANDLER: 0
; COMPUTE_PGM_RSRC2:TGID_X_EN: 1
; COMPUTE_PGM_RSRC2:TGID_Y_EN: 0
; COMPUTE_PGM_RSRC2:TGID_Z_EN: 0
; COMPUTE_PGM_RSRC2:TIDIG_COMP_CNT: 0
; COMPUTE_PGM_RSRC3_GFX90A:ACCUM_OFFSET: 5
; COMPUTE_PGM_RSRC3_GFX90A:TG_SPLIT: 0
	.section	.text._ZN2at6native12_GLOBAL__N_125multi_tensor_apply_kernelINS1_18TensorListMetadataILi1EEENS1_14UnaryOpFunctorIfLi1ELi1ELi0EEEJNS0_3AbsIfEEEEEvT_T0_DpT1_,"axG",@progbits,_ZN2at6native12_GLOBAL__N_125multi_tensor_apply_kernelINS1_18TensorListMetadataILi1EEENS1_14UnaryOpFunctorIfLi1ELi1ELi0EEEJNS0_3AbsIfEEEEEvT_T0_DpT1_,comdat
	.globl	_ZN2at6native12_GLOBAL__N_125multi_tensor_apply_kernelINS1_18TensorListMetadataILi1EEENS1_14UnaryOpFunctorIfLi1ELi1ELi0EEEJNS0_3AbsIfEEEEEvT_T0_DpT1_ ; -- Begin function _ZN2at6native12_GLOBAL__N_125multi_tensor_apply_kernelINS1_18TensorListMetadataILi1EEENS1_14UnaryOpFunctorIfLi1ELi1ELi0EEEJNS0_3AbsIfEEEEEvT_T0_DpT1_
	.p2align	8
	.type	_ZN2at6native12_GLOBAL__N_125multi_tensor_apply_kernelINS1_18TensorListMetadataILi1EEENS1_14UnaryOpFunctorIfLi1ELi1ELi0EEEJNS0_3AbsIfEEEEEvT_T0_DpT1_,@function
_ZN2at6native12_GLOBAL__N_125multi_tensor_apply_kernelINS1_18TensorListMetadataILi1EEENS1_14UnaryOpFunctorIfLi1ELi1ELi0EEEJNS0_3AbsIfEEEEEvT_T0_DpT1_: ; @_ZN2at6native12_GLOBAL__N_125multi_tensor_apply_kernelINS1_18TensorListMetadataILi1EEENS1_14UnaryOpFunctorIfLi1ELi1ELi0EEEJNS0_3AbsIfEEEEEvT_T0_DpT1_
; %bb.0:
	v_mov_b32_e32 v1, s6
	global_load_ubyte v1, v1, s[4:5] offset:1760
	s_add_u32 s0, s4, s6
	s_mul_hi_u32 s1, s6, 3
	s_mul_i32 s6, s6, 3
	s_addc_u32 s2, s5, 0
	s_add_u32 s0, s0, s6
	s_addc_u32 s1, s2, s1
	s_load_dword s0, s[0:1], 0x820
	s_mov_b32 s7, 0
	s_waitcnt vmcnt(0)
	v_readfirstlane_b32 s2, v1
	s_lshl_b32 s1, s2, 3
	s_load_dwordx2 s[2:3], s[4:5], s1 offset:0x370
	s_load_dwordx2 s[12:13], s[4:5], s1 offset:0x0
	s_waitcnt lgkmcnt(0)
	s_ashr_i32 s1, s0, 31
	s_lshl_b64 s[14:15], s[0:1], 18
	s_lshl_b64 s[0:1], s[0:1], 16
	s_and_b32 s6, s12, 15
	s_sub_u32 s10, s2, s0
	s_subb_u32 s11, s3, s1
	s_and_b32 s0, s2, 3
	s_mov_b32 s1, s7
	s_or_b64 s[0:1], s[6:7], s[0:1]
	s_cmp_eq_u64 s[0:1], 0
	s_cbranch_scc1 .LBB346_21
; %bb.1:
	v_cmp_lt_i64_e64 s[0:1], s[10:11], 1
	s_and_b64 vcc, exec, s[0:1]
	s_cbranch_vccnz .LBB346_20
; %bb.2:
	s_load_dword s0, s[4:5], 0xd3c
	v_mov_b32_e32 v2, 0x10000
	v_mov_b32_e32 v3, 0
	v_cmp_lt_u64_e32 vcc, s[10:11], v[2:3]
	v_lshlrev_b32_e32 v1, 2, v0
	s_waitcnt lgkmcnt(0)
	s_and_b32 s3, s0, 0xffff
	s_and_b64 s[0:1], vcc, exec
	s_cselect_b32 s17, s11, 0
	s_cselect_b32 s16, s10, 0x10000
	s_lshl_b32 s6, s3, 1
	s_lshl_b32 s22, s3, 2
	s_add_u32 s7, s12, s14
	s_addc_u32 s8, s13, s15
	v_mov_b32_e32 v5, s8
	v_add_co_u32_e32 v4, vcc, s7, v1
	s_mul_i32 s0, s3, 3
	v_addc_co_u32_e32 v5, vcc, 0, v5, vcc
	v_add_co_u32_e32 v1, vcc, s0, v0
	v_addc_co_u32_e64 v10, s[0:1], 0, 0, vcc
	v_add_co_u32_e32 v11, vcc, s6, v0
	v_addc_co_u32_e64 v12, s[0:1], 0, 0, vcc
	v_add_co_u32_e32 v13, vcc, s3, v0
	v_lshlrev_b32_e32 v6, 2, v13
	s_mov_b32 s2, 0
	v_addc_co_u32_e64 v14, s[0:1], 0, 0, vcc
	v_mov_b32_e32 v7, s8
	v_add_co_u32_e32 v6, vcc, s7, v6
	s_lshl_b32 s23, s3, 4
	s_mul_i32 s24, s3, 12
	s_mov_b32 s25, s2
	s_lshl_b32 s26, s3, 3
	s_mov_b32 s27, s2
	v_addc_co_u32_e32 v7, vcc, 0, v7, vcc
	s_mov_b64 s[18:19], 0
	v_pk_mov_b32 v[8:9], s[10:11], s[10:11] op_sel:[0,1]
	v_mov_b32_e32 v15, s2
	s_branch .LBB346_4
.LBB346_3:                              ;   in Loop: Header=BB346_4 Depth=1
	s_or_b64 exec, exec, s[0:1]
	s_add_u32 s18, s18, s22
	s_addc_u32 s19, s19, 0
	v_cmp_lt_i64_e32 vcc, s[18:19], v[8:9]
	v_cmp_lt_u64_e64 s[0:1], s[18:19], v[2:3]
	s_and_b64 s[0:1], vcc, s[0:1]
	v_add_co_u32_e32 v4, vcc, s23, v4
	v_addc_co_u32_e32 v5, vcc, v5, v15, vcc
	v_add_co_u32_e32 v6, vcc, s23, v6
	v_addc_co_u32_e32 v7, vcc, v7, v15, vcc
	s_and_b64 vcc, exec, s[0:1]
	s_cbranch_vccz .LBB346_20
.LBB346_4:                              ; =>This Inner Loop Header: Depth=1
	s_waitcnt vmcnt(0)
	v_mov_b32_e32 v17, s19
	v_add_co_u32_e32 v16, vcc, s18, v0
	v_addc_co_u32_e32 v17, vcc, 0, v17, vcc
	v_cmp_gt_u64_e32 vcc, s[16:17], v[16:17]
	v_mov_b32_e32 v16, 0
	s_and_saveexec_b64 s[0:1], vcc
	s_cbranch_execz .LBB346_6
; %bb.5:                                ;   in Loop: Header=BB346_4 Depth=1
	global_load_dword v16, v[4:5], off
.LBB346_6:                              ;   in Loop: Header=BB346_4 Depth=1
	s_or_b64 exec, exec, s[0:1]
	v_mov_b32_e32 v17, s19
	v_add_co_u32_e64 v18, s[0:1], s18, v13
	v_addc_co_u32_e64 v19, s[0:1], v14, v17, s[0:1]
	v_cmp_gt_u64_e64 s[0:1], s[16:17], v[18:19]
	v_mov_b32_e32 v18, 0
	s_and_saveexec_b64 s[2:3], s[0:1]
	s_cbranch_execz .LBB346_8
; %bb.7:                                ;   in Loop: Header=BB346_4 Depth=1
	global_load_dword v18, v[6:7], off
.LBB346_8:                              ;   in Loop: Header=BB346_4 Depth=1
	s_or_b64 exec, exec, s[2:3]
	v_mov_b32_e32 v17, s19
	v_add_co_u32_e64 v20, s[2:3], s18, v11
	v_addc_co_u32_e64 v21, s[2:3], v12, v17, s[2:3]
	v_cmp_gt_u64_e64 s[2:3], s[16:17], v[20:21]
	v_mov_b32_e32 v17, 0
	v_mov_b32_e32 v19, 0
	s_and_saveexec_b64 s[8:9], s[2:3]
	s_cbranch_execz .LBB346_10
; %bb.9:                                ;   in Loop: Header=BB346_4 Depth=1
	v_mov_b32_e32 v19, s27
	v_add_co_u32_e64 v20, s[6:7], s26, v4
	v_addc_co_u32_e64 v21, s[6:7], v5, v19, s[6:7]
	global_load_dword v19, v[20:21], off
.LBB346_10:                             ;   in Loop: Header=BB346_4 Depth=1
	s_or_b64 exec, exec, s[8:9]
	v_mov_b32_e32 v21, s19
	v_add_co_u32_e64 v20, s[6:7], s18, v1
	v_addc_co_u32_e64 v21, s[6:7], v10, v21, s[6:7]
	v_cmp_gt_u64_e64 s[6:7], s[16:17], v[20:21]
	s_and_saveexec_b64 s[20:21], s[6:7]
	s_cbranch_execnz .LBB346_15
; %bb.11:                               ;   in Loop: Header=BB346_4 Depth=1
	s_or_b64 exec, exec, s[20:21]
	s_and_saveexec_b64 s[8:9], vcc
	s_cbranch_execnz .LBB346_16
.LBB346_12:                             ;   in Loop: Header=BB346_4 Depth=1
	s_or_b64 exec, exec, s[8:9]
	s_and_saveexec_b64 s[8:9], s[0:1]
	s_cbranch_execnz .LBB346_17
.LBB346_13:                             ;   in Loop: Header=BB346_4 Depth=1
	s_or_b64 exec, exec, s[8:9]
	s_and_saveexec_b64 s[0:1], s[2:3]
	s_cbranch_execnz .LBB346_18
.LBB346_14:                             ;   in Loop: Header=BB346_4 Depth=1
	s_or_b64 exec, exec, s[0:1]
	s_and_saveexec_b64 s[0:1], s[6:7]
	s_cbranch_execz .LBB346_3
	s_branch .LBB346_19
.LBB346_15:                             ;   in Loop: Header=BB346_4 Depth=1
	v_mov_b32_e32 v17, s25
	v_add_co_u32_e64 v20, s[8:9], s24, v4
	v_addc_co_u32_e64 v21, s[8:9], v5, v17, s[8:9]
	global_load_dword v17, v[20:21], off
	s_or_b64 exec, exec, s[20:21]
	s_and_saveexec_b64 s[8:9], vcc
	s_cbranch_execz .LBB346_12
.LBB346_16:                             ;   in Loop: Header=BB346_4 Depth=1
	s_waitcnt vmcnt(0)
	v_and_b32_e32 v16, 0x7fffffff, v16
	global_store_dword v[4:5], v16, off
	s_or_b64 exec, exec, s[8:9]
	s_and_saveexec_b64 s[8:9], s[0:1]
	s_cbranch_execz .LBB346_13
.LBB346_17:                             ;   in Loop: Header=BB346_4 Depth=1
	s_waitcnt vmcnt(0)
	v_and_b32_e32 v16, 0x7fffffff, v18
	global_store_dword v[6:7], v16, off
	s_or_b64 exec, exec, s[8:9]
	s_and_saveexec_b64 s[0:1], s[2:3]
	s_cbranch_execz .LBB346_14
.LBB346_18:                             ;   in Loop: Header=BB346_4 Depth=1
	s_waitcnt vmcnt(0)
	v_and_b32_e32 v16, 0x7fffffff, v19
	v_mov_b32_e32 v19, s27
	v_add_co_u32_e32 v18, vcc, s26, v4
	v_addc_co_u32_e32 v19, vcc, v5, v19, vcc
	global_store_dword v[18:19], v16, off
	s_or_b64 exec, exec, s[0:1]
	s_and_saveexec_b64 s[0:1], s[6:7]
	s_cbranch_execz .LBB346_3
.LBB346_19:                             ;   in Loop: Header=BB346_4 Depth=1
	s_waitcnt vmcnt(0)
	v_and_b32_e32 v18, 0x7fffffff, v17
	v_mov_b32_e32 v17, s25
	v_add_co_u32_e32 v16, vcc, s24, v4
	v_addc_co_u32_e32 v17, vcc, v5, v17, vcc
	global_store_dword v[16:17], v18, off
	s_branch .LBB346_3
.LBB346_20:
	s_cbranch_execz .LBB346_22
	s_branch .LBB346_25
.LBB346_21:
.LBB346_22:
	v_mov_b32_e32 v3, 0
	v_lshlrev_b32_e32 v2, 2, v0
	s_mov_b32 s0, 0
	v_cmp_gt_i64_e32 vcc, s[10:11], v[2:3]
	s_and_saveexec_b64 s[2:3], vcc
	s_cbranch_execz .LBB346_25
; %bb.23:
	s_load_dword s1, s[4:5], 0xd3c
	v_lshlrev_b32_e32 v1, 4, v0
	s_mov_b64 s[4:5], 0xffff
	s_waitcnt lgkmcnt(0)
	s_and_b32 s1, s1, 0xffff
	s_add_u32 s2, s12, s14
	s_addc_u32 s3, s13, s15
	v_mov_b32_e32 v2, s3
	v_add_co_u32_e32 v1, vcc, s2, v1
	v_addc_co_u32_e32 v2, vcc, 0, v2, vcc
	v_add_co_u32_e32 v4, vcc, 8, v1
	v_addc_co_u32_e32 v5, vcc, 0, v2, vcc
	s_lshl_b32 s6, s1, 4
	v_add_lshl_u32 v2, v0, s1, 2
	s_lshl_b32 s7, s1, 2
	s_mov_b64 s[2:3], 0
	v_mov_b32_e32 v0, s0
	v_mov_b32_e32 v1, s0
.LBB346_24:                             ; =>This Inner Loop Header: Depth=1
	global_load_dwordx4 v[6:9], v[4:5], off offset:-8
	v_cmp_le_i64_e32 vcc, s[10:11], v[2:3]
	v_cmp_lt_u64_e64 s[0:1], s[4:5], v[2:3]
	s_or_b64 s[0:1], vcc, s[0:1]
	s_and_b64 s[0:1], exec, s[0:1]
	s_or_b64 s[2:3], s[0:1], s[2:3]
	s_waitcnt vmcnt(0)
	v_and_b32_e32 v7, 0x7fffffff, v7
	v_and_b32_e32 v6, 0x7fffffff, v6
	;; [unrolled: 1-line block ×4, first 2 shown]
	global_store_dwordx4 v[4:5], v[6:9], off offset:-8
	v_add_co_u32_e32 v4, vcc, s6, v4
	v_addc_co_u32_e32 v5, vcc, v5, v0, vcc
	v_add_co_u32_e32 v2, vcc, s7, v2
	v_addc_co_u32_e32 v3, vcc, v3, v1, vcc
	s_andn2_b64 exec, exec, s[2:3]
	s_cbranch_execnz .LBB346_24
.LBB346_25:
	s_endpgm
	.section	.rodata,"a",@progbits
	.p2align	6, 0x0
	.amdhsa_kernel _ZN2at6native12_GLOBAL__N_125multi_tensor_apply_kernelINS1_18TensorListMetadataILi1EEENS1_14UnaryOpFunctorIfLi1ELi1ELi0EEEJNS0_3AbsIfEEEEEvT_T0_DpT1_
		.amdhsa_group_segment_fixed_size 0
		.amdhsa_private_segment_fixed_size 0
		.amdhsa_kernarg_size 3632
		.amdhsa_user_sgpr_count 6
		.amdhsa_user_sgpr_private_segment_buffer 1
		.amdhsa_user_sgpr_dispatch_ptr 0
		.amdhsa_user_sgpr_queue_ptr 0
		.amdhsa_user_sgpr_kernarg_segment_ptr 1
		.amdhsa_user_sgpr_dispatch_id 0
		.amdhsa_user_sgpr_flat_scratch_init 0
		.amdhsa_user_sgpr_kernarg_preload_length 0
		.amdhsa_user_sgpr_kernarg_preload_offset 0
		.amdhsa_user_sgpr_private_segment_size 0
		.amdhsa_uses_dynamic_stack 0
		.amdhsa_system_sgpr_private_segment_wavefront_offset 0
		.amdhsa_system_sgpr_workgroup_id_x 1
		.amdhsa_system_sgpr_workgroup_id_y 0
		.amdhsa_system_sgpr_workgroup_id_z 0
		.amdhsa_system_sgpr_workgroup_info 0
		.amdhsa_system_vgpr_workitem_id 0
		.amdhsa_next_free_vgpr 22
		.amdhsa_next_free_sgpr 28
		.amdhsa_accum_offset 24
		.amdhsa_reserve_vcc 1
		.amdhsa_reserve_flat_scratch 0
		.amdhsa_float_round_mode_32 0
		.amdhsa_float_round_mode_16_64 0
		.amdhsa_float_denorm_mode_32 3
		.amdhsa_float_denorm_mode_16_64 3
		.amdhsa_dx10_clamp 1
		.amdhsa_ieee_mode 1
		.amdhsa_fp16_overflow 0
		.amdhsa_tg_split 0
		.amdhsa_exception_fp_ieee_invalid_op 0
		.amdhsa_exception_fp_denorm_src 0
		.amdhsa_exception_fp_ieee_div_zero 0
		.amdhsa_exception_fp_ieee_overflow 0
		.amdhsa_exception_fp_ieee_underflow 0
		.amdhsa_exception_fp_ieee_inexact 0
		.amdhsa_exception_int_div_zero 0
	.end_amdhsa_kernel
	.section	.text._ZN2at6native12_GLOBAL__N_125multi_tensor_apply_kernelINS1_18TensorListMetadataILi1EEENS1_14UnaryOpFunctorIfLi1ELi1ELi0EEEJNS0_3AbsIfEEEEEvT_T0_DpT1_,"axG",@progbits,_ZN2at6native12_GLOBAL__N_125multi_tensor_apply_kernelINS1_18TensorListMetadataILi1EEENS1_14UnaryOpFunctorIfLi1ELi1ELi0EEEJNS0_3AbsIfEEEEEvT_T0_DpT1_,comdat
.Lfunc_end346:
	.size	_ZN2at6native12_GLOBAL__N_125multi_tensor_apply_kernelINS1_18TensorListMetadataILi1EEENS1_14UnaryOpFunctorIfLi1ELi1ELi0EEEJNS0_3AbsIfEEEEEvT_T0_DpT1_, .Lfunc_end346-_ZN2at6native12_GLOBAL__N_125multi_tensor_apply_kernelINS1_18TensorListMetadataILi1EEENS1_14UnaryOpFunctorIfLi1ELi1ELi0EEEJNS0_3AbsIfEEEEEvT_T0_DpT1_
                                        ; -- End function
	.section	.AMDGPU.csdata,"",@progbits
; Kernel info:
; codeLenInByte = 1044
; NumSgprs: 32
; NumVgprs: 22
; NumAgprs: 0
; TotalNumVgprs: 22
; ScratchSize: 0
; MemoryBound: 0
; FloatMode: 240
; IeeeMode: 1
; LDSByteSize: 0 bytes/workgroup (compile time only)
; SGPRBlocks: 3
; VGPRBlocks: 2
; NumSGPRsForWavesPerEU: 32
; NumVGPRsForWavesPerEU: 22
; AccumOffset: 24
; Occupancy: 8
; WaveLimiterHint : 0
; COMPUTE_PGM_RSRC2:SCRATCH_EN: 0
; COMPUTE_PGM_RSRC2:USER_SGPR: 6
; COMPUTE_PGM_RSRC2:TRAP_HANDLER: 0
; COMPUTE_PGM_RSRC2:TGID_X_EN: 1
; COMPUTE_PGM_RSRC2:TGID_Y_EN: 0
; COMPUTE_PGM_RSRC2:TGID_Z_EN: 0
; COMPUTE_PGM_RSRC2:TIDIG_COMP_CNT: 0
; COMPUTE_PGM_RSRC3_GFX90A:ACCUM_OFFSET: 5
; COMPUTE_PGM_RSRC3_GFX90A:TG_SPLIT: 0
	.section	.text._ZN2at6native12_GLOBAL__N_125multi_tensor_apply_kernelINS1_18TensorListMetadataILi1EEENS1_14UnaryOpFunctorIN3c107complexIdEELi1ELi1ELi0EEEJNS0_3AbsIS8_EEEEEvT_T0_DpT1_,"axG",@progbits,_ZN2at6native12_GLOBAL__N_125multi_tensor_apply_kernelINS1_18TensorListMetadataILi1EEENS1_14UnaryOpFunctorIN3c107complexIdEELi1ELi1ELi0EEEJNS0_3AbsIS8_EEEEEvT_T0_DpT1_,comdat
	.globl	_ZN2at6native12_GLOBAL__N_125multi_tensor_apply_kernelINS1_18TensorListMetadataILi1EEENS1_14UnaryOpFunctorIN3c107complexIdEELi1ELi1ELi0EEEJNS0_3AbsIS8_EEEEEvT_T0_DpT1_ ; -- Begin function _ZN2at6native12_GLOBAL__N_125multi_tensor_apply_kernelINS1_18TensorListMetadataILi1EEENS1_14UnaryOpFunctorIN3c107complexIdEELi1ELi1ELi0EEEJNS0_3AbsIS8_EEEEEvT_T0_DpT1_
	.p2align	8
	.type	_ZN2at6native12_GLOBAL__N_125multi_tensor_apply_kernelINS1_18TensorListMetadataILi1EEENS1_14UnaryOpFunctorIN3c107complexIdEELi1ELi1ELi0EEEJNS0_3AbsIS8_EEEEEvT_T0_DpT1_,@function
_ZN2at6native12_GLOBAL__N_125multi_tensor_apply_kernelINS1_18TensorListMetadataILi1EEENS1_14UnaryOpFunctorIN3c107complexIdEELi1ELi1ELi0EEEJNS0_3AbsIS8_EEEEEvT_T0_DpT1_: ; @_ZN2at6native12_GLOBAL__N_125multi_tensor_apply_kernelINS1_18TensorListMetadataILi1EEENS1_14UnaryOpFunctorIN3c107complexIdEELi1ELi1ELi0EEEJNS0_3AbsIS8_EEEEEvT_T0_DpT1_
; %bb.0:
	v_mov_b32_e32 v1, s6
	global_load_ubyte v1, v1, s[4:5] offset:1760
	s_add_u32 s0, s4, s6
	s_mul_hi_u32 s1, s6, 3
	s_mul_i32 s6, s6, 3
	s_addc_u32 s2, s5, 0
	s_add_u32 s0, s0, s6
	s_addc_u32 s1, s2, s1
	s_load_dword s0, s[0:1], 0x820
	s_mov_b32 s7, 0
	s_waitcnt vmcnt(0)
	v_readfirstlane_b32 s1, v1
	s_lshl_b32 s1, s1, 3
	s_load_dwordx2 s[12:13], s[4:5], s1 offset:0x0
	s_load_dwordx2 s[2:3], s[4:5], s1 offset:0x370
	s_waitcnt lgkmcnt(0)
	s_ashr_i32 s1, s0, 31
	s_lshl_b64 s[14:15], s[0:1], 20
	s_add_u32 s22, s12, s14
	s_addc_u32 s23, s13, s15
	s_lshl_b64 s[0:1], s[0:1], 16
	s_and_b32 s6, s22, 63
	s_sub_u32 s10, s2, s0
	s_subb_u32 s11, s3, s1
	s_and_b32 s0, s2, 3
	s_mov_b32 s1, s7
	s_or_b64 s[0:1], s[6:7], s[0:1]
	s_cmp_eq_u64 s[0:1], 0
	s_cbranch_scc1 .LBB347_21
; %bb.1:
	v_cmp_lt_i64_e64 s[0:1], s[10:11], 1
	s_and_b64 vcc, exec, s[0:1]
	s_cbranch_vccnz .LBB347_20
; %bb.2:
	s_load_dword s0, s[4:5], 0xd3c
	v_mov_b32_e32 v2, 0x10000
	v_mov_b32_e32 v3, 0
	;; [unrolled: 1-line block ×3, first 2 shown]
	v_cmp_lt_u64_e32 vcc, s[10:11], v[2:3]
	s_waitcnt lgkmcnt(0)
	s_and_b32 s2, s0, 0xffff
	s_and_b64 s[0:1], vcc, exec
	s_mul_i32 s6, s2, 3
	v_lshlrev_b32_e32 v22, 4, v0
	v_mov_b32_e32 v23, v4
	v_add_co_u32_e32 v27, vcc, s2, v0
	v_addc_co_u32_e64 v29, s[0:1], 0, 0, vcc
	v_mad_u64_u32 v[24:25], s[0:1], s2, 48, v[22:23]
	v_add_co_u32_e32 v23, vcc, s6, v0
	v_addc_co_u32_e64 v30, s[0:1], 0, 0, vcc
	s_cselect_b32 s17, s11, 0
	s_cselect_b32 s16, s10, 0x10000
	s_lshl_b32 s0, s2, 5
	s_lshl_b32 s3, s2, 1
	v_add_co_u32_e32 v2, vcc, s0, v22
	v_addc_co_u32_e64 v1, s[0:1], 0, 0, vcc
	v_add_co_u32_e32 v31, vcc, s3, v0
	s_lshl_b32 s24, s2, 2
	s_lshl_b32 s25, s2, 6
	v_or_b32_e32 v24, 8, v24
	v_lshlrev_b32_e32 v26, 4, v27
	v_or_b32_e32 v28, 8, v2
	v_addc_co_u32_e64 v32, s[0:1], 0, 0, vcc
	s_mov_b64 s[18:19], 0
	s_movk_i32 s26, 0x204
	v_mov_b32_e32 v33, 0x7ff80000
	v_mov_b32_e32 v34, 0x7ff00000
	s_branch .LBB347_4
.LBB347_3:                              ;   in Loop: Header=BB347_4 Depth=1
	s_or_b64 exec, exec, s[0:1]
	s_add_u32 s18, s18, s24
	s_addc_u32 s19, s19, 0
	v_pk_mov_b32 v[2:3], s[10:11], s[10:11] op_sel:[0,1]
	v_cmp_lt_i64_e32 vcc, s[18:19], v[2:3]
	v_mov_b32_e32 v2, 0x10000
	v_mov_b32_e32 v3, 0
	v_cmp_lt_u64_e64 s[0:1], s[18:19], v[2:3]
	s_and_b64 s[0:1], vcc, s[0:1]
	s_add_u32 s22, s22, s25
	s_addc_u32 s23, s23, 0
	s_and_b64 vcc, exec, s[0:1]
	s_cbranch_vccz .LBB347_20
.LBB347_4:                              ; =>This Inner Loop Header: Depth=1
	v_mov_b32_e32 v3, s19
	v_add_co_u32_e32 v2, vcc, s18, v0
	v_addc_co_u32_e32 v3, vcc, 0, v3, vcc
	s_waitcnt vmcnt(0)
	v_pk_mov_b32 v[12:13], 0, 0
	v_cmp_gt_u64_e64 s[6:7], s[16:17], v[2:3]
	v_pk_mov_b32 v[20:21], v[12:13], v[12:13] op_sel:[0,1]
	v_pk_mov_b32 v[18:19], v[12:13], v[12:13] op_sel:[0,1]
	s_and_saveexec_b64 s[0:1], s[6:7]
	s_cbranch_execz .LBB347_6
; %bb.5:                                ;   in Loop: Header=BB347_4 Depth=1
	v_mov_b32_e32 v3, s23
	v_add_co_u32_e32 v2, vcc, s22, v22
	v_addc_co_u32_e32 v3, vcc, 0, v3, vcc
	global_load_dwordx4 v[18:21], v[2:3], off
.LBB347_6:                              ;   in Loop: Header=BB347_4 Depth=1
	s_or_b64 exec, exec, s[0:1]
	v_mov_b32_e32 v3, s19
	v_add_co_u32_e32 v2, vcc, s18, v27
	v_addc_co_u32_e32 v3, vcc, v29, v3, vcc
	v_cmp_gt_u64_e64 s[2:3], s[16:17], v[2:3]
	v_pk_mov_b32 v[10:11], v[12:13], v[12:13] op_sel:[0,1]
	s_and_saveexec_b64 s[0:1], s[2:3]
	s_cbranch_execz .LBB347_8
; %bb.7:                                ;   in Loop: Header=BB347_4 Depth=1
	v_mov_b32_e32 v3, s23
	v_add_co_u32_e32 v2, vcc, s22, v26
	v_addc_co_u32_e32 v3, vcc, 0, v3, vcc
	global_load_dwordx4 v[10:13], v[2:3], off
.LBB347_8:                              ;   in Loop: Header=BB347_4 Depth=1
	s_or_b64 exec, exec, s[0:1]
	v_mov_b32_e32 v3, s19
	v_add_co_u32_e32 v2, vcc, s18, v31
	v_addc_co_u32_e32 v3, vcc, v32, v3, vcc
	v_pk_mov_b32 v[8:9], 0, 0
	v_cmp_gt_u64_e64 s[0:1], s[16:17], v[2:3]
	v_pk_mov_b32 v[16:17], v[8:9], v[8:9] op_sel:[0,1]
	v_pk_mov_b32 v[14:15], v[8:9], v[8:9] op_sel:[0,1]
	s_and_saveexec_b64 s[8:9], s[0:1]
	s_cbranch_execz .LBB347_10
; %bb.9:                                ;   in Loop: Header=BB347_4 Depth=1
	v_mov_b32_e32 v3, s23
	v_add_co_u32_e32 v2, vcc, s22, v28
	v_addc_co_u32_e32 v3, vcc, v3, v1, vcc
	global_load_dwordx4 v[14:17], v[2:3], off offset:-8
.LBB347_10:                             ;   in Loop: Header=BB347_4 Depth=1
	s_or_b64 exec, exec, s[8:9]
	v_mov_b32_e32 v3, s19
	v_add_co_u32_e32 v2, vcc, s18, v23
	v_addc_co_u32_e32 v3, vcc, v30, v3, vcc
	v_cmp_gt_u64_e32 vcc, s[16:17], v[2:3]
	v_pk_mov_b32 v[6:7], v[8:9], v[8:9] op_sel:[0,1]
	s_and_saveexec_b64 s[20:21], vcc
	s_cbranch_execnz .LBB347_15
; %bb.11:                               ;   in Loop: Header=BB347_4 Depth=1
	s_or_b64 exec, exec, s[20:21]
	s_and_saveexec_b64 s[8:9], s[6:7]
	s_cbranch_execnz .LBB347_16
.LBB347_12:                             ;   in Loop: Header=BB347_4 Depth=1
	s_or_b64 exec, exec, s[8:9]
	s_and_saveexec_b64 s[6:7], s[2:3]
	s_cbranch_execnz .LBB347_17
.LBB347_13:                             ;   in Loop: Header=BB347_4 Depth=1
	s_or_b64 exec, exec, s[6:7]
	s_and_saveexec_b64 s[2:3], s[0:1]
	s_cbranch_execnz .LBB347_18
.LBB347_14:                             ;   in Loop: Header=BB347_4 Depth=1
	s_or_b64 exec, exec, s[2:3]
	s_and_saveexec_b64 s[0:1], vcc
	s_cbranch_execz .LBB347_3
	s_branch .LBB347_19
.LBB347_15:                             ;   in Loop: Header=BB347_4 Depth=1
	v_mov_b32_e32 v3, s23
	v_add_co_u32_e64 v2, s[8:9], s22, v24
	v_addc_co_u32_e64 v3, s[8:9], v3, v25, s[8:9]
	global_load_dwordx4 v[6:9], v[2:3], off offset:-8
	s_or_b64 exec, exec, s[20:21]
	s_and_saveexec_b64 s[8:9], s[6:7]
	s_cbranch_execz .LBB347_12
.LBB347_16:                             ;   in Loop: Header=BB347_4 Depth=1
	s_waitcnt vmcnt(0)
	v_max_f64 v[2:3], |v[20:21]|, |v[20:21]|
	v_max_f64 v[36:37], |v[18:19]|, |v[18:19]|
	v_max_f64 v[2:3], v[36:37], v[2:3]
	v_frexp_exp_i32_f64_e32 v5, v[2:3]
	v_sub_u32_e32 v35, 0, v5
	v_ldexp_f64 v[36:37], |v[20:21]|, v35
	v_ldexp_f64 v[2:3], |v[18:19]|, v35
	v_mul_f64 v[36:37], v[36:37], v[36:37]
	v_fmac_f64_e32 v[36:37], v[2:3], v[2:3]
	v_rsq_f64_e32 v[2:3], v[36:37]
	v_cmp_eq_f64_e64 s[6:7], 0, v[36:37]
	v_cmp_class_f64_e64 s[20:21], v[18:19], s26
	v_cmp_class_f64_e64 s[28:29], v[20:21], s26
	v_mul_f64 v[38:39], v[36:37], v[2:3]
	v_mul_f64 v[2:3], v[2:3], 0.5
	v_fma_f64 v[40:41], -v[2:3], v[38:39], 0.5
	v_fmac_f64_e32 v[38:39], v[38:39], v[40:41]
	v_fma_f64 v[42:43], -v[38:39], v[38:39], v[36:37]
	v_fmac_f64_e32 v[2:3], v[2:3], v[40:41]
	v_fmac_f64_e32 v[38:39], v[42:43], v[2:3]
	v_cndmask_b32_e64 v3, v39, v37, s[6:7]
	v_cndmask_b32_e64 v2, v38, v36, s[6:7]
	v_ldexp_f64 v[2:3], v[2:3], v5
	v_cmp_o_f64_e64 s[6:7], v[18:19], v[20:21]
	v_cndmask_b32_e64 v2, 0, v2, s[6:7]
	v_cndmask_b32_e64 v3, v33, v3, s[6:7]
	s_or_b64 s[6:7], s[28:29], s[20:21]
	v_cndmask_b32_e64 v3, v3, v34, s[6:7]
	v_cndmask_b32_e64 v2, v2, 0, s[6:7]
	v_mov_b32_e32 v5, s23
	v_add_co_u32_e64 v18, s[6:7], s22, v22
	v_addc_co_u32_e64 v19, s[6:7], 0, v5, s[6:7]
	v_mov_b32_e32 v5, v4
	global_store_dwordx4 v[18:19], v[2:5], off
	s_or_b64 exec, exec, s[8:9]
	s_and_saveexec_b64 s[6:7], s[2:3]
	s_cbranch_execz .LBB347_13
.LBB347_17:                             ;   in Loop: Header=BB347_4 Depth=1
	s_waitcnt vmcnt(0)
	v_max_f64 v[2:3], |v[12:13]|, |v[12:13]|
	v_max_f64 v[18:19], |v[10:11]|, |v[10:11]|
	v_max_f64 v[2:3], v[18:19], v[2:3]
	v_frexp_exp_i32_f64_e32 v5, v[2:3]
	v_sub_u32_e32 v18, 0, v5
	v_ldexp_f64 v[2:3], |v[10:11]|, v18
	v_ldexp_f64 v[18:19], |v[12:13]|, v18
	v_mul_f64 v[18:19], v[18:19], v[18:19]
	v_fmac_f64_e32 v[18:19], v[2:3], v[2:3]
	v_rsq_f64_e32 v[2:3], v[18:19]
	v_cmp_eq_f64_e64 s[2:3], 0, v[18:19]
	v_cmp_class_f64_e64 s[8:9], v[12:13], s26
	v_mul_f64 v[20:21], v[18:19], v[2:3]
	v_mul_f64 v[2:3], v[2:3], 0.5
	v_fma_f64 v[36:37], -v[2:3], v[20:21], 0.5
	v_fmac_f64_e32 v[20:21], v[20:21], v[36:37]
	v_fmac_f64_e32 v[2:3], v[2:3], v[36:37]
	v_fma_f64 v[36:37], -v[20:21], v[20:21], v[18:19]
	v_fmac_f64_e32 v[20:21], v[36:37], v[2:3]
	v_cndmask_b32_e64 v3, v21, v19, s[2:3]
	v_cndmask_b32_e64 v2, v20, v18, s[2:3]
	v_ldexp_f64 v[2:3], v[2:3], v5
	v_cmp_o_f64_e64 s[2:3], v[10:11], v[12:13]
	v_cndmask_b32_e64 v2, 0, v2, s[2:3]
	v_cndmask_b32_e64 v3, v33, v3, s[2:3]
	v_cmp_class_f64_e64 s[2:3], v[10:11], s26
	s_or_b64 s[2:3], s[8:9], s[2:3]
	v_cndmask_b32_e64 v3, v3, v34, s[2:3]
	v_cndmask_b32_e64 v2, v2, 0, s[2:3]
	v_mov_b32_e32 v5, s23
	v_add_co_u32_e64 v10, s[2:3], s22, v26
	v_addc_co_u32_e64 v11, s[2:3], 0, v5, s[2:3]
	v_mov_b32_e32 v5, v4
	global_store_dwordx4 v[10:11], v[2:5], off
	s_or_b64 exec, exec, s[6:7]
	s_and_saveexec_b64 s[2:3], s[0:1]
	s_cbranch_execz .LBB347_14
.LBB347_18:                             ;   in Loop: Header=BB347_4 Depth=1
	s_waitcnt vmcnt(0)
	v_max_f64 v[2:3], |v[16:17]|, |v[16:17]|
	v_max_f64 v[10:11], |v[14:15]|, |v[14:15]|
	v_max_f64 v[2:3], v[10:11], v[2:3]
	v_frexp_exp_i32_f64_e32 v5, v[2:3]
	v_sub_u32_e32 v10, 0, v5
	v_ldexp_f64 v[2:3], |v[14:15]|, v10
	v_ldexp_f64 v[10:11], |v[16:17]|, v10
	v_mul_f64 v[10:11], v[10:11], v[10:11]
	v_fmac_f64_e32 v[10:11], v[2:3], v[2:3]
	v_rsq_f64_e32 v[2:3], v[10:11]
	v_cmp_eq_f64_e64 s[0:1], 0, v[10:11]
	v_cmp_class_f64_e64 s[6:7], v[16:17], s26
	v_mul_f64 v[12:13], v[10:11], v[2:3]
	v_mul_f64 v[2:3], v[2:3], 0.5
	v_fma_f64 v[18:19], -v[2:3], v[12:13], 0.5
	v_fmac_f64_e32 v[12:13], v[12:13], v[18:19]
	v_fmac_f64_e32 v[2:3], v[2:3], v[18:19]
	v_fma_f64 v[18:19], -v[12:13], v[12:13], v[10:11]
	v_fmac_f64_e32 v[12:13], v[18:19], v[2:3]
	v_cndmask_b32_e64 v3, v13, v11, s[0:1]
	v_cndmask_b32_e64 v2, v12, v10, s[0:1]
	v_ldexp_f64 v[2:3], v[2:3], v5
	v_cmp_o_f64_e64 s[0:1], v[14:15], v[16:17]
	v_cndmask_b32_e64 v2, 0, v2, s[0:1]
	v_cndmask_b32_e64 v3, v33, v3, s[0:1]
	v_cmp_class_f64_e64 s[0:1], v[14:15], s26
	s_or_b64 s[0:1], s[6:7], s[0:1]
	v_cndmask_b32_e64 v3, v3, v34, s[0:1]
	v_cndmask_b32_e64 v2, v2, 0, s[0:1]
	v_mov_b32_e32 v5, s23
	v_add_co_u32_e64 v10, s[0:1], s22, v28
	v_addc_co_u32_e64 v11, s[0:1], v5, v1, s[0:1]
	v_mov_b32_e32 v5, v4
	global_store_dwordx4 v[10:11], v[2:5], off offset:-8
	s_or_b64 exec, exec, s[2:3]
	s_and_saveexec_b64 s[0:1], vcc
	s_cbranch_execz .LBB347_3
.LBB347_19:                             ;   in Loop: Header=BB347_4 Depth=1
	s_waitcnt vmcnt(0)
	v_max_f64 v[2:3], |v[8:9]|, |v[8:9]|
	v_max_f64 v[10:11], |v[6:7]|, |v[6:7]|
	v_max_f64 v[2:3], v[10:11], v[2:3]
	v_frexp_exp_i32_f64_e32 v5, v[2:3]
	v_sub_u32_e32 v10, 0, v5
	v_ldexp_f64 v[2:3], |v[6:7]|, v10
	v_ldexp_f64 v[10:11], |v[8:9]|, v10
	v_mul_f64 v[10:11], v[10:11], v[10:11]
	v_fmac_f64_e32 v[10:11], v[2:3], v[2:3]
	v_rsq_f64_e32 v[2:3], v[10:11]
	v_cmp_eq_f64_e32 vcc, 0, v[10:11]
	v_cmp_class_f64_e64 s[2:3], v[6:7], s26
	v_cmp_class_f64_e64 s[6:7], v[8:9], s26
	v_mul_f64 v[12:13], v[10:11], v[2:3]
	v_mul_f64 v[2:3], v[2:3], 0.5
	v_fma_f64 v[14:15], -v[2:3], v[12:13], 0.5
	v_fmac_f64_e32 v[12:13], v[12:13], v[14:15]
	v_fmac_f64_e32 v[2:3], v[2:3], v[14:15]
	v_fma_f64 v[14:15], -v[12:13], v[12:13], v[10:11]
	v_fmac_f64_e32 v[12:13], v[14:15], v[2:3]
	v_cndmask_b32_e32 v3, v13, v11, vcc
	v_cndmask_b32_e32 v2, v12, v10, vcc
	v_ldexp_f64 v[2:3], v[2:3], v5
	v_cmp_o_f64_e32 vcc, v[6:7], v[8:9]
	v_cndmask_b32_e32 v2, 0, v2, vcc
	v_cndmask_b32_e32 v3, v33, v3, vcc
	s_or_b64 vcc, s[6:7], s[2:3]
	v_cndmask_b32_e32 v3, v3, v34, vcc
	v_cndmask_b32_e64 v2, v2, 0, vcc
	v_mov_b32_e32 v5, s23
	v_add_co_u32_e32 v6, vcc, s22, v24
	v_addc_co_u32_e32 v7, vcc, v5, v25, vcc
	v_mov_b32_e32 v5, v4
	global_store_dwordx4 v[6:7], v[2:5], off offset:-8
	s_branch .LBB347_3
.LBB347_20:
	s_cbranch_execz .LBB347_22
	s_branch .LBB347_25
.LBB347_21:
.LBB347_22:
	v_mov_b32_e32 v2, 0
	v_lshlrev_b32_e32 v4, 2, v0
	v_mov_b32_e32 v5, v2
	s_mov_b32 s0, 0
	v_cmp_gt_i64_e32 vcc, s[10:11], v[4:5]
	s_and_saveexec_b64 s[2:3], vcc
	s_cbranch_execz .LBB347_25
; %bb.23:
	s_load_dword s1, s[4:5], 0xd3c
	v_lshlrev_b32_e32 v1, 6, v0
	v_mov_b32_e32 v5, v2
	s_waitcnt vmcnt(0)
	v_mov_b32_e32 v8, 0x7ff80000
	v_mov_b32_e32 v9, 0x7ff00000
	s_waitcnt lgkmcnt(0)
	s_and_b32 s1, s1, 0xffff
	s_lshl_b32 s16, s1, 2
	s_add_u32 s2, s12, s14
	s_addc_u32 s3, s13, s15
	v_add_lshl_u32 v4, v0, s1, 2
	v_mov_b32_e32 v0, s3
	v_add_co_u32_e32 v6, vcc, s2, v1
	v_addc_co_u32_e32 v7, vcc, 0, v0, vcc
	s_lshl_b32 s14, s1, 6
	s_mov_b64 s[2:3], 0
	s_movk_i32 s15, 0x204
	s_mov_b64 s[4:5], 0xffff
	v_mov_b32_e32 v10, s0
	v_mov_b32_e32 v11, s0
.LBB347_24:                             ; =>This Inner Loop Header: Depth=1
	global_load_dwordx4 v[12:15], v[6:7], off
	global_load_dwordx4 v[16:19], v[6:7], off offset:16
	global_load_dwordx4 v[20:23], v[6:7], off offset:32
	;; [unrolled: 1-line block ×3, first 2 shown]
	s_waitcnt vmcnt(3)
	v_max_f64 v[0:1], |v[14:15]|, |v[14:15]|
	v_max_f64 v[28:29], |v[12:13]|, |v[12:13]|
	s_waitcnt vmcnt(2)
	v_max_f64 v[30:31], |v[18:19]|, |v[18:19]|
	v_max_f64 v[32:33], |v[16:17]|, |v[16:17]|
	v_max_f64 v[0:1], v[28:29], v[0:1]
	s_waitcnt vmcnt(1)
	v_max_f64 v[34:35], |v[22:23]|, |v[22:23]|
	v_max_f64 v[36:37], |v[20:21]|, |v[20:21]|
	s_waitcnt vmcnt(0)
	v_max_f64 v[38:39], |v[26:27]|, |v[26:27]|
	v_max_f64 v[40:41], |v[24:25]|, |v[24:25]|
	v_max_f64 v[28:29], v[32:33], v[30:31]
	v_frexp_exp_i32_f64_e32 v3, v[0:1]
	v_max_f64 v[30:31], v[36:37], v[34:35]
	v_max_f64 v[32:33], v[40:41], v[38:39]
	v_frexp_exp_i32_f64_e32 v54, v[28:29]
	v_sub_u32_e32 v28, 0, v3
	v_frexp_exp_i32_f64_e32 v55, v[30:31]
	v_frexp_exp_i32_f64_e32 v56, v[32:33]
	v_sub_u32_e32 v32, 0, v54
	v_ldexp_f64 v[0:1], |v[12:13]|, v28
	v_ldexp_f64 v[28:29], |v[14:15]|, v28
	v_sub_u32_e32 v36, 0, v55
	v_ldexp_f64 v[30:31], |v[16:17]|, v32
	v_ldexp_f64 v[32:33], |v[18:19]|, v32
	v_mul_f64 v[28:29], v[28:29], v[28:29]
	v_ldexp_f64 v[34:35], |v[20:21]|, v36
	v_ldexp_f64 v[36:37], |v[22:23]|, v36
	v_mul_f64 v[32:33], v[32:33], v[32:33]
	v_fmac_f64_e32 v[28:29], v[0:1], v[0:1]
	v_mul_f64 v[36:37], v[36:37], v[36:37]
	v_fmac_f64_e32 v[32:33], v[30:31], v[30:31]
	v_rsq_f64_e32 v[0:1], v[28:29]
	v_fmac_f64_e32 v[36:37], v[34:35], v[34:35]
	v_rsq_f64_e32 v[30:31], v[32:33]
	v_rsq_f64_e32 v[34:35], v[36:37]
	v_mul_f64 v[42:43], v[28:29], v[0:1]
	v_mul_f64 v[0:1], v[0:1], 0.5
	v_mul_f64 v[44:45], v[32:33], v[30:31]
	v_mul_f64 v[30:31], v[30:31], 0.5
	v_fma_f64 v[48:49], -v[0:1], v[42:43], 0.5
	v_mul_f64 v[46:47], v[36:37], v[34:35]
	v_mul_f64 v[34:35], v[34:35], 0.5
	v_fma_f64 v[50:51], -v[30:31], v[44:45], 0.5
	v_fmac_f64_e32 v[42:43], v[42:43], v[48:49]
	v_fma_f64 v[52:53], -v[34:35], v[46:47], 0.5
	v_fmac_f64_e32 v[0:1], v[0:1], v[48:49]
	v_fmac_f64_e32 v[44:45], v[44:45], v[50:51]
	v_fma_f64 v[48:49], -v[42:43], v[42:43], v[28:29]
	v_fmac_f64_e32 v[30:31], v[30:31], v[50:51]
	v_fmac_f64_e32 v[46:47], v[46:47], v[52:53]
	v_fma_f64 v[50:51], -v[44:45], v[44:45], v[32:33]
	v_fmac_f64_e32 v[42:43], v[48:49], v[0:1]
	v_cmp_eq_f64_e32 vcc, 0, v[28:29]
	v_sub_u32_e32 v40, 0, v56
	v_fmac_f64_e32 v[34:35], v[34:35], v[52:53]
	v_fma_f64 v[52:53], -v[46:47], v[46:47], v[36:37]
	v_fmac_f64_e32 v[44:45], v[50:51], v[30:31]
	v_cndmask_b32_e32 v1, v43, v29, vcc
	v_cndmask_b32_e32 v0, v42, v28, vcc
	v_cmp_eq_f64_e32 vcc, 0, v[32:33]
	v_ldexp_f64 v[38:39], |v[24:25]|, v40
	v_ldexp_f64 v[40:41], |v[26:27]|, v40
	v_fmac_f64_e32 v[46:47], v[52:53], v[34:35]
	v_cndmask_b32_e32 v29, v45, v33, vcc
	v_cndmask_b32_e32 v28, v44, v32, vcc
	v_cmp_eq_f64_e32 vcc, 0, v[36:37]
	v_mul_f64 v[40:41], v[40:41], v[40:41]
	v_cndmask_b32_e32 v31, v47, v37, vcc
	v_cndmask_b32_e32 v30, v46, v36, vcc
	v_ldexp_f64 v[0:1], v[0:1], v3
	v_cmp_o_f64_e32 vcc, v[12:13], v[14:15]
	v_fmac_f64_e32 v[40:41], v[38:39], v[38:39]
	v_ldexp_f64 v[28:29], v[28:29], v54
	v_cndmask_b32_e32 v0, 0, v0, vcc
	v_cndmask_b32_e32 v1, v8, v1, vcc
	v_cmp_o_f64_e32 vcc, v[16:17], v[18:19]
	v_cmp_class_f64_e64 s[0:1], v[12:13], s15
	v_cmp_class_f64_e64 s[6:7], v[14:15], s15
	v_rsq_f64_e32 v[38:39], v[40:41]
	v_ldexp_f64 v[30:31], v[30:31], v55
	v_cndmask_b32_e32 v3, 0, v28, vcc
	v_cndmask_b32_e32 v12, v8, v29, vcc
	v_cmp_o_f64_e32 vcc, v[20:21], v[22:23]
	v_cmp_class_f64_e64 s[8:9], v[16:17], s15
	v_cmp_class_f64_e64 s[12:13], v[18:19], s15
	v_cndmask_b32_e32 v14, 0, v30, vcc
	v_cndmask_b32_e32 v15, v8, v31, vcc
	s_or_b64 vcc, s[0:1], s[6:7]
	v_cmp_class_f64_e64 s[18:19], v[20:21], s15
	v_cmp_class_f64_e64 s[20:21], v[22:23], s15
	v_cndmask_b32_e32 v1, v1, v9, vcc
	v_cndmask_b32_e64 v0, v0, 0, vcc
	s_or_b64 vcc, s[8:9], s[12:13]
	v_cndmask_b32_e32 v13, v12, v9, vcc
	v_cndmask_b32_e64 v12, v3, 0, vcc
	s_or_b64 vcc, s[18:19], s[20:21]
	v_cndmask_b32_e32 v17, v15, v9, vcc
	v_cndmask_b32_e64 v16, v14, 0, vcc
	v_mul_f64 v[14:15], v[40:41], v[38:39]
	v_mul_f64 v[18:19], v[38:39], 0.5
	v_fma_f64 v[20:21], -v[18:19], v[14:15], 0.5
	v_fmac_f64_e32 v[14:15], v[14:15], v[20:21]
	v_fmac_f64_e32 v[18:19], v[18:19], v[20:21]
	v_fma_f64 v[20:21], -v[14:15], v[14:15], v[40:41]
	v_fmac_f64_e32 v[14:15], v[20:21], v[18:19]
	v_cmp_eq_f64_e32 vcc, 0, v[40:41]
	v_cndmask_b32_e32 v15, v15, v41, vcc
	v_cndmask_b32_e32 v14, v14, v40, vcc
	v_ldexp_f64 v[14:15], v[14:15], v56
	v_cmp_o_f64_e32 vcc, v[24:25], v[26:27]
	v_cmp_class_f64_e64 s[0:1], v[24:25], s15
	v_cmp_class_f64_e64 s[6:7], v[26:27], s15
	v_cndmask_b32_e32 v3, 0, v14, vcc
	v_cndmask_b32_e32 v14, v8, v15, vcc
	s_or_b64 vcc, s[0:1], s[6:7]
	v_cndmask_b32_e32 v21, v14, v9, vcc
	v_cndmask_b32_e64 v20, v3, 0, vcc
	v_cmp_le_i64_e32 vcc, s[10:11], v[4:5]
	v_cmp_lt_u64_e64 s[0:1], s[4:5], v[4:5]
	s_or_b64 s[0:1], vcc, s[0:1]
	v_add_co_u32_e32 v4, vcc, s16, v4
	v_mov_b32_e32 v3, v2
	v_mov_b32_e32 v14, v2
	;; [unrolled: 1-line block ×7, first 2 shown]
	v_addc_co_u32_e32 v5, vcc, v5, v10, vcc
	global_store_dwordx4 v[6:7], v[0:3], off
	global_store_dwordx4 v[6:7], v[12:15], off offset:16
	global_store_dwordx4 v[6:7], v[16:19], off offset:32
	global_store_dwordx4 v[6:7], v[20:23], off offset:48
	s_and_b64 s[0:1], exec, s[0:1]
	v_add_co_u32_e32 v6, vcc, s14, v6
	s_or_b64 s[2:3], s[0:1], s[2:3]
	v_addc_co_u32_e32 v7, vcc, v7, v11, vcc
	s_andn2_b64 exec, exec, s[2:3]
	s_cbranch_execnz .LBB347_24
.LBB347_25:
	s_endpgm
	.section	.rodata,"a",@progbits
	.p2align	6, 0x0
	.amdhsa_kernel _ZN2at6native12_GLOBAL__N_125multi_tensor_apply_kernelINS1_18TensorListMetadataILi1EEENS1_14UnaryOpFunctorIN3c107complexIdEELi1ELi1ELi0EEEJNS0_3AbsIS8_EEEEEvT_T0_DpT1_
		.amdhsa_group_segment_fixed_size 0
		.amdhsa_private_segment_fixed_size 0
		.amdhsa_kernarg_size 3632
		.amdhsa_user_sgpr_count 6
		.amdhsa_user_sgpr_private_segment_buffer 1
		.amdhsa_user_sgpr_dispatch_ptr 0
		.amdhsa_user_sgpr_queue_ptr 0
		.amdhsa_user_sgpr_kernarg_segment_ptr 1
		.amdhsa_user_sgpr_dispatch_id 0
		.amdhsa_user_sgpr_flat_scratch_init 0
		.amdhsa_user_sgpr_kernarg_preload_length 0
		.amdhsa_user_sgpr_kernarg_preload_offset 0
		.amdhsa_user_sgpr_private_segment_size 0
		.amdhsa_uses_dynamic_stack 0
		.amdhsa_system_sgpr_private_segment_wavefront_offset 0
		.amdhsa_system_sgpr_workgroup_id_x 1
		.amdhsa_system_sgpr_workgroup_id_y 0
		.amdhsa_system_sgpr_workgroup_id_z 0
		.amdhsa_system_sgpr_workgroup_info 0
		.amdhsa_system_vgpr_workitem_id 0
		.amdhsa_next_free_vgpr 57
		.amdhsa_next_free_sgpr 30
		.amdhsa_accum_offset 60
		.amdhsa_reserve_vcc 1
		.amdhsa_reserve_flat_scratch 0
		.amdhsa_float_round_mode_32 0
		.amdhsa_float_round_mode_16_64 0
		.amdhsa_float_denorm_mode_32 3
		.amdhsa_float_denorm_mode_16_64 3
		.amdhsa_dx10_clamp 1
		.amdhsa_ieee_mode 1
		.amdhsa_fp16_overflow 0
		.amdhsa_tg_split 0
		.amdhsa_exception_fp_ieee_invalid_op 0
		.amdhsa_exception_fp_denorm_src 0
		.amdhsa_exception_fp_ieee_div_zero 0
		.amdhsa_exception_fp_ieee_overflow 0
		.amdhsa_exception_fp_ieee_underflow 0
		.amdhsa_exception_fp_ieee_inexact 0
		.amdhsa_exception_int_div_zero 0
	.end_amdhsa_kernel
	.section	.text._ZN2at6native12_GLOBAL__N_125multi_tensor_apply_kernelINS1_18TensorListMetadataILi1EEENS1_14UnaryOpFunctorIN3c107complexIdEELi1ELi1ELi0EEEJNS0_3AbsIS8_EEEEEvT_T0_DpT1_,"axG",@progbits,_ZN2at6native12_GLOBAL__N_125multi_tensor_apply_kernelINS1_18TensorListMetadataILi1EEENS1_14UnaryOpFunctorIN3c107complexIdEELi1ELi1ELi0EEEJNS0_3AbsIS8_EEEEEvT_T0_DpT1_,comdat
.Lfunc_end347:
	.size	_ZN2at6native12_GLOBAL__N_125multi_tensor_apply_kernelINS1_18TensorListMetadataILi1EEENS1_14UnaryOpFunctorIN3c107complexIdEELi1ELi1ELi0EEEJNS0_3AbsIS8_EEEEEvT_T0_DpT1_, .Lfunc_end347-_ZN2at6native12_GLOBAL__N_125multi_tensor_apply_kernelINS1_18TensorListMetadataILi1EEENS1_14UnaryOpFunctorIN3c107complexIdEELi1ELi1ELi0EEEJNS0_3AbsIS8_EEEEEvT_T0_DpT1_
                                        ; -- End function
	.section	.AMDGPU.csdata,"",@progbits
; Kernel info:
; codeLenInByte = 2672
; NumSgprs: 34
; NumVgprs: 57
; NumAgprs: 0
; TotalNumVgprs: 57
; ScratchSize: 0
; MemoryBound: 1
; FloatMode: 240
; IeeeMode: 1
; LDSByteSize: 0 bytes/workgroup (compile time only)
; SGPRBlocks: 4
; VGPRBlocks: 7
; NumSGPRsForWavesPerEU: 34
; NumVGPRsForWavesPerEU: 57
; AccumOffset: 60
; Occupancy: 8
; WaveLimiterHint : 0
; COMPUTE_PGM_RSRC2:SCRATCH_EN: 0
; COMPUTE_PGM_RSRC2:USER_SGPR: 6
; COMPUTE_PGM_RSRC2:TRAP_HANDLER: 0
; COMPUTE_PGM_RSRC2:TGID_X_EN: 1
; COMPUTE_PGM_RSRC2:TGID_Y_EN: 0
; COMPUTE_PGM_RSRC2:TGID_Z_EN: 0
; COMPUTE_PGM_RSRC2:TIDIG_COMP_CNT: 0
; COMPUTE_PGM_RSRC3_GFX90A:ACCUM_OFFSET: 14
; COMPUTE_PGM_RSRC3_GFX90A:TG_SPLIT: 0
	.section	.text._ZN2at6native12_GLOBAL__N_125multi_tensor_apply_kernelINS1_18TensorListMetadataILi1EEENS1_14UnaryOpFunctorIN3c107complexIfEELi1ELi1ELi0EEEJNS0_3AbsIS8_EEEEEvT_T0_DpT1_,"axG",@progbits,_ZN2at6native12_GLOBAL__N_125multi_tensor_apply_kernelINS1_18TensorListMetadataILi1EEENS1_14UnaryOpFunctorIN3c107complexIfEELi1ELi1ELi0EEEJNS0_3AbsIS8_EEEEEvT_T0_DpT1_,comdat
	.globl	_ZN2at6native12_GLOBAL__N_125multi_tensor_apply_kernelINS1_18TensorListMetadataILi1EEENS1_14UnaryOpFunctorIN3c107complexIfEELi1ELi1ELi0EEEJNS0_3AbsIS8_EEEEEvT_T0_DpT1_ ; -- Begin function _ZN2at6native12_GLOBAL__N_125multi_tensor_apply_kernelINS1_18TensorListMetadataILi1EEENS1_14UnaryOpFunctorIN3c107complexIfEELi1ELi1ELi0EEEJNS0_3AbsIS8_EEEEEvT_T0_DpT1_
	.p2align	8
	.type	_ZN2at6native12_GLOBAL__N_125multi_tensor_apply_kernelINS1_18TensorListMetadataILi1EEENS1_14UnaryOpFunctorIN3c107complexIfEELi1ELi1ELi0EEEJNS0_3AbsIS8_EEEEEvT_T0_DpT1_,@function
_ZN2at6native12_GLOBAL__N_125multi_tensor_apply_kernelINS1_18TensorListMetadataILi1EEENS1_14UnaryOpFunctorIN3c107complexIfEELi1ELi1ELi0EEEJNS0_3AbsIS8_EEEEEvT_T0_DpT1_: ; @_ZN2at6native12_GLOBAL__N_125multi_tensor_apply_kernelINS1_18TensorListMetadataILi1EEENS1_14UnaryOpFunctorIN3c107complexIfEELi1ELi1ELi0EEEJNS0_3AbsIS8_EEEEEvT_T0_DpT1_
; %bb.0:
	v_mov_b32_e32 v1, s6
	global_load_ubyte v1, v1, s[4:5] offset:1760
	s_add_u32 s0, s4, s6
	s_mul_hi_u32 s1, s6, 3
	s_mul_i32 s6, s6, 3
	s_addc_u32 s2, s5, 0
	s_add_u32 s0, s0, s6
	s_addc_u32 s1, s2, s1
	s_load_dword s0, s[0:1], 0x820
	s_mov_b32 s7, 0
	s_waitcnt vmcnt(0)
	v_readfirstlane_b32 s1, v1
	s_lshl_b32 s1, s1, 3
	s_load_dwordx2 s[12:13], s[4:5], s1 offset:0x0
	s_load_dwordx2 s[2:3], s[4:5], s1 offset:0x370
	s_waitcnt lgkmcnt(0)
	s_ashr_i32 s1, s0, 31
	s_lshl_b64 s[14:15], s[0:1], 19
	s_add_u32 s22, s12, s14
	s_addc_u32 s23, s13, s15
	s_lshl_b64 s[0:1], s[0:1], 16
	s_and_b32 s6, s22, 31
	s_sub_u32 s10, s2, s0
	s_subb_u32 s11, s3, s1
	s_and_b32 s0, s2, 3
	s_mov_b32 s1, s7
	s_or_b64 s[0:1], s[6:7], s[0:1]
	s_cmp_eq_u64 s[0:1], 0
	s_cbranch_scc1 .LBB348_21
; %bb.1:
	v_cmp_lt_i64_e64 s[0:1], s[10:11], 1
	s_and_b64 vcc, exec, s[0:1]
	s_cbranch_vccnz .LBB348_20
; %bb.2:
	s_load_dword s0, s[4:5], 0xd3c
	v_mov_b32_e32 v4, 0x10000
	v_mov_b32_e32 v5, 0
	;; [unrolled: 1-line block ×3, first 2 shown]
	v_cmp_lt_u64_e32 vcc, s[10:11], v[4:5]
	s_waitcnt lgkmcnt(0)
	s_and_b32 s2, s0, 0xffff
	s_mul_i32 s6, s2, 3
	s_and_b64 s[0:1], vcc, exec
	v_lshlrev_b32_e32 v4, 3, v0
	v_mov_b32_e32 v5, v3
	v_add_co_u32_e32 v1, vcc, s6, v0
	v_mad_u64_u32 v[6:7], s[0:1], s2, 24, v[4:5]
	v_addc_co_u32_e64 v5, s[0:1], 0, 0, vcc
	s_cselect_b32 s17, s11, 0
	s_cselect_b32 s16, s10, 0x10000
	s_lshl_b32 s0, s2, 4
	s_lshl_b32 s3, s2, 1
	v_add_co_u32_e32 v9, vcc, s0, v4
	v_addc_co_u32_e64 v18, s[0:1], 0, 0, vcc
	v_add_co_u32_e32 v19, vcc, s3, v0
	v_addc_co_u32_e64 v20, s[0:1], 0, 0, vcc
	v_add_co_u32_e32 v21, vcc, s2, v0
	s_lshl_b32 s24, s2, 2
	s_lshl_b32 s25, s2, 5
	v_addc_co_u32_e64 v22, s[0:1], 0, 0, vcc
	v_lshlrev_b32_e32 v8, 3, v21
	s_mov_b64 s[18:19], 0
	s_mov_b32 s26, 0x7f800000
	v_mov_b32_e32 v23, 0x7f800000
	s_branch .LBB348_4
.LBB348_3:                              ;   in Loop: Header=BB348_4 Depth=1
	s_or_b64 exec, exec, s[0:1]
	s_add_u32 s18, s18, s24
	s_addc_u32 s19, s19, 0
	s_waitcnt vmcnt(0)
	v_pk_mov_b32 v[10:11], s[10:11], s[10:11] op_sel:[0,1]
	v_cmp_lt_i64_e32 vcc, s[18:19], v[10:11]
	v_mov_b32_e32 v10, 0x10000
	v_mov_b32_e32 v11, 0
	v_cmp_lt_u64_e64 s[0:1], s[18:19], v[10:11]
	s_and_b64 s[0:1], vcc, s[0:1]
	s_add_u32 s22, s22, s25
	s_addc_u32 s23, s23, 0
	s_and_b64 vcc, exec, s[0:1]
	s_cbranch_vccz .LBB348_20
.LBB348_4:                              ; =>This Inner Loop Header: Depth=1
	v_mov_b32_e32 v2, s19
	v_add_co_u32_e32 v10, vcc, s18, v0
	v_addc_co_u32_e32 v11, vcc, 0, v2, vcc
	v_cmp_gt_u64_e64 s[6:7], s[16:17], v[10:11]
	v_mov_b32_e32 v16, 0
	v_mov_b32_e32 v17, 0
	s_and_saveexec_b64 s[0:1], s[6:7]
	s_cbranch_execz .LBB348_6
; %bb.5:                                ;   in Loop: Header=BB348_4 Depth=1
	v_mov_b32_e32 v2, s23
	v_add_co_u32_e32 v10, vcc, s22, v4
	v_addc_co_u32_e32 v11, vcc, 0, v2, vcc
	global_load_dwordx2 v[16:17], v[10:11], off
.LBB348_6:                              ;   in Loop: Header=BB348_4 Depth=1
	s_or_b64 exec, exec, s[0:1]
	v_mov_b32_e32 v2, s19
	v_add_co_u32_e32 v10, vcc, s18, v21
	v_addc_co_u32_e32 v11, vcc, v22, v2, vcc
	v_cmp_gt_u64_e64 s[2:3], s[16:17], v[10:11]
	v_mov_b32_e32 v10, 0
	v_mov_b32_e32 v14, 0
	;; [unrolled: 1-line block ×3, first 2 shown]
	s_and_saveexec_b64 s[0:1], s[2:3]
	s_cbranch_execz .LBB348_8
; %bb.7:                                ;   in Loop: Header=BB348_4 Depth=1
	v_mov_b32_e32 v2, s23
	v_add_co_u32_e32 v12, vcc, s22, v8
	v_addc_co_u32_e32 v13, vcc, 0, v2, vcc
	global_load_dwordx2 v[14:15], v[12:13], off
.LBB348_8:                              ;   in Loop: Header=BB348_4 Depth=1
	s_or_b64 exec, exec, s[0:1]
	v_mov_b32_e32 v2, s19
	v_add_co_u32_e32 v12, vcc, s18, v19
	v_addc_co_u32_e32 v13, vcc, v20, v2, vcc
	v_cmp_gt_u64_e64 s[0:1], s[16:17], v[12:13]
	v_mov_b32_e32 v11, 0
	s_and_saveexec_b64 s[8:9], s[0:1]
	s_cbranch_execz .LBB348_10
; %bb.9:                                ;   in Loop: Header=BB348_4 Depth=1
	v_mov_b32_e32 v2, s23
	v_add_co_u32_e32 v10, vcc, s22, v9
	v_addc_co_u32_e32 v11, vcc, v2, v18, vcc
	global_load_dwordx2 v[10:11], v[10:11], off
.LBB348_10:                             ;   in Loop: Header=BB348_4 Depth=1
	s_or_b64 exec, exec, s[8:9]
	v_mov_b32_e32 v2, s19
	v_add_co_u32_e32 v12, vcc, s18, v1
	v_addc_co_u32_e32 v13, vcc, v5, v2, vcc
	v_cmp_gt_u64_e32 vcc, s[16:17], v[12:13]
	v_mov_b32_e32 v12, 0
	v_mov_b32_e32 v13, 0
	s_and_saveexec_b64 s[20:21], vcc
	s_cbranch_execnz .LBB348_15
; %bb.11:                               ;   in Loop: Header=BB348_4 Depth=1
	s_or_b64 exec, exec, s[20:21]
	s_and_saveexec_b64 s[8:9], s[6:7]
	s_cbranch_execnz .LBB348_16
.LBB348_12:                             ;   in Loop: Header=BB348_4 Depth=1
	s_or_b64 exec, exec, s[8:9]
	s_and_saveexec_b64 s[6:7], s[2:3]
	s_cbranch_execnz .LBB348_17
.LBB348_13:                             ;   in Loop: Header=BB348_4 Depth=1
	s_or_b64 exec, exec, s[6:7]
	s_and_saveexec_b64 s[2:3], s[0:1]
	s_cbranch_execnz .LBB348_18
.LBB348_14:                             ;   in Loop: Header=BB348_4 Depth=1
	s_or_b64 exec, exec, s[2:3]
	s_and_saveexec_b64 s[0:1], vcc
	s_cbranch_execz .LBB348_3
	s_branch .LBB348_19
.LBB348_15:                             ;   in Loop: Header=BB348_4 Depth=1
	v_mov_b32_e32 v2, s23
	v_add_co_u32_e64 v12, s[8:9], s22, v6
	v_addc_co_u32_e64 v13, s[8:9], v2, v7, s[8:9]
	global_load_dwordx2 v[12:13], v[12:13], off
	s_or_b64 exec, exec, s[20:21]
	s_and_saveexec_b64 s[8:9], s[6:7]
	s_cbranch_execz .LBB348_12
.LBB348_16:                             ;   in Loop: Header=BB348_4 Depth=1
	s_waitcnt vmcnt(0)
	v_max_f32_e64 v2, |v17|, |v17|
	v_max_f32_e64 v24, |v16|, |v16|
	v_max_f32_e32 v2, v24, v2
	v_cvt_f64_f32_e32 v[24:25], v2
	v_frexp_exp_i32_f64_e32 v24, v[24:25]
	v_sub_u32_e32 v25, 0, v24
	v_ldexp_f32 v17, |v17|, v25
	v_ldexp_f32 v16, |v16|, v25
	v_mul_f32_e32 v17, v17, v17
	v_fmac_f32_e32 v17, v16, v16
	v_sqrt_f32_e32 v16, v17
	v_cmp_neq_f32_e64 s[6:7], s26, v2
	v_mov_b32_e32 v17, s23
	v_ldexp_f32 v16, v16, v24
	v_cndmask_b32_e64 v2, v23, v16, s[6:7]
	v_add_co_u32_e64 v16, s[6:7], s22, v4
	v_addc_co_u32_e64 v17, s[6:7], 0, v17, s[6:7]
	global_store_dwordx2 v[16:17], v[2:3], off
	s_or_b64 exec, exec, s[8:9]
	s_and_saveexec_b64 s[6:7], s[2:3]
	s_cbranch_execz .LBB348_13
.LBB348_17:                             ;   in Loop: Header=BB348_4 Depth=1
	s_waitcnt vmcnt(0)
	v_max_f32_e64 v2, |v15|, |v15|
	v_max_f32_e64 v16, |v14|, |v14|
	v_max_f32_e32 v2, v16, v2
	v_cvt_f64_f32_e32 v[16:17], v2
	v_frexp_exp_i32_f64_e32 v16, v[16:17]
	v_sub_u32_e32 v17, 0, v16
	v_ldexp_f32 v15, |v15|, v17
	v_ldexp_f32 v14, |v14|, v17
	v_mul_f32_e32 v15, v15, v15
	v_fmac_f32_e32 v15, v14, v14
	v_sqrt_f32_e32 v14, v15
	v_cmp_neq_f32_e64 s[2:3], s26, v2
	v_mov_b32_e32 v15, s23
	v_ldexp_f32 v14, v14, v16
	v_cndmask_b32_e64 v2, v23, v14, s[2:3]
	v_add_co_u32_e64 v14, s[2:3], s22, v8
	v_addc_co_u32_e64 v15, s[2:3], 0, v15, s[2:3]
	global_store_dwordx2 v[14:15], v[2:3], off
	s_or_b64 exec, exec, s[6:7]
	s_and_saveexec_b64 s[2:3], s[0:1]
	s_cbranch_execz .LBB348_14
.LBB348_18:                             ;   in Loop: Header=BB348_4 Depth=1
	s_waitcnt vmcnt(0)
	v_max_f32_e64 v2, |v11|, |v11|
	v_max_f32_e64 v14, |v10|, |v10|
	v_max_f32_e32 v2, v14, v2
	v_cvt_f64_f32_e32 v[14:15], v2
	v_frexp_exp_i32_f64_e32 v14, v[14:15]
	v_sub_u32_e32 v15, 0, v14
	v_ldexp_f32 v11, |v11|, v15
	v_ldexp_f32 v10, |v10|, v15
	v_mul_f32_e32 v11, v11, v11
	v_fmac_f32_e32 v11, v10, v10
	v_sqrt_f32_e32 v10, v11
	v_cmp_neq_f32_e64 s[0:1], s26, v2
	v_mov_b32_e32 v11, s23
	v_ldexp_f32 v10, v10, v14
	v_cndmask_b32_e64 v2, v23, v10, s[0:1]
	v_add_co_u32_e64 v10, s[0:1], s22, v9
	v_addc_co_u32_e64 v11, s[0:1], v11, v18, s[0:1]
	global_store_dwordx2 v[10:11], v[2:3], off
	s_or_b64 exec, exec, s[2:3]
	s_and_saveexec_b64 s[0:1], vcc
	s_cbranch_execz .LBB348_3
.LBB348_19:                             ;   in Loop: Header=BB348_4 Depth=1
	s_waitcnt vmcnt(0)
	v_max_f32_e64 v2, |v13|, |v13|
	v_max_f32_e64 v10, |v12|, |v12|
	v_max_f32_e32 v2, v10, v2
	v_cvt_f64_f32_e32 v[10:11], v2
	v_frexp_exp_i32_f64_e32 v10, v[10:11]
	v_sub_u32_e32 v11, 0, v10
	v_ldexp_f32 v12, |v12|, v11
	v_ldexp_f32 v11, |v13|, v11
	v_mul_f32_e32 v11, v11, v11
	v_fmac_f32_e32 v11, v12, v12
	v_sqrt_f32_e32 v11, v11
	v_cmp_neq_f32_e32 vcc, s26, v2
	v_ldexp_f32 v10, v11, v10
	v_cndmask_b32_e32 v2, v23, v10, vcc
	v_mov_b32_e32 v11, s23
	v_add_co_u32_e32 v10, vcc, s22, v6
	v_addc_co_u32_e32 v11, vcc, v11, v7, vcc
	global_store_dwordx2 v[10:11], v[2:3], off
	s_branch .LBB348_3
.LBB348_20:
	s_cbranch_execz .LBB348_22
	s_branch .LBB348_25
.LBB348_21:
.LBB348_22:
	v_mov_b32_e32 v3, 0
	v_lshlrev_b32_e32 v2, 2, v0
	s_mov_b32 s0, 0
	v_cmp_gt_i64_e32 vcc, s[10:11], v[2:3]
	s_and_saveexec_b64 s[2:3], vcc
	s_cbranch_execz .LBB348_25
; %bb.23:
	s_load_dword s1, s[4:5], 0xd3c
	v_lshlrev_b32_e32 v1, 5, v0
	s_mov_b64 s[4:5], 0
	v_mov_b32_e32 v8, 0x7f800000
	s_mov_b64 s[6:7], 0xffff
	s_waitcnt lgkmcnt(0)
	s_and_b32 s1, s1, 0xffff
	s_lshl_b32 s8, s1, 2
	s_add_u32 s2, s12, s14
	s_addc_u32 s3, s13, s15
	v_add_lshl_u32 v2, v0, s1, 2
	v_mov_b32_e32 v4, s3
	v_add_co_u32_e32 v0, vcc, s2, v1
	v_addc_co_u32_e32 v1, vcc, 0, v4, vcc
	s_lshl_b32 s9, s1, 5
	s_mov_b32 s12, 0x7f800000
	v_mov_b32_e32 v9, s0
	v_mov_b32_e32 v10, s0
	v_pk_mov_b32 v[6:7], v[2:3], v[2:3] op_sel:[0,1]
.LBB348_24:                             ; =>This Inner Loop Header: Depth=1
	global_load_dwordx4 v[12:15], v[0:1], off
	global_load_dwordx4 v[16:19], v[0:1], off offset:16
	v_cmp_le_i64_e32 vcc, s[10:11], v[6:7]
	v_cmp_lt_u64_e64 s[0:1], s[6:7], v[6:7]
	s_or_b64 s[0:1], vcc, s[0:1]
	v_mov_b32_e32 v5, v3
	v_mov_b32_e32 v21, v3
	v_mov_b32_e32 v23, v3
	v_add_co_u32_e64 v6, s[2:3], s8, v6
	s_and_b64 s[0:1], exec, s[0:1]
	v_addc_co_u32_e64 v7, s[2:3], v7, v9, s[2:3]
	s_or_b64 s[4:5], s[0:1], s[4:5]
	s_waitcnt vmcnt(1)
	v_max_f32_e64 v2, |v13|, |v13|
	v_max_f32_e64 v4, |v12|, |v12|
	;; [unrolled: 1-line block ×4, first 2 shown]
	s_waitcnt vmcnt(0)
	v_max_f32_e64 v22, |v17|, |v17|
	v_max_f32_e64 v24, |v16|, |v16|
	;; [unrolled: 1-line block ×4, first 2 shown]
	v_max_f32_e32 v2, v4, v2
	v_max_f32_e32 v4, v20, v11
	;; [unrolled: 1-line block ×4, first 2 shown]
	v_cvt_f64_f32_e32 v[24:25], v2
	v_cvt_f64_f32_e32 v[26:27], v4
	v_frexp_exp_i32_f64_e32 v20, v[24:25]
	v_cvt_f64_f32_e32 v[28:29], v11
	v_frexp_exp_i32_f64_e32 v24, v[26:27]
	v_sub_u32_e32 v27, 0, v20
	v_cvt_f64_f32_e32 v[30:31], v22
	v_frexp_exp_i32_f64_e32 v25, v[28:29]
	v_sub_u32_e32 v28, 0, v24
	v_ldexp_f32 v13, |v13|, v27
	v_frexp_exp_i32_f64_e32 v26, v[30:31]
	v_sub_u32_e32 v29, 0, v25
	v_ldexp_f32 v12, |v12|, v27
	v_ldexp_f32 v15, |v15|, v28
	v_mul_f32_e32 v13, v13, v13
	v_sub_u32_e32 v30, 0, v26
	v_ldexp_f32 v14, |v14|, v28
	v_ldexp_f32 v17, |v17|, v29
	v_mul_f32_e32 v15, v15, v15
	v_fmac_f32_e32 v13, v12, v12
	v_ldexp_f32 v16, |v16|, v29
	v_ldexp_f32 v19, |v19|, v30
	v_mul_f32_e32 v17, v17, v17
	v_fmac_f32_e32 v15, v14, v14
	v_sqrt_f32_e32 v12, v13
	v_ldexp_f32 v18, |v18|, v30
	v_mul_f32_e32 v19, v19, v19
	v_fmac_f32_e32 v17, v16, v16
	v_sqrt_f32_e32 v13, v15
	v_fmac_f32_e32 v19, v18, v18
	v_sqrt_f32_e32 v14, v17
	v_sqrt_f32_e32 v15, v19
	v_ldexp_f32 v12, v12, v20
	v_cmp_neq_f32_e32 vcc, s12, v2
	v_ldexp_f32 v13, v13, v24
	v_cndmask_b32_e32 v2, v8, v12, vcc
	v_cmp_neq_f32_e32 vcc, s12, v4
	v_ldexp_f32 v14, v14, v25
	v_cndmask_b32_e32 v4, v8, v13, vcc
	;; [unrolled: 3-line block ×3, first 2 shown]
	v_cmp_neq_f32_e32 vcc, s12, v22
	v_cndmask_b32_e32 v22, v8, v15, vcc
	global_store_dwordx4 v[0:1], v[2:5], off
	global_store_dwordx4 v[0:1], v[20:23], off offset:16
	v_add_co_u32_e32 v0, vcc, s9, v0
	v_addc_co_u32_e32 v1, vcc, v1, v10, vcc
	s_andn2_b64 exec, exec, s[4:5]
	s_cbranch_execnz .LBB348_24
.LBB348_25:
	s_endpgm
	.section	.rodata,"a",@progbits
	.p2align	6, 0x0
	.amdhsa_kernel _ZN2at6native12_GLOBAL__N_125multi_tensor_apply_kernelINS1_18TensorListMetadataILi1EEENS1_14UnaryOpFunctorIN3c107complexIfEELi1ELi1ELi0EEEJNS0_3AbsIS8_EEEEEvT_T0_DpT1_
		.amdhsa_group_segment_fixed_size 0
		.amdhsa_private_segment_fixed_size 0
		.amdhsa_kernarg_size 3632
		.amdhsa_user_sgpr_count 6
		.amdhsa_user_sgpr_private_segment_buffer 1
		.amdhsa_user_sgpr_dispatch_ptr 0
		.amdhsa_user_sgpr_queue_ptr 0
		.amdhsa_user_sgpr_kernarg_segment_ptr 1
		.amdhsa_user_sgpr_dispatch_id 0
		.amdhsa_user_sgpr_flat_scratch_init 0
		.amdhsa_user_sgpr_kernarg_preload_length 0
		.amdhsa_user_sgpr_kernarg_preload_offset 0
		.amdhsa_user_sgpr_private_segment_size 0
		.amdhsa_uses_dynamic_stack 0
		.amdhsa_system_sgpr_private_segment_wavefront_offset 0
		.amdhsa_system_sgpr_workgroup_id_x 1
		.amdhsa_system_sgpr_workgroup_id_y 0
		.amdhsa_system_sgpr_workgroup_id_z 0
		.amdhsa_system_sgpr_workgroup_info 0
		.amdhsa_system_vgpr_workitem_id 0
		.amdhsa_next_free_vgpr 32
		.amdhsa_next_free_sgpr 27
		.amdhsa_accum_offset 32
		.amdhsa_reserve_vcc 1
		.amdhsa_reserve_flat_scratch 0
		.amdhsa_float_round_mode_32 0
		.amdhsa_float_round_mode_16_64 0
		.amdhsa_float_denorm_mode_32 3
		.amdhsa_float_denorm_mode_16_64 3
		.amdhsa_dx10_clamp 1
		.amdhsa_ieee_mode 1
		.amdhsa_fp16_overflow 0
		.amdhsa_tg_split 0
		.amdhsa_exception_fp_ieee_invalid_op 0
		.amdhsa_exception_fp_denorm_src 0
		.amdhsa_exception_fp_ieee_div_zero 0
		.amdhsa_exception_fp_ieee_overflow 0
		.amdhsa_exception_fp_ieee_underflow 0
		.amdhsa_exception_fp_ieee_inexact 0
		.amdhsa_exception_int_div_zero 0
	.end_amdhsa_kernel
	.section	.text._ZN2at6native12_GLOBAL__N_125multi_tensor_apply_kernelINS1_18TensorListMetadataILi1EEENS1_14UnaryOpFunctorIN3c107complexIfEELi1ELi1ELi0EEEJNS0_3AbsIS8_EEEEEvT_T0_DpT1_,"axG",@progbits,_ZN2at6native12_GLOBAL__N_125multi_tensor_apply_kernelINS1_18TensorListMetadataILi1EEENS1_14UnaryOpFunctorIN3c107complexIfEELi1ELi1ELi0EEEJNS0_3AbsIS8_EEEEEvT_T0_DpT1_,comdat
.Lfunc_end348:
	.size	_ZN2at6native12_GLOBAL__N_125multi_tensor_apply_kernelINS1_18TensorListMetadataILi1EEENS1_14UnaryOpFunctorIN3c107complexIfEELi1ELi1ELi0EEEJNS0_3AbsIS8_EEEEEvT_T0_DpT1_, .Lfunc_end348-_ZN2at6native12_GLOBAL__N_125multi_tensor_apply_kernelINS1_18TensorListMetadataILi1EEENS1_14UnaryOpFunctorIN3c107complexIfEELi1ELi1ELi0EEEJNS0_3AbsIS8_EEEEEvT_T0_DpT1_
                                        ; -- End function
	.section	.AMDGPU.csdata,"",@progbits
; Kernel info:
; codeLenInByte = 1728
; NumSgprs: 31
; NumVgprs: 32
; NumAgprs: 0
; TotalNumVgprs: 32
; ScratchSize: 0
; MemoryBound: 0
; FloatMode: 240
; IeeeMode: 1
; LDSByteSize: 0 bytes/workgroup (compile time only)
; SGPRBlocks: 3
; VGPRBlocks: 3
; NumSGPRsForWavesPerEU: 31
; NumVGPRsForWavesPerEU: 32
; AccumOffset: 32
; Occupancy: 8
; WaveLimiterHint : 0
; COMPUTE_PGM_RSRC2:SCRATCH_EN: 0
; COMPUTE_PGM_RSRC2:USER_SGPR: 6
; COMPUTE_PGM_RSRC2:TRAP_HANDLER: 0
; COMPUTE_PGM_RSRC2:TGID_X_EN: 1
; COMPUTE_PGM_RSRC2:TGID_Y_EN: 0
; COMPUTE_PGM_RSRC2:TGID_Z_EN: 0
; COMPUTE_PGM_RSRC2:TIDIG_COMP_CNT: 0
; COMPUTE_PGM_RSRC3_GFX90A:ACCUM_OFFSET: 7
; COMPUTE_PGM_RSRC3_GFX90A:TG_SPLIT: 0
	.section	.text._ZN2at6native12_GLOBAL__N_125multi_tensor_apply_kernelINS1_18TensorListMetadataILi1EEENS1_14UnaryOpFunctorIN3c104HalfELi1ELi1ELi0EEEJNS0_3AbsIfEEEEEvT_T0_DpT1_,"axG",@progbits,_ZN2at6native12_GLOBAL__N_125multi_tensor_apply_kernelINS1_18TensorListMetadataILi1EEENS1_14UnaryOpFunctorIN3c104HalfELi1ELi1ELi0EEEJNS0_3AbsIfEEEEEvT_T0_DpT1_,comdat
	.globl	_ZN2at6native12_GLOBAL__N_125multi_tensor_apply_kernelINS1_18TensorListMetadataILi1EEENS1_14UnaryOpFunctorIN3c104HalfELi1ELi1ELi0EEEJNS0_3AbsIfEEEEEvT_T0_DpT1_ ; -- Begin function _ZN2at6native12_GLOBAL__N_125multi_tensor_apply_kernelINS1_18TensorListMetadataILi1EEENS1_14UnaryOpFunctorIN3c104HalfELi1ELi1ELi0EEEJNS0_3AbsIfEEEEEvT_T0_DpT1_
	.p2align	8
	.type	_ZN2at6native12_GLOBAL__N_125multi_tensor_apply_kernelINS1_18TensorListMetadataILi1EEENS1_14UnaryOpFunctorIN3c104HalfELi1ELi1ELi0EEEJNS0_3AbsIfEEEEEvT_T0_DpT1_,@function
_ZN2at6native12_GLOBAL__N_125multi_tensor_apply_kernelINS1_18TensorListMetadataILi1EEENS1_14UnaryOpFunctorIN3c104HalfELi1ELi1ELi0EEEJNS0_3AbsIfEEEEEvT_T0_DpT1_: ; @_ZN2at6native12_GLOBAL__N_125multi_tensor_apply_kernelINS1_18TensorListMetadataILi1EEENS1_14UnaryOpFunctorIN3c104HalfELi1ELi1ELi0EEEJNS0_3AbsIfEEEEEvT_T0_DpT1_
; %bb.0:
	v_mov_b32_e32 v1, s6
	global_load_ubyte v1, v1, s[4:5] offset:1760
	s_add_u32 s0, s4, s6
	s_mul_hi_u32 s1, s6, 3
	s_mul_i32 s6, s6, 3
	s_addc_u32 s2, s5, 0
	s_add_u32 s0, s0, s6
	s_addc_u32 s1, s2, s1
	s_load_dword s0, s[0:1], 0x820
	s_mov_b32 s7, 0
	s_waitcnt vmcnt(0)
	v_readfirstlane_b32 s2, v1
	s_lshl_b32 s1, s2, 3
	s_load_dwordx2 s[2:3], s[4:5], s1 offset:0x370
	s_load_dwordx2 s[12:13], s[4:5], s1 offset:0x0
	s_waitcnt lgkmcnt(0)
	s_ashr_i32 s1, s0, 31
	s_lshl_b64 s[14:15], s[0:1], 17
	s_lshl_b64 s[0:1], s[0:1], 16
	s_and_b32 s6, s12, 7
	s_sub_u32 s10, s2, s0
	s_subb_u32 s11, s3, s1
	s_and_b32 s0, s2, 3
	s_mov_b32 s1, s7
	s_or_b64 s[0:1], s[6:7], s[0:1]
	s_cmp_eq_u64 s[0:1], 0
	s_cbranch_scc1 .LBB349_21
; %bb.1:
	v_cmp_lt_i64_e64 s[0:1], s[10:11], 1
	s_and_b64 vcc, exec, s[0:1]
	s_cbranch_vccnz .LBB349_20
; %bb.2:
	s_load_dword s0, s[4:5], 0xd3c
	v_mov_b32_e32 v2, 0x10000
	v_mov_b32_e32 v3, 0
	v_cmp_lt_u64_e32 vcc, s[10:11], v[2:3]
	v_lshlrev_b32_e32 v1, 1, v0
	s_waitcnt lgkmcnt(0)
	s_and_b32 s2, s0, 0xffff
	s_and_b64 s[0:1], vcc, exec
	s_cselect_b32 s17, s11, 0
	s_cselect_b32 s16, s10, 0x10000
	s_lshl_b32 s3, s2, 1
	s_lshl_b32 s23, s2, 2
	s_add_u32 s6, s12, s14
	s_addc_u32 s7, s13, s15
	v_mov_b32_e32 v5, s7
	v_add_co_u32_e32 v4, vcc, s6, v1
	s_mul_i32 s0, s2, 3
	v_addc_co_u32_e32 v5, vcc, 0, v5, vcc
	v_add_co_u32_e32 v1, vcc, s0, v0
	v_addc_co_u32_e64 v10, s[0:1], 0, 0, vcc
	v_add_co_u32_e32 v11, vcc, s3, v0
	v_addc_co_u32_e64 v12, s[0:1], 0, 0, vcc
	v_add_co_u32_e32 v13, vcc, s2, v0
	v_lshlrev_b32_e32 v6, 1, v13
	s_mov_b32 s22, 0
	v_addc_co_u32_e64 v14, s[0:1], 0, 0, vcc
	v_mov_b32_e32 v7, s7
	v_add_co_u32_e32 v6, vcc, s6, v6
	s_lshl_b32 s24, s2, 3
	s_mul_i32 s25, s2, 6
	s_mov_b32 s26, s22
	v_addc_co_u32_e32 v7, vcc, 0, v7, vcc
	s_mov_b64 s[18:19], 0
	v_pk_mov_b32 v[8:9], s[10:11], s[10:11] op_sel:[0,1]
	v_mov_b32_e32 v15, s22
	s_branch .LBB349_4
.LBB349_3:                              ;   in Loop: Header=BB349_4 Depth=1
	s_or_b64 exec, exec, s[0:1]
	s_add_u32 s18, s18, s23
	s_addc_u32 s19, s19, 0
	v_cmp_lt_i64_e32 vcc, s[18:19], v[8:9]
	v_cmp_lt_u64_e64 s[0:1], s[18:19], v[2:3]
	s_and_b64 s[0:1], vcc, s[0:1]
	v_add_co_u32_e32 v4, vcc, s24, v4
	v_addc_co_u32_e32 v5, vcc, v5, v15, vcc
	v_add_co_u32_e32 v6, vcc, s24, v6
	v_addc_co_u32_e32 v7, vcc, v7, v15, vcc
	s_and_b64 vcc, exec, s[0:1]
	s_cbranch_vccz .LBB349_20
.LBB349_4:                              ; =>This Inner Loop Header: Depth=1
	s_waitcnt vmcnt(0)
	v_mov_b32_e32 v17, s19
	v_add_co_u32_e32 v16, vcc, s18, v0
	v_addc_co_u32_e32 v17, vcc, 0, v17, vcc
	v_cmp_gt_u64_e32 vcc, s[16:17], v[16:17]
	v_mov_b32_e32 v16, 0
	s_and_saveexec_b64 s[0:1], vcc
	s_cbranch_execz .LBB349_6
; %bb.5:                                ;   in Loop: Header=BB349_4 Depth=1
	global_load_ushort v16, v[4:5], off
.LBB349_6:                              ;   in Loop: Header=BB349_4 Depth=1
	s_or_b64 exec, exec, s[0:1]
	v_mov_b32_e32 v17, s19
	v_add_co_u32_e64 v18, s[0:1], s18, v13
	v_addc_co_u32_e64 v19, s[0:1], v14, v17, s[0:1]
	v_cmp_gt_u64_e64 s[0:1], s[16:17], v[18:19]
	v_mov_b32_e32 v18, 0
	s_and_saveexec_b64 s[2:3], s[0:1]
	s_cbranch_execz .LBB349_8
; %bb.7:                                ;   in Loop: Header=BB349_4 Depth=1
	global_load_ushort v18, v[6:7], off
.LBB349_8:                              ;   in Loop: Header=BB349_4 Depth=1
	s_or_b64 exec, exec, s[2:3]
	v_mov_b32_e32 v17, s19
	v_add_co_u32_e64 v20, s[2:3], s18, v11
	v_addc_co_u32_e64 v21, s[2:3], v12, v17, s[2:3]
	v_cmp_gt_u64_e64 s[2:3], s[16:17], v[20:21]
	v_mov_b32_e32 v17, 0
	v_mov_b32_e32 v19, 0
	s_and_saveexec_b64 s[8:9], s[2:3]
	s_cbranch_execz .LBB349_10
; %bb.9:                                ;   in Loop: Header=BB349_4 Depth=1
	v_mov_b32_e32 v19, s22
	v_add_co_u32_e64 v20, s[6:7], s23, v4
	v_addc_co_u32_e64 v21, s[6:7], v5, v19, s[6:7]
	global_load_ushort v19, v[20:21], off
.LBB349_10:                             ;   in Loop: Header=BB349_4 Depth=1
	s_or_b64 exec, exec, s[8:9]
	v_mov_b32_e32 v21, s19
	v_add_co_u32_e64 v20, s[6:7], s18, v1
	v_addc_co_u32_e64 v21, s[6:7], v10, v21, s[6:7]
	v_cmp_gt_u64_e64 s[6:7], s[16:17], v[20:21]
	s_and_saveexec_b64 s[20:21], s[6:7]
	s_cbranch_execnz .LBB349_15
; %bb.11:                               ;   in Loop: Header=BB349_4 Depth=1
	s_or_b64 exec, exec, s[20:21]
	s_and_saveexec_b64 s[8:9], vcc
	s_cbranch_execnz .LBB349_16
.LBB349_12:                             ;   in Loop: Header=BB349_4 Depth=1
	s_or_b64 exec, exec, s[8:9]
	s_and_saveexec_b64 s[8:9], s[0:1]
	s_cbranch_execnz .LBB349_17
.LBB349_13:                             ;   in Loop: Header=BB349_4 Depth=1
	s_or_b64 exec, exec, s[8:9]
	s_and_saveexec_b64 s[0:1], s[2:3]
	s_cbranch_execnz .LBB349_18
.LBB349_14:                             ;   in Loop: Header=BB349_4 Depth=1
	s_or_b64 exec, exec, s[0:1]
	s_and_saveexec_b64 s[0:1], s[6:7]
	s_cbranch_execz .LBB349_3
	s_branch .LBB349_19
.LBB349_15:                             ;   in Loop: Header=BB349_4 Depth=1
	v_mov_b32_e32 v17, s26
	v_add_co_u32_e64 v20, s[8:9], s25, v4
	v_addc_co_u32_e64 v21, s[8:9], v5, v17, s[8:9]
	global_load_ushort v17, v[20:21], off
	s_or_b64 exec, exec, s[20:21]
	s_and_saveexec_b64 s[8:9], vcc
	s_cbranch_execz .LBB349_12
.LBB349_16:                             ;   in Loop: Header=BB349_4 Depth=1
	s_waitcnt vmcnt(0)
	v_and_b32_e32 v16, 0x7fff, v16
	global_store_short v[4:5], v16, off
	s_or_b64 exec, exec, s[8:9]
	s_and_saveexec_b64 s[8:9], s[0:1]
	s_cbranch_execz .LBB349_13
.LBB349_17:                             ;   in Loop: Header=BB349_4 Depth=1
	s_waitcnt vmcnt(0)
	v_and_b32_e32 v16, 0x7fff, v18
	global_store_short v[6:7], v16, off
	s_or_b64 exec, exec, s[8:9]
	s_and_saveexec_b64 s[0:1], s[2:3]
	s_cbranch_execz .LBB349_14
.LBB349_18:                             ;   in Loop: Header=BB349_4 Depth=1
	s_waitcnt vmcnt(0)
	v_and_b32_e32 v16, 0x7fff, v19
	v_mov_b32_e32 v19, s22
	v_add_co_u32_e32 v18, vcc, s23, v4
	v_addc_co_u32_e32 v19, vcc, v5, v19, vcc
	global_store_short v[18:19], v16, off
	s_or_b64 exec, exec, s[0:1]
	s_and_saveexec_b64 s[0:1], s[6:7]
	s_cbranch_execz .LBB349_3
.LBB349_19:                             ;   in Loop: Header=BB349_4 Depth=1
	s_waitcnt vmcnt(0)
	v_and_b32_e32 v18, 0x7fff, v17
	v_mov_b32_e32 v17, s26
	v_add_co_u32_e32 v16, vcc, s25, v4
	v_addc_co_u32_e32 v17, vcc, v5, v17, vcc
	global_store_short v[16:17], v18, off
	s_branch .LBB349_3
.LBB349_20:
	s_cbranch_execz .LBB349_22
	s_branch .LBB349_25
.LBB349_21:
.LBB349_22:
	v_mov_b32_e32 v3, 0
	v_lshlrev_b32_e32 v2, 2, v0
	s_mov_b32 s0, 0
	v_cmp_gt_i64_e32 vcc, s[10:11], v[2:3]
	s_and_saveexec_b64 s[2:3], vcc
	s_cbranch_execz .LBB349_25
; %bb.23:
	s_load_dword s1, s[4:5], 0xd3c
	v_lshlrev_b32_e32 v1, 3, v0
	s_mov_b64 s[4:5], 0xffff
	s_waitcnt lgkmcnt(0)
	s_and_b32 s1, s1, 0xffff
	s_add_u32 s2, s12, s14
	s_addc_u32 s3, s13, s15
	v_mov_b32_e32 v2, s3
	v_add_co_u32_e32 v4, vcc, s2, v1
	v_addc_co_u32_e32 v5, vcc, 0, v2, vcc
	s_lshl_b32 s6, s1, 3
	v_add_lshl_u32 v2, v0, s1, 2
	s_lshl_b32 s7, s1, 2
	s_mov_b64 s[2:3], 0
	v_mov_b32_e32 v0, s0
	v_mov_b32_e32 v1, s0
.LBB349_24:                             ; =>This Inner Loop Header: Depth=1
	global_load_dwordx2 v[6:7], v[4:5], off
	v_cmp_le_i64_e32 vcc, s[10:11], v[2:3]
	v_cmp_lt_u64_e64 s[0:1], s[4:5], v[2:3]
	s_or_b64 s[0:1], vcc, s[0:1]
	s_and_b64 s[0:1], exec, s[0:1]
	s_or_b64 s[2:3], s[0:1], s[2:3]
	s_waitcnt vmcnt(0)
	v_and_b32_e32 v7, 0x7fff7fff, v7
	v_and_b32_e32 v6, 0x7fff7fff, v6
	global_store_dwordx2 v[4:5], v[6:7], off
	v_add_co_u32_e32 v4, vcc, s6, v4
	v_addc_co_u32_e32 v5, vcc, v5, v0, vcc
	v_add_co_u32_e32 v2, vcc, s7, v2
	v_addc_co_u32_e32 v3, vcc, v3, v1, vcc
	s_andn2_b64 exec, exec, s[2:3]
	s_cbranch_execnz .LBB349_24
.LBB349_25:
	s_endpgm
	.section	.rodata,"a",@progbits
	.p2align	6, 0x0
	.amdhsa_kernel _ZN2at6native12_GLOBAL__N_125multi_tensor_apply_kernelINS1_18TensorListMetadataILi1EEENS1_14UnaryOpFunctorIN3c104HalfELi1ELi1ELi0EEEJNS0_3AbsIfEEEEEvT_T0_DpT1_
		.amdhsa_group_segment_fixed_size 0
		.amdhsa_private_segment_fixed_size 0
		.amdhsa_kernarg_size 3632
		.amdhsa_user_sgpr_count 6
		.amdhsa_user_sgpr_private_segment_buffer 1
		.amdhsa_user_sgpr_dispatch_ptr 0
		.amdhsa_user_sgpr_queue_ptr 0
		.amdhsa_user_sgpr_kernarg_segment_ptr 1
		.amdhsa_user_sgpr_dispatch_id 0
		.amdhsa_user_sgpr_flat_scratch_init 0
		.amdhsa_user_sgpr_kernarg_preload_length 0
		.amdhsa_user_sgpr_kernarg_preload_offset 0
		.amdhsa_user_sgpr_private_segment_size 0
		.amdhsa_uses_dynamic_stack 0
		.amdhsa_system_sgpr_private_segment_wavefront_offset 0
		.amdhsa_system_sgpr_workgroup_id_x 1
		.amdhsa_system_sgpr_workgroup_id_y 0
		.amdhsa_system_sgpr_workgroup_id_z 0
		.amdhsa_system_sgpr_workgroup_info 0
		.amdhsa_system_vgpr_workitem_id 0
		.amdhsa_next_free_vgpr 22
		.amdhsa_next_free_sgpr 27
		.amdhsa_accum_offset 24
		.amdhsa_reserve_vcc 1
		.amdhsa_reserve_flat_scratch 0
		.amdhsa_float_round_mode_32 0
		.amdhsa_float_round_mode_16_64 0
		.amdhsa_float_denorm_mode_32 3
		.amdhsa_float_denorm_mode_16_64 3
		.amdhsa_dx10_clamp 1
		.amdhsa_ieee_mode 1
		.amdhsa_fp16_overflow 0
		.amdhsa_tg_split 0
		.amdhsa_exception_fp_ieee_invalid_op 0
		.amdhsa_exception_fp_denorm_src 0
		.amdhsa_exception_fp_ieee_div_zero 0
		.amdhsa_exception_fp_ieee_overflow 0
		.amdhsa_exception_fp_ieee_underflow 0
		.amdhsa_exception_fp_ieee_inexact 0
		.amdhsa_exception_int_div_zero 0
	.end_amdhsa_kernel
	.section	.text._ZN2at6native12_GLOBAL__N_125multi_tensor_apply_kernelINS1_18TensorListMetadataILi1EEENS1_14UnaryOpFunctorIN3c104HalfELi1ELi1ELi0EEEJNS0_3AbsIfEEEEEvT_T0_DpT1_,"axG",@progbits,_ZN2at6native12_GLOBAL__N_125multi_tensor_apply_kernelINS1_18TensorListMetadataILi1EEENS1_14UnaryOpFunctorIN3c104HalfELi1ELi1ELi0EEEJNS0_3AbsIfEEEEEvT_T0_DpT1_,comdat
.Lfunc_end349:
	.size	_ZN2at6native12_GLOBAL__N_125multi_tensor_apply_kernelINS1_18TensorListMetadataILi1EEENS1_14UnaryOpFunctorIN3c104HalfELi1ELi1ELi0EEEJNS0_3AbsIfEEEEEvT_T0_DpT1_, .Lfunc_end349-_ZN2at6native12_GLOBAL__N_125multi_tensor_apply_kernelINS1_18TensorListMetadataILi1EEENS1_14UnaryOpFunctorIN3c104HalfELi1ELi1ELi0EEEJNS0_3AbsIfEEEEEvT_T0_DpT1_
                                        ; -- End function
	.section	.AMDGPU.csdata,"",@progbits
; Kernel info:
; codeLenInByte = 1012
; NumSgprs: 31
; NumVgprs: 22
; NumAgprs: 0
; TotalNumVgprs: 22
; ScratchSize: 0
; MemoryBound: 0
; FloatMode: 240
; IeeeMode: 1
; LDSByteSize: 0 bytes/workgroup (compile time only)
; SGPRBlocks: 3
; VGPRBlocks: 2
; NumSGPRsForWavesPerEU: 31
; NumVGPRsForWavesPerEU: 22
; AccumOffset: 24
; Occupancy: 8
; WaveLimiterHint : 0
; COMPUTE_PGM_RSRC2:SCRATCH_EN: 0
; COMPUTE_PGM_RSRC2:USER_SGPR: 6
; COMPUTE_PGM_RSRC2:TRAP_HANDLER: 0
; COMPUTE_PGM_RSRC2:TGID_X_EN: 1
; COMPUTE_PGM_RSRC2:TGID_Y_EN: 0
; COMPUTE_PGM_RSRC2:TGID_Z_EN: 0
; COMPUTE_PGM_RSRC2:TIDIG_COMP_CNT: 0
; COMPUTE_PGM_RSRC3_GFX90A:ACCUM_OFFSET: 5
; COMPUTE_PGM_RSRC3_GFX90A:TG_SPLIT: 0
	.section	.text._ZN2at6native12_GLOBAL__N_125multi_tensor_apply_kernelINS1_18TensorListMetadataILi1EEENS1_14UnaryOpFunctorIN3c108BFloat16ELi1ELi1ELi0EEEJNS0_3AbsIfEEEEEvT_T0_DpT1_,"axG",@progbits,_ZN2at6native12_GLOBAL__N_125multi_tensor_apply_kernelINS1_18TensorListMetadataILi1EEENS1_14UnaryOpFunctorIN3c108BFloat16ELi1ELi1ELi0EEEJNS0_3AbsIfEEEEEvT_T0_DpT1_,comdat
	.globl	_ZN2at6native12_GLOBAL__N_125multi_tensor_apply_kernelINS1_18TensorListMetadataILi1EEENS1_14UnaryOpFunctorIN3c108BFloat16ELi1ELi1ELi0EEEJNS0_3AbsIfEEEEEvT_T0_DpT1_ ; -- Begin function _ZN2at6native12_GLOBAL__N_125multi_tensor_apply_kernelINS1_18TensorListMetadataILi1EEENS1_14UnaryOpFunctorIN3c108BFloat16ELi1ELi1ELi0EEEJNS0_3AbsIfEEEEEvT_T0_DpT1_
	.p2align	8
	.type	_ZN2at6native12_GLOBAL__N_125multi_tensor_apply_kernelINS1_18TensorListMetadataILi1EEENS1_14UnaryOpFunctorIN3c108BFloat16ELi1ELi1ELi0EEEJNS0_3AbsIfEEEEEvT_T0_DpT1_,@function
_ZN2at6native12_GLOBAL__N_125multi_tensor_apply_kernelINS1_18TensorListMetadataILi1EEENS1_14UnaryOpFunctorIN3c108BFloat16ELi1ELi1ELi0EEEJNS0_3AbsIfEEEEEvT_T0_DpT1_: ; @_ZN2at6native12_GLOBAL__N_125multi_tensor_apply_kernelINS1_18TensorListMetadataILi1EEENS1_14UnaryOpFunctorIN3c108BFloat16ELi1ELi1ELi0EEEJNS0_3AbsIfEEEEEvT_T0_DpT1_
; %bb.0:
	v_mov_b32_e32 v1, s6
	global_load_ubyte v1, v1, s[4:5] offset:1760
	s_add_u32 s0, s4, s6
	s_mul_hi_u32 s1, s6, 3
	s_mul_i32 s6, s6, 3
	s_addc_u32 s2, s5, 0
	s_add_u32 s0, s0, s6
	s_addc_u32 s1, s2, s1
	s_load_dword s0, s[0:1], 0x820
	s_mov_b32 s7, 0
	s_waitcnt vmcnt(0)
	v_readfirstlane_b32 s2, v1
	s_lshl_b32 s1, s2, 3
	s_load_dwordx2 s[2:3], s[4:5], s1 offset:0x370
	s_load_dwordx2 s[12:13], s[4:5], s1 offset:0x0
	s_waitcnt lgkmcnt(0)
	s_ashr_i32 s1, s0, 31
	s_lshl_b64 s[14:15], s[0:1], 17
	s_lshl_b64 s[0:1], s[0:1], 16
	s_and_b32 s6, s12, 7
	s_sub_u32 s10, s2, s0
	s_subb_u32 s11, s3, s1
	s_and_b32 s0, s2, 3
	s_mov_b32 s1, s7
	s_or_b64 s[0:1], s[6:7], s[0:1]
	s_cmp_eq_u64 s[0:1], 0
	s_cbranch_scc1 .LBB350_21
; %bb.1:
	v_cmp_lt_i64_e64 s[0:1], s[10:11], 1
	s_and_b64 vcc, exec, s[0:1]
	s_cbranch_vccnz .LBB350_20
; %bb.2:
	s_load_dword s0, s[4:5], 0xd3c
	v_mov_b32_e32 v2, 0x10000
	v_mov_b32_e32 v3, 0
	v_cmp_lt_u64_e32 vcc, s[10:11], v[2:3]
	v_lshlrev_b32_e32 v1, 1, v0
	s_waitcnt lgkmcnt(0)
	s_and_b32 s2, s0, 0xffff
	s_and_b64 s[0:1], vcc, exec
	s_cselect_b32 s17, s11, 0
	s_cselect_b32 s16, s10, 0x10000
	s_lshl_b32 s3, s2, 1
	s_lshl_b32 s23, s2, 2
	s_add_u32 s6, s12, s14
	s_addc_u32 s7, s13, s15
	v_mov_b32_e32 v5, s7
	v_add_co_u32_e32 v4, vcc, s6, v1
	s_mul_i32 s0, s2, 3
	v_addc_co_u32_e32 v5, vcc, 0, v5, vcc
	v_add_co_u32_e32 v1, vcc, s0, v0
	v_addc_co_u32_e64 v10, s[0:1], 0, 0, vcc
	v_add_co_u32_e32 v11, vcc, s3, v0
	v_addc_co_u32_e64 v12, s[0:1], 0, 0, vcc
	v_add_co_u32_e32 v13, vcc, s2, v0
	v_lshlrev_b32_e32 v6, 1, v13
	s_mov_b32 s22, 0
	v_addc_co_u32_e64 v14, s[0:1], 0, 0, vcc
	v_mov_b32_e32 v7, s7
	v_add_co_u32_e32 v6, vcc, s6, v6
	s_lshl_b32 s24, s2, 3
	s_mul_i32 s25, s2, 6
	s_mov_b32 s26, s22
	v_addc_co_u32_e32 v7, vcc, 0, v7, vcc
	s_mov_b64 s[18:19], 0
	s_movk_i32 s27, 0x7fff
	v_pk_mov_b32 v[8:9], s[10:11], s[10:11] op_sel:[0,1]
	v_mov_b32_e32 v15, s22
	v_mov_b32_e32 v16, 0x7fc0
	s_branch .LBB350_4
.LBB350_3:                              ;   in Loop: Header=BB350_4 Depth=1
	s_or_b64 exec, exec, s[0:1]
	s_add_u32 s18, s18, s23
	s_addc_u32 s19, s19, 0
	v_cmp_lt_i64_e32 vcc, s[18:19], v[8:9]
	v_cmp_lt_u64_e64 s[0:1], s[18:19], v[2:3]
	s_and_b64 s[0:1], vcc, s[0:1]
	v_add_co_u32_e32 v4, vcc, s24, v4
	v_addc_co_u32_e32 v5, vcc, v5, v15, vcc
	v_add_co_u32_e32 v6, vcc, s24, v6
	v_addc_co_u32_e32 v7, vcc, v7, v15, vcc
	s_and_b64 vcc, exec, s[0:1]
	s_cbranch_vccz .LBB350_20
.LBB350_4:                              ; =>This Inner Loop Header: Depth=1
	s_waitcnt vmcnt(0)
	v_mov_b32_e32 v17, s19
	v_add_co_u32_e32 v18, vcc, s18, v0
	v_addc_co_u32_e32 v19, vcc, 0, v17, vcc
	v_cmp_gt_u64_e32 vcc, s[16:17], v[18:19]
	v_mov_b32_e32 v18, 0
	s_and_saveexec_b64 s[0:1], vcc
	s_cbranch_execz .LBB350_6
; %bb.5:                                ;   in Loop: Header=BB350_4 Depth=1
	global_load_ushort v18, v[4:5], off
.LBB350_6:                              ;   in Loop: Header=BB350_4 Depth=1
	s_or_b64 exec, exec, s[0:1]
	v_mov_b32_e32 v17, s19
	v_add_co_u32_e64 v20, s[0:1], s18, v13
	v_addc_co_u32_e64 v21, s[0:1], v14, v17, s[0:1]
	v_cmp_gt_u64_e64 s[0:1], s[16:17], v[20:21]
	v_mov_b32_e32 v19, 0
	s_and_saveexec_b64 s[2:3], s[0:1]
	s_cbranch_execz .LBB350_8
; %bb.7:                                ;   in Loop: Header=BB350_4 Depth=1
	global_load_ushort v19, v[6:7], off
.LBB350_8:                              ;   in Loop: Header=BB350_4 Depth=1
	s_or_b64 exec, exec, s[2:3]
	v_mov_b32_e32 v17, s19
	v_add_co_u32_e64 v20, s[2:3], s18, v11
	v_addc_co_u32_e64 v21, s[2:3], v12, v17, s[2:3]
	v_cmp_gt_u64_e64 s[2:3], s[16:17], v[20:21]
	v_mov_b32_e32 v17, 0
	v_mov_b32_e32 v20, 0
	s_and_saveexec_b64 s[8:9], s[2:3]
	s_cbranch_execz .LBB350_10
; %bb.9:                                ;   in Loop: Header=BB350_4 Depth=1
	v_mov_b32_e32 v21, s22
	v_add_co_u32_e64 v20, s[6:7], s23, v4
	v_addc_co_u32_e64 v21, s[6:7], v5, v21, s[6:7]
	global_load_ushort v20, v[20:21], off
.LBB350_10:                             ;   in Loop: Header=BB350_4 Depth=1
	s_or_b64 exec, exec, s[8:9]
	v_mov_b32_e32 v21, s19
	v_add_co_u32_e64 v22, s[6:7], s18, v1
	v_addc_co_u32_e64 v23, s[6:7], v10, v21, s[6:7]
	v_cmp_gt_u64_e64 s[6:7], s[16:17], v[22:23]
	s_and_saveexec_b64 s[20:21], s[6:7]
	s_cbranch_execnz .LBB350_15
; %bb.11:                               ;   in Loop: Header=BB350_4 Depth=1
	s_or_b64 exec, exec, s[20:21]
	s_and_saveexec_b64 s[8:9], vcc
	s_cbranch_execnz .LBB350_16
.LBB350_12:                             ;   in Loop: Header=BB350_4 Depth=1
	s_or_b64 exec, exec, s[8:9]
	s_and_saveexec_b64 s[8:9], s[0:1]
	s_cbranch_execnz .LBB350_17
.LBB350_13:                             ;   in Loop: Header=BB350_4 Depth=1
	s_or_b64 exec, exec, s[8:9]
	s_and_saveexec_b64 s[0:1], s[2:3]
	s_cbranch_execnz .LBB350_18
.LBB350_14:                             ;   in Loop: Header=BB350_4 Depth=1
	s_or_b64 exec, exec, s[0:1]
	s_and_saveexec_b64 s[0:1], s[6:7]
	s_cbranch_execz .LBB350_3
	s_branch .LBB350_19
.LBB350_15:                             ;   in Loop: Header=BB350_4 Depth=1
	v_mov_b32_e32 v17, s26
	v_add_co_u32_e64 v22, s[8:9], s25, v4
	v_addc_co_u32_e64 v23, s[8:9], v5, v17, s[8:9]
	global_load_ushort v17, v[22:23], off
	s_or_b64 exec, exec, s[20:21]
	s_and_saveexec_b64 s[8:9], vcc
	s_cbranch_execz .LBB350_12
.LBB350_16:                             ;   in Loop: Header=BB350_4 Depth=1
	s_waitcnt vmcnt(0)
	v_lshlrev_b32_e32 v18, 16, v18
	v_and_b32_e32 v21, 0x7fffffff, v18
	v_bfe_u32 v22, v21, 16, 1
	v_add3_u32 v21, v21, v22, s27
	v_lshrrev_b32_e32 v21, 16, v21
	v_cmp_o_f32_e32 vcc, v18, v18
	v_cndmask_b32_e32 v18, v16, v21, vcc
	global_store_short v[4:5], v18, off
	s_or_b64 exec, exec, s[8:9]
	s_and_saveexec_b64 s[8:9], s[0:1]
	s_cbranch_execz .LBB350_13
.LBB350_17:                             ;   in Loop: Header=BB350_4 Depth=1
	s_waitcnt vmcnt(0)
	v_lshlrev_b32_e32 v18, 16, v19
	v_and_b32_e32 v19, 0x7fffffff, v18
	v_bfe_u32 v21, v19, 16, 1
	v_add3_u32 v19, v19, v21, s27
	v_lshrrev_b32_e32 v19, 16, v19
	v_cmp_o_f32_e32 vcc, v18, v18
	v_cndmask_b32_e32 v18, v16, v19, vcc
	global_store_short v[6:7], v18, off
	s_or_b64 exec, exec, s[8:9]
	s_and_saveexec_b64 s[0:1], s[2:3]
	s_cbranch_execz .LBB350_14
.LBB350_18:                             ;   in Loop: Header=BB350_4 Depth=1
	s_waitcnt vmcnt(0)
	v_lshlrev_b32_e32 v18, 16, v20
	v_and_b32_e32 v19, 0x7fffffff, v18
	v_bfe_u32 v20, v19, 16, 1
	v_add3_u32 v19, v19, v20, s27
	v_lshrrev_b32_e32 v19, 16, v19
	v_cmp_o_f32_e32 vcc, v18, v18
	v_cndmask_b32_e32 v20, v16, v19, vcc
	v_mov_b32_e32 v19, s22
	v_add_co_u32_e32 v18, vcc, s23, v4
	v_addc_co_u32_e32 v19, vcc, v5, v19, vcc
	global_store_short v[18:19], v20, off
	s_or_b64 exec, exec, s[0:1]
	s_and_saveexec_b64 s[0:1], s[6:7]
	s_cbranch_execz .LBB350_3
.LBB350_19:                             ;   in Loop: Header=BB350_4 Depth=1
	s_waitcnt vmcnt(0)
	v_lshlrev_b32_e32 v17, 16, v17
	v_and_b32_e32 v18, 0x7fffffff, v17
	v_bfe_u32 v19, v18, 16, 1
	v_add3_u32 v18, v18, v19, s27
	v_lshrrev_b32_e32 v18, 16, v18
	v_cmp_o_f32_e32 vcc, v17, v17
	v_cndmask_b32_e32 v17, v16, v18, vcc
	v_mov_b32_e32 v19, s26
	v_add_co_u32_e32 v18, vcc, s25, v4
	v_addc_co_u32_e32 v19, vcc, v5, v19, vcc
	global_store_short v[18:19], v17, off
	s_branch .LBB350_3
.LBB350_20:
	s_cbranch_execz .LBB350_22
	s_branch .LBB350_25
.LBB350_21:
.LBB350_22:
	v_mov_b32_e32 v3, 0
	v_lshlrev_b32_e32 v2, 2, v0
	s_mov_b32 s0, 0
	v_cmp_gt_i64_e32 vcc, s[10:11], v[2:3]
	s_and_saveexec_b64 s[2:3], vcc
	s_cbranch_execz .LBB350_25
; %bb.23:
	s_load_dword s1, s[4:5], 0xd3c
	v_lshlrev_b32_e32 v1, 3, v0
	s_movk_i32 s8, 0x7fff
	s_mov_b64 s[4:5], 0xffff
	v_mov_b32_e32 v6, s0
	s_waitcnt lgkmcnt(0)
	s_and_b32 s1, s1, 0xffff
	s_add_u32 s2, s12, s14
	s_addc_u32 s3, s13, s15
	v_mov_b32_e32 v2, s3
	v_add_co_u32_e32 v4, vcc, s2, v1
	v_addc_co_u32_e32 v5, vcc, 0, v2, vcc
	s_lshl_b32 s6, s1, 3
	v_add_lshl_u32 v2, v0, s1, 2
	s_lshl_b32 s7, s1, 2
	s_mov_b64 s[2:3], 0
	v_mov_b32_e32 v0, 0x7fc00000
	v_mov_b32_e32 v1, 0x7fc0
	;; [unrolled: 1-line block ×3, first 2 shown]
.LBB350_24:                             ; =>This Inner Loop Header: Depth=1
	global_load_dwordx2 v[8:9], v[4:5], off
	v_cmp_le_i64_e32 vcc, s[10:11], v[2:3]
	v_cmp_lt_u64_e64 s[0:1], s[4:5], v[2:3]
	s_or_b64 s[0:1], vcc, s[0:1]
	s_and_b64 s[0:1], exec, s[0:1]
	s_or_b64 s[2:3], s[0:1], s[2:3]
	s_waitcnt vmcnt(0)
	v_and_b32_e32 v10, 0xffff0000, v8
	v_lshlrev_b32_e32 v11, 16, v8
	v_alignbit_b32 v8, v9, v8, 16
	v_and_b32_e32 v9, 0xffff0000, v9
	v_and_b32_e32 v14, 0x7fffffff, v9
	;; [unrolled: 1-line block ×3, first 2 shown]
	v_bfe_u32 v18, v14, 16, 1
	v_and_b32_e32 v12, 0x7fffffff, v11
	v_and_b32_e32 v8, 0xffff0000, v8
	v_bfe_u32 v16, v13, 16, 1
	v_add3_u32 v14, v14, v18, s8
	v_bfe_u32 v15, v12, 16, 1
	v_and_b32_e32 v17, 0x7fffffff, v8
	v_add3_u32 v13, v13, v16, s8
	v_and_b32_e32 v14, 0xffff0000, v14
	v_cmp_o_f32_e32 vcc, v9, v9
	v_add3_u32 v12, v12, v15, s8
	v_bfe_u32 v15, v17, 16, 1
	v_and_b32_e32 v13, 0xffff0000, v13
	v_cndmask_b32_e32 v9, v0, v14, vcc
	v_cmp_o_f32_e32 vcc, v10, v10
	v_lshrrev_b32_e32 v12, 16, v12
	v_add3_u32 v15, v17, v15, s8
	v_cndmask_b32_e32 v10, v0, v13, vcc
	v_cmp_o_f32_e32 vcc, v11, v11
	v_lshrrev_b32_e32 v15, 16, v15
	v_cndmask_b32_e32 v11, v1, v12, vcc
	v_cmp_o_f32_e32 vcc, v8, v8
	v_cndmask_b32_e32 v8, v1, v15, vcc
	v_or_b32_e32 v10, v11, v10
	v_or3_b32 v9, 0, v8, v9
	v_or3_b32 v8, v10, 0, 0
	global_store_dwordx2 v[4:5], v[8:9], off
	v_add_co_u32_e32 v4, vcc, s6, v4
	v_addc_co_u32_e32 v5, vcc, v5, v6, vcc
	v_add_co_u32_e32 v2, vcc, s7, v2
	v_addc_co_u32_e32 v3, vcc, v3, v7, vcc
	s_andn2_b64 exec, exec, s[2:3]
	s_cbranch_execnz .LBB350_24
.LBB350_25:
	s_endpgm
	.section	.rodata,"a",@progbits
	.p2align	6, 0x0
	.amdhsa_kernel _ZN2at6native12_GLOBAL__N_125multi_tensor_apply_kernelINS1_18TensorListMetadataILi1EEENS1_14UnaryOpFunctorIN3c108BFloat16ELi1ELi1ELi0EEEJNS0_3AbsIfEEEEEvT_T0_DpT1_
		.amdhsa_group_segment_fixed_size 0
		.amdhsa_private_segment_fixed_size 0
		.amdhsa_kernarg_size 3632
		.amdhsa_user_sgpr_count 6
		.amdhsa_user_sgpr_private_segment_buffer 1
		.amdhsa_user_sgpr_dispatch_ptr 0
		.amdhsa_user_sgpr_queue_ptr 0
		.amdhsa_user_sgpr_kernarg_segment_ptr 1
		.amdhsa_user_sgpr_dispatch_id 0
		.amdhsa_user_sgpr_flat_scratch_init 0
		.amdhsa_user_sgpr_kernarg_preload_length 0
		.amdhsa_user_sgpr_kernarg_preload_offset 0
		.amdhsa_user_sgpr_private_segment_size 0
		.amdhsa_uses_dynamic_stack 0
		.amdhsa_system_sgpr_private_segment_wavefront_offset 0
		.amdhsa_system_sgpr_workgroup_id_x 1
		.amdhsa_system_sgpr_workgroup_id_y 0
		.amdhsa_system_sgpr_workgroup_id_z 0
		.amdhsa_system_sgpr_workgroup_info 0
		.amdhsa_system_vgpr_workitem_id 0
		.amdhsa_next_free_vgpr 24
		.amdhsa_next_free_sgpr 28
		.amdhsa_accum_offset 24
		.amdhsa_reserve_vcc 1
		.amdhsa_reserve_flat_scratch 0
		.amdhsa_float_round_mode_32 0
		.amdhsa_float_round_mode_16_64 0
		.amdhsa_float_denorm_mode_32 3
		.amdhsa_float_denorm_mode_16_64 3
		.amdhsa_dx10_clamp 1
		.amdhsa_ieee_mode 1
		.amdhsa_fp16_overflow 0
		.amdhsa_tg_split 0
		.amdhsa_exception_fp_ieee_invalid_op 0
		.amdhsa_exception_fp_denorm_src 0
		.amdhsa_exception_fp_ieee_div_zero 0
		.amdhsa_exception_fp_ieee_overflow 0
		.amdhsa_exception_fp_ieee_underflow 0
		.amdhsa_exception_fp_ieee_inexact 0
		.amdhsa_exception_int_div_zero 0
	.end_amdhsa_kernel
	.section	.text._ZN2at6native12_GLOBAL__N_125multi_tensor_apply_kernelINS1_18TensorListMetadataILi1EEENS1_14UnaryOpFunctorIN3c108BFloat16ELi1ELi1ELi0EEEJNS0_3AbsIfEEEEEvT_T0_DpT1_,"axG",@progbits,_ZN2at6native12_GLOBAL__N_125multi_tensor_apply_kernelINS1_18TensorListMetadataILi1EEENS1_14UnaryOpFunctorIN3c108BFloat16ELi1ELi1ELi0EEEJNS0_3AbsIfEEEEEvT_T0_DpT1_,comdat
.Lfunc_end350:
	.size	_ZN2at6native12_GLOBAL__N_125multi_tensor_apply_kernelINS1_18TensorListMetadataILi1EEENS1_14UnaryOpFunctorIN3c108BFloat16ELi1ELi1ELi0EEEJNS0_3AbsIfEEEEEvT_T0_DpT1_, .Lfunc_end350-_ZN2at6native12_GLOBAL__N_125multi_tensor_apply_kernelINS1_18TensorListMetadataILi1EEENS1_14UnaryOpFunctorIN3c108BFloat16ELi1ELi1ELi0EEEJNS0_3AbsIfEEEEEvT_T0_DpT1_
                                        ; -- End function
	.section	.AMDGPU.csdata,"",@progbits
; Kernel info:
; codeLenInByte = 1364
; NumSgprs: 32
; NumVgprs: 24
; NumAgprs: 0
; TotalNumVgprs: 24
; ScratchSize: 0
; MemoryBound: 0
; FloatMode: 240
; IeeeMode: 1
; LDSByteSize: 0 bytes/workgroup (compile time only)
; SGPRBlocks: 3
; VGPRBlocks: 2
; NumSGPRsForWavesPerEU: 32
; NumVGPRsForWavesPerEU: 24
; AccumOffset: 24
; Occupancy: 8
; WaveLimiterHint : 0
; COMPUTE_PGM_RSRC2:SCRATCH_EN: 0
; COMPUTE_PGM_RSRC2:USER_SGPR: 6
; COMPUTE_PGM_RSRC2:TRAP_HANDLER: 0
; COMPUTE_PGM_RSRC2:TGID_X_EN: 1
; COMPUTE_PGM_RSRC2:TGID_Y_EN: 0
; COMPUTE_PGM_RSRC2:TGID_Z_EN: 0
; COMPUTE_PGM_RSRC2:TIDIG_COMP_CNT: 0
; COMPUTE_PGM_RSRC3_GFX90A:ACCUM_OFFSET: 5
; COMPUTE_PGM_RSRC3_GFX90A:TG_SPLIT: 0
	.section	.text._ZN2at6native12_GLOBAL__N_125multi_tensor_apply_kernelINS1_18TensorListMetadataILi1EEENS1_14UnaryOpFunctorIbLi1ELi1ELi0EEEJNS0_3AbsIbEEEEEvT_T0_DpT1_,"axG",@progbits,_ZN2at6native12_GLOBAL__N_125multi_tensor_apply_kernelINS1_18TensorListMetadataILi1EEENS1_14UnaryOpFunctorIbLi1ELi1ELi0EEEJNS0_3AbsIbEEEEEvT_T0_DpT1_,comdat
	.globl	_ZN2at6native12_GLOBAL__N_125multi_tensor_apply_kernelINS1_18TensorListMetadataILi1EEENS1_14UnaryOpFunctorIbLi1ELi1ELi0EEEJNS0_3AbsIbEEEEEvT_T0_DpT1_ ; -- Begin function _ZN2at6native12_GLOBAL__N_125multi_tensor_apply_kernelINS1_18TensorListMetadataILi1EEENS1_14UnaryOpFunctorIbLi1ELi1ELi0EEEJNS0_3AbsIbEEEEEvT_T0_DpT1_
	.p2align	8
	.type	_ZN2at6native12_GLOBAL__N_125multi_tensor_apply_kernelINS1_18TensorListMetadataILi1EEENS1_14UnaryOpFunctorIbLi1ELi1ELi0EEEJNS0_3AbsIbEEEEEvT_T0_DpT1_,@function
_ZN2at6native12_GLOBAL__N_125multi_tensor_apply_kernelINS1_18TensorListMetadataILi1EEENS1_14UnaryOpFunctorIbLi1ELi1ELi0EEEJNS0_3AbsIbEEEEEvT_T0_DpT1_: ; @_ZN2at6native12_GLOBAL__N_125multi_tensor_apply_kernelINS1_18TensorListMetadataILi1EEENS1_14UnaryOpFunctorIbLi1ELi1ELi0EEEJNS0_3AbsIbEEEEEvT_T0_DpT1_
; %bb.0:
	v_mov_b32_e32 v1, s6
	global_load_ubyte v1, v1, s[4:5] offset:1760
	s_add_u32 s0, s4, s6
	s_mul_hi_u32 s1, s6, 3
	s_mul_i32 s6, s6, 3
	s_addc_u32 s2, s5, 0
	s_add_u32 s0, s0, s6
	s_addc_u32 s1, s2, s1
	s_load_dword s0, s[0:1], 0x820
	s_waitcnt vmcnt(0)
	v_readfirstlane_b32 s2, v1
	s_lshl_b32 s1, s2, 3
	s_load_dwordx2 s[8:9], s[4:5], s1 offset:0x370
	s_load_dwordx2 s[2:3], s[4:5], s1 offset:0x0
	s_waitcnt lgkmcnt(0)
	s_ashr_i32 s1, s0, 31
	s_lshl_b64 s[6:7], s[0:1], 16
	s_sub_u32 s0, s8, s6
	s_subb_u32 s1, s9, s7
	s_or_b32 s8, s8, s2
	s_and_b32 s10, s8, 3
	s_cmp_lg_u32 s10, 0
	v_cmp_gt_i64_e64 s[8:9], s[0:1], 0
	s_cselect_b64 s[10:11], -1, 0
	s_and_b64 s[8:9], s[10:11], s[8:9]
	s_andn2_b64 vcc, exec, s[8:9]
	s_mov_b64 s[8:9], 0
	s_cbranch_vccnz .LBB351_19
; %bb.1:
	s_load_dword s4, s[4:5], 0xd3c
	v_mov_b32_e32 v2, 0x10000
	v_mov_b32_e32 v3, 0
	v_cmp_lt_u64_e32 vcc, s[0:1], v[2:3]
	v_mov_b32_e32 v1, s7
	s_waitcnt lgkmcnt(0)
	s_and_b32 s12, s4, 0xffff
	s_and_b64 s[4:5], vcc, exec
	s_cselect_b32 s11, s1, 0
	s_cselect_b32 s10, s0, 0x10000
	s_lshl_b32 s13, s12, 1
	s_mul_i32 s4, s12, 3
	s_lshl_b32 s14, s12, 2
	v_add_co_u32_e32 v4, vcc, s6, v0
	s_add_u32 s5, s6, s4
	v_addc_co_u32_e32 v5, vcc, 0, v1, vcc
	s_addc_u32 s15, s7, 0
	v_mov_b32_e32 v6, s3
	v_add_co_u32_e32 v1, vcc, s2, v4
	s_add_u32 s5, s2, s5
	v_addc_co_u32_e32 v6, vcc, v6, v5, vcc
	s_addc_u32 s15, s3, s15
	v_mov_b32_e32 v8, s15
	v_add_co_u32_e32 v7, vcc, s5, v0
	v_addc_co_u32_e32 v8, vcc, 0, v8, vcc
	v_add_co_u32_e32 v9, vcc, s4, v0
	v_addc_co_u32_e64 v10, s[4:5], 0, 0, vcc
	s_add_u32 s4, s6, s13
	s_addc_u32 s5, s7, 0
	s_add_u32 s4, s2, s4
	s_addc_u32 s5, s3, s5
	v_mov_b32_e32 v12, s5
	v_add_co_u32_e32 v11, vcc, s4, v0
	v_addc_co_u32_e32 v12, vcc, 0, v12, vcc
	s_add_u32 s2, s2, s12
	v_add_co_u32_e32 v13, vcc, s13, v0
	s_addc_u32 s3, s3, 0
	v_addc_co_u32_e64 v14, s[4:5], 0, 0, vcc
	v_mov_b32_e32 v16, s3
	v_add_co_u32_e32 v15, vcc, s2, v4
	v_addc_co_u32_e32 v16, vcc, v16, v5, vcc
	v_add_co_u32_e32 v17, vcc, s12, v0
	v_addc_co_u32_e64 v18, s[2:3], 0, 0, vcc
	v_pk_mov_b32 v[4:5], s[0:1], s[0:1] op_sel:[0,1]
	s_branch .LBB351_3
.LBB351_2:                              ;   in Loop: Header=BB351_3 Depth=1
	s_or_b64 exec, exec, s[0:1]
	s_add_u32 s8, s8, s14
	s_addc_u32 s9, s9, 0
	v_cmp_lt_i64_e32 vcc, s[8:9], v[4:5]
	v_cmp_lt_u64_e64 s[0:1], s[8:9], v[2:3]
	s_and_b64 s[0:1], vcc, s[0:1]
	s_and_b64 vcc, exec, s[0:1]
	s_cbranch_vccz .LBB351_19
.LBB351_3:                              ; =>This Inner Loop Header: Depth=1
	s_waitcnt vmcnt(0)
	v_mov_b32_e32 v19, s9
	v_add_co_u32_e32 v20, vcc, s8, v0
	v_addc_co_u32_e32 v21, vcc, 0, v19, vcc
	v_cmp_gt_u64_e32 vcc, s[10:11], v[20:21]
	v_mov_b32_e32 v19, 0
	s_and_saveexec_b64 s[2:3], vcc
	s_cbranch_execz .LBB351_5
; %bb.4:                                ;   in Loop: Header=BB351_3 Depth=1
	v_mov_b32_e32 v19, s9
	v_add_co_u32_e64 v20, s[0:1], s8, v1
	v_addc_co_u32_e64 v21, s[0:1], v6, v19, s[0:1]
	global_load_ubyte v19, v[20:21], off
.LBB351_5:                              ;   in Loop: Header=BB351_3 Depth=1
	s_or_b64 exec, exec, s[2:3]
	v_mov_b32_e32 v21, s9
	v_add_co_u32_e64 v20, s[0:1], s8, v17
	v_addc_co_u32_e64 v21, s[0:1], v18, v21, s[0:1]
	v_cmp_gt_u64_e64 s[0:1], s[10:11], v[20:21]
	v_mov_b32_e32 v21, 0
	s_and_saveexec_b64 s[4:5], s[0:1]
	s_cbranch_execz .LBB351_7
; %bb.6:                                ;   in Loop: Header=BB351_3 Depth=1
	v_mov_b32_e32 v21, s9
	v_add_co_u32_e64 v20, s[2:3], s8, v15
	v_addc_co_u32_e64 v21, s[2:3], v16, v21, s[2:3]
	global_load_ubyte v21, v[20:21], off
.LBB351_7:                              ;   in Loop: Header=BB351_3 Depth=1
	s_or_b64 exec, exec, s[4:5]
	v_mov_b32_e32 v20, s9
	v_add_co_u32_e64 v22, s[2:3], s8, v13
	v_addc_co_u32_e64 v23, s[2:3], v14, v20, s[2:3]
	v_cmp_gt_u64_e64 s[2:3], s[10:11], v[22:23]
	v_mov_b32_e32 v20, 0
	v_mov_b32_e32 v22, 0
	s_and_saveexec_b64 s[6:7], s[2:3]
	s_cbranch_execz .LBB351_9
; %bb.8:                                ;   in Loop: Header=BB351_3 Depth=1
	v_mov_b32_e32 v23, s9
	v_add_co_u32_e64 v22, s[4:5], s8, v11
	v_addc_co_u32_e64 v23, s[4:5], v12, v23, s[4:5]
	global_load_ubyte v22, v[22:23], off
.LBB351_9:                              ;   in Loop: Header=BB351_3 Depth=1
	s_or_b64 exec, exec, s[6:7]
	v_mov_b32_e32 v23, s9
	v_add_co_u32_e64 v24, s[4:5], s8, v9
	v_addc_co_u32_e64 v25, s[4:5], v10, v23, s[4:5]
	v_cmp_gt_u64_e64 s[4:5], s[10:11], v[24:25]
	s_and_saveexec_b64 s[12:13], s[4:5]
	s_cbranch_execnz .LBB351_14
; %bb.10:                               ;   in Loop: Header=BB351_3 Depth=1
	s_or_b64 exec, exec, s[12:13]
	s_and_saveexec_b64 s[6:7], vcc
	s_cbranch_execnz .LBB351_15
.LBB351_11:                             ;   in Loop: Header=BB351_3 Depth=1
	s_or_b64 exec, exec, s[6:7]
	s_and_saveexec_b64 s[6:7], s[0:1]
	s_cbranch_execnz .LBB351_16
.LBB351_12:                             ;   in Loop: Header=BB351_3 Depth=1
	s_or_b64 exec, exec, s[6:7]
	s_and_saveexec_b64 s[0:1], s[2:3]
	s_cbranch_execnz .LBB351_17
.LBB351_13:                             ;   in Loop: Header=BB351_3 Depth=1
	s_or_b64 exec, exec, s[0:1]
	s_and_saveexec_b64 s[0:1], s[4:5]
	s_cbranch_execz .LBB351_2
	s_branch .LBB351_18
.LBB351_14:                             ;   in Loop: Header=BB351_3 Depth=1
	v_mov_b32_e32 v20, s9
	v_add_co_u32_e64 v24, s[6:7], s8, v7
	v_addc_co_u32_e64 v25, s[6:7], v8, v20, s[6:7]
	global_load_ubyte v20, v[24:25], off
	s_or_b64 exec, exec, s[12:13]
	s_and_saveexec_b64 s[6:7], vcc
	s_cbranch_execz .LBB351_11
.LBB351_15:                             ;   in Loop: Header=BB351_3 Depth=1
	v_mov_b32_e32 v23, s9
	v_add_co_u32_e32 v24, vcc, s8, v1
	v_addc_co_u32_e32 v25, vcc, v6, v23, vcc
	s_waitcnt vmcnt(0)
	global_store_byte v[24:25], v19, off
	s_or_b64 exec, exec, s[6:7]
	s_and_saveexec_b64 s[6:7], s[0:1]
	s_cbranch_execz .LBB351_12
.LBB351_16:                             ;   in Loop: Header=BB351_3 Depth=1
	s_waitcnt vmcnt(0)
	v_mov_b32_e32 v19, s9
	v_add_co_u32_e32 v24, vcc, s8, v15
	v_addc_co_u32_e32 v25, vcc, v16, v19, vcc
	global_store_byte v[24:25], v21, off
	s_or_b64 exec, exec, s[6:7]
	s_and_saveexec_b64 s[0:1], s[2:3]
	s_cbranch_execz .LBB351_13
.LBB351_17:                             ;   in Loop: Header=BB351_3 Depth=1
	s_waitcnt vmcnt(0)
	v_mov_b32_e32 v19, s9
	v_add_co_u32_e32 v24, vcc, s8, v11
	v_addc_co_u32_e32 v25, vcc, v12, v19, vcc
	global_store_byte v[24:25], v22, off
	s_or_b64 exec, exec, s[0:1]
	s_and_saveexec_b64 s[0:1], s[4:5]
	s_cbranch_execz .LBB351_2
.LBB351_18:                             ;   in Loop: Header=BB351_3 Depth=1
	s_waitcnt vmcnt(0)
	v_mov_b32_e32 v19, s9
	v_add_co_u32_e32 v22, vcc, s8, v7
	v_addc_co_u32_e32 v23, vcc, v8, v19, vcc
	global_store_byte v[22:23], v20, off
	s_branch .LBB351_2
.LBB351_19:
	s_endpgm
	.section	.rodata,"a",@progbits
	.p2align	6, 0x0
	.amdhsa_kernel _ZN2at6native12_GLOBAL__N_125multi_tensor_apply_kernelINS1_18TensorListMetadataILi1EEENS1_14UnaryOpFunctorIbLi1ELi1ELi0EEEJNS0_3AbsIbEEEEEvT_T0_DpT1_
		.amdhsa_group_segment_fixed_size 0
		.amdhsa_private_segment_fixed_size 0
		.amdhsa_kernarg_size 3632
		.amdhsa_user_sgpr_count 6
		.amdhsa_user_sgpr_private_segment_buffer 1
		.amdhsa_user_sgpr_dispatch_ptr 0
		.amdhsa_user_sgpr_queue_ptr 0
		.amdhsa_user_sgpr_kernarg_segment_ptr 1
		.amdhsa_user_sgpr_dispatch_id 0
		.amdhsa_user_sgpr_flat_scratch_init 0
		.amdhsa_user_sgpr_kernarg_preload_length 0
		.amdhsa_user_sgpr_kernarg_preload_offset 0
		.amdhsa_user_sgpr_private_segment_size 0
		.amdhsa_uses_dynamic_stack 0
		.amdhsa_system_sgpr_private_segment_wavefront_offset 0
		.amdhsa_system_sgpr_workgroup_id_x 1
		.amdhsa_system_sgpr_workgroup_id_y 0
		.amdhsa_system_sgpr_workgroup_id_z 0
		.amdhsa_system_sgpr_workgroup_info 0
		.amdhsa_system_vgpr_workitem_id 0
		.amdhsa_next_free_vgpr 26
		.amdhsa_next_free_sgpr 16
		.amdhsa_accum_offset 28
		.amdhsa_reserve_vcc 1
		.amdhsa_reserve_flat_scratch 0
		.amdhsa_float_round_mode_32 0
		.amdhsa_float_round_mode_16_64 0
		.amdhsa_float_denorm_mode_32 3
		.amdhsa_float_denorm_mode_16_64 3
		.amdhsa_dx10_clamp 1
		.amdhsa_ieee_mode 1
		.amdhsa_fp16_overflow 0
		.amdhsa_tg_split 0
		.amdhsa_exception_fp_ieee_invalid_op 0
		.amdhsa_exception_fp_denorm_src 0
		.amdhsa_exception_fp_ieee_div_zero 0
		.amdhsa_exception_fp_ieee_overflow 0
		.amdhsa_exception_fp_ieee_underflow 0
		.amdhsa_exception_fp_ieee_inexact 0
		.amdhsa_exception_int_div_zero 0
	.end_amdhsa_kernel
	.section	.text._ZN2at6native12_GLOBAL__N_125multi_tensor_apply_kernelINS1_18TensorListMetadataILi1EEENS1_14UnaryOpFunctorIbLi1ELi1ELi0EEEJNS0_3AbsIbEEEEEvT_T0_DpT1_,"axG",@progbits,_ZN2at6native12_GLOBAL__N_125multi_tensor_apply_kernelINS1_18TensorListMetadataILi1EEENS1_14UnaryOpFunctorIbLi1ELi1ELi0EEEJNS0_3AbsIbEEEEEvT_T0_DpT1_,comdat
.Lfunc_end351:
	.size	_ZN2at6native12_GLOBAL__N_125multi_tensor_apply_kernelINS1_18TensorListMetadataILi1EEENS1_14UnaryOpFunctorIbLi1ELi1ELi0EEEJNS0_3AbsIbEEEEEvT_T0_DpT1_, .Lfunc_end351-_ZN2at6native12_GLOBAL__N_125multi_tensor_apply_kernelINS1_18TensorListMetadataILi1EEENS1_14UnaryOpFunctorIbLi1ELi1ELi0EEEJNS0_3AbsIbEEEEEvT_T0_DpT1_
                                        ; -- End function
	.section	.AMDGPU.csdata,"",@progbits
; Kernel info:
; codeLenInByte = 860
; NumSgprs: 20
; NumVgprs: 26
; NumAgprs: 0
; TotalNumVgprs: 26
; ScratchSize: 0
; MemoryBound: 0
; FloatMode: 240
; IeeeMode: 1
; LDSByteSize: 0 bytes/workgroup (compile time only)
; SGPRBlocks: 2
; VGPRBlocks: 3
; NumSGPRsForWavesPerEU: 20
; NumVGPRsForWavesPerEU: 26
; AccumOffset: 28
; Occupancy: 8
; WaveLimiterHint : 0
; COMPUTE_PGM_RSRC2:SCRATCH_EN: 0
; COMPUTE_PGM_RSRC2:USER_SGPR: 6
; COMPUTE_PGM_RSRC2:TRAP_HANDLER: 0
; COMPUTE_PGM_RSRC2:TGID_X_EN: 1
; COMPUTE_PGM_RSRC2:TGID_Y_EN: 0
; COMPUTE_PGM_RSRC2:TGID_Z_EN: 0
; COMPUTE_PGM_RSRC2:TIDIG_COMP_CNT: 0
; COMPUTE_PGM_RSRC3_GFX90A:ACCUM_OFFSET: 6
; COMPUTE_PGM_RSRC3_GFX90A:TG_SPLIT: 0
	.section	.text._ZN2at6native12_GLOBAL__N_125multi_tensor_apply_kernelINS1_18TensorListMetadataILi1EEENS1_11ZeroFunctorIhLi1ELi1ELi0EEEJEEEvT_T0_DpT1_,"axG",@progbits,_ZN2at6native12_GLOBAL__N_125multi_tensor_apply_kernelINS1_18TensorListMetadataILi1EEENS1_11ZeroFunctorIhLi1ELi1ELi0EEEJEEEvT_T0_DpT1_,comdat
	.globl	_ZN2at6native12_GLOBAL__N_125multi_tensor_apply_kernelINS1_18TensorListMetadataILi1EEENS1_11ZeroFunctorIhLi1ELi1ELi0EEEJEEEvT_T0_DpT1_ ; -- Begin function _ZN2at6native12_GLOBAL__N_125multi_tensor_apply_kernelINS1_18TensorListMetadataILi1EEENS1_11ZeroFunctorIhLi1ELi1ELi0EEEJEEEvT_T0_DpT1_
	.p2align	8
	.type	_ZN2at6native12_GLOBAL__N_125multi_tensor_apply_kernelINS1_18TensorListMetadataILi1EEENS1_11ZeroFunctorIhLi1ELi1ELi0EEEJEEEvT_T0_DpT1_,@function
_ZN2at6native12_GLOBAL__N_125multi_tensor_apply_kernelINS1_18TensorListMetadataILi1EEENS1_11ZeroFunctorIhLi1ELi1ELi0EEEJEEEvT_T0_DpT1_: ; @_ZN2at6native12_GLOBAL__N_125multi_tensor_apply_kernelINS1_18TensorListMetadataILi1EEENS1_11ZeroFunctorIhLi1ELi1ELi0EEEJEEEvT_T0_DpT1_
; %bb.0:
	v_mov_b32_e32 v1, s6
	global_load_ubyte v1, v1, s[4:5] offset:1760
	s_add_u32 s0, s4, s6
	s_mul_hi_u32 s1, s6, 3
	s_mul_i32 s6, s6, 3
	s_addc_u32 s2, s5, 0
	s_add_u32 s0, s0, s6
	s_addc_u32 s1, s2, s1
	s_load_dword s2, s[0:1], 0x820
	s_waitcnt vmcnt(0)
	v_readfirstlane_b32 s0, v1
	s_lshl_b32 s3, s0, 3
	s_load_dwordx2 s[0:1], s[4:5], s3 offset:0x0
	s_load_dwordx2 s[6:7], s[4:5], s3 offset:0x370
	s_waitcnt lgkmcnt(0)
	s_ashr_i32 s3, s2, 31
	s_lshl_b64 s[8:9], s[2:3], 16
	s_add_u32 s10, s0, s8
	s_addc_u32 s11, s1, s9
	s_sub_u32 s2, s6, s8
	s_subb_u32 s3, s7, s9
	s_or_b32 s6, s6, s10
	s_and_b32 s6, s6, 3
	s_cmp_eq_u32 s6, 0
	s_cbranch_scc1 .LBB352_13
; %bb.1:
	v_cmp_lt_i64_e64 s[6:7], s[2:3], 1
	s_and_b64 vcc, exec, s[6:7]
	s_cbranch_vccnz .LBB352_12
; %bb.2:
	s_load_dword s6, s[4:5], 0xd3c
	v_mov_b32_e32 v2, 0x10000
	v_mov_b32_e32 v3, 0
	v_cmp_lt_u64_e32 vcc, s[2:3], v[2:3]
	v_mov_b32_e32 v4, s9
	s_waitcnt lgkmcnt(0)
	s_and_b32 s13, s6, 0xffff
	s_and_b64 s[6:7], vcc, exec
	s_cselect_b32 s7, s3, 0
	s_cselect_b32 s6, s2, 0x10000
	s_lshl_b32 s16, s13, 1
	s_mul_i32 s14, s13, 3
	s_lshl_b32 s12, s13, 2
	s_add_u32 s15, s8, s14
	v_add_co_u32_e32 v5, vcc, s8, v0
	s_addc_u32 s17, s9, 0
	v_addc_co_u32_e32 v4, vcc, 0, v4, vcc
	s_add_u32 s15, s0, s15
	v_mov_b32_e32 v7, s1
	v_add_co_u32_e32 v6, vcc, s0, v5
	s_addc_u32 s17, s1, s17
	v_addc_co_u32_e32 v7, vcc, v7, v4, vcc
	s_add_u32 s8, s8, s16
	v_mov_b32_e32 v9, s17
	v_add_co_u32_e32 v8, vcc, s15, v0
	s_addc_u32 s9, s9, 0
	v_addc_co_u32_e32 v9, vcc, 0, v9, vcc
	s_add_u32 s8, s0, s8
	v_add_co_u32_e32 v10, vcc, s14, v0
	s_addc_u32 s9, s1, s9
	v_addc_co_u32_e64 v11, s[14:15], 0, 0, vcc
	v_mov_b32_e32 v13, s9
	v_add_co_u32_e32 v12, vcc, s8, v0
	v_addc_co_u32_e32 v13, vcc, 0, v13, vcc
	s_add_u32 s0, s0, s13
	v_add_co_u32_e32 v14, vcc, s16, v0
	s_addc_u32 s1, s1, 0
	v_addc_co_u32_e64 v15, s[8:9], 0, 0, vcc
	v_mov_b32_e32 v17, s1
	v_add_co_u32_e32 v16, vcc, s0, v5
	v_addc_co_u32_e32 v17, vcc, v17, v4, vcc
	v_add_co_u32_e32 v18, vcc, s13, v0
	v_mov_b32_e32 v1, 0
	v_addc_co_u32_e64 v19, s[0:1], 0, 0, vcc
	s_mov_b64 s[8:9], 0
	v_pk_mov_b32 v[4:5], s[2:3], s[2:3] op_sel:[0,1]
	s_branch .LBB352_4
.LBB352_3:                              ;   in Loop: Header=BB352_4 Depth=1
	s_or_b64 exec, exec, s[0:1]
	s_add_u32 s8, s8, s12
	s_addc_u32 s9, s9, 0
	v_cmp_lt_i64_e32 vcc, s[8:9], v[4:5]
	v_cmp_lt_u64_e64 s[0:1], s[8:9], v[2:3]
	s_and_b64 s[0:1], vcc, s[0:1]
	s_and_b64 vcc, exec, s[0:1]
	s_cbranch_vccz .LBB352_12
.LBB352_4:                              ; =>This Inner Loop Header: Depth=1
	v_mov_b32_e32 v21, s9
	v_add_co_u32_e32 v20, vcc, s8, v0
	v_addc_co_u32_e32 v21, vcc, 0, v21, vcc
	v_cmp_gt_u64_e32 vcc, s[6:7], v[20:21]
	s_and_saveexec_b64 s[0:1], vcc
	s_cbranch_execz .LBB352_6
; %bb.5:                                ;   in Loop: Header=BB352_4 Depth=1
	v_mov_b32_e32 v21, s9
	v_add_co_u32_e32 v20, vcc, s8, v6
	v_addc_co_u32_e32 v21, vcc, v7, v21, vcc
	global_store_byte v[20:21], v1, off
.LBB352_6:                              ;   in Loop: Header=BB352_4 Depth=1
	s_or_b64 exec, exec, s[0:1]
	v_mov_b32_e32 v21, s9
	v_add_co_u32_e32 v20, vcc, s8, v18
	v_addc_co_u32_e32 v21, vcc, v19, v21, vcc
	v_cmp_gt_u64_e32 vcc, s[6:7], v[20:21]
	s_and_saveexec_b64 s[0:1], vcc
	s_cbranch_execz .LBB352_8
; %bb.7:                                ;   in Loop: Header=BB352_4 Depth=1
	v_mov_b32_e32 v21, s9
	v_add_co_u32_e32 v20, vcc, s8, v16
	v_addc_co_u32_e32 v21, vcc, v17, v21, vcc
	global_store_byte v[20:21], v1, off
.LBB352_8:                              ;   in Loop: Header=BB352_4 Depth=1
	s_or_b64 exec, exec, s[0:1]
	v_mov_b32_e32 v21, s9
	v_add_co_u32_e32 v20, vcc, s8, v14
	v_addc_co_u32_e32 v21, vcc, v15, v21, vcc
	v_cmp_gt_u64_e32 vcc, s[6:7], v[20:21]
	s_and_saveexec_b64 s[0:1], vcc
	s_cbranch_execz .LBB352_10
; %bb.9:                                ;   in Loop: Header=BB352_4 Depth=1
	v_mov_b32_e32 v21, s9
	v_add_co_u32_e32 v20, vcc, s8, v12
	v_addc_co_u32_e32 v21, vcc, v13, v21, vcc
	global_store_byte v[20:21], v1, off
.LBB352_10:                             ;   in Loop: Header=BB352_4 Depth=1
	s_or_b64 exec, exec, s[0:1]
	v_mov_b32_e32 v21, s9
	v_add_co_u32_e32 v20, vcc, s8, v10
	v_addc_co_u32_e32 v21, vcc, v11, v21, vcc
	v_cmp_gt_u64_e32 vcc, s[6:7], v[20:21]
	s_and_saveexec_b64 s[0:1], vcc
	s_cbranch_execz .LBB352_3
; %bb.11:                               ;   in Loop: Header=BB352_4 Depth=1
	v_mov_b32_e32 v21, s9
	v_add_co_u32_e32 v20, vcc, s8, v8
	v_addc_co_u32_e32 v21, vcc, v9, v21, vcc
	global_store_byte v[20:21], v1, off
	s_branch .LBB352_3
.LBB352_12:
	s_cbranch_execz .LBB352_14
	s_branch .LBB352_17
.LBB352_13:
.LBB352_14:
	v_lshlrev_b32_e32 v0, 2, v0
	v_mov_b32_e32 v1, 0
	v_cmp_gt_i64_e32 vcc, s[2:3], v[0:1]
	s_and_saveexec_b64 s[0:1], vcc
	s_cbranch_execz .LBB352_17
; %bb.15:
	s_load_dword s0, s[4:5], 0xd3c
	s_mov_b32 s1, 0
	s_mov_b64 s[4:5], 0
	v_mov_b32_e32 v4, s11
	v_mov_b32_e32 v5, s1
	s_waitcnt lgkmcnt(0)
	s_and_b32 s0, s0, 0xffff
	s_lshl_b32 s8, s0, 2
	s_mov_b64 s[6:7], 0xffff
	v_pk_mov_b32 v[2:3], v[0:1], v[0:1] op_sel:[0,1]
.LBB352_16:                             ; =>This Inner Loop Header: Depth=1
	v_add_co_u32_e32 v6, vcc, s10, v2
	v_addc_co_u32_e32 v7, vcc, v4, v3, vcc
	v_add_co_u32_e32 v2, vcc, s8, v2
	v_addc_co_u32_e32 v3, vcc, v5, v3, vcc
	v_cmp_le_i64_e32 vcc, s[2:3], v[2:3]
	v_cmp_lt_u64_e64 s[0:1], s[6:7], v[2:3]
	s_or_b64 s[0:1], vcc, s[0:1]
	s_and_b64 s[0:1], exec, s[0:1]
	s_or_b64 s[4:5], s[0:1], s[4:5]
	global_store_dword v[6:7], v1, off
	s_andn2_b64 exec, exec, s[4:5]
	s_cbranch_execnz .LBB352_16
.LBB352_17:
	s_endpgm
	.section	.rodata,"a",@progbits
	.p2align	6, 0x0
	.amdhsa_kernel _ZN2at6native12_GLOBAL__N_125multi_tensor_apply_kernelINS1_18TensorListMetadataILi1EEENS1_11ZeroFunctorIhLi1ELi1ELi0EEEJEEEvT_T0_DpT1_
		.amdhsa_group_segment_fixed_size 0
		.amdhsa_private_segment_fixed_size 0
		.amdhsa_kernarg_size 3632
		.amdhsa_user_sgpr_count 6
		.amdhsa_user_sgpr_private_segment_buffer 1
		.amdhsa_user_sgpr_dispatch_ptr 0
		.amdhsa_user_sgpr_queue_ptr 0
		.amdhsa_user_sgpr_kernarg_segment_ptr 1
		.amdhsa_user_sgpr_dispatch_id 0
		.amdhsa_user_sgpr_flat_scratch_init 0
		.amdhsa_user_sgpr_kernarg_preload_length 0
		.amdhsa_user_sgpr_kernarg_preload_offset 0
		.amdhsa_user_sgpr_private_segment_size 0
		.amdhsa_uses_dynamic_stack 0
		.amdhsa_system_sgpr_private_segment_wavefront_offset 0
		.amdhsa_system_sgpr_workgroup_id_x 1
		.amdhsa_system_sgpr_workgroup_id_y 0
		.amdhsa_system_sgpr_workgroup_id_z 0
		.amdhsa_system_sgpr_workgroup_info 0
		.amdhsa_system_vgpr_workitem_id 0
		.amdhsa_next_free_vgpr 22
		.amdhsa_next_free_sgpr 18
		.amdhsa_accum_offset 24
		.amdhsa_reserve_vcc 1
		.amdhsa_reserve_flat_scratch 0
		.amdhsa_float_round_mode_32 0
		.amdhsa_float_round_mode_16_64 0
		.amdhsa_float_denorm_mode_32 3
		.amdhsa_float_denorm_mode_16_64 3
		.amdhsa_dx10_clamp 1
		.amdhsa_ieee_mode 1
		.amdhsa_fp16_overflow 0
		.amdhsa_tg_split 0
		.amdhsa_exception_fp_ieee_invalid_op 0
		.amdhsa_exception_fp_denorm_src 0
		.amdhsa_exception_fp_ieee_div_zero 0
		.amdhsa_exception_fp_ieee_overflow 0
		.amdhsa_exception_fp_ieee_underflow 0
		.amdhsa_exception_fp_ieee_inexact 0
		.amdhsa_exception_int_div_zero 0
	.end_amdhsa_kernel
	.section	.text._ZN2at6native12_GLOBAL__N_125multi_tensor_apply_kernelINS1_18TensorListMetadataILi1EEENS1_11ZeroFunctorIhLi1ELi1ELi0EEEJEEEvT_T0_DpT1_,"axG",@progbits,_ZN2at6native12_GLOBAL__N_125multi_tensor_apply_kernelINS1_18TensorListMetadataILi1EEENS1_11ZeroFunctorIhLi1ELi1ELi0EEEJEEEvT_T0_DpT1_,comdat
.Lfunc_end352:
	.size	_ZN2at6native12_GLOBAL__N_125multi_tensor_apply_kernelINS1_18TensorListMetadataILi1EEENS1_11ZeroFunctorIhLi1ELi1ELi0EEEJEEEvT_T0_DpT1_, .Lfunc_end352-_ZN2at6native12_GLOBAL__N_125multi_tensor_apply_kernelINS1_18TensorListMetadataILi1EEENS1_11ZeroFunctorIhLi1ELi1ELi0EEEJEEEvT_T0_DpT1_
                                        ; -- End function
	.section	.AMDGPU.csdata,"",@progbits
; Kernel info:
; codeLenInByte = 724
; NumSgprs: 22
; NumVgprs: 22
; NumAgprs: 0
; TotalNumVgprs: 22
; ScratchSize: 0
; MemoryBound: 0
; FloatMode: 240
; IeeeMode: 1
; LDSByteSize: 0 bytes/workgroup (compile time only)
; SGPRBlocks: 2
; VGPRBlocks: 2
; NumSGPRsForWavesPerEU: 22
; NumVGPRsForWavesPerEU: 22
; AccumOffset: 24
; Occupancy: 8
; WaveLimiterHint : 0
; COMPUTE_PGM_RSRC2:SCRATCH_EN: 0
; COMPUTE_PGM_RSRC2:USER_SGPR: 6
; COMPUTE_PGM_RSRC2:TRAP_HANDLER: 0
; COMPUTE_PGM_RSRC2:TGID_X_EN: 1
; COMPUTE_PGM_RSRC2:TGID_Y_EN: 0
; COMPUTE_PGM_RSRC2:TGID_Z_EN: 0
; COMPUTE_PGM_RSRC2:TIDIG_COMP_CNT: 0
; COMPUTE_PGM_RSRC3_GFX90A:ACCUM_OFFSET: 5
; COMPUTE_PGM_RSRC3_GFX90A:TG_SPLIT: 0
	.section	.text._ZN2at6native12_GLOBAL__N_125multi_tensor_apply_kernelINS1_18TensorListMetadataILi1EEENS1_11ZeroFunctorIaLi1ELi1ELi0EEEJEEEvT_T0_DpT1_,"axG",@progbits,_ZN2at6native12_GLOBAL__N_125multi_tensor_apply_kernelINS1_18TensorListMetadataILi1EEENS1_11ZeroFunctorIaLi1ELi1ELi0EEEJEEEvT_T0_DpT1_,comdat
	.globl	_ZN2at6native12_GLOBAL__N_125multi_tensor_apply_kernelINS1_18TensorListMetadataILi1EEENS1_11ZeroFunctorIaLi1ELi1ELi0EEEJEEEvT_T0_DpT1_ ; -- Begin function _ZN2at6native12_GLOBAL__N_125multi_tensor_apply_kernelINS1_18TensorListMetadataILi1EEENS1_11ZeroFunctorIaLi1ELi1ELi0EEEJEEEvT_T0_DpT1_
	.p2align	8
	.type	_ZN2at6native12_GLOBAL__N_125multi_tensor_apply_kernelINS1_18TensorListMetadataILi1EEENS1_11ZeroFunctorIaLi1ELi1ELi0EEEJEEEvT_T0_DpT1_,@function
_ZN2at6native12_GLOBAL__N_125multi_tensor_apply_kernelINS1_18TensorListMetadataILi1EEENS1_11ZeroFunctorIaLi1ELi1ELi0EEEJEEEvT_T0_DpT1_: ; @_ZN2at6native12_GLOBAL__N_125multi_tensor_apply_kernelINS1_18TensorListMetadataILi1EEENS1_11ZeroFunctorIaLi1ELi1ELi0EEEJEEEvT_T0_DpT1_
; %bb.0:
	v_mov_b32_e32 v1, s6
	global_load_ubyte v1, v1, s[4:5] offset:1760
	s_add_u32 s0, s4, s6
	s_mul_hi_u32 s1, s6, 3
	s_mul_i32 s6, s6, 3
	s_addc_u32 s2, s5, 0
	s_add_u32 s0, s0, s6
	s_addc_u32 s1, s2, s1
	s_load_dword s2, s[0:1], 0x820
	s_waitcnt vmcnt(0)
	v_readfirstlane_b32 s0, v1
	s_lshl_b32 s3, s0, 3
	s_load_dwordx2 s[0:1], s[4:5], s3 offset:0x0
	s_load_dwordx2 s[6:7], s[4:5], s3 offset:0x370
	s_waitcnt lgkmcnt(0)
	s_ashr_i32 s3, s2, 31
	s_lshl_b64 s[8:9], s[2:3], 16
	s_add_u32 s10, s0, s8
	s_addc_u32 s11, s1, s9
	s_sub_u32 s2, s6, s8
	s_subb_u32 s3, s7, s9
	s_or_b32 s6, s6, s10
	s_and_b32 s6, s6, 3
	s_cmp_eq_u32 s6, 0
	s_cbranch_scc1 .LBB353_13
; %bb.1:
	v_cmp_lt_i64_e64 s[6:7], s[2:3], 1
	s_and_b64 vcc, exec, s[6:7]
	s_cbranch_vccnz .LBB353_12
; %bb.2:
	s_load_dword s6, s[4:5], 0xd3c
	v_mov_b32_e32 v2, 0x10000
	v_mov_b32_e32 v3, 0
	v_cmp_lt_u64_e32 vcc, s[2:3], v[2:3]
	v_mov_b32_e32 v4, s9
	s_waitcnt lgkmcnt(0)
	s_and_b32 s13, s6, 0xffff
	s_and_b64 s[6:7], vcc, exec
	s_cselect_b32 s7, s3, 0
	s_cselect_b32 s6, s2, 0x10000
	s_lshl_b32 s16, s13, 1
	s_mul_i32 s14, s13, 3
	s_lshl_b32 s12, s13, 2
	s_add_u32 s15, s8, s14
	v_add_co_u32_e32 v5, vcc, s8, v0
	s_addc_u32 s17, s9, 0
	v_addc_co_u32_e32 v4, vcc, 0, v4, vcc
	s_add_u32 s15, s0, s15
	v_mov_b32_e32 v7, s1
	v_add_co_u32_e32 v6, vcc, s0, v5
	s_addc_u32 s17, s1, s17
	v_addc_co_u32_e32 v7, vcc, v7, v4, vcc
	s_add_u32 s8, s8, s16
	v_mov_b32_e32 v9, s17
	v_add_co_u32_e32 v8, vcc, s15, v0
	s_addc_u32 s9, s9, 0
	v_addc_co_u32_e32 v9, vcc, 0, v9, vcc
	s_add_u32 s8, s0, s8
	v_add_co_u32_e32 v10, vcc, s14, v0
	s_addc_u32 s9, s1, s9
	v_addc_co_u32_e64 v11, s[14:15], 0, 0, vcc
	v_mov_b32_e32 v13, s9
	v_add_co_u32_e32 v12, vcc, s8, v0
	v_addc_co_u32_e32 v13, vcc, 0, v13, vcc
	s_add_u32 s0, s0, s13
	v_add_co_u32_e32 v14, vcc, s16, v0
	s_addc_u32 s1, s1, 0
	v_addc_co_u32_e64 v15, s[8:9], 0, 0, vcc
	v_mov_b32_e32 v17, s1
	v_add_co_u32_e32 v16, vcc, s0, v5
	v_addc_co_u32_e32 v17, vcc, v17, v4, vcc
	v_add_co_u32_e32 v18, vcc, s13, v0
	v_mov_b32_e32 v1, 0
	v_addc_co_u32_e64 v19, s[0:1], 0, 0, vcc
	s_mov_b64 s[8:9], 0
	v_pk_mov_b32 v[4:5], s[2:3], s[2:3] op_sel:[0,1]
	s_branch .LBB353_4
.LBB353_3:                              ;   in Loop: Header=BB353_4 Depth=1
	s_or_b64 exec, exec, s[0:1]
	s_add_u32 s8, s8, s12
	s_addc_u32 s9, s9, 0
	v_cmp_lt_i64_e32 vcc, s[8:9], v[4:5]
	v_cmp_lt_u64_e64 s[0:1], s[8:9], v[2:3]
	s_and_b64 s[0:1], vcc, s[0:1]
	s_and_b64 vcc, exec, s[0:1]
	s_cbranch_vccz .LBB353_12
.LBB353_4:                              ; =>This Inner Loop Header: Depth=1
	v_mov_b32_e32 v21, s9
	v_add_co_u32_e32 v20, vcc, s8, v0
	v_addc_co_u32_e32 v21, vcc, 0, v21, vcc
	v_cmp_gt_u64_e32 vcc, s[6:7], v[20:21]
	s_and_saveexec_b64 s[0:1], vcc
	s_cbranch_execz .LBB353_6
; %bb.5:                                ;   in Loop: Header=BB353_4 Depth=1
	v_mov_b32_e32 v21, s9
	v_add_co_u32_e32 v20, vcc, s8, v6
	v_addc_co_u32_e32 v21, vcc, v7, v21, vcc
	global_store_byte v[20:21], v1, off
.LBB353_6:                              ;   in Loop: Header=BB353_4 Depth=1
	s_or_b64 exec, exec, s[0:1]
	v_mov_b32_e32 v21, s9
	v_add_co_u32_e32 v20, vcc, s8, v18
	v_addc_co_u32_e32 v21, vcc, v19, v21, vcc
	v_cmp_gt_u64_e32 vcc, s[6:7], v[20:21]
	s_and_saveexec_b64 s[0:1], vcc
	s_cbranch_execz .LBB353_8
; %bb.7:                                ;   in Loop: Header=BB353_4 Depth=1
	v_mov_b32_e32 v21, s9
	v_add_co_u32_e32 v20, vcc, s8, v16
	v_addc_co_u32_e32 v21, vcc, v17, v21, vcc
	global_store_byte v[20:21], v1, off
.LBB353_8:                              ;   in Loop: Header=BB353_4 Depth=1
	s_or_b64 exec, exec, s[0:1]
	v_mov_b32_e32 v21, s9
	v_add_co_u32_e32 v20, vcc, s8, v14
	v_addc_co_u32_e32 v21, vcc, v15, v21, vcc
	v_cmp_gt_u64_e32 vcc, s[6:7], v[20:21]
	s_and_saveexec_b64 s[0:1], vcc
	s_cbranch_execz .LBB353_10
; %bb.9:                                ;   in Loop: Header=BB353_4 Depth=1
	v_mov_b32_e32 v21, s9
	v_add_co_u32_e32 v20, vcc, s8, v12
	v_addc_co_u32_e32 v21, vcc, v13, v21, vcc
	global_store_byte v[20:21], v1, off
.LBB353_10:                             ;   in Loop: Header=BB353_4 Depth=1
	s_or_b64 exec, exec, s[0:1]
	v_mov_b32_e32 v21, s9
	v_add_co_u32_e32 v20, vcc, s8, v10
	v_addc_co_u32_e32 v21, vcc, v11, v21, vcc
	v_cmp_gt_u64_e32 vcc, s[6:7], v[20:21]
	s_and_saveexec_b64 s[0:1], vcc
	s_cbranch_execz .LBB353_3
; %bb.11:                               ;   in Loop: Header=BB353_4 Depth=1
	v_mov_b32_e32 v21, s9
	v_add_co_u32_e32 v20, vcc, s8, v8
	v_addc_co_u32_e32 v21, vcc, v9, v21, vcc
	global_store_byte v[20:21], v1, off
	s_branch .LBB353_3
.LBB353_12:
	s_cbranch_execz .LBB353_14
	s_branch .LBB353_17
.LBB353_13:
.LBB353_14:
	v_lshlrev_b32_e32 v0, 2, v0
	v_mov_b32_e32 v1, 0
	v_cmp_gt_i64_e32 vcc, s[2:3], v[0:1]
	s_and_saveexec_b64 s[0:1], vcc
	s_cbranch_execz .LBB353_17
; %bb.15:
	s_load_dword s0, s[4:5], 0xd3c
	s_mov_b32 s1, 0
	s_mov_b64 s[4:5], 0
	v_mov_b32_e32 v4, s11
	v_mov_b32_e32 v5, s1
	s_waitcnt lgkmcnt(0)
	s_and_b32 s0, s0, 0xffff
	s_lshl_b32 s8, s0, 2
	s_mov_b64 s[6:7], 0xffff
	v_pk_mov_b32 v[2:3], v[0:1], v[0:1] op_sel:[0,1]
.LBB353_16:                             ; =>This Inner Loop Header: Depth=1
	v_add_co_u32_e32 v6, vcc, s10, v2
	v_addc_co_u32_e32 v7, vcc, v4, v3, vcc
	v_add_co_u32_e32 v2, vcc, s8, v2
	v_addc_co_u32_e32 v3, vcc, v5, v3, vcc
	v_cmp_le_i64_e32 vcc, s[2:3], v[2:3]
	v_cmp_lt_u64_e64 s[0:1], s[6:7], v[2:3]
	s_or_b64 s[0:1], vcc, s[0:1]
	s_and_b64 s[0:1], exec, s[0:1]
	s_or_b64 s[4:5], s[0:1], s[4:5]
	global_store_dword v[6:7], v1, off
	s_andn2_b64 exec, exec, s[4:5]
	s_cbranch_execnz .LBB353_16
.LBB353_17:
	s_endpgm
	.section	.rodata,"a",@progbits
	.p2align	6, 0x0
	.amdhsa_kernel _ZN2at6native12_GLOBAL__N_125multi_tensor_apply_kernelINS1_18TensorListMetadataILi1EEENS1_11ZeroFunctorIaLi1ELi1ELi0EEEJEEEvT_T0_DpT1_
		.amdhsa_group_segment_fixed_size 0
		.amdhsa_private_segment_fixed_size 0
		.amdhsa_kernarg_size 3632
		.amdhsa_user_sgpr_count 6
		.amdhsa_user_sgpr_private_segment_buffer 1
		.amdhsa_user_sgpr_dispatch_ptr 0
		.amdhsa_user_sgpr_queue_ptr 0
		.amdhsa_user_sgpr_kernarg_segment_ptr 1
		.amdhsa_user_sgpr_dispatch_id 0
		.amdhsa_user_sgpr_flat_scratch_init 0
		.amdhsa_user_sgpr_kernarg_preload_length 0
		.amdhsa_user_sgpr_kernarg_preload_offset 0
		.amdhsa_user_sgpr_private_segment_size 0
		.amdhsa_uses_dynamic_stack 0
		.amdhsa_system_sgpr_private_segment_wavefront_offset 0
		.amdhsa_system_sgpr_workgroup_id_x 1
		.amdhsa_system_sgpr_workgroup_id_y 0
		.amdhsa_system_sgpr_workgroup_id_z 0
		.amdhsa_system_sgpr_workgroup_info 0
		.amdhsa_system_vgpr_workitem_id 0
		.amdhsa_next_free_vgpr 22
		.amdhsa_next_free_sgpr 18
		.amdhsa_accum_offset 24
		.amdhsa_reserve_vcc 1
		.amdhsa_reserve_flat_scratch 0
		.amdhsa_float_round_mode_32 0
		.amdhsa_float_round_mode_16_64 0
		.amdhsa_float_denorm_mode_32 3
		.amdhsa_float_denorm_mode_16_64 3
		.amdhsa_dx10_clamp 1
		.amdhsa_ieee_mode 1
		.amdhsa_fp16_overflow 0
		.amdhsa_tg_split 0
		.amdhsa_exception_fp_ieee_invalid_op 0
		.amdhsa_exception_fp_denorm_src 0
		.amdhsa_exception_fp_ieee_div_zero 0
		.amdhsa_exception_fp_ieee_overflow 0
		.amdhsa_exception_fp_ieee_underflow 0
		.amdhsa_exception_fp_ieee_inexact 0
		.amdhsa_exception_int_div_zero 0
	.end_amdhsa_kernel
	.section	.text._ZN2at6native12_GLOBAL__N_125multi_tensor_apply_kernelINS1_18TensorListMetadataILi1EEENS1_11ZeroFunctorIaLi1ELi1ELi0EEEJEEEvT_T0_DpT1_,"axG",@progbits,_ZN2at6native12_GLOBAL__N_125multi_tensor_apply_kernelINS1_18TensorListMetadataILi1EEENS1_11ZeroFunctorIaLi1ELi1ELi0EEEJEEEvT_T0_DpT1_,comdat
.Lfunc_end353:
	.size	_ZN2at6native12_GLOBAL__N_125multi_tensor_apply_kernelINS1_18TensorListMetadataILi1EEENS1_11ZeroFunctorIaLi1ELi1ELi0EEEJEEEvT_T0_DpT1_, .Lfunc_end353-_ZN2at6native12_GLOBAL__N_125multi_tensor_apply_kernelINS1_18TensorListMetadataILi1EEENS1_11ZeroFunctorIaLi1ELi1ELi0EEEJEEEvT_T0_DpT1_
                                        ; -- End function
	.section	.AMDGPU.csdata,"",@progbits
; Kernel info:
; codeLenInByte = 724
; NumSgprs: 22
; NumVgprs: 22
; NumAgprs: 0
; TotalNumVgprs: 22
; ScratchSize: 0
; MemoryBound: 0
; FloatMode: 240
; IeeeMode: 1
; LDSByteSize: 0 bytes/workgroup (compile time only)
; SGPRBlocks: 2
; VGPRBlocks: 2
; NumSGPRsForWavesPerEU: 22
; NumVGPRsForWavesPerEU: 22
; AccumOffset: 24
; Occupancy: 8
; WaveLimiterHint : 0
; COMPUTE_PGM_RSRC2:SCRATCH_EN: 0
; COMPUTE_PGM_RSRC2:USER_SGPR: 6
; COMPUTE_PGM_RSRC2:TRAP_HANDLER: 0
; COMPUTE_PGM_RSRC2:TGID_X_EN: 1
; COMPUTE_PGM_RSRC2:TGID_Y_EN: 0
; COMPUTE_PGM_RSRC2:TGID_Z_EN: 0
; COMPUTE_PGM_RSRC2:TIDIG_COMP_CNT: 0
; COMPUTE_PGM_RSRC3_GFX90A:ACCUM_OFFSET: 5
; COMPUTE_PGM_RSRC3_GFX90A:TG_SPLIT: 0
	.section	.text._ZN2at6native12_GLOBAL__N_125multi_tensor_apply_kernelINS1_18TensorListMetadataILi1EEENS1_11ZeroFunctorIiLi1ELi1ELi0EEEJEEEvT_T0_DpT1_,"axG",@progbits,_ZN2at6native12_GLOBAL__N_125multi_tensor_apply_kernelINS1_18TensorListMetadataILi1EEENS1_11ZeroFunctorIiLi1ELi1ELi0EEEJEEEvT_T0_DpT1_,comdat
	.globl	_ZN2at6native12_GLOBAL__N_125multi_tensor_apply_kernelINS1_18TensorListMetadataILi1EEENS1_11ZeroFunctorIiLi1ELi1ELi0EEEJEEEvT_T0_DpT1_ ; -- Begin function _ZN2at6native12_GLOBAL__N_125multi_tensor_apply_kernelINS1_18TensorListMetadataILi1EEENS1_11ZeroFunctorIiLi1ELi1ELi0EEEJEEEvT_T0_DpT1_
	.p2align	8
	.type	_ZN2at6native12_GLOBAL__N_125multi_tensor_apply_kernelINS1_18TensorListMetadataILi1EEENS1_11ZeroFunctorIiLi1ELi1ELi0EEEJEEEvT_T0_DpT1_,@function
_ZN2at6native12_GLOBAL__N_125multi_tensor_apply_kernelINS1_18TensorListMetadataILi1EEENS1_11ZeroFunctorIiLi1ELi1ELi0EEEJEEEvT_T0_DpT1_: ; @_ZN2at6native12_GLOBAL__N_125multi_tensor_apply_kernelINS1_18TensorListMetadataILi1EEENS1_11ZeroFunctorIiLi1ELi1ELi0EEEJEEEvT_T0_DpT1_
; %bb.0:
	v_mov_b32_e32 v1, s6
	global_load_ubyte v1, v1, s[4:5] offset:1760
	s_add_u32 s0, s4, s6
	s_mul_hi_u32 s1, s6, 3
	s_mul_i32 s6, s6, 3
	s_addc_u32 s2, s5, 0
	s_add_u32 s0, s0, s6
	s_addc_u32 s1, s2, s1
	s_load_dword s0, s[0:1], 0x820
	s_mov_b32 s13, 0
	s_waitcnt vmcnt(0)
	v_readfirstlane_b32 s2, v1
	s_lshl_b32 s1, s2, 3
	s_load_dwordx2 s[10:11], s[4:5], s1 offset:0x370
	s_load_dwordx2 s[2:3], s[4:5], s1 offset:0x0
	s_waitcnt lgkmcnt(0)
	s_ashr_i32 s1, s0, 31
	s_lshl_b64 s[8:9], s[0:1], 18
	s_lshl_b64 s[0:1], s[0:1], 16
	s_and_b32 s12, s2, 15
	s_sub_u32 s6, s10, s0
	s_subb_u32 s7, s11, s1
	s_and_b32 s0, s10, 3
	s_mov_b32 s1, s13
	s_or_b64 s[0:1], s[12:13], s[0:1]
	s_cmp_eq_u64 s[0:1], 0
	s_cbranch_scc1 .LBB354_13
; %bb.1:
	v_cmp_lt_i64_e64 s[0:1], s[6:7], 1
	s_and_b64 vcc, exec, s[0:1]
	s_cbranch_vccnz .LBB354_12
; %bb.2:
	s_load_dword s0, s[4:5], 0xd3c
	v_mov_b32_e32 v2, 0x10000
	v_mov_b32_e32 v3, 0
	v_cmp_lt_u64_e32 vcc, s[6:7], v[2:3]
	v_lshlrev_b32_e32 v4, 2, v0
	s_waitcnt lgkmcnt(0)
	s_and_b32 s12, s0, 0xffff
	s_and_b64 s[0:1], vcc, exec
	s_cselect_b32 s11, s7, 0
	s_cselect_b32 s10, s6, 0x10000
	s_lshl_b32 s13, s12, 1
	s_lshl_b32 s14, s12, 2
	s_add_u32 s21, s2, s8
	s_addc_u32 s22, s3, s9
	v_mov_b32_e32 v5, s22
	v_add_co_u32_e32 v4, vcc, s21, v4
	s_mul_i32 s0, s12, 3
	v_addc_co_u32_e32 v5, vcc, 0, v5, vcc
	v_add_co_u32_e32 v10, vcc, s0, v0
	v_addc_co_u32_e64 v11, s[0:1], 0, 0, vcc
	v_add_co_u32_e32 v12, vcc, s13, v0
	v_addc_co_u32_e64 v13, s[0:1], 0, 0, vcc
	v_add_co_u32_e32 v14, vcc, s12, v0
	v_lshlrev_b32_e32 v6, 2, v14
	s_mov_b32 s20, 0
	v_addc_co_u32_e64 v15, s[0:1], 0, 0, vcc
	v_mov_b32_e32 v7, s22
	v_add_co_u32_e32 v6, vcc, s21, v6
	v_mov_b32_e32 v1, 0
	s_lshl_b32 s15, s12, 4
	s_mul_i32 s16, s12, 12
	s_mov_b32 s17, s20
	s_lshl_b32 s18, s12, 3
	s_mov_b32 s19, s20
	v_addc_co_u32_e32 v7, vcc, 0, v7, vcc
	s_mov_b64 s[12:13], 0
	v_pk_mov_b32 v[8:9], s[6:7], s[6:7] op_sel:[0,1]
	v_mov_b32_e32 v16, s20
	s_branch .LBB354_4
.LBB354_3:                              ;   in Loop: Header=BB354_4 Depth=1
	s_or_b64 exec, exec, s[0:1]
	s_add_u32 s12, s12, s14
	s_addc_u32 s13, s13, 0
	v_cmp_lt_i64_e32 vcc, s[12:13], v[8:9]
	v_cmp_lt_u64_e64 s[0:1], s[12:13], v[2:3]
	s_and_b64 s[0:1], vcc, s[0:1]
	v_add_co_u32_e32 v4, vcc, s15, v4
	v_addc_co_u32_e32 v5, vcc, v5, v16, vcc
	v_add_co_u32_e32 v6, vcc, s15, v6
	v_addc_co_u32_e32 v7, vcc, v7, v16, vcc
	s_and_b64 vcc, exec, s[0:1]
	s_cbranch_vccz .LBB354_12
.LBB354_4:                              ; =>This Inner Loop Header: Depth=1
	v_mov_b32_e32 v17, s13
	v_add_co_u32_e32 v18, vcc, s12, v0
	v_addc_co_u32_e32 v19, vcc, 0, v17, vcc
	v_cmp_gt_u64_e32 vcc, s[10:11], v[18:19]
	s_and_saveexec_b64 s[0:1], vcc
	s_cbranch_execz .LBB354_6
; %bb.5:                                ;   in Loop: Header=BB354_4 Depth=1
	global_store_dword v[4:5], v1, off
.LBB354_6:                              ;   in Loop: Header=BB354_4 Depth=1
	s_or_b64 exec, exec, s[0:1]
	v_mov_b32_e32 v17, s13
	v_add_co_u32_e32 v18, vcc, s12, v14
	v_addc_co_u32_e32 v19, vcc, v15, v17, vcc
	v_cmp_gt_u64_e32 vcc, s[10:11], v[18:19]
	s_and_saveexec_b64 s[0:1], vcc
	s_cbranch_execz .LBB354_8
; %bb.7:                                ;   in Loop: Header=BB354_4 Depth=1
	global_store_dword v[6:7], v1, off
.LBB354_8:                              ;   in Loop: Header=BB354_4 Depth=1
	s_or_b64 exec, exec, s[0:1]
	v_mov_b32_e32 v17, s13
	v_add_co_u32_e32 v18, vcc, s12, v12
	v_addc_co_u32_e32 v19, vcc, v13, v17, vcc
	v_cmp_gt_u64_e32 vcc, s[10:11], v[18:19]
	s_and_saveexec_b64 s[0:1], vcc
	s_cbranch_execz .LBB354_10
; %bb.9:                                ;   in Loop: Header=BB354_4 Depth=1
	v_mov_b32_e32 v17, s19
	v_add_co_u32_e32 v18, vcc, s18, v4
	v_addc_co_u32_e32 v19, vcc, v5, v17, vcc
	global_store_dword v[18:19], v1, off
.LBB354_10:                             ;   in Loop: Header=BB354_4 Depth=1
	s_or_b64 exec, exec, s[0:1]
	v_mov_b32_e32 v17, s13
	v_add_co_u32_e32 v18, vcc, s12, v10
	v_addc_co_u32_e32 v19, vcc, v11, v17, vcc
	v_cmp_gt_u64_e32 vcc, s[10:11], v[18:19]
	s_and_saveexec_b64 s[0:1], vcc
	s_cbranch_execz .LBB354_3
; %bb.11:                               ;   in Loop: Header=BB354_4 Depth=1
	v_mov_b32_e32 v17, s17
	v_add_co_u32_e32 v18, vcc, s16, v4
	v_addc_co_u32_e32 v19, vcc, v5, v17, vcc
	global_store_dword v[18:19], v1, off
	s_branch .LBB354_3
.LBB354_12:
	s_cbranch_execz .LBB354_14
	s_branch .LBB354_17
.LBB354_13:
.LBB354_14:
	v_mov_b32_e32 v2, 0
	v_lshlrev_b32_e32 v4, 2, v0
	v_mov_b32_e32 v5, v2
	s_mov_b32 s0, 0
	v_cmp_gt_i64_e32 vcc, s[6:7], v[4:5]
	s_and_saveexec_b64 s[10:11], vcc
	s_cbranch_execz .LBB354_17
; %bb.15:
	s_load_dword s1, s[4:5], 0xd3c
	v_lshlrev_b32_e32 v1, 4, v0
	s_mov_b64 s[4:5], 0
	v_mov_b32_e32 v4, v2
	v_mov_b32_e32 v5, v2
	s_waitcnt lgkmcnt(0)
	s_and_b32 s1, s1, 0xffff
	s_add_u32 s2, s2, s8
	s_addc_u32 s3, s3, s9
	v_mov_b32_e32 v3, s3
	v_add_co_u32_e32 v1, vcc, s2, v1
	v_addc_co_u32_e32 v3, vcc, 0, v3, vcc
	v_add_co_u32_e32 v6, vcc, 8, v1
	v_addc_co_u32_e32 v7, vcc, 0, v3, vcc
	s_lshl_b32 s10, s1, 4
	v_add_lshl_u32 v0, v0, s1, 2
	v_mov_b32_e32 v1, v2
	s_lshl_b32 s11, s1, 2
	v_mov_b32_e32 v3, v2
	s_mov_b64 s[8:9], 0xffff
	v_mov_b32_e32 v8, s0
	v_mov_b32_e32 v9, s0
.LBB354_16:                             ; =>This Inner Loop Header: Depth=1
	global_store_dwordx4 v[6:7], v[2:5], off offset:-8
	v_cmp_le_i64_e32 vcc, s[6:7], v[0:1]
	v_cmp_lt_u64_e64 s[0:1], s[8:9], v[0:1]
	v_add_co_u32_e64 v6, s[2:3], s10, v6
	v_addc_co_u32_e64 v7, s[2:3], v7, v8, s[2:3]
	s_or_b64 s[0:1], vcc, s[0:1]
	v_add_co_u32_e64 v0, s[2:3], s11, v0
	s_and_b64 s[0:1], exec, s[0:1]
	s_or_b64 s[4:5], s[0:1], s[4:5]
	v_addc_co_u32_e64 v1, vcc, v1, v9, s[2:3]
	s_andn2_b64 exec, exec, s[4:5]
	s_cbranch_execnz .LBB354_16
.LBB354_17:
	s_endpgm
	.section	.rodata,"a",@progbits
	.p2align	6, 0x0
	.amdhsa_kernel _ZN2at6native12_GLOBAL__N_125multi_tensor_apply_kernelINS1_18TensorListMetadataILi1EEENS1_11ZeroFunctorIiLi1ELi1ELi0EEEJEEEvT_T0_DpT1_
		.amdhsa_group_segment_fixed_size 0
		.amdhsa_private_segment_fixed_size 0
		.amdhsa_kernarg_size 3632
		.amdhsa_user_sgpr_count 6
		.amdhsa_user_sgpr_private_segment_buffer 1
		.amdhsa_user_sgpr_dispatch_ptr 0
		.amdhsa_user_sgpr_queue_ptr 0
		.amdhsa_user_sgpr_kernarg_segment_ptr 1
		.amdhsa_user_sgpr_dispatch_id 0
		.amdhsa_user_sgpr_flat_scratch_init 0
		.amdhsa_user_sgpr_kernarg_preload_length 0
		.amdhsa_user_sgpr_kernarg_preload_offset 0
		.amdhsa_user_sgpr_private_segment_size 0
		.amdhsa_uses_dynamic_stack 0
		.amdhsa_system_sgpr_private_segment_wavefront_offset 0
		.amdhsa_system_sgpr_workgroup_id_x 1
		.amdhsa_system_sgpr_workgroup_id_y 0
		.amdhsa_system_sgpr_workgroup_id_z 0
		.amdhsa_system_sgpr_workgroup_info 0
		.amdhsa_system_vgpr_workitem_id 0
		.amdhsa_next_free_vgpr 20
		.amdhsa_next_free_sgpr 23
		.amdhsa_accum_offset 20
		.amdhsa_reserve_vcc 1
		.amdhsa_reserve_flat_scratch 0
		.amdhsa_float_round_mode_32 0
		.amdhsa_float_round_mode_16_64 0
		.amdhsa_float_denorm_mode_32 3
		.amdhsa_float_denorm_mode_16_64 3
		.amdhsa_dx10_clamp 1
		.amdhsa_ieee_mode 1
		.amdhsa_fp16_overflow 0
		.amdhsa_tg_split 0
		.amdhsa_exception_fp_ieee_invalid_op 0
		.amdhsa_exception_fp_denorm_src 0
		.amdhsa_exception_fp_ieee_div_zero 0
		.amdhsa_exception_fp_ieee_overflow 0
		.amdhsa_exception_fp_ieee_underflow 0
		.amdhsa_exception_fp_ieee_inexact 0
		.amdhsa_exception_int_div_zero 0
	.end_amdhsa_kernel
	.section	.text._ZN2at6native12_GLOBAL__N_125multi_tensor_apply_kernelINS1_18TensorListMetadataILi1EEENS1_11ZeroFunctorIiLi1ELi1ELi0EEEJEEEvT_T0_DpT1_,"axG",@progbits,_ZN2at6native12_GLOBAL__N_125multi_tensor_apply_kernelINS1_18TensorListMetadataILi1EEENS1_11ZeroFunctorIiLi1ELi1ELi0EEEJEEEvT_T0_DpT1_,comdat
.Lfunc_end354:
	.size	_ZN2at6native12_GLOBAL__N_125multi_tensor_apply_kernelINS1_18TensorListMetadataILi1EEENS1_11ZeroFunctorIiLi1ELi1ELi0EEEJEEEvT_T0_DpT1_, .Lfunc_end354-_ZN2at6native12_GLOBAL__N_125multi_tensor_apply_kernelINS1_18TensorListMetadataILi1EEENS1_11ZeroFunctorIiLi1ELi1ELi0EEEJEEEvT_T0_DpT1_
                                        ; -- End function
	.section	.AMDGPU.csdata,"",@progbits
; Kernel info:
; codeLenInByte = 764
; NumSgprs: 27
; NumVgprs: 20
; NumAgprs: 0
; TotalNumVgprs: 20
; ScratchSize: 0
; MemoryBound: 0
; FloatMode: 240
; IeeeMode: 1
; LDSByteSize: 0 bytes/workgroup (compile time only)
; SGPRBlocks: 3
; VGPRBlocks: 2
; NumSGPRsForWavesPerEU: 27
; NumVGPRsForWavesPerEU: 20
; AccumOffset: 20
; Occupancy: 8
; WaveLimiterHint : 0
; COMPUTE_PGM_RSRC2:SCRATCH_EN: 0
; COMPUTE_PGM_RSRC2:USER_SGPR: 6
; COMPUTE_PGM_RSRC2:TRAP_HANDLER: 0
; COMPUTE_PGM_RSRC2:TGID_X_EN: 1
; COMPUTE_PGM_RSRC2:TGID_Y_EN: 0
; COMPUTE_PGM_RSRC2:TGID_Z_EN: 0
; COMPUTE_PGM_RSRC2:TIDIG_COMP_CNT: 0
; COMPUTE_PGM_RSRC3_GFX90A:ACCUM_OFFSET: 4
; COMPUTE_PGM_RSRC3_GFX90A:TG_SPLIT: 0
	.section	.text._ZN2at6native12_GLOBAL__N_125multi_tensor_apply_kernelINS1_18TensorListMetadataILi1EEENS1_11ZeroFunctorIlLi1ELi1ELi0EEEJEEEvT_T0_DpT1_,"axG",@progbits,_ZN2at6native12_GLOBAL__N_125multi_tensor_apply_kernelINS1_18TensorListMetadataILi1EEENS1_11ZeroFunctorIlLi1ELi1ELi0EEEJEEEvT_T0_DpT1_,comdat
	.globl	_ZN2at6native12_GLOBAL__N_125multi_tensor_apply_kernelINS1_18TensorListMetadataILi1EEENS1_11ZeroFunctorIlLi1ELi1ELi0EEEJEEEvT_T0_DpT1_ ; -- Begin function _ZN2at6native12_GLOBAL__N_125multi_tensor_apply_kernelINS1_18TensorListMetadataILi1EEENS1_11ZeroFunctorIlLi1ELi1ELi0EEEJEEEvT_T0_DpT1_
	.p2align	8
	.type	_ZN2at6native12_GLOBAL__N_125multi_tensor_apply_kernelINS1_18TensorListMetadataILi1EEENS1_11ZeroFunctorIlLi1ELi1ELi0EEEJEEEvT_T0_DpT1_,@function
_ZN2at6native12_GLOBAL__N_125multi_tensor_apply_kernelINS1_18TensorListMetadataILi1EEENS1_11ZeroFunctorIlLi1ELi1ELi0EEEJEEEvT_T0_DpT1_: ; @_ZN2at6native12_GLOBAL__N_125multi_tensor_apply_kernelINS1_18TensorListMetadataILi1EEENS1_11ZeroFunctorIlLi1ELi1ELi0EEEJEEEvT_T0_DpT1_
; %bb.0:
	v_mov_b32_e32 v1, s6
	global_load_ubyte v1, v1, s[4:5] offset:1760
	s_add_u32 s0, s4, s6
	s_mul_hi_u32 s1, s6, 3
	s_mul_i32 s6, s6, 3
	s_addc_u32 s2, s5, 0
	s_add_u32 s0, s0, s6
	s_addc_u32 s1, s2, s1
	s_load_dword s0, s[0:1], 0x820
	s_mov_b32 s13, 0
	s_waitcnt vmcnt(0)
	v_readfirstlane_b32 s2, v1
	s_lshl_b32 s1, s2, 3
	s_load_dwordx2 s[10:11], s[4:5], s1 offset:0x370
	s_load_dwordx2 s[2:3], s[4:5], s1 offset:0x0
	s_waitcnt lgkmcnt(0)
	s_ashr_i32 s1, s0, 31
	s_lshl_b64 s[8:9], s[0:1], 19
	s_lshl_b64 s[0:1], s[0:1], 16
	s_and_b32 s12, s2, 31
	s_sub_u32 s6, s10, s0
	s_subb_u32 s7, s11, s1
	s_and_b32 s0, s10, 3
	s_mov_b32 s1, s13
	s_or_b64 s[0:1], s[12:13], s[0:1]
	s_cmp_eq_u64 s[0:1], 0
	s_cbranch_scc1 .LBB355_13
; %bb.1:
	v_cmp_lt_i64_e64 s[0:1], s[6:7], 1
	s_and_b64 vcc, exec, s[0:1]
	s_cbranch_vccnz .LBB355_12
; %bb.2:
	s_load_dword s0, s[4:5], 0xd3c
	v_mov_b32_e32 v4, 0x10000
	v_mov_b32_e32 v5, 0
	v_cmp_lt_u64_e32 vcc, s[6:7], v[4:5]
	v_lshlrev_b32_e32 v1, 3, v0
	s_waitcnt lgkmcnt(0)
	s_and_b32 s12, s0, 0xffff
	s_and_b64 s[0:1], vcc, exec
	s_cselect_b32 s11, s7, 0
	s_cselect_b32 s10, s6, 0x10000
	s_lshl_b32 s13, s12, 1
	s_lshl_b32 s14, s12, 2
	s_add_u32 s21, s2, s8
	s_addc_u32 s22, s3, s9
	v_mov_b32_e32 v3, s22
	v_add_co_u32_e32 v6, vcc, s21, v1
	s_mul_i32 s0, s12, 3
	v_addc_co_u32_e32 v7, vcc, 0, v3, vcc
	v_add_co_u32_e32 v1, vcc, s0, v0
	v_addc_co_u32_e64 v12, s[0:1], 0, 0, vcc
	v_add_co_u32_e32 v13, vcc, s13, v0
	v_addc_co_u32_e64 v14, s[0:1], 0, 0, vcc
	v_add_co_u32_e32 v15, vcc, s12, v0
	v_lshlrev_b32_e32 v3, 3, v15
	s_mov_b32 s20, 0
	v_addc_co_u32_e64 v16, s[0:1], 0, 0, vcc
	v_mov_b32_e32 v9, s22
	v_add_co_u32_e32 v8, vcc, s21, v3
	v_mov_b32_e32 v2, 0
	s_lshl_b32 s15, s12, 5
	s_mul_i32 s16, s12, 24
	s_mov_b32 s17, s20
	s_lshl_b32 s18, s12, 4
	s_mov_b32 s19, s20
	v_addc_co_u32_e32 v9, vcc, 0, v9, vcc
	s_mov_b64 s[12:13], 0
	v_pk_mov_b32 v[10:11], s[6:7], s[6:7] op_sel:[0,1]
	v_mov_b32_e32 v17, s20
	s_branch .LBB355_4
.LBB355_3:                              ;   in Loop: Header=BB355_4 Depth=1
	s_or_b64 exec, exec, s[0:1]
	s_add_u32 s12, s12, s14
	s_addc_u32 s13, s13, 0
	v_cmp_lt_i64_e32 vcc, s[12:13], v[10:11]
	v_cmp_lt_u64_e64 s[0:1], s[12:13], v[4:5]
	s_and_b64 s[0:1], vcc, s[0:1]
	v_add_co_u32_e32 v6, vcc, s15, v6
	v_addc_co_u32_e32 v7, vcc, v7, v17, vcc
	v_add_co_u32_e32 v8, vcc, s15, v8
	v_addc_co_u32_e32 v9, vcc, v9, v17, vcc
	s_and_b64 vcc, exec, s[0:1]
	s_cbranch_vccz .LBB355_12
.LBB355_4:                              ; =>This Inner Loop Header: Depth=1
	v_mov_b32_e32 v3, s13
	v_add_co_u32_e32 v18, vcc, s12, v0
	v_addc_co_u32_e32 v19, vcc, 0, v3, vcc
	v_cmp_gt_u64_e32 vcc, s[10:11], v[18:19]
	s_and_saveexec_b64 s[0:1], vcc
	s_cbranch_execz .LBB355_6
; %bb.5:                                ;   in Loop: Header=BB355_4 Depth=1
	v_mov_b32_e32 v3, v2
	global_store_dwordx2 v[6:7], v[2:3], off
.LBB355_6:                              ;   in Loop: Header=BB355_4 Depth=1
	s_or_b64 exec, exec, s[0:1]
	v_mov_b32_e32 v3, s13
	v_add_co_u32_e32 v18, vcc, s12, v15
	v_addc_co_u32_e32 v19, vcc, v16, v3, vcc
	v_cmp_gt_u64_e32 vcc, s[10:11], v[18:19]
	s_and_saveexec_b64 s[0:1], vcc
	s_cbranch_execz .LBB355_8
; %bb.7:                                ;   in Loop: Header=BB355_4 Depth=1
	v_mov_b32_e32 v3, v2
	global_store_dwordx2 v[8:9], v[2:3], off
.LBB355_8:                              ;   in Loop: Header=BB355_4 Depth=1
	s_or_b64 exec, exec, s[0:1]
	v_mov_b32_e32 v3, s13
	v_add_co_u32_e32 v18, vcc, s12, v13
	v_addc_co_u32_e32 v19, vcc, v14, v3, vcc
	v_cmp_gt_u64_e32 vcc, s[10:11], v[18:19]
	s_and_saveexec_b64 s[0:1], vcc
	s_cbranch_execz .LBB355_10
; %bb.9:                                ;   in Loop: Header=BB355_4 Depth=1
	v_mov_b32_e32 v3, s19
	v_add_co_u32_e32 v18, vcc, s18, v6
	v_addc_co_u32_e32 v19, vcc, v7, v3, vcc
	v_mov_b32_e32 v3, v2
	global_store_dwordx2 v[18:19], v[2:3], off
.LBB355_10:                             ;   in Loop: Header=BB355_4 Depth=1
	s_or_b64 exec, exec, s[0:1]
	v_mov_b32_e32 v3, s13
	v_add_co_u32_e32 v18, vcc, s12, v1
	v_addc_co_u32_e32 v19, vcc, v12, v3, vcc
	v_cmp_gt_u64_e32 vcc, s[10:11], v[18:19]
	s_and_saveexec_b64 s[0:1], vcc
	s_cbranch_execz .LBB355_3
; %bb.11:                               ;   in Loop: Header=BB355_4 Depth=1
	v_mov_b32_e32 v3, s17
	v_add_co_u32_e32 v18, vcc, s16, v6
	v_addc_co_u32_e32 v19, vcc, v7, v3, vcc
	v_mov_b32_e32 v3, v2
	global_store_dwordx2 v[18:19], v[2:3], off
	s_branch .LBB355_3
.LBB355_12:
	s_cbranch_execz .LBB355_14
	s_branch .LBB355_17
.LBB355_13:
.LBB355_14:
	v_mov_b32_e32 v5, 0
	v_lshlrev_b32_e32 v4, 2, v0
	s_mov_b32 s0, 0
	v_cmp_gt_i64_e32 vcc, s[6:7], v[4:5]
	s_and_saveexec_b64 s[10:11], vcc
	s_cbranch_execz .LBB355_17
; %bb.15:
	s_load_dword s1, s[4:5], 0xd3c
	v_lshlrev_b32_e32 v1, 5, v0
	s_mov_b32 s12, s0
	s_mov_b32 s13, s0
	;; [unrolled: 1-line block ×3, first 2 shown]
	s_waitcnt lgkmcnt(0)
	s_and_b32 s1, s1, 0xffff
	s_lshl_b32 s10, s1, 2
	s_add_u32 s2, s2, s8
	s_addc_u32 s3, s3, s9
	v_add_lshl_u32 v4, v0, s1, 2
	v_mov_b32_e32 v0, s3
	v_add_co_u32_e32 v1, vcc, s2, v1
	v_addc_co_u32_e32 v0, vcc, 0, v0, vcc
	v_add_co_u32_e32 v6, vcc, 16, v1
	v_addc_co_u32_e32 v7, vcc, 0, v0, vcc
	s_mov_b32 s15, s0
	v_pk_mov_b32 v[0:1], s[12:13], s[12:13] op_sel:[0,1]
	s_lshl_b32 s11, s1, 5
	s_mov_b64 s[4:5], 0
	v_pk_mov_b32 v[2:3], s[14:15], s[14:15] op_sel:[0,1]
	s_mov_b64 s[8:9], 0xffff
	v_mov_b32_e32 v8, s0
	v_mov_b32_e32 v9, s0
.LBB355_16:                             ; =>This Inner Loop Header: Depth=1
	v_cmp_le_i64_e32 vcc, s[6:7], v[4:5]
	v_cmp_lt_u64_e64 s[0:1], s[8:9], v[4:5]
	v_add_co_u32_e64 v4, s[2:3], s10, v4
	v_addc_co_u32_e64 v5, s[2:3], v5, v8, s[2:3]
	s_or_b64 s[0:1], vcc, s[0:1]
	global_store_dwordx4 v[6:7], v[0:3], off offset:-16
	global_store_dwordx4 v[6:7], v[0:3], off
	v_add_co_u32_e64 v6, s[2:3], s11, v6
	s_and_b64 s[0:1], exec, s[0:1]
	s_or_b64 s[4:5], s[0:1], s[4:5]
	v_addc_co_u32_e64 v7, vcc, v7, v9, s[2:3]
	s_andn2_b64 exec, exec, s[4:5]
	s_cbranch_execnz .LBB355_16
.LBB355_17:
	s_endpgm
	.section	.rodata,"a",@progbits
	.p2align	6, 0x0
	.amdhsa_kernel _ZN2at6native12_GLOBAL__N_125multi_tensor_apply_kernelINS1_18TensorListMetadataILi1EEENS1_11ZeroFunctorIlLi1ELi1ELi0EEEJEEEvT_T0_DpT1_
		.amdhsa_group_segment_fixed_size 0
		.amdhsa_private_segment_fixed_size 0
		.amdhsa_kernarg_size 3632
		.amdhsa_user_sgpr_count 6
		.amdhsa_user_sgpr_private_segment_buffer 1
		.amdhsa_user_sgpr_dispatch_ptr 0
		.amdhsa_user_sgpr_queue_ptr 0
		.amdhsa_user_sgpr_kernarg_segment_ptr 1
		.amdhsa_user_sgpr_dispatch_id 0
		.amdhsa_user_sgpr_flat_scratch_init 0
		.amdhsa_user_sgpr_kernarg_preload_length 0
		.amdhsa_user_sgpr_kernarg_preload_offset 0
		.amdhsa_user_sgpr_private_segment_size 0
		.amdhsa_uses_dynamic_stack 0
		.amdhsa_system_sgpr_private_segment_wavefront_offset 0
		.amdhsa_system_sgpr_workgroup_id_x 1
		.amdhsa_system_sgpr_workgroup_id_y 0
		.amdhsa_system_sgpr_workgroup_id_z 0
		.amdhsa_system_sgpr_workgroup_info 0
		.amdhsa_system_vgpr_workitem_id 0
		.amdhsa_next_free_vgpr 20
		.amdhsa_next_free_sgpr 23
		.amdhsa_accum_offset 20
		.amdhsa_reserve_vcc 1
		.amdhsa_reserve_flat_scratch 0
		.amdhsa_float_round_mode_32 0
		.amdhsa_float_round_mode_16_64 0
		.amdhsa_float_denorm_mode_32 3
		.amdhsa_float_denorm_mode_16_64 3
		.amdhsa_dx10_clamp 1
		.amdhsa_ieee_mode 1
		.amdhsa_fp16_overflow 0
		.amdhsa_tg_split 0
		.amdhsa_exception_fp_ieee_invalid_op 0
		.amdhsa_exception_fp_denorm_src 0
		.amdhsa_exception_fp_ieee_div_zero 0
		.amdhsa_exception_fp_ieee_overflow 0
		.amdhsa_exception_fp_ieee_underflow 0
		.amdhsa_exception_fp_ieee_inexact 0
		.amdhsa_exception_int_div_zero 0
	.end_amdhsa_kernel
	.section	.text._ZN2at6native12_GLOBAL__N_125multi_tensor_apply_kernelINS1_18TensorListMetadataILi1EEENS1_11ZeroFunctorIlLi1ELi1ELi0EEEJEEEvT_T0_DpT1_,"axG",@progbits,_ZN2at6native12_GLOBAL__N_125multi_tensor_apply_kernelINS1_18TensorListMetadataILi1EEENS1_11ZeroFunctorIlLi1ELi1ELi0EEEJEEEvT_T0_DpT1_,comdat
.Lfunc_end355:
	.size	_ZN2at6native12_GLOBAL__N_125multi_tensor_apply_kernelINS1_18TensorListMetadataILi1EEENS1_11ZeroFunctorIlLi1ELi1ELi0EEEJEEEvT_T0_DpT1_, .Lfunc_end355-_ZN2at6native12_GLOBAL__N_125multi_tensor_apply_kernelINS1_18TensorListMetadataILi1EEENS1_11ZeroFunctorIlLi1ELi1ELi0EEEJEEEvT_T0_DpT1_
                                        ; -- End function
	.section	.AMDGPU.csdata,"",@progbits
; Kernel info:
; codeLenInByte = 800
; NumSgprs: 27
; NumVgprs: 20
; NumAgprs: 0
; TotalNumVgprs: 20
; ScratchSize: 0
; MemoryBound: 0
; FloatMode: 240
; IeeeMode: 1
; LDSByteSize: 0 bytes/workgroup (compile time only)
; SGPRBlocks: 3
; VGPRBlocks: 2
; NumSGPRsForWavesPerEU: 27
; NumVGPRsForWavesPerEU: 20
; AccumOffset: 20
; Occupancy: 8
; WaveLimiterHint : 0
; COMPUTE_PGM_RSRC2:SCRATCH_EN: 0
; COMPUTE_PGM_RSRC2:USER_SGPR: 6
; COMPUTE_PGM_RSRC2:TRAP_HANDLER: 0
; COMPUTE_PGM_RSRC2:TGID_X_EN: 1
; COMPUTE_PGM_RSRC2:TGID_Y_EN: 0
; COMPUTE_PGM_RSRC2:TGID_Z_EN: 0
; COMPUTE_PGM_RSRC2:TIDIG_COMP_CNT: 0
; COMPUTE_PGM_RSRC3_GFX90A:ACCUM_OFFSET: 4
; COMPUTE_PGM_RSRC3_GFX90A:TG_SPLIT: 0
	.section	.text._ZN2at6native12_GLOBAL__N_125multi_tensor_apply_kernelINS1_18TensorListMetadataILi1EEENS1_11ZeroFunctorIsLi1ELi1ELi0EEEJEEEvT_T0_DpT1_,"axG",@progbits,_ZN2at6native12_GLOBAL__N_125multi_tensor_apply_kernelINS1_18TensorListMetadataILi1EEENS1_11ZeroFunctorIsLi1ELi1ELi0EEEJEEEvT_T0_DpT1_,comdat
	.globl	_ZN2at6native12_GLOBAL__N_125multi_tensor_apply_kernelINS1_18TensorListMetadataILi1EEENS1_11ZeroFunctorIsLi1ELi1ELi0EEEJEEEvT_T0_DpT1_ ; -- Begin function _ZN2at6native12_GLOBAL__N_125multi_tensor_apply_kernelINS1_18TensorListMetadataILi1EEENS1_11ZeroFunctorIsLi1ELi1ELi0EEEJEEEvT_T0_DpT1_
	.p2align	8
	.type	_ZN2at6native12_GLOBAL__N_125multi_tensor_apply_kernelINS1_18TensorListMetadataILi1EEENS1_11ZeroFunctorIsLi1ELi1ELi0EEEJEEEvT_T0_DpT1_,@function
_ZN2at6native12_GLOBAL__N_125multi_tensor_apply_kernelINS1_18TensorListMetadataILi1EEENS1_11ZeroFunctorIsLi1ELi1ELi0EEEJEEEvT_T0_DpT1_: ; @_ZN2at6native12_GLOBAL__N_125multi_tensor_apply_kernelINS1_18TensorListMetadataILi1EEENS1_11ZeroFunctorIsLi1ELi1ELi0EEEJEEEvT_T0_DpT1_
; %bb.0:
	v_mov_b32_e32 v1, s6
	global_load_ubyte v1, v1, s[4:5] offset:1760
	s_add_u32 s0, s4, s6
	s_mul_hi_u32 s1, s6, 3
	s_mul_i32 s6, s6, 3
	s_addc_u32 s2, s5, 0
	s_add_u32 s0, s0, s6
	s_addc_u32 s1, s2, s1
	s_load_dword s0, s[0:1], 0x820
	s_mov_b32 s13, 0
	s_waitcnt vmcnt(0)
	v_readfirstlane_b32 s2, v1
	s_lshl_b32 s1, s2, 3
	s_load_dwordx2 s[10:11], s[4:5], s1 offset:0x370
	s_load_dwordx2 s[2:3], s[4:5], s1 offset:0x0
	s_waitcnt lgkmcnt(0)
	s_ashr_i32 s1, s0, 31
	s_lshl_b64 s[8:9], s[0:1], 17
	s_lshl_b64 s[0:1], s[0:1], 16
	s_and_b32 s12, s2, 7
	s_sub_u32 s6, s10, s0
	s_subb_u32 s7, s11, s1
	s_and_b32 s0, s10, 3
	s_mov_b32 s1, s13
	s_or_b64 s[0:1], s[12:13], s[0:1]
	s_cmp_eq_u64 s[0:1], 0
	s_cbranch_scc1 .LBB356_13
; %bb.1:
	v_cmp_lt_i64_e64 s[0:1], s[6:7], 1
	s_and_b64 vcc, exec, s[0:1]
	s_cbranch_vccnz .LBB356_12
; %bb.2:
	s_load_dword s0, s[4:5], 0xd3c
	v_mov_b32_e32 v2, 0x10000
	v_mov_b32_e32 v3, 0
	v_cmp_lt_u64_e32 vcc, s[6:7], v[2:3]
	v_lshlrev_b32_e32 v4, 1, v0
	s_waitcnt lgkmcnt(0)
	s_and_b32 s12, s0, 0xffff
	s_and_b64 s[0:1], vcc, exec
	s_cselect_b32 s11, s7, 0
	s_cselect_b32 s10, s6, 0x10000
	s_lshl_b32 s13, s12, 1
	s_lshl_b32 s15, s12, 2
	s_add_u32 s19, s2, s8
	s_addc_u32 s20, s3, s9
	v_mov_b32_e32 v5, s20
	v_add_co_u32_e32 v4, vcc, s19, v4
	s_mul_i32 s0, s12, 3
	v_addc_co_u32_e32 v5, vcc, 0, v5, vcc
	v_add_co_u32_e32 v10, vcc, s0, v0
	v_addc_co_u32_e64 v11, s[0:1], 0, 0, vcc
	v_add_co_u32_e32 v12, vcc, s13, v0
	v_addc_co_u32_e64 v13, s[0:1], 0, 0, vcc
	v_add_co_u32_e32 v14, vcc, s12, v0
	v_lshlrev_b32_e32 v6, 1, v14
	s_mov_b32 s14, 0
	v_addc_co_u32_e64 v15, s[0:1], 0, 0, vcc
	v_mov_b32_e32 v7, s20
	v_add_co_u32_e32 v6, vcc, s19, v6
	v_mov_b32_e32 v1, 0
	s_lshl_b32 s16, s12, 3
	s_mul_i32 s17, s12, 6
	s_mov_b32 s18, s14
	v_addc_co_u32_e32 v7, vcc, 0, v7, vcc
	s_mov_b64 s[12:13], 0
	v_pk_mov_b32 v[8:9], s[6:7], s[6:7] op_sel:[0,1]
	v_mov_b32_e32 v16, s14
	s_branch .LBB356_4
.LBB356_3:                              ;   in Loop: Header=BB356_4 Depth=1
	s_or_b64 exec, exec, s[0:1]
	s_add_u32 s12, s12, s15
	s_addc_u32 s13, s13, 0
	v_cmp_lt_i64_e32 vcc, s[12:13], v[8:9]
	v_cmp_lt_u64_e64 s[0:1], s[12:13], v[2:3]
	s_and_b64 s[0:1], vcc, s[0:1]
	v_add_co_u32_e32 v4, vcc, s16, v4
	v_addc_co_u32_e32 v5, vcc, v5, v16, vcc
	v_add_co_u32_e32 v6, vcc, s16, v6
	v_addc_co_u32_e32 v7, vcc, v7, v16, vcc
	s_and_b64 vcc, exec, s[0:1]
	s_cbranch_vccz .LBB356_12
.LBB356_4:                              ; =>This Inner Loop Header: Depth=1
	v_mov_b32_e32 v17, s13
	v_add_co_u32_e32 v18, vcc, s12, v0
	v_addc_co_u32_e32 v19, vcc, 0, v17, vcc
	v_cmp_gt_u64_e32 vcc, s[10:11], v[18:19]
	s_and_saveexec_b64 s[0:1], vcc
	s_cbranch_execz .LBB356_6
; %bb.5:                                ;   in Loop: Header=BB356_4 Depth=1
	global_store_short v[4:5], v1, off
.LBB356_6:                              ;   in Loop: Header=BB356_4 Depth=1
	s_or_b64 exec, exec, s[0:1]
	v_mov_b32_e32 v17, s13
	v_add_co_u32_e32 v18, vcc, s12, v14
	v_addc_co_u32_e32 v19, vcc, v15, v17, vcc
	v_cmp_gt_u64_e32 vcc, s[10:11], v[18:19]
	s_and_saveexec_b64 s[0:1], vcc
	s_cbranch_execz .LBB356_8
; %bb.7:                                ;   in Loop: Header=BB356_4 Depth=1
	global_store_short v[6:7], v1, off
.LBB356_8:                              ;   in Loop: Header=BB356_4 Depth=1
	s_or_b64 exec, exec, s[0:1]
	v_mov_b32_e32 v17, s13
	v_add_co_u32_e32 v18, vcc, s12, v12
	v_addc_co_u32_e32 v19, vcc, v13, v17, vcc
	v_cmp_gt_u64_e32 vcc, s[10:11], v[18:19]
	s_and_saveexec_b64 s[0:1], vcc
	s_cbranch_execz .LBB356_10
; %bb.9:                                ;   in Loop: Header=BB356_4 Depth=1
	v_mov_b32_e32 v17, s14
	v_add_co_u32_e32 v18, vcc, s15, v4
	v_addc_co_u32_e32 v19, vcc, v5, v17, vcc
	global_store_short v[18:19], v1, off
.LBB356_10:                             ;   in Loop: Header=BB356_4 Depth=1
	s_or_b64 exec, exec, s[0:1]
	v_mov_b32_e32 v17, s13
	v_add_co_u32_e32 v18, vcc, s12, v10
	v_addc_co_u32_e32 v19, vcc, v11, v17, vcc
	v_cmp_gt_u64_e32 vcc, s[10:11], v[18:19]
	s_and_saveexec_b64 s[0:1], vcc
	s_cbranch_execz .LBB356_3
; %bb.11:                               ;   in Loop: Header=BB356_4 Depth=1
	v_mov_b32_e32 v17, s18
	v_add_co_u32_e32 v18, vcc, s17, v4
	v_addc_co_u32_e32 v19, vcc, v5, v17, vcc
	global_store_short v[18:19], v1, off
	s_branch .LBB356_3
.LBB356_12:
	s_cbranch_execz .LBB356_14
	s_branch .LBB356_17
.LBB356_13:
.LBB356_14:
	v_mov_b32_e32 v2, 0
	v_lshlrev_b32_e32 v4, 2, v0
	v_mov_b32_e32 v5, v2
	s_mov_b32 s0, 0
	v_cmp_gt_i64_e32 vcc, s[6:7], v[4:5]
	s_and_saveexec_b64 s[10:11], vcc
	s_cbranch_execz .LBB356_17
; %bb.15:
	s_load_dword s1, s[4:5], 0xd3c
	v_lshlrev_b32_e32 v1, 3, v0
	s_mov_b64 s[4:5], 0
	v_mov_b32_e32 v6, s0
	v_mov_b32_e32 v7, s0
	s_waitcnt lgkmcnt(0)
	s_and_b32 s1, s1, 0xffff
	s_add_u32 s2, s2, s8
	s_addc_u32 s3, s3, s9
	v_mov_b32_e32 v3, s3
	v_add_co_u32_e32 v4, vcc, s2, v1
	v_addc_co_u32_e32 v5, vcc, 0, v3, vcc
	s_lshl_b32 s10, s1, 3
	v_add_lshl_u32 v0, v0, s1, 2
	v_mov_b32_e32 v1, v2
	s_lshl_b32 s11, s1, 2
	v_mov_b32_e32 v3, v2
	s_mov_b64 s[8:9], 0xffff
.LBB356_16:                             ; =>This Inner Loop Header: Depth=1
	global_store_dwordx2 v[4:5], v[2:3], off
	v_cmp_le_i64_e32 vcc, s[6:7], v[0:1]
	v_cmp_lt_u64_e64 s[0:1], s[8:9], v[0:1]
	v_add_co_u32_e64 v4, s[2:3], s10, v4
	v_addc_co_u32_e64 v5, s[2:3], v5, v6, s[2:3]
	s_or_b64 s[0:1], vcc, s[0:1]
	v_add_co_u32_e64 v0, s[2:3], s11, v0
	s_and_b64 s[0:1], exec, s[0:1]
	s_or_b64 s[4:5], s[0:1], s[4:5]
	v_addc_co_u32_e64 v1, vcc, v1, v7, s[2:3]
	s_andn2_b64 exec, exec, s[4:5]
	s_cbranch_execnz .LBB356_16
.LBB356_17:
	s_endpgm
	.section	.rodata,"a",@progbits
	.p2align	6, 0x0
	.amdhsa_kernel _ZN2at6native12_GLOBAL__N_125multi_tensor_apply_kernelINS1_18TensorListMetadataILi1EEENS1_11ZeroFunctorIsLi1ELi1ELi0EEEJEEEvT_T0_DpT1_
		.amdhsa_group_segment_fixed_size 0
		.amdhsa_private_segment_fixed_size 0
		.amdhsa_kernarg_size 3632
		.amdhsa_user_sgpr_count 6
		.amdhsa_user_sgpr_private_segment_buffer 1
		.amdhsa_user_sgpr_dispatch_ptr 0
		.amdhsa_user_sgpr_queue_ptr 0
		.amdhsa_user_sgpr_kernarg_segment_ptr 1
		.amdhsa_user_sgpr_dispatch_id 0
		.amdhsa_user_sgpr_flat_scratch_init 0
		.amdhsa_user_sgpr_kernarg_preload_length 0
		.amdhsa_user_sgpr_kernarg_preload_offset 0
		.amdhsa_user_sgpr_private_segment_size 0
		.amdhsa_uses_dynamic_stack 0
		.amdhsa_system_sgpr_private_segment_wavefront_offset 0
		.amdhsa_system_sgpr_workgroup_id_x 1
		.amdhsa_system_sgpr_workgroup_id_y 0
		.amdhsa_system_sgpr_workgroup_id_z 0
		.amdhsa_system_sgpr_workgroup_info 0
		.amdhsa_system_vgpr_workitem_id 0
		.amdhsa_next_free_vgpr 20
		.amdhsa_next_free_sgpr 21
		.amdhsa_accum_offset 20
		.amdhsa_reserve_vcc 1
		.amdhsa_reserve_flat_scratch 0
		.amdhsa_float_round_mode_32 0
		.amdhsa_float_round_mode_16_64 0
		.amdhsa_float_denorm_mode_32 3
		.amdhsa_float_denorm_mode_16_64 3
		.amdhsa_dx10_clamp 1
		.amdhsa_ieee_mode 1
		.amdhsa_fp16_overflow 0
		.amdhsa_tg_split 0
		.amdhsa_exception_fp_ieee_invalid_op 0
		.amdhsa_exception_fp_denorm_src 0
		.amdhsa_exception_fp_ieee_div_zero 0
		.amdhsa_exception_fp_ieee_overflow 0
		.amdhsa_exception_fp_ieee_underflow 0
		.amdhsa_exception_fp_ieee_inexact 0
		.amdhsa_exception_int_div_zero 0
	.end_amdhsa_kernel
	.section	.text._ZN2at6native12_GLOBAL__N_125multi_tensor_apply_kernelINS1_18TensorListMetadataILi1EEENS1_11ZeroFunctorIsLi1ELi1ELi0EEEJEEEvT_T0_DpT1_,"axG",@progbits,_ZN2at6native12_GLOBAL__N_125multi_tensor_apply_kernelINS1_18TensorListMetadataILi1EEENS1_11ZeroFunctorIsLi1ELi1ELi0EEEJEEEvT_T0_DpT1_,comdat
.Lfunc_end356:
	.size	_ZN2at6native12_GLOBAL__N_125multi_tensor_apply_kernelINS1_18TensorListMetadataILi1EEENS1_11ZeroFunctorIsLi1ELi1ELi0EEEJEEEvT_T0_DpT1_, .Lfunc_end356-_ZN2at6native12_GLOBAL__N_125multi_tensor_apply_kernelINS1_18TensorListMetadataILi1EEENS1_11ZeroFunctorIsLi1ELi1ELi0EEEJEEEvT_T0_DpT1_
                                        ; -- End function
	.section	.AMDGPU.csdata,"",@progbits
; Kernel info:
; codeLenInByte = 740
; NumSgprs: 25
; NumVgprs: 20
; NumAgprs: 0
; TotalNumVgprs: 20
; ScratchSize: 0
; MemoryBound: 0
; FloatMode: 240
; IeeeMode: 1
; LDSByteSize: 0 bytes/workgroup (compile time only)
; SGPRBlocks: 3
; VGPRBlocks: 2
; NumSGPRsForWavesPerEU: 25
; NumVGPRsForWavesPerEU: 20
; AccumOffset: 20
; Occupancy: 8
; WaveLimiterHint : 0
; COMPUTE_PGM_RSRC2:SCRATCH_EN: 0
; COMPUTE_PGM_RSRC2:USER_SGPR: 6
; COMPUTE_PGM_RSRC2:TRAP_HANDLER: 0
; COMPUTE_PGM_RSRC2:TGID_X_EN: 1
; COMPUTE_PGM_RSRC2:TGID_Y_EN: 0
; COMPUTE_PGM_RSRC2:TGID_Z_EN: 0
; COMPUTE_PGM_RSRC2:TIDIG_COMP_CNT: 0
; COMPUTE_PGM_RSRC3_GFX90A:ACCUM_OFFSET: 4
; COMPUTE_PGM_RSRC3_GFX90A:TG_SPLIT: 0
	.section	.text._ZN2at6native12_GLOBAL__N_125multi_tensor_apply_kernelINS1_18TensorListMetadataILi1EEENS1_11ZeroFunctorIdLi1ELi1ELi0EEEJEEEvT_T0_DpT1_,"axG",@progbits,_ZN2at6native12_GLOBAL__N_125multi_tensor_apply_kernelINS1_18TensorListMetadataILi1EEENS1_11ZeroFunctorIdLi1ELi1ELi0EEEJEEEvT_T0_DpT1_,comdat
	.globl	_ZN2at6native12_GLOBAL__N_125multi_tensor_apply_kernelINS1_18TensorListMetadataILi1EEENS1_11ZeroFunctorIdLi1ELi1ELi0EEEJEEEvT_T0_DpT1_ ; -- Begin function _ZN2at6native12_GLOBAL__N_125multi_tensor_apply_kernelINS1_18TensorListMetadataILi1EEENS1_11ZeroFunctorIdLi1ELi1ELi0EEEJEEEvT_T0_DpT1_
	.p2align	8
	.type	_ZN2at6native12_GLOBAL__N_125multi_tensor_apply_kernelINS1_18TensorListMetadataILi1EEENS1_11ZeroFunctorIdLi1ELi1ELi0EEEJEEEvT_T0_DpT1_,@function
_ZN2at6native12_GLOBAL__N_125multi_tensor_apply_kernelINS1_18TensorListMetadataILi1EEENS1_11ZeroFunctorIdLi1ELi1ELi0EEEJEEEvT_T0_DpT1_: ; @_ZN2at6native12_GLOBAL__N_125multi_tensor_apply_kernelINS1_18TensorListMetadataILi1EEENS1_11ZeroFunctorIdLi1ELi1ELi0EEEJEEEvT_T0_DpT1_
; %bb.0:
	v_mov_b32_e32 v1, s6
	global_load_ubyte v1, v1, s[4:5] offset:1760
	s_add_u32 s0, s4, s6
	s_mul_hi_u32 s1, s6, 3
	s_mul_i32 s6, s6, 3
	s_addc_u32 s2, s5, 0
	s_add_u32 s0, s0, s6
	s_addc_u32 s1, s2, s1
	s_load_dword s0, s[0:1], 0x820
	s_mov_b32 s13, 0
	s_waitcnt vmcnt(0)
	v_readfirstlane_b32 s2, v1
	s_lshl_b32 s1, s2, 3
	s_load_dwordx2 s[10:11], s[4:5], s1 offset:0x370
	s_load_dwordx2 s[2:3], s[4:5], s1 offset:0x0
	s_waitcnt lgkmcnt(0)
	s_ashr_i32 s1, s0, 31
	s_lshl_b64 s[8:9], s[0:1], 19
	s_lshl_b64 s[0:1], s[0:1], 16
	s_and_b32 s12, s2, 31
	s_sub_u32 s6, s10, s0
	s_subb_u32 s7, s11, s1
	s_and_b32 s0, s10, 3
	s_mov_b32 s1, s13
	s_or_b64 s[0:1], s[12:13], s[0:1]
	s_cmp_eq_u64 s[0:1], 0
	s_cbranch_scc1 .LBB357_13
; %bb.1:
	v_cmp_lt_i64_e64 s[0:1], s[6:7], 1
	s_and_b64 vcc, exec, s[0:1]
	s_cbranch_vccnz .LBB357_12
; %bb.2:
	s_load_dword s0, s[4:5], 0xd3c
	v_mov_b32_e32 v4, 0x10000
	v_mov_b32_e32 v5, 0
	v_cmp_lt_u64_e32 vcc, s[6:7], v[4:5]
	v_lshlrev_b32_e32 v1, 3, v0
	s_waitcnt lgkmcnt(0)
	s_and_b32 s12, s0, 0xffff
	s_and_b64 s[0:1], vcc, exec
	s_cselect_b32 s11, s7, 0
	s_cselect_b32 s10, s6, 0x10000
	s_lshl_b32 s13, s12, 1
	s_lshl_b32 s14, s12, 2
	s_add_u32 s21, s2, s8
	s_addc_u32 s22, s3, s9
	v_mov_b32_e32 v3, s22
	v_add_co_u32_e32 v6, vcc, s21, v1
	s_mul_i32 s0, s12, 3
	v_addc_co_u32_e32 v7, vcc, 0, v3, vcc
	v_add_co_u32_e32 v1, vcc, s0, v0
	v_addc_co_u32_e64 v12, s[0:1], 0, 0, vcc
	v_add_co_u32_e32 v13, vcc, s13, v0
	v_addc_co_u32_e64 v14, s[0:1], 0, 0, vcc
	v_add_co_u32_e32 v15, vcc, s12, v0
	v_lshlrev_b32_e32 v3, 3, v15
	s_mov_b32 s20, 0
	v_addc_co_u32_e64 v16, s[0:1], 0, 0, vcc
	v_mov_b32_e32 v9, s22
	v_add_co_u32_e32 v8, vcc, s21, v3
	v_mov_b32_e32 v2, 0
	s_lshl_b32 s15, s12, 5
	s_mul_i32 s16, s12, 24
	s_mov_b32 s17, s20
	s_lshl_b32 s18, s12, 4
	s_mov_b32 s19, s20
	v_addc_co_u32_e32 v9, vcc, 0, v9, vcc
	s_mov_b64 s[12:13], 0
	v_pk_mov_b32 v[10:11], s[6:7], s[6:7] op_sel:[0,1]
	v_mov_b32_e32 v17, s20
	s_branch .LBB357_4
.LBB357_3:                              ;   in Loop: Header=BB357_4 Depth=1
	s_or_b64 exec, exec, s[0:1]
	s_add_u32 s12, s12, s14
	s_addc_u32 s13, s13, 0
	v_cmp_lt_i64_e32 vcc, s[12:13], v[10:11]
	v_cmp_lt_u64_e64 s[0:1], s[12:13], v[4:5]
	s_and_b64 s[0:1], vcc, s[0:1]
	v_add_co_u32_e32 v6, vcc, s15, v6
	v_addc_co_u32_e32 v7, vcc, v7, v17, vcc
	v_add_co_u32_e32 v8, vcc, s15, v8
	v_addc_co_u32_e32 v9, vcc, v9, v17, vcc
	s_and_b64 vcc, exec, s[0:1]
	s_cbranch_vccz .LBB357_12
.LBB357_4:                              ; =>This Inner Loop Header: Depth=1
	v_mov_b32_e32 v3, s13
	v_add_co_u32_e32 v18, vcc, s12, v0
	v_addc_co_u32_e32 v19, vcc, 0, v3, vcc
	v_cmp_gt_u64_e32 vcc, s[10:11], v[18:19]
	s_and_saveexec_b64 s[0:1], vcc
	s_cbranch_execz .LBB357_6
; %bb.5:                                ;   in Loop: Header=BB357_4 Depth=1
	v_mov_b32_e32 v3, v2
	global_store_dwordx2 v[6:7], v[2:3], off
.LBB357_6:                              ;   in Loop: Header=BB357_4 Depth=1
	s_or_b64 exec, exec, s[0:1]
	v_mov_b32_e32 v3, s13
	v_add_co_u32_e32 v18, vcc, s12, v15
	v_addc_co_u32_e32 v19, vcc, v16, v3, vcc
	v_cmp_gt_u64_e32 vcc, s[10:11], v[18:19]
	s_and_saveexec_b64 s[0:1], vcc
	s_cbranch_execz .LBB357_8
; %bb.7:                                ;   in Loop: Header=BB357_4 Depth=1
	v_mov_b32_e32 v3, v2
	global_store_dwordx2 v[8:9], v[2:3], off
.LBB357_8:                              ;   in Loop: Header=BB357_4 Depth=1
	s_or_b64 exec, exec, s[0:1]
	v_mov_b32_e32 v3, s13
	v_add_co_u32_e32 v18, vcc, s12, v13
	v_addc_co_u32_e32 v19, vcc, v14, v3, vcc
	v_cmp_gt_u64_e32 vcc, s[10:11], v[18:19]
	s_and_saveexec_b64 s[0:1], vcc
	s_cbranch_execz .LBB357_10
; %bb.9:                                ;   in Loop: Header=BB357_4 Depth=1
	v_mov_b32_e32 v3, s19
	v_add_co_u32_e32 v18, vcc, s18, v6
	v_addc_co_u32_e32 v19, vcc, v7, v3, vcc
	v_mov_b32_e32 v3, v2
	global_store_dwordx2 v[18:19], v[2:3], off
.LBB357_10:                             ;   in Loop: Header=BB357_4 Depth=1
	s_or_b64 exec, exec, s[0:1]
	v_mov_b32_e32 v3, s13
	v_add_co_u32_e32 v18, vcc, s12, v1
	v_addc_co_u32_e32 v19, vcc, v12, v3, vcc
	v_cmp_gt_u64_e32 vcc, s[10:11], v[18:19]
	s_and_saveexec_b64 s[0:1], vcc
	s_cbranch_execz .LBB357_3
; %bb.11:                               ;   in Loop: Header=BB357_4 Depth=1
	v_mov_b32_e32 v3, s17
	v_add_co_u32_e32 v18, vcc, s16, v6
	v_addc_co_u32_e32 v19, vcc, v7, v3, vcc
	v_mov_b32_e32 v3, v2
	global_store_dwordx2 v[18:19], v[2:3], off
	s_branch .LBB357_3
.LBB357_12:
	s_cbranch_execz .LBB357_14
	s_branch .LBB357_17
.LBB357_13:
.LBB357_14:
	v_mov_b32_e32 v5, 0
	v_lshlrev_b32_e32 v4, 2, v0
	s_mov_b32 s0, 0
	v_cmp_gt_i64_e32 vcc, s[6:7], v[4:5]
	s_and_saveexec_b64 s[10:11], vcc
	s_cbranch_execz .LBB357_17
; %bb.15:
	s_load_dword s1, s[4:5], 0xd3c
	v_lshlrev_b32_e32 v1, 5, v0
	s_mov_b32 s12, s0
	s_mov_b32 s13, s0
	;; [unrolled: 1-line block ×3, first 2 shown]
	s_waitcnt lgkmcnt(0)
	s_and_b32 s1, s1, 0xffff
	s_lshl_b32 s10, s1, 2
	s_add_u32 s2, s2, s8
	s_addc_u32 s3, s3, s9
	v_add_lshl_u32 v4, v0, s1, 2
	v_mov_b32_e32 v0, s3
	v_add_co_u32_e32 v1, vcc, s2, v1
	v_addc_co_u32_e32 v0, vcc, 0, v0, vcc
	v_add_co_u32_e32 v6, vcc, 16, v1
	v_addc_co_u32_e32 v7, vcc, 0, v0, vcc
	s_mov_b32 s15, s0
	v_pk_mov_b32 v[0:1], s[12:13], s[12:13] op_sel:[0,1]
	s_lshl_b32 s11, s1, 5
	s_mov_b64 s[4:5], 0
	v_pk_mov_b32 v[2:3], s[14:15], s[14:15] op_sel:[0,1]
	s_mov_b64 s[8:9], 0xffff
	v_mov_b32_e32 v8, s0
	v_mov_b32_e32 v9, s0
.LBB357_16:                             ; =>This Inner Loop Header: Depth=1
	v_cmp_le_i64_e32 vcc, s[6:7], v[4:5]
	v_cmp_lt_u64_e64 s[0:1], s[8:9], v[4:5]
	v_add_co_u32_e64 v4, s[2:3], s10, v4
	v_addc_co_u32_e64 v5, s[2:3], v5, v8, s[2:3]
	s_or_b64 s[0:1], vcc, s[0:1]
	global_store_dwordx4 v[6:7], v[0:3], off offset:-16
	global_store_dwordx4 v[6:7], v[0:3], off
	v_add_co_u32_e64 v6, s[2:3], s11, v6
	s_and_b64 s[0:1], exec, s[0:1]
	s_or_b64 s[4:5], s[0:1], s[4:5]
	v_addc_co_u32_e64 v7, vcc, v7, v9, s[2:3]
	s_andn2_b64 exec, exec, s[4:5]
	s_cbranch_execnz .LBB357_16
.LBB357_17:
	s_endpgm
	.section	.rodata,"a",@progbits
	.p2align	6, 0x0
	.amdhsa_kernel _ZN2at6native12_GLOBAL__N_125multi_tensor_apply_kernelINS1_18TensorListMetadataILi1EEENS1_11ZeroFunctorIdLi1ELi1ELi0EEEJEEEvT_T0_DpT1_
		.amdhsa_group_segment_fixed_size 0
		.amdhsa_private_segment_fixed_size 0
		.amdhsa_kernarg_size 3632
		.amdhsa_user_sgpr_count 6
		.amdhsa_user_sgpr_private_segment_buffer 1
		.amdhsa_user_sgpr_dispatch_ptr 0
		.amdhsa_user_sgpr_queue_ptr 0
		.amdhsa_user_sgpr_kernarg_segment_ptr 1
		.amdhsa_user_sgpr_dispatch_id 0
		.amdhsa_user_sgpr_flat_scratch_init 0
		.amdhsa_user_sgpr_kernarg_preload_length 0
		.amdhsa_user_sgpr_kernarg_preload_offset 0
		.amdhsa_user_sgpr_private_segment_size 0
		.amdhsa_uses_dynamic_stack 0
		.amdhsa_system_sgpr_private_segment_wavefront_offset 0
		.amdhsa_system_sgpr_workgroup_id_x 1
		.amdhsa_system_sgpr_workgroup_id_y 0
		.amdhsa_system_sgpr_workgroup_id_z 0
		.amdhsa_system_sgpr_workgroup_info 0
		.amdhsa_system_vgpr_workitem_id 0
		.amdhsa_next_free_vgpr 20
		.amdhsa_next_free_sgpr 23
		.amdhsa_accum_offset 20
		.amdhsa_reserve_vcc 1
		.amdhsa_reserve_flat_scratch 0
		.amdhsa_float_round_mode_32 0
		.amdhsa_float_round_mode_16_64 0
		.amdhsa_float_denorm_mode_32 3
		.amdhsa_float_denorm_mode_16_64 3
		.amdhsa_dx10_clamp 1
		.amdhsa_ieee_mode 1
		.amdhsa_fp16_overflow 0
		.amdhsa_tg_split 0
		.amdhsa_exception_fp_ieee_invalid_op 0
		.amdhsa_exception_fp_denorm_src 0
		.amdhsa_exception_fp_ieee_div_zero 0
		.amdhsa_exception_fp_ieee_overflow 0
		.amdhsa_exception_fp_ieee_underflow 0
		.amdhsa_exception_fp_ieee_inexact 0
		.amdhsa_exception_int_div_zero 0
	.end_amdhsa_kernel
	.section	.text._ZN2at6native12_GLOBAL__N_125multi_tensor_apply_kernelINS1_18TensorListMetadataILi1EEENS1_11ZeroFunctorIdLi1ELi1ELi0EEEJEEEvT_T0_DpT1_,"axG",@progbits,_ZN2at6native12_GLOBAL__N_125multi_tensor_apply_kernelINS1_18TensorListMetadataILi1EEENS1_11ZeroFunctorIdLi1ELi1ELi0EEEJEEEvT_T0_DpT1_,comdat
.Lfunc_end357:
	.size	_ZN2at6native12_GLOBAL__N_125multi_tensor_apply_kernelINS1_18TensorListMetadataILi1EEENS1_11ZeroFunctorIdLi1ELi1ELi0EEEJEEEvT_T0_DpT1_, .Lfunc_end357-_ZN2at6native12_GLOBAL__N_125multi_tensor_apply_kernelINS1_18TensorListMetadataILi1EEENS1_11ZeroFunctorIdLi1ELi1ELi0EEEJEEEvT_T0_DpT1_
                                        ; -- End function
	.section	.AMDGPU.csdata,"",@progbits
; Kernel info:
; codeLenInByte = 800
; NumSgprs: 27
; NumVgprs: 20
; NumAgprs: 0
; TotalNumVgprs: 20
; ScratchSize: 0
; MemoryBound: 0
; FloatMode: 240
; IeeeMode: 1
; LDSByteSize: 0 bytes/workgroup (compile time only)
; SGPRBlocks: 3
; VGPRBlocks: 2
; NumSGPRsForWavesPerEU: 27
; NumVGPRsForWavesPerEU: 20
; AccumOffset: 20
; Occupancy: 8
; WaveLimiterHint : 0
; COMPUTE_PGM_RSRC2:SCRATCH_EN: 0
; COMPUTE_PGM_RSRC2:USER_SGPR: 6
; COMPUTE_PGM_RSRC2:TRAP_HANDLER: 0
; COMPUTE_PGM_RSRC2:TGID_X_EN: 1
; COMPUTE_PGM_RSRC2:TGID_Y_EN: 0
; COMPUTE_PGM_RSRC2:TGID_Z_EN: 0
; COMPUTE_PGM_RSRC2:TIDIG_COMP_CNT: 0
; COMPUTE_PGM_RSRC3_GFX90A:ACCUM_OFFSET: 4
; COMPUTE_PGM_RSRC3_GFX90A:TG_SPLIT: 0
	.section	.text._ZN2at6native12_GLOBAL__N_125multi_tensor_apply_kernelINS1_18TensorListMetadataILi1EEENS1_11ZeroFunctorIfLi1ELi1ELi0EEEJEEEvT_T0_DpT1_,"axG",@progbits,_ZN2at6native12_GLOBAL__N_125multi_tensor_apply_kernelINS1_18TensorListMetadataILi1EEENS1_11ZeroFunctorIfLi1ELi1ELi0EEEJEEEvT_T0_DpT1_,comdat
	.globl	_ZN2at6native12_GLOBAL__N_125multi_tensor_apply_kernelINS1_18TensorListMetadataILi1EEENS1_11ZeroFunctorIfLi1ELi1ELi0EEEJEEEvT_T0_DpT1_ ; -- Begin function _ZN2at6native12_GLOBAL__N_125multi_tensor_apply_kernelINS1_18TensorListMetadataILi1EEENS1_11ZeroFunctorIfLi1ELi1ELi0EEEJEEEvT_T0_DpT1_
	.p2align	8
	.type	_ZN2at6native12_GLOBAL__N_125multi_tensor_apply_kernelINS1_18TensorListMetadataILi1EEENS1_11ZeroFunctorIfLi1ELi1ELi0EEEJEEEvT_T0_DpT1_,@function
_ZN2at6native12_GLOBAL__N_125multi_tensor_apply_kernelINS1_18TensorListMetadataILi1EEENS1_11ZeroFunctorIfLi1ELi1ELi0EEEJEEEvT_T0_DpT1_: ; @_ZN2at6native12_GLOBAL__N_125multi_tensor_apply_kernelINS1_18TensorListMetadataILi1EEENS1_11ZeroFunctorIfLi1ELi1ELi0EEEJEEEvT_T0_DpT1_
; %bb.0:
	v_mov_b32_e32 v1, s6
	global_load_ubyte v1, v1, s[4:5] offset:1760
	s_add_u32 s0, s4, s6
	s_mul_hi_u32 s1, s6, 3
	s_mul_i32 s6, s6, 3
	s_addc_u32 s2, s5, 0
	s_add_u32 s0, s0, s6
	s_addc_u32 s1, s2, s1
	s_load_dword s0, s[0:1], 0x820
	s_mov_b32 s13, 0
	s_waitcnt vmcnt(0)
	v_readfirstlane_b32 s2, v1
	s_lshl_b32 s1, s2, 3
	s_load_dwordx2 s[10:11], s[4:5], s1 offset:0x370
	s_load_dwordx2 s[2:3], s[4:5], s1 offset:0x0
	s_waitcnt lgkmcnt(0)
	s_ashr_i32 s1, s0, 31
	s_lshl_b64 s[8:9], s[0:1], 18
	s_lshl_b64 s[0:1], s[0:1], 16
	s_and_b32 s12, s2, 15
	s_sub_u32 s6, s10, s0
	s_subb_u32 s7, s11, s1
	s_and_b32 s0, s10, 3
	s_mov_b32 s1, s13
	s_or_b64 s[0:1], s[12:13], s[0:1]
	s_cmp_eq_u64 s[0:1], 0
	s_cbranch_scc1 .LBB358_13
; %bb.1:
	v_cmp_lt_i64_e64 s[0:1], s[6:7], 1
	s_and_b64 vcc, exec, s[0:1]
	s_cbranch_vccnz .LBB358_12
; %bb.2:
	s_load_dword s0, s[4:5], 0xd3c
	v_mov_b32_e32 v2, 0x10000
	v_mov_b32_e32 v3, 0
	v_cmp_lt_u64_e32 vcc, s[6:7], v[2:3]
	v_lshlrev_b32_e32 v4, 2, v0
	s_waitcnt lgkmcnt(0)
	s_and_b32 s12, s0, 0xffff
	s_and_b64 s[0:1], vcc, exec
	s_cselect_b32 s11, s7, 0
	s_cselect_b32 s10, s6, 0x10000
	s_lshl_b32 s13, s12, 1
	s_lshl_b32 s14, s12, 2
	s_add_u32 s21, s2, s8
	s_addc_u32 s22, s3, s9
	v_mov_b32_e32 v5, s22
	v_add_co_u32_e32 v4, vcc, s21, v4
	s_mul_i32 s0, s12, 3
	v_addc_co_u32_e32 v5, vcc, 0, v5, vcc
	v_add_co_u32_e32 v10, vcc, s0, v0
	v_addc_co_u32_e64 v11, s[0:1], 0, 0, vcc
	v_add_co_u32_e32 v12, vcc, s13, v0
	v_addc_co_u32_e64 v13, s[0:1], 0, 0, vcc
	v_add_co_u32_e32 v14, vcc, s12, v0
	v_lshlrev_b32_e32 v6, 2, v14
	s_mov_b32 s20, 0
	v_addc_co_u32_e64 v15, s[0:1], 0, 0, vcc
	v_mov_b32_e32 v7, s22
	v_add_co_u32_e32 v6, vcc, s21, v6
	v_mov_b32_e32 v1, 0
	s_lshl_b32 s15, s12, 4
	s_mul_i32 s16, s12, 12
	s_mov_b32 s17, s20
	s_lshl_b32 s18, s12, 3
	s_mov_b32 s19, s20
	v_addc_co_u32_e32 v7, vcc, 0, v7, vcc
	s_mov_b64 s[12:13], 0
	v_pk_mov_b32 v[8:9], s[6:7], s[6:7] op_sel:[0,1]
	v_mov_b32_e32 v16, s20
	s_branch .LBB358_4
.LBB358_3:                              ;   in Loop: Header=BB358_4 Depth=1
	s_or_b64 exec, exec, s[0:1]
	s_add_u32 s12, s12, s14
	s_addc_u32 s13, s13, 0
	v_cmp_lt_i64_e32 vcc, s[12:13], v[8:9]
	v_cmp_lt_u64_e64 s[0:1], s[12:13], v[2:3]
	s_and_b64 s[0:1], vcc, s[0:1]
	v_add_co_u32_e32 v4, vcc, s15, v4
	v_addc_co_u32_e32 v5, vcc, v5, v16, vcc
	v_add_co_u32_e32 v6, vcc, s15, v6
	v_addc_co_u32_e32 v7, vcc, v7, v16, vcc
	s_and_b64 vcc, exec, s[0:1]
	s_cbranch_vccz .LBB358_12
.LBB358_4:                              ; =>This Inner Loop Header: Depth=1
	v_mov_b32_e32 v17, s13
	v_add_co_u32_e32 v18, vcc, s12, v0
	v_addc_co_u32_e32 v19, vcc, 0, v17, vcc
	v_cmp_gt_u64_e32 vcc, s[10:11], v[18:19]
	s_and_saveexec_b64 s[0:1], vcc
	s_cbranch_execz .LBB358_6
; %bb.5:                                ;   in Loop: Header=BB358_4 Depth=1
	global_store_dword v[4:5], v1, off
.LBB358_6:                              ;   in Loop: Header=BB358_4 Depth=1
	s_or_b64 exec, exec, s[0:1]
	v_mov_b32_e32 v17, s13
	v_add_co_u32_e32 v18, vcc, s12, v14
	v_addc_co_u32_e32 v19, vcc, v15, v17, vcc
	v_cmp_gt_u64_e32 vcc, s[10:11], v[18:19]
	s_and_saveexec_b64 s[0:1], vcc
	s_cbranch_execz .LBB358_8
; %bb.7:                                ;   in Loop: Header=BB358_4 Depth=1
	global_store_dword v[6:7], v1, off
.LBB358_8:                              ;   in Loop: Header=BB358_4 Depth=1
	s_or_b64 exec, exec, s[0:1]
	v_mov_b32_e32 v17, s13
	v_add_co_u32_e32 v18, vcc, s12, v12
	v_addc_co_u32_e32 v19, vcc, v13, v17, vcc
	v_cmp_gt_u64_e32 vcc, s[10:11], v[18:19]
	s_and_saveexec_b64 s[0:1], vcc
	s_cbranch_execz .LBB358_10
; %bb.9:                                ;   in Loop: Header=BB358_4 Depth=1
	v_mov_b32_e32 v17, s19
	v_add_co_u32_e32 v18, vcc, s18, v4
	v_addc_co_u32_e32 v19, vcc, v5, v17, vcc
	global_store_dword v[18:19], v1, off
.LBB358_10:                             ;   in Loop: Header=BB358_4 Depth=1
	s_or_b64 exec, exec, s[0:1]
	v_mov_b32_e32 v17, s13
	v_add_co_u32_e32 v18, vcc, s12, v10
	v_addc_co_u32_e32 v19, vcc, v11, v17, vcc
	v_cmp_gt_u64_e32 vcc, s[10:11], v[18:19]
	s_and_saveexec_b64 s[0:1], vcc
	s_cbranch_execz .LBB358_3
; %bb.11:                               ;   in Loop: Header=BB358_4 Depth=1
	v_mov_b32_e32 v17, s17
	v_add_co_u32_e32 v18, vcc, s16, v4
	v_addc_co_u32_e32 v19, vcc, v5, v17, vcc
	global_store_dword v[18:19], v1, off
	s_branch .LBB358_3
.LBB358_12:
	s_cbranch_execz .LBB358_14
	s_branch .LBB358_17
.LBB358_13:
.LBB358_14:
	v_mov_b32_e32 v2, 0
	v_lshlrev_b32_e32 v4, 2, v0
	v_mov_b32_e32 v5, v2
	s_mov_b32 s0, 0
	v_cmp_gt_i64_e32 vcc, s[6:7], v[4:5]
	s_and_saveexec_b64 s[10:11], vcc
	s_cbranch_execz .LBB358_17
; %bb.15:
	s_load_dword s1, s[4:5], 0xd3c
	v_lshlrev_b32_e32 v1, 4, v0
	s_mov_b64 s[4:5], 0
	v_mov_b32_e32 v4, v2
	v_mov_b32_e32 v5, v2
	s_waitcnt lgkmcnt(0)
	s_and_b32 s1, s1, 0xffff
	s_add_u32 s2, s2, s8
	s_addc_u32 s3, s3, s9
	v_mov_b32_e32 v3, s3
	v_add_co_u32_e32 v1, vcc, s2, v1
	v_addc_co_u32_e32 v3, vcc, 0, v3, vcc
	v_add_co_u32_e32 v6, vcc, 8, v1
	v_addc_co_u32_e32 v7, vcc, 0, v3, vcc
	s_lshl_b32 s10, s1, 4
	v_add_lshl_u32 v0, v0, s1, 2
	v_mov_b32_e32 v1, v2
	s_lshl_b32 s11, s1, 2
	v_mov_b32_e32 v3, v2
	s_mov_b64 s[8:9], 0xffff
	v_mov_b32_e32 v8, s0
	v_mov_b32_e32 v9, s0
.LBB358_16:                             ; =>This Inner Loop Header: Depth=1
	global_store_dwordx4 v[6:7], v[2:5], off offset:-8
	v_cmp_le_i64_e32 vcc, s[6:7], v[0:1]
	v_cmp_lt_u64_e64 s[0:1], s[8:9], v[0:1]
	v_add_co_u32_e64 v6, s[2:3], s10, v6
	v_addc_co_u32_e64 v7, s[2:3], v7, v8, s[2:3]
	s_or_b64 s[0:1], vcc, s[0:1]
	v_add_co_u32_e64 v0, s[2:3], s11, v0
	s_and_b64 s[0:1], exec, s[0:1]
	s_or_b64 s[4:5], s[0:1], s[4:5]
	v_addc_co_u32_e64 v1, vcc, v1, v9, s[2:3]
	s_andn2_b64 exec, exec, s[4:5]
	s_cbranch_execnz .LBB358_16
.LBB358_17:
	s_endpgm
	.section	.rodata,"a",@progbits
	.p2align	6, 0x0
	.amdhsa_kernel _ZN2at6native12_GLOBAL__N_125multi_tensor_apply_kernelINS1_18TensorListMetadataILi1EEENS1_11ZeroFunctorIfLi1ELi1ELi0EEEJEEEvT_T0_DpT1_
		.amdhsa_group_segment_fixed_size 0
		.amdhsa_private_segment_fixed_size 0
		.amdhsa_kernarg_size 3632
		.amdhsa_user_sgpr_count 6
		.amdhsa_user_sgpr_private_segment_buffer 1
		.amdhsa_user_sgpr_dispatch_ptr 0
		.amdhsa_user_sgpr_queue_ptr 0
		.amdhsa_user_sgpr_kernarg_segment_ptr 1
		.amdhsa_user_sgpr_dispatch_id 0
		.amdhsa_user_sgpr_flat_scratch_init 0
		.amdhsa_user_sgpr_kernarg_preload_length 0
		.amdhsa_user_sgpr_kernarg_preload_offset 0
		.amdhsa_user_sgpr_private_segment_size 0
		.amdhsa_uses_dynamic_stack 0
		.amdhsa_system_sgpr_private_segment_wavefront_offset 0
		.amdhsa_system_sgpr_workgroup_id_x 1
		.amdhsa_system_sgpr_workgroup_id_y 0
		.amdhsa_system_sgpr_workgroup_id_z 0
		.amdhsa_system_sgpr_workgroup_info 0
		.amdhsa_system_vgpr_workitem_id 0
		.amdhsa_next_free_vgpr 20
		.amdhsa_next_free_sgpr 23
		.amdhsa_accum_offset 20
		.amdhsa_reserve_vcc 1
		.amdhsa_reserve_flat_scratch 0
		.amdhsa_float_round_mode_32 0
		.amdhsa_float_round_mode_16_64 0
		.amdhsa_float_denorm_mode_32 3
		.amdhsa_float_denorm_mode_16_64 3
		.amdhsa_dx10_clamp 1
		.amdhsa_ieee_mode 1
		.amdhsa_fp16_overflow 0
		.amdhsa_tg_split 0
		.amdhsa_exception_fp_ieee_invalid_op 0
		.amdhsa_exception_fp_denorm_src 0
		.amdhsa_exception_fp_ieee_div_zero 0
		.amdhsa_exception_fp_ieee_overflow 0
		.amdhsa_exception_fp_ieee_underflow 0
		.amdhsa_exception_fp_ieee_inexact 0
		.amdhsa_exception_int_div_zero 0
	.end_amdhsa_kernel
	.section	.text._ZN2at6native12_GLOBAL__N_125multi_tensor_apply_kernelINS1_18TensorListMetadataILi1EEENS1_11ZeroFunctorIfLi1ELi1ELi0EEEJEEEvT_T0_DpT1_,"axG",@progbits,_ZN2at6native12_GLOBAL__N_125multi_tensor_apply_kernelINS1_18TensorListMetadataILi1EEENS1_11ZeroFunctorIfLi1ELi1ELi0EEEJEEEvT_T0_DpT1_,comdat
.Lfunc_end358:
	.size	_ZN2at6native12_GLOBAL__N_125multi_tensor_apply_kernelINS1_18TensorListMetadataILi1EEENS1_11ZeroFunctorIfLi1ELi1ELi0EEEJEEEvT_T0_DpT1_, .Lfunc_end358-_ZN2at6native12_GLOBAL__N_125multi_tensor_apply_kernelINS1_18TensorListMetadataILi1EEENS1_11ZeroFunctorIfLi1ELi1ELi0EEEJEEEvT_T0_DpT1_
                                        ; -- End function
	.section	.AMDGPU.csdata,"",@progbits
; Kernel info:
; codeLenInByte = 764
; NumSgprs: 27
; NumVgprs: 20
; NumAgprs: 0
; TotalNumVgprs: 20
; ScratchSize: 0
; MemoryBound: 0
; FloatMode: 240
; IeeeMode: 1
; LDSByteSize: 0 bytes/workgroup (compile time only)
; SGPRBlocks: 3
; VGPRBlocks: 2
; NumSGPRsForWavesPerEU: 27
; NumVGPRsForWavesPerEU: 20
; AccumOffset: 20
; Occupancy: 8
; WaveLimiterHint : 0
; COMPUTE_PGM_RSRC2:SCRATCH_EN: 0
; COMPUTE_PGM_RSRC2:USER_SGPR: 6
; COMPUTE_PGM_RSRC2:TRAP_HANDLER: 0
; COMPUTE_PGM_RSRC2:TGID_X_EN: 1
; COMPUTE_PGM_RSRC2:TGID_Y_EN: 0
; COMPUTE_PGM_RSRC2:TGID_Z_EN: 0
; COMPUTE_PGM_RSRC2:TIDIG_COMP_CNT: 0
; COMPUTE_PGM_RSRC3_GFX90A:ACCUM_OFFSET: 4
; COMPUTE_PGM_RSRC3_GFX90A:TG_SPLIT: 0
	.section	.text._ZN2at6native12_GLOBAL__N_125multi_tensor_apply_kernelINS1_18TensorListMetadataILi1EEENS1_11ZeroFunctorIN3c107complexIdEELi1ELi1ELi0EEEJEEEvT_T0_DpT1_,"axG",@progbits,_ZN2at6native12_GLOBAL__N_125multi_tensor_apply_kernelINS1_18TensorListMetadataILi1EEENS1_11ZeroFunctorIN3c107complexIdEELi1ELi1ELi0EEEJEEEvT_T0_DpT1_,comdat
	.globl	_ZN2at6native12_GLOBAL__N_125multi_tensor_apply_kernelINS1_18TensorListMetadataILi1EEENS1_11ZeroFunctorIN3c107complexIdEELi1ELi1ELi0EEEJEEEvT_T0_DpT1_ ; -- Begin function _ZN2at6native12_GLOBAL__N_125multi_tensor_apply_kernelINS1_18TensorListMetadataILi1EEENS1_11ZeroFunctorIN3c107complexIdEELi1ELi1ELi0EEEJEEEvT_T0_DpT1_
	.p2align	8
	.type	_ZN2at6native12_GLOBAL__N_125multi_tensor_apply_kernelINS1_18TensorListMetadataILi1EEENS1_11ZeroFunctorIN3c107complexIdEELi1ELi1ELi0EEEJEEEvT_T0_DpT1_,@function
_ZN2at6native12_GLOBAL__N_125multi_tensor_apply_kernelINS1_18TensorListMetadataILi1EEENS1_11ZeroFunctorIN3c107complexIdEELi1ELi1ELi0EEEJEEEvT_T0_DpT1_: ; @_ZN2at6native12_GLOBAL__N_125multi_tensor_apply_kernelINS1_18TensorListMetadataILi1EEENS1_11ZeroFunctorIN3c107complexIdEELi1ELi1ELi0EEEJEEEvT_T0_DpT1_
; %bb.0:
	v_mov_b32_e32 v1, s6
	global_load_ubyte v1, v1, s[4:5] offset:1760
	s_add_u32 s0, s4, s6
	s_mul_hi_u32 s1, s6, 3
	s_mul_i32 s6, s6, 3
	s_addc_u32 s2, s5, 0
	s_add_u32 s0, s0, s6
	s_addc_u32 s1, s2, s1
	s_load_dword s0, s[0:1], 0x820
	s_mov_b32 s13, 0
	s_waitcnt vmcnt(0)
	v_readfirstlane_b32 s1, v1
	s_lshl_b32 s1, s1, 3
	s_load_dwordx2 s[2:3], s[4:5], s1 offset:0x0
	s_load_dwordx2 s[10:11], s[4:5], s1 offset:0x370
	s_waitcnt lgkmcnt(0)
	s_ashr_i32 s1, s0, 31
	s_lshl_b64 s[8:9], s[0:1], 20
	s_add_u32 s14, s2, s8
	s_addc_u32 s15, s3, s9
	s_lshl_b64 s[0:1], s[0:1], 16
	s_and_b32 s12, s14, 63
	s_sub_u32 s6, s10, s0
	s_subb_u32 s7, s11, s1
	s_and_b32 s0, s10, 3
	s_mov_b32 s1, s13
	s_or_b64 s[0:1], s[12:13], s[0:1]
	s_cmp_eq_u64 s[0:1], 0
	s_cbranch_scc1 .LBB359_13
; %bb.1:
	v_cmp_lt_i64_e64 s[0:1], s[6:7], 1
	s_and_b64 vcc, exec, s[0:1]
	s_cbranch_vccnz .LBB359_12
; %bb.2:
	s_load_dword s0, s[4:5], 0xd3c
	v_mov_b32_e32 v6, 0x10000
	v_mov_b32_e32 v7, 0
	;; [unrolled: 1-line block ×3, first 2 shown]
	v_cmp_lt_u64_e32 vcc, s[6:7], v[6:7]
	s_waitcnt lgkmcnt(0)
	s_and_b32 s12, s0, 0xffff
	s_and_b64 s[0:1], vcc, exec
	s_mul_i32 s18, s12, 3
	v_lshlrev_b32_e32 v8, 4, v0
	v_mov_b32_e32 v9, v2
	v_add_co_u32_e32 v13, vcc, s12, v0
	v_addc_co_u32_e64 v15, s[0:1], 0, 0, vcc
	v_mad_u64_u32 v[10:11], s[0:1], s12, 48, v[8:9]
	v_add_co_u32_e32 v9, vcc, s18, v0
	v_addc_co_u32_e64 v18, s[0:1], 0, 0, vcc
	s_cselect_b32 s11, s7, 0
	s_cselect_b32 s10, s6, 0x10000
	s_lshl_b32 s0, s12, 5
	s_lshl_b32 s13, s12, 1
	v_add_co_u32_e32 v3, vcc, s0, v8
	v_addc_co_u32_e64 v1, s[0:1], 0, 0, vcc
	v_add_co_u32_e32 v19, vcc, s13, v0
	s_lshl_b32 s16, s12, 2
	s_lshl_b32 s17, s12, 6
	v_or_b32_e32 v10, 8, v10
	v_lshlrev_b32_e32 v12, 4, v13
	v_or_b32_e32 v14, 8, v3
	v_addc_co_u32_e64 v20, s[0:1], 0, 0, vcc
	s_mov_b64 s[12:13], 0
	v_pk_mov_b32 v[16:17], s[6:7], s[6:7] op_sel:[0,1]
	s_branch .LBB359_4
.LBB359_3:                              ;   in Loop: Header=BB359_4 Depth=1
	s_or_b64 exec, exec, s[0:1]
	s_add_u32 s12, s12, s16
	s_addc_u32 s13, s13, 0
	v_cmp_lt_i64_e32 vcc, s[12:13], v[16:17]
	v_cmp_lt_u64_e64 s[0:1], s[12:13], v[6:7]
	s_and_b64 s[0:1], vcc, s[0:1]
	s_add_u32 s14, s14, s17
	s_addc_u32 s15, s15, 0
	s_and_b64 vcc, exec, s[0:1]
	s_cbranch_vccz .LBB359_12
.LBB359_4:                              ; =>This Inner Loop Header: Depth=1
	v_mov_b32_e32 v3, s13
	v_add_co_u32_e32 v4, vcc, s12, v0
	v_addc_co_u32_e32 v5, vcc, 0, v3, vcc
	v_cmp_gt_u64_e32 vcc, s[10:11], v[4:5]
	s_and_saveexec_b64 s[0:1], vcc
	s_cbranch_execz .LBB359_6
; %bb.5:                                ;   in Loop: Header=BB359_4 Depth=1
	v_mov_b32_e32 v3, s15
	v_add_co_u32_e32 v22, vcc, s14, v8
	v_addc_co_u32_e32 v23, vcc, 0, v3, vcc
	v_mov_b32_e32 v3, v2
	v_mov_b32_e32 v4, v2
	;; [unrolled: 1-line block ×3, first 2 shown]
	global_store_dwordx4 v[22:23], v[2:5], off
.LBB359_6:                              ;   in Loop: Header=BB359_4 Depth=1
	s_or_b64 exec, exec, s[0:1]
	v_mov_b32_e32 v3, s13
	v_add_co_u32_e32 v4, vcc, s12, v13
	v_addc_co_u32_e32 v5, vcc, v15, v3, vcc
	v_cmp_gt_u64_e32 vcc, s[10:11], v[4:5]
	s_and_saveexec_b64 s[0:1], vcc
	s_cbranch_execz .LBB359_8
; %bb.7:                                ;   in Loop: Header=BB359_4 Depth=1
	v_mov_b32_e32 v3, s15
	v_add_co_u32_e32 v22, vcc, s14, v12
	v_addc_co_u32_e32 v23, vcc, 0, v3, vcc
	v_mov_b32_e32 v3, v2
	v_mov_b32_e32 v4, v2
	;; [unrolled: 1-line block ×3, first 2 shown]
	global_store_dwordx4 v[22:23], v[2:5], off
.LBB359_8:                              ;   in Loop: Header=BB359_4 Depth=1
	s_or_b64 exec, exec, s[0:1]
	v_mov_b32_e32 v3, s13
	v_add_co_u32_e32 v4, vcc, s12, v19
	v_addc_co_u32_e32 v5, vcc, v20, v3, vcc
	v_cmp_gt_u64_e32 vcc, s[10:11], v[4:5]
	s_and_saveexec_b64 s[0:1], vcc
	s_cbranch_execz .LBB359_10
; %bb.9:                                ;   in Loop: Header=BB359_4 Depth=1
	v_mov_b32_e32 v3, s15
	v_add_co_u32_e32 v22, vcc, s14, v14
	v_addc_co_u32_e32 v23, vcc, v3, v1, vcc
	v_mov_b32_e32 v3, v2
	v_mov_b32_e32 v4, v2
	;; [unrolled: 1-line block ×3, first 2 shown]
	global_store_dwordx4 v[22:23], v[2:5], off offset:-8
.LBB359_10:                             ;   in Loop: Header=BB359_4 Depth=1
	s_or_b64 exec, exec, s[0:1]
	v_mov_b32_e32 v3, s13
	v_add_co_u32_e32 v4, vcc, s12, v9
	v_addc_co_u32_e32 v5, vcc, v18, v3, vcc
	v_cmp_gt_u64_e32 vcc, s[10:11], v[4:5]
	s_and_saveexec_b64 s[0:1], vcc
	s_cbranch_execz .LBB359_3
; %bb.11:                               ;   in Loop: Header=BB359_4 Depth=1
	v_mov_b32_e32 v3, s15
	v_add_co_u32_e32 v22, vcc, s14, v10
	v_addc_co_u32_e32 v23, vcc, v3, v11, vcc
	v_mov_b32_e32 v3, v2
	v_mov_b32_e32 v4, v2
	;; [unrolled: 1-line block ×3, first 2 shown]
	global_store_dwordx4 v[22:23], v[2:5], off offset:-8
	s_branch .LBB359_3
.LBB359_12:
	s_cbranch_execz .LBB359_14
	s_branch .LBB359_17
.LBB359_13:
.LBB359_14:
	v_mov_b32_e32 v5, 0
	v_lshlrev_b32_e32 v4, 2, v0
	s_mov_b32 s0, 0
	v_cmp_gt_i64_e32 vcc, s[6:7], v[4:5]
	s_and_saveexec_b64 s[10:11], vcc
	s_cbranch_execz .LBB359_17
; %bb.15:
	s_load_dword s1, s[4:5], 0xd3c
	v_lshlrev_b32_e32 v1, 6, v0
	s_mov_b32 s12, s0
	s_mov_b32 s13, s0
	s_mov_b32 s14, s0
	s_waitcnt lgkmcnt(0)
	s_and_b32 s1, s1, 0xffff
	s_lshl_b32 s10, s1, 2
	s_add_u32 s2, s2, s8
	s_addc_u32 s3, s3, s9
	v_add_lshl_u32 v4, v0, s1, 2
	v_mov_b32_e32 v0, s3
	v_add_co_u32_e32 v6, vcc, s2, v1
	v_addc_co_u32_e32 v7, vcc, 0, v0, vcc
	s_mov_b32 s15, s0
	v_pk_mov_b32 v[0:1], s[12:13], s[12:13] op_sel:[0,1]
	s_lshl_b32 s11, s1, 6
	s_mov_b64 s[4:5], 0
	v_pk_mov_b32 v[2:3], s[14:15], s[14:15] op_sel:[0,1]
	s_mov_b64 s[8:9], 0xffff
	v_mov_b32_e32 v8, s0
	v_mov_b32_e32 v9, s0
.LBB359_16:                             ; =>This Inner Loop Header: Depth=1
	v_cmp_le_i64_e32 vcc, s[6:7], v[4:5]
	v_cmp_lt_u64_e64 s[0:1], s[8:9], v[4:5]
	v_add_co_u32_e64 v4, s[2:3], s10, v4
	v_addc_co_u32_e64 v5, s[2:3], v5, v8, s[2:3]
	s_or_b64 s[0:1], vcc, s[0:1]
	global_store_dwordx4 v[6:7], v[0:3], off
	global_store_dwordx4 v[6:7], v[0:3], off offset:16
	global_store_dwordx4 v[6:7], v[0:3], off offset:32
	;; [unrolled: 1-line block ×3, first 2 shown]
	v_add_co_u32_e64 v6, s[2:3], s11, v6
	s_and_b64 s[0:1], exec, s[0:1]
	s_or_b64 s[4:5], s[0:1], s[4:5]
	v_addc_co_u32_e64 v7, vcc, v7, v9, s[2:3]
	s_andn2_b64 exec, exec, s[4:5]
	s_cbranch_execnz .LBB359_16
.LBB359_17:
	s_endpgm
	.section	.rodata,"a",@progbits
	.p2align	6, 0x0
	.amdhsa_kernel _ZN2at6native12_GLOBAL__N_125multi_tensor_apply_kernelINS1_18TensorListMetadataILi1EEENS1_11ZeroFunctorIN3c107complexIdEELi1ELi1ELi0EEEJEEEvT_T0_DpT1_
		.amdhsa_group_segment_fixed_size 0
		.amdhsa_private_segment_fixed_size 0
		.amdhsa_kernarg_size 3632
		.amdhsa_user_sgpr_count 6
		.amdhsa_user_sgpr_private_segment_buffer 1
		.amdhsa_user_sgpr_dispatch_ptr 0
		.amdhsa_user_sgpr_queue_ptr 0
		.amdhsa_user_sgpr_kernarg_segment_ptr 1
		.amdhsa_user_sgpr_dispatch_id 0
		.amdhsa_user_sgpr_flat_scratch_init 0
		.amdhsa_user_sgpr_kernarg_preload_length 0
		.amdhsa_user_sgpr_kernarg_preload_offset 0
		.amdhsa_user_sgpr_private_segment_size 0
		.amdhsa_uses_dynamic_stack 0
		.amdhsa_system_sgpr_private_segment_wavefront_offset 0
		.amdhsa_system_sgpr_workgroup_id_x 1
		.amdhsa_system_sgpr_workgroup_id_y 0
		.amdhsa_system_sgpr_workgroup_id_z 0
		.amdhsa_system_sgpr_workgroup_info 0
		.amdhsa_system_vgpr_workitem_id 0
		.amdhsa_next_free_vgpr 24
		.amdhsa_next_free_sgpr 19
		.amdhsa_accum_offset 24
		.amdhsa_reserve_vcc 1
		.amdhsa_reserve_flat_scratch 0
		.amdhsa_float_round_mode_32 0
		.amdhsa_float_round_mode_16_64 0
		.amdhsa_float_denorm_mode_32 3
		.amdhsa_float_denorm_mode_16_64 3
		.amdhsa_dx10_clamp 1
		.amdhsa_ieee_mode 1
		.amdhsa_fp16_overflow 0
		.amdhsa_tg_split 0
		.amdhsa_exception_fp_ieee_invalid_op 0
		.amdhsa_exception_fp_denorm_src 0
		.amdhsa_exception_fp_ieee_div_zero 0
		.amdhsa_exception_fp_ieee_overflow 0
		.amdhsa_exception_fp_ieee_underflow 0
		.amdhsa_exception_fp_ieee_inexact 0
		.amdhsa_exception_int_div_zero 0
	.end_amdhsa_kernel
	.section	.text._ZN2at6native12_GLOBAL__N_125multi_tensor_apply_kernelINS1_18TensorListMetadataILi1EEENS1_11ZeroFunctorIN3c107complexIdEELi1ELi1ELi0EEEJEEEvT_T0_DpT1_,"axG",@progbits,_ZN2at6native12_GLOBAL__N_125multi_tensor_apply_kernelINS1_18TensorListMetadataILi1EEENS1_11ZeroFunctorIN3c107complexIdEELi1ELi1ELi0EEEJEEEvT_T0_DpT1_,comdat
.Lfunc_end359:
	.size	_ZN2at6native12_GLOBAL__N_125multi_tensor_apply_kernelINS1_18TensorListMetadataILi1EEENS1_11ZeroFunctorIN3c107complexIdEELi1ELi1ELi0EEEJEEEvT_T0_DpT1_, .Lfunc_end359-_ZN2at6native12_GLOBAL__N_125multi_tensor_apply_kernelINS1_18TensorListMetadataILi1EEENS1_11ZeroFunctorIN3c107complexIdEELi1ELi1ELi0EEEJEEEvT_T0_DpT1_
                                        ; -- End function
	.section	.AMDGPU.csdata,"",@progbits
; Kernel info:
; codeLenInByte = 844
; NumSgprs: 23
; NumVgprs: 24
; NumAgprs: 0
; TotalNumVgprs: 24
; ScratchSize: 0
; MemoryBound: 0
; FloatMode: 240
; IeeeMode: 1
; LDSByteSize: 0 bytes/workgroup (compile time only)
; SGPRBlocks: 2
; VGPRBlocks: 2
; NumSGPRsForWavesPerEU: 23
; NumVGPRsForWavesPerEU: 24
; AccumOffset: 24
; Occupancy: 8
; WaveLimiterHint : 0
; COMPUTE_PGM_RSRC2:SCRATCH_EN: 0
; COMPUTE_PGM_RSRC2:USER_SGPR: 6
; COMPUTE_PGM_RSRC2:TRAP_HANDLER: 0
; COMPUTE_PGM_RSRC2:TGID_X_EN: 1
; COMPUTE_PGM_RSRC2:TGID_Y_EN: 0
; COMPUTE_PGM_RSRC2:TGID_Z_EN: 0
; COMPUTE_PGM_RSRC2:TIDIG_COMP_CNT: 0
; COMPUTE_PGM_RSRC3_GFX90A:ACCUM_OFFSET: 5
; COMPUTE_PGM_RSRC3_GFX90A:TG_SPLIT: 0
	.section	.text._ZN2at6native12_GLOBAL__N_125multi_tensor_apply_kernelINS1_18TensorListMetadataILi1EEENS1_11ZeroFunctorIN3c107complexIfEELi1ELi1ELi0EEEJEEEvT_T0_DpT1_,"axG",@progbits,_ZN2at6native12_GLOBAL__N_125multi_tensor_apply_kernelINS1_18TensorListMetadataILi1EEENS1_11ZeroFunctorIN3c107complexIfEELi1ELi1ELi0EEEJEEEvT_T0_DpT1_,comdat
	.globl	_ZN2at6native12_GLOBAL__N_125multi_tensor_apply_kernelINS1_18TensorListMetadataILi1EEENS1_11ZeroFunctorIN3c107complexIfEELi1ELi1ELi0EEEJEEEvT_T0_DpT1_ ; -- Begin function _ZN2at6native12_GLOBAL__N_125multi_tensor_apply_kernelINS1_18TensorListMetadataILi1EEENS1_11ZeroFunctorIN3c107complexIfEELi1ELi1ELi0EEEJEEEvT_T0_DpT1_
	.p2align	8
	.type	_ZN2at6native12_GLOBAL__N_125multi_tensor_apply_kernelINS1_18TensorListMetadataILi1EEENS1_11ZeroFunctorIN3c107complexIfEELi1ELi1ELi0EEEJEEEvT_T0_DpT1_,@function
_ZN2at6native12_GLOBAL__N_125multi_tensor_apply_kernelINS1_18TensorListMetadataILi1EEENS1_11ZeroFunctorIN3c107complexIfEELi1ELi1ELi0EEEJEEEvT_T0_DpT1_: ; @_ZN2at6native12_GLOBAL__N_125multi_tensor_apply_kernelINS1_18TensorListMetadataILi1EEENS1_11ZeroFunctorIN3c107complexIfEELi1ELi1ELi0EEEJEEEvT_T0_DpT1_
; %bb.0:
	v_mov_b32_e32 v1, s6
	global_load_ubyte v1, v1, s[4:5] offset:1760
	s_add_u32 s0, s4, s6
	s_mul_hi_u32 s1, s6, 3
	s_mul_i32 s6, s6, 3
	s_addc_u32 s2, s5, 0
	s_add_u32 s0, s0, s6
	s_addc_u32 s1, s2, s1
	s_load_dword s0, s[0:1], 0x820
	s_mov_b32 s13, 0
	s_waitcnt vmcnt(0)
	v_readfirstlane_b32 s2, v1
	s_lshl_b32 s1, s2, 3
	s_load_dwordx2 s[10:11], s[4:5], s1 offset:0x370
	s_load_dwordx2 s[2:3], s[4:5], s1 offset:0x0
	s_waitcnt lgkmcnt(0)
	s_ashr_i32 s1, s0, 31
	s_lshl_b64 s[8:9], s[0:1], 19
	s_lshl_b64 s[0:1], s[0:1], 16
	s_and_b32 s12, s2, 31
	s_sub_u32 s6, s10, s0
	s_subb_u32 s7, s11, s1
	s_and_b32 s0, s10, 3
	s_mov_b32 s1, s13
	s_or_b64 s[0:1], s[12:13], s[0:1]
	s_cmp_eq_u64 s[0:1], 0
	s_cbranch_scc1 .LBB360_13
; %bb.1:
	v_cmp_lt_i64_e64 s[0:1], s[6:7], 1
	s_and_b64 vcc, exec, s[0:1]
	s_cbranch_vccnz .LBB360_12
; %bb.2:
	s_load_dword s0, s[4:5], 0xd3c
	v_mov_b32_e32 v4, 0x10000
	v_mov_b32_e32 v5, 0
	v_cmp_lt_u64_e32 vcc, s[6:7], v[4:5]
	v_lshlrev_b32_e32 v1, 3, v0
	s_waitcnt lgkmcnt(0)
	s_and_b32 s12, s0, 0xffff
	s_and_b64 s[0:1], vcc, exec
	s_cselect_b32 s11, s7, 0
	s_cselect_b32 s10, s6, 0x10000
	s_lshl_b32 s13, s12, 1
	s_lshl_b32 s14, s12, 2
	s_add_u32 s21, s2, s8
	s_addc_u32 s22, s3, s9
	v_mov_b32_e32 v3, s22
	v_add_co_u32_e32 v6, vcc, s21, v1
	s_mul_i32 s0, s12, 3
	v_addc_co_u32_e32 v7, vcc, 0, v3, vcc
	v_add_co_u32_e32 v1, vcc, s0, v0
	v_addc_co_u32_e64 v12, s[0:1], 0, 0, vcc
	v_add_co_u32_e32 v13, vcc, s13, v0
	v_addc_co_u32_e64 v14, s[0:1], 0, 0, vcc
	v_add_co_u32_e32 v15, vcc, s12, v0
	v_lshlrev_b32_e32 v3, 3, v15
	s_mov_b32 s20, 0
	v_addc_co_u32_e64 v16, s[0:1], 0, 0, vcc
	v_mov_b32_e32 v9, s22
	v_add_co_u32_e32 v8, vcc, s21, v3
	v_mov_b32_e32 v2, 0
	s_lshl_b32 s15, s12, 5
	s_mul_i32 s16, s12, 24
	s_mov_b32 s17, s20
	s_lshl_b32 s18, s12, 4
	s_mov_b32 s19, s20
	v_addc_co_u32_e32 v9, vcc, 0, v9, vcc
	s_mov_b64 s[12:13], 0
	v_pk_mov_b32 v[10:11], s[6:7], s[6:7] op_sel:[0,1]
	v_mov_b32_e32 v17, s20
	s_branch .LBB360_4
.LBB360_3:                              ;   in Loop: Header=BB360_4 Depth=1
	s_or_b64 exec, exec, s[0:1]
	s_add_u32 s12, s12, s14
	s_addc_u32 s13, s13, 0
	v_cmp_lt_i64_e32 vcc, s[12:13], v[10:11]
	v_cmp_lt_u64_e64 s[0:1], s[12:13], v[4:5]
	s_and_b64 s[0:1], vcc, s[0:1]
	v_add_co_u32_e32 v6, vcc, s15, v6
	v_addc_co_u32_e32 v7, vcc, v7, v17, vcc
	v_add_co_u32_e32 v8, vcc, s15, v8
	v_addc_co_u32_e32 v9, vcc, v9, v17, vcc
	s_and_b64 vcc, exec, s[0:1]
	s_cbranch_vccz .LBB360_12
.LBB360_4:                              ; =>This Inner Loop Header: Depth=1
	v_mov_b32_e32 v3, s13
	v_add_co_u32_e32 v18, vcc, s12, v0
	v_addc_co_u32_e32 v19, vcc, 0, v3, vcc
	v_cmp_gt_u64_e32 vcc, s[10:11], v[18:19]
	s_and_saveexec_b64 s[0:1], vcc
	s_cbranch_execz .LBB360_6
; %bb.5:                                ;   in Loop: Header=BB360_4 Depth=1
	v_mov_b32_e32 v3, v2
	global_store_dwordx2 v[6:7], v[2:3], off
.LBB360_6:                              ;   in Loop: Header=BB360_4 Depth=1
	s_or_b64 exec, exec, s[0:1]
	v_mov_b32_e32 v3, s13
	v_add_co_u32_e32 v18, vcc, s12, v15
	v_addc_co_u32_e32 v19, vcc, v16, v3, vcc
	v_cmp_gt_u64_e32 vcc, s[10:11], v[18:19]
	s_and_saveexec_b64 s[0:1], vcc
	s_cbranch_execz .LBB360_8
; %bb.7:                                ;   in Loop: Header=BB360_4 Depth=1
	v_mov_b32_e32 v3, v2
	global_store_dwordx2 v[8:9], v[2:3], off
.LBB360_8:                              ;   in Loop: Header=BB360_4 Depth=1
	s_or_b64 exec, exec, s[0:1]
	v_mov_b32_e32 v3, s13
	v_add_co_u32_e32 v18, vcc, s12, v13
	v_addc_co_u32_e32 v19, vcc, v14, v3, vcc
	v_cmp_gt_u64_e32 vcc, s[10:11], v[18:19]
	s_and_saveexec_b64 s[0:1], vcc
	s_cbranch_execz .LBB360_10
; %bb.9:                                ;   in Loop: Header=BB360_4 Depth=1
	v_mov_b32_e32 v3, s19
	v_add_co_u32_e32 v18, vcc, s18, v6
	v_addc_co_u32_e32 v19, vcc, v7, v3, vcc
	v_mov_b32_e32 v3, v2
	global_store_dwordx2 v[18:19], v[2:3], off
.LBB360_10:                             ;   in Loop: Header=BB360_4 Depth=1
	s_or_b64 exec, exec, s[0:1]
	v_mov_b32_e32 v3, s13
	v_add_co_u32_e32 v18, vcc, s12, v1
	v_addc_co_u32_e32 v19, vcc, v12, v3, vcc
	v_cmp_gt_u64_e32 vcc, s[10:11], v[18:19]
	s_and_saveexec_b64 s[0:1], vcc
	s_cbranch_execz .LBB360_3
; %bb.11:                               ;   in Loop: Header=BB360_4 Depth=1
	v_mov_b32_e32 v3, s17
	v_add_co_u32_e32 v18, vcc, s16, v6
	v_addc_co_u32_e32 v19, vcc, v7, v3, vcc
	v_mov_b32_e32 v3, v2
	global_store_dwordx2 v[18:19], v[2:3], off
	s_branch .LBB360_3
.LBB360_12:
	s_cbranch_execz .LBB360_14
	s_branch .LBB360_17
.LBB360_13:
.LBB360_14:
	v_mov_b32_e32 v5, 0
	v_lshlrev_b32_e32 v4, 2, v0
	s_mov_b32 s0, 0
	v_cmp_gt_i64_e32 vcc, s[6:7], v[4:5]
	s_and_saveexec_b64 s[10:11], vcc
	s_cbranch_execz .LBB360_17
; %bb.15:
	s_load_dword s1, s[4:5], 0xd3c
	v_lshlrev_b32_e32 v1, 5, v0
	s_mov_b32 s12, s0
	s_mov_b32 s13, s0
	;; [unrolled: 1-line block ×3, first 2 shown]
	s_waitcnt lgkmcnt(0)
	s_and_b32 s1, s1, 0xffff
	s_lshl_b32 s10, s1, 2
	s_add_u32 s2, s2, s8
	s_addc_u32 s3, s3, s9
	v_add_lshl_u32 v4, v0, s1, 2
	v_mov_b32_e32 v0, s3
	v_add_co_u32_e32 v1, vcc, s2, v1
	v_addc_co_u32_e32 v0, vcc, 0, v0, vcc
	v_add_co_u32_e32 v6, vcc, 16, v1
	v_addc_co_u32_e32 v7, vcc, 0, v0, vcc
	s_mov_b32 s15, s0
	v_pk_mov_b32 v[0:1], s[12:13], s[12:13] op_sel:[0,1]
	s_lshl_b32 s11, s1, 5
	s_mov_b64 s[4:5], 0
	v_pk_mov_b32 v[2:3], s[14:15], s[14:15] op_sel:[0,1]
	s_mov_b64 s[8:9], 0xffff
	v_mov_b32_e32 v8, s0
	v_mov_b32_e32 v9, s0
.LBB360_16:                             ; =>This Inner Loop Header: Depth=1
	v_cmp_le_i64_e32 vcc, s[6:7], v[4:5]
	v_cmp_lt_u64_e64 s[0:1], s[8:9], v[4:5]
	v_add_co_u32_e64 v4, s[2:3], s10, v4
	v_addc_co_u32_e64 v5, s[2:3], v5, v8, s[2:3]
	s_or_b64 s[0:1], vcc, s[0:1]
	global_store_dwordx4 v[6:7], v[0:3], off offset:-16
	global_store_dwordx4 v[6:7], v[0:3], off
	v_add_co_u32_e64 v6, s[2:3], s11, v6
	s_and_b64 s[0:1], exec, s[0:1]
	s_or_b64 s[4:5], s[0:1], s[4:5]
	v_addc_co_u32_e64 v7, vcc, v7, v9, s[2:3]
	s_andn2_b64 exec, exec, s[4:5]
	s_cbranch_execnz .LBB360_16
.LBB360_17:
	s_endpgm
	.section	.rodata,"a",@progbits
	.p2align	6, 0x0
	.amdhsa_kernel _ZN2at6native12_GLOBAL__N_125multi_tensor_apply_kernelINS1_18TensorListMetadataILi1EEENS1_11ZeroFunctorIN3c107complexIfEELi1ELi1ELi0EEEJEEEvT_T0_DpT1_
		.amdhsa_group_segment_fixed_size 0
		.amdhsa_private_segment_fixed_size 0
		.amdhsa_kernarg_size 3632
		.amdhsa_user_sgpr_count 6
		.amdhsa_user_sgpr_private_segment_buffer 1
		.amdhsa_user_sgpr_dispatch_ptr 0
		.amdhsa_user_sgpr_queue_ptr 0
		.amdhsa_user_sgpr_kernarg_segment_ptr 1
		.amdhsa_user_sgpr_dispatch_id 0
		.amdhsa_user_sgpr_flat_scratch_init 0
		.amdhsa_user_sgpr_kernarg_preload_length 0
		.amdhsa_user_sgpr_kernarg_preload_offset 0
		.amdhsa_user_sgpr_private_segment_size 0
		.amdhsa_uses_dynamic_stack 0
		.amdhsa_system_sgpr_private_segment_wavefront_offset 0
		.amdhsa_system_sgpr_workgroup_id_x 1
		.amdhsa_system_sgpr_workgroup_id_y 0
		.amdhsa_system_sgpr_workgroup_id_z 0
		.amdhsa_system_sgpr_workgroup_info 0
		.amdhsa_system_vgpr_workitem_id 0
		.amdhsa_next_free_vgpr 20
		.amdhsa_next_free_sgpr 23
		.amdhsa_accum_offset 20
		.amdhsa_reserve_vcc 1
		.amdhsa_reserve_flat_scratch 0
		.amdhsa_float_round_mode_32 0
		.amdhsa_float_round_mode_16_64 0
		.amdhsa_float_denorm_mode_32 3
		.amdhsa_float_denorm_mode_16_64 3
		.amdhsa_dx10_clamp 1
		.amdhsa_ieee_mode 1
		.amdhsa_fp16_overflow 0
		.amdhsa_tg_split 0
		.amdhsa_exception_fp_ieee_invalid_op 0
		.amdhsa_exception_fp_denorm_src 0
		.amdhsa_exception_fp_ieee_div_zero 0
		.amdhsa_exception_fp_ieee_overflow 0
		.amdhsa_exception_fp_ieee_underflow 0
		.amdhsa_exception_fp_ieee_inexact 0
		.amdhsa_exception_int_div_zero 0
	.end_amdhsa_kernel
	.section	.text._ZN2at6native12_GLOBAL__N_125multi_tensor_apply_kernelINS1_18TensorListMetadataILi1EEENS1_11ZeroFunctorIN3c107complexIfEELi1ELi1ELi0EEEJEEEvT_T0_DpT1_,"axG",@progbits,_ZN2at6native12_GLOBAL__N_125multi_tensor_apply_kernelINS1_18TensorListMetadataILi1EEENS1_11ZeroFunctorIN3c107complexIfEELi1ELi1ELi0EEEJEEEvT_T0_DpT1_,comdat
.Lfunc_end360:
	.size	_ZN2at6native12_GLOBAL__N_125multi_tensor_apply_kernelINS1_18TensorListMetadataILi1EEENS1_11ZeroFunctorIN3c107complexIfEELi1ELi1ELi0EEEJEEEvT_T0_DpT1_, .Lfunc_end360-_ZN2at6native12_GLOBAL__N_125multi_tensor_apply_kernelINS1_18TensorListMetadataILi1EEENS1_11ZeroFunctorIN3c107complexIfEELi1ELi1ELi0EEEJEEEvT_T0_DpT1_
                                        ; -- End function
	.section	.AMDGPU.csdata,"",@progbits
; Kernel info:
; codeLenInByte = 800
; NumSgprs: 27
; NumVgprs: 20
; NumAgprs: 0
; TotalNumVgprs: 20
; ScratchSize: 0
; MemoryBound: 0
; FloatMode: 240
; IeeeMode: 1
; LDSByteSize: 0 bytes/workgroup (compile time only)
; SGPRBlocks: 3
; VGPRBlocks: 2
; NumSGPRsForWavesPerEU: 27
; NumVGPRsForWavesPerEU: 20
; AccumOffset: 20
; Occupancy: 8
; WaveLimiterHint : 0
; COMPUTE_PGM_RSRC2:SCRATCH_EN: 0
; COMPUTE_PGM_RSRC2:USER_SGPR: 6
; COMPUTE_PGM_RSRC2:TRAP_HANDLER: 0
; COMPUTE_PGM_RSRC2:TGID_X_EN: 1
; COMPUTE_PGM_RSRC2:TGID_Y_EN: 0
; COMPUTE_PGM_RSRC2:TGID_Z_EN: 0
; COMPUTE_PGM_RSRC2:TIDIG_COMP_CNT: 0
; COMPUTE_PGM_RSRC3_GFX90A:ACCUM_OFFSET: 4
; COMPUTE_PGM_RSRC3_GFX90A:TG_SPLIT: 0
	.section	.text._ZN2at6native12_GLOBAL__N_125multi_tensor_apply_kernelINS1_18TensorListMetadataILi1EEENS1_11ZeroFunctorIN3c104HalfELi1ELi1ELi0EEEJEEEvT_T0_DpT1_,"axG",@progbits,_ZN2at6native12_GLOBAL__N_125multi_tensor_apply_kernelINS1_18TensorListMetadataILi1EEENS1_11ZeroFunctorIN3c104HalfELi1ELi1ELi0EEEJEEEvT_T0_DpT1_,comdat
	.globl	_ZN2at6native12_GLOBAL__N_125multi_tensor_apply_kernelINS1_18TensorListMetadataILi1EEENS1_11ZeroFunctorIN3c104HalfELi1ELi1ELi0EEEJEEEvT_T0_DpT1_ ; -- Begin function _ZN2at6native12_GLOBAL__N_125multi_tensor_apply_kernelINS1_18TensorListMetadataILi1EEENS1_11ZeroFunctorIN3c104HalfELi1ELi1ELi0EEEJEEEvT_T0_DpT1_
	.p2align	8
	.type	_ZN2at6native12_GLOBAL__N_125multi_tensor_apply_kernelINS1_18TensorListMetadataILi1EEENS1_11ZeroFunctorIN3c104HalfELi1ELi1ELi0EEEJEEEvT_T0_DpT1_,@function
_ZN2at6native12_GLOBAL__N_125multi_tensor_apply_kernelINS1_18TensorListMetadataILi1EEENS1_11ZeroFunctorIN3c104HalfELi1ELi1ELi0EEEJEEEvT_T0_DpT1_: ; @_ZN2at6native12_GLOBAL__N_125multi_tensor_apply_kernelINS1_18TensorListMetadataILi1EEENS1_11ZeroFunctorIN3c104HalfELi1ELi1ELi0EEEJEEEvT_T0_DpT1_
; %bb.0:
	v_mov_b32_e32 v1, s6
	global_load_ubyte v1, v1, s[4:5] offset:1760
	s_add_u32 s0, s4, s6
	s_mul_hi_u32 s1, s6, 3
	s_mul_i32 s6, s6, 3
	s_addc_u32 s2, s5, 0
	s_add_u32 s0, s0, s6
	s_addc_u32 s1, s2, s1
	s_load_dword s0, s[0:1], 0x820
	s_mov_b32 s13, 0
	s_waitcnt vmcnt(0)
	v_readfirstlane_b32 s2, v1
	s_lshl_b32 s1, s2, 3
	s_load_dwordx2 s[10:11], s[4:5], s1 offset:0x370
	s_load_dwordx2 s[2:3], s[4:5], s1 offset:0x0
	s_waitcnt lgkmcnt(0)
	s_ashr_i32 s1, s0, 31
	s_lshl_b64 s[8:9], s[0:1], 17
	s_lshl_b64 s[0:1], s[0:1], 16
	s_and_b32 s12, s2, 7
	s_sub_u32 s6, s10, s0
	s_subb_u32 s7, s11, s1
	s_and_b32 s0, s10, 3
	s_mov_b32 s1, s13
	s_or_b64 s[0:1], s[12:13], s[0:1]
	s_cmp_eq_u64 s[0:1], 0
	s_cbranch_scc1 .LBB361_13
; %bb.1:
	v_cmp_lt_i64_e64 s[0:1], s[6:7], 1
	s_and_b64 vcc, exec, s[0:1]
	s_cbranch_vccnz .LBB361_12
; %bb.2:
	s_load_dword s0, s[4:5], 0xd3c
	v_mov_b32_e32 v2, 0x10000
	v_mov_b32_e32 v3, 0
	v_cmp_lt_u64_e32 vcc, s[6:7], v[2:3]
	v_lshlrev_b32_e32 v4, 1, v0
	s_waitcnt lgkmcnt(0)
	s_and_b32 s12, s0, 0xffff
	s_and_b64 s[0:1], vcc, exec
	s_cselect_b32 s11, s7, 0
	s_cselect_b32 s10, s6, 0x10000
	s_lshl_b32 s13, s12, 1
	s_lshl_b32 s15, s12, 2
	s_add_u32 s19, s2, s8
	s_addc_u32 s20, s3, s9
	v_mov_b32_e32 v5, s20
	v_add_co_u32_e32 v4, vcc, s19, v4
	s_mul_i32 s0, s12, 3
	v_addc_co_u32_e32 v5, vcc, 0, v5, vcc
	v_add_co_u32_e32 v10, vcc, s0, v0
	v_addc_co_u32_e64 v11, s[0:1], 0, 0, vcc
	v_add_co_u32_e32 v12, vcc, s13, v0
	v_addc_co_u32_e64 v13, s[0:1], 0, 0, vcc
	v_add_co_u32_e32 v14, vcc, s12, v0
	v_lshlrev_b32_e32 v6, 1, v14
	s_mov_b32 s14, 0
	v_addc_co_u32_e64 v15, s[0:1], 0, 0, vcc
	v_mov_b32_e32 v7, s20
	v_add_co_u32_e32 v6, vcc, s19, v6
	v_mov_b32_e32 v1, 0
	s_lshl_b32 s16, s12, 3
	s_mul_i32 s17, s12, 6
	s_mov_b32 s18, s14
	v_addc_co_u32_e32 v7, vcc, 0, v7, vcc
	s_mov_b64 s[12:13], 0
	v_pk_mov_b32 v[8:9], s[6:7], s[6:7] op_sel:[0,1]
	v_mov_b32_e32 v16, s14
	s_branch .LBB361_4
.LBB361_3:                              ;   in Loop: Header=BB361_4 Depth=1
	s_or_b64 exec, exec, s[0:1]
	s_add_u32 s12, s12, s15
	s_addc_u32 s13, s13, 0
	v_cmp_lt_i64_e32 vcc, s[12:13], v[8:9]
	v_cmp_lt_u64_e64 s[0:1], s[12:13], v[2:3]
	s_and_b64 s[0:1], vcc, s[0:1]
	v_add_co_u32_e32 v4, vcc, s16, v4
	v_addc_co_u32_e32 v5, vcc, v5, v16, vcc
	v_add_co_u32_e32 v6, vcc, s16, v6
	v_addc_co_u32_e32 v7, vcc, v7, v16, vcc
	s_and_b64 vcc, exec, s[0:1]
	s_cbranch_vccz .LBB361_12
.LBB361_4:                              ; =>This Inner Loop Header: Depth=1
	v_mov_b32_e32 v17, s13
	v_add_co_u32_e32 v18, vcc, s12, v0
	v_addc_co_u32_e32 v19, vcc, 0, v17, vcc
	v_cmp_gt_u64_e32 vcc, s[10:11], v[18:19]
	s_and_saveexec_b64 s[0:1], vcc
	s_cbranch_execz .LBB361_6
; %bb.5:                                ;   in Loop: Header=BB361_4 Depth=1
	global_store_short v[4:5], v1, off
.LBB361_6:                              ;   in Loop: Header=BB361_4 Depth=1
	s_or_b64 exec, exec, s[0:1]
	v_mov_b32_e32 v17, s13
	v_add_co_u32_e32 v18, vcc, s12, v14
	v_addc_co_u32_e32 v19, vcc, v15, v17, vcc
	v_cmp_gt_u64_e32 vcc, s[10:11], v[18:19]
	s_and_saveexec_b64 s[0:1], vcc
	s_cbranch_execz .LBB361_8
; %bb.7:                                ;   in Loop: Header=BB361_4 Depth=1
	global_store_short v[6:7], v1, off
.LBB361_8:                              ;   in Loop: Header=BB361_4 Depth=1
	s_or_b64 exec, exec, s[0:1]
	v_mov_b32_e32 v17, s13
	v_add_co_u32_e32 v18, vcc, s12, v12
	v_addc_co_u32_e32 v19, vcc, v13, v17, vcc
	v_cmp_gt_u64_e32 vcc, s[10:11], v[18:19]
	s_and_saveexec_b64 s[0:1], vcc
	s_cbranch_execz .LBB361_10
; %bb.9:                                ;   in Loop: Header=BB361_4 Depth=1
	v_mov_b32_e32 v17, s14
	v_add_co_u32_e32 v18, vcc, s15, v4
	v_addc_co_u32_e32 v19, vcc, v5, v17, vcc
	global_store_short v[18:19], v1, off
.LBB361_10:                             ;   in Loop: Header=BB361_4 Depth=1
	s_or_b64 exec, exec, s[0:1]
	v_mov_b32_e32 v17, s13
	v_add_co_u32_e32 v18, vcc, s12, v10
	v_addc_co_u32_e32 v19, vcc, v11, v17, vcc
	v_cmp_gt_u64_e32 vcc, s[10:11], v[18:19]
	s_and_saveexec_b64 s[0:1], vcc
	s_cbranch_execz .LBB361_3
; %bb.11:                               ;   in Loop: Header=BB361_4 Depth=1
	v_mov_b32_e32 v17, s18
	v_add_co_u32_e32 v18, vcc, s17, v4
	v_addc_co_u32_e32 v19, vcc, v5, v17, vcc
	global_store_short v[18:19], v1, off
	s_branch .LBB361_3
.LBB361_12:
	s_cbranch_execz .LBB361_14
	s_branch .LBB361_17
.LBB361_13:
.LBB361_14:
	v_mov_b32_e32 v2, 0
	v_lshlrev_b32_e32 v4, 2, v0
	v_mov_b32_e32 v5, v2
	s_mov_b32 s0, 0
	v_cmp_gt_i64_e32 vcc, s[6:7], v[4:5]
	s_and_saveexec_b64 s[10:11], vcc
	s_cbranch_execz .LBB361_17
; %bb.15:
	s_load_dword s1, s[4:5], 0xd3c
	v_lshlrev_b32_e32 v1, 3, v0
	s_mov_b64 s[4:5], 0
	v_mov_b32_e32 v6, s0
	v_mov_b32_e32 v7, s0
	s_waitcnt lgkmcnt(0)
	s_and_b32 s1, s1, 0xffff
	s_add_u32 s2, s2, s8
	s_addc_u32 s3, s3, s9
	v_mov_b32_e32 v3, s3
	v_add_co_u32_e32 v4, vcc, s2, v1
	v_addc_co_u32_e32 v5, vcc, 0, v3, vcc
	s_lshl_b32 s10, s1, 3
	v_add_lshl_u32 v0, v0, s1, 2
	v_mov_b32_e32 v1, v2
	s_lshl_b32 s11, s1, 2
	v_mov_b32_e32 v3, v2
	s_mov_b64 s[8:9], 0xffff
.LBB361_16:                             ; =>This Inner Loop Header: Depth=1
	global_store_dwordx2 v[4:5], v[2:3], off
	v_cmp_le_i64_e32 vcc, s[6:7], v[0:1]
	v_cmp_lt_u64_e64 s[0:1], s[8:9], v[0:1]
	v_add_co_u32_e64 v4, s[2:3], s10, v4
	v_addc_co_u32_e64 v5, s[2:3], v5, v6, s[2:3]
	s_or_b64 s[0:1], vcc, s[0:1]
	v_add_co_u32_e64 v0, s[2:3], s11, v0
	s_and_b64 s[0:1], exec, s[0:1]
	s_or_b64 s[4:5], s[0:1], s[4:5]
	v_addc_co_u32_e64 v1, vcc, v1, v7, s[2:3]
	s_andn2_b64 exec, exec, s[4:5]
	s_cbranch_execnz .LBB361_16
.LBB361_17:
	s_endpgm
	.section	.rodata,"a",@progbits
	.p2align	6, 0x0
	.amdhsa_kernel _ZN2at6native12_GLOBAL__N_125multi_tensor_apply_kernelINS1_18TensorListMetadataILi1EEENS1_11ZeroFunctorIN3c104HalfELi1ELi1ELi0EEEJEEEvT_T0_DpT1_
		.amdhsa_group_segment_fixed_size 0
		.amdhsa_private_segment_fixed_size 0
		.amdhsa_kernarg_size 3632
		.amdhsa_user_sgpr_count 6
		.amdhsa_user_sgpr_private_segment_buffer 1
		.amdhsa_user_sgpr_dispatch_ptr 0
		.amdhsa_user_sgpr_queue_ptr 0
		.amdhsa_user_sgpr_kernarg_segment_ptr 1
		.amdhsa_user_sgpr_dispatch_id 0
		.amdhsa_user_sgpr_flat_scratch_init 0
		.amdhsa_user_sgpr_kernarg_preload_length 0
		.amdhsa_user_sgpr_kernarg_preload_offset 0
		.amdhsa_user_sgpr_private_segment_size 0
		.amdhsa_uses_dynamic_stack 0
		.amdhsa_system_sgpr_private_segment_wavefront_offset 0
		.amdhsa_system_sgpr_workgroup_id_x 1
		.amdhsa_system_sgpr_workgroup_id_y 0
		.amdhsa_system_sgpr_workgroup_id_z 0
		.amdhsa_system_sgpr_workgroup_info 0
		.amdhsa_system_vgpr_workitem_id 0
		.amdhsa_next_free_vgpr 20
		.amdhsa_next_free_sgpr 21
		.amdhsa_accum_offset 20
		.amdhsa_reserve_vcc 1
		.amdhsa_reserve_flat_scratch 0
		.amdhsa_float_round_mode_32 0
		.amdhsa_float_round_mode_16_64 0
		.amdhsa_float_denorm_mode_32 3
		.amdhsa_float_denorm_mode_16_64 3
		.amdhsa_dx10_clamp 1
		.amdhsa_ieee_mode 1
		.amdhsa_fp16_overflow 0
		.amdhsa_tg_split 0
		.amdhsa_exception_fp_ieee_invalid_op 0
		.amdhsa_exception_fp_denorm_src 0
		.amdhsa_exception_fp_ieee_div_zero 0
		.amdhsa_exception_fp_ieee_overflow 0
		.amdhsa_exception_fp_ieee_underflow 0
		.amdhsa_exception_fp_ieee_inexact 0
		.amdhsa_exception_int_div_zero 0
	.end_amdhsa_kernel
	.section	.text._ZN2at6native12_GLOBAL__N_125multi_tensor_apply_kernelINS1_18TensorListMetadataILi1EEENS1_11ZeroFunctorIN3c104HalfELi1ELi1ELi0EEEJEEEvT_T0_DpT1_,"axG",@progbits,_ZN2at6native12_GLOBAL__N_125multi_tensor_apply_kernelINS1_18TensorListMetadataILi1EEENS1_11ZeroFunctorIN3c104HalfELi1ELi1ELi0EEEJEEEvT_T0_DpT1_,comdat
.Lfunc_end361:
	.size	_ZN2at6native12_GLOBAL__N_125multi_tensor_apply_kernelINS1_18TensorListMetadataILi1EEENS1_11ZeroFunctorIN3c104HalfELi1ELi1ELi0EEEJEEEvT_T0_DpT1_, .Lfunc_end361-_ZN2at6native12_GLOBAL__N_125multi_tensor_apply_kernelINS1_18TensorListMetadataILi1EEENS1_11ZeroFunctorIN3c104HalfELi1ELi1ELi0EEEJEEEvT_T0_DpT1_
                                        ; -- End function
	.section	.AMDGPU.csdata,"",@progbits
; Kernel info:
; codeLenInByte = 740
; NumSgprs: 25
; NumVgprs: 20
; NumAgprs: 0
; TotalNumVgprs: 20
; ScratchSize: 0
; MemoryBound: 0
; FloatMode: 240
; IeeeMode: 1
; LDSByteSize: 0 bytes/workgroup (compile time only)
; SGPRBlocks: 3
; VGPRBlocks: 2
; NumSGPRsForWavesPerEU: 25
; NumVGPRsForWavesPerEU: 20
; AccumOffset: 20
; Occupancy: 8
; WaveLimiterHint : 0
; COMPUTE_PGM_RSRC2:SCRATCH_EN: 0
; COMPUTE_PGM_RSRC2:USER_SGPR: 6
; COMPUTE_PGM_RSRC2:TRAP_HANDLER: 0
; COMPUTE_PGM_RSRC2:TGID_X_EN: 1
; COMPUTE_PGM_RSRC2:TGID_Y_EN: 0
; COMPUTE_PGM_RSRC2:TGID_Z_EN: 0
; COMPUTE_PGM_RSRC2:TIDIG_COMP_CNT: 0
; COMPUTE_PGM_RSRC3_GFX90A:ACCUM_OFFSET: 4
; COMPUTE_PGM_RSRC3_GFX90A:TG_SPLIT: 0
	.section	.text._ZN2at6native12_GLOBAL__N_125multi_tensor_apply_kernelINS1_18TensorListMetadataILi1EEENS1_11ZeroFunctorIN3c108BFloat16ELi1ELi1ELi0EEEJEEEvT_T0_DpT1_,"axG",@progbits,_ZN2at6native12_GLOBAL__N_125multi_tensor_apply_kernelINS1_18TensorListMetadataILi1EEENS1_11ZeroFunctorIN3c108BFloat16ELi1ELi1ELi0EEEJEEEvT_T0_DpT1_,comdat
	.globl	_ZN2at6native12_GLOBAL__N_125multi_tensor_apply_kernelINS1_18TensorListMetadataILi1EEENS1_11ZeroFunctorIN3c108BFloat16ELi1ELi1ELi0EEEJEEEvT_T0_DpT1_ ; -- Begin function _ZN2at6native12_GLOBAL__N_125multi_tensor_apply_kernelINS1_18TensorListMetadataILi1EEENS1_11ZeroFunctorIN3c108BFloat16ELi1ELi1ELi0EEEJEEEvT_T0_DpT1_
	.p2align	8
	.type	_ZN2at6native12_GLOBAL__N_125multi_tensor_apply_kernelINS1_18TensorListMetadataILi1EEENS1_11ZeroFunctorIN3c108BFloat16ELi1ELi1ELi0EEEJEEEvT_T0_DpT1_,@function
_ZN2at6native12_GLOBAL__N_125multi_tensor_apply_kernelINS1_18TensorListMetadataILi1EEENS1_11ZeroFunctorIN3c108BFloat16ELi1ELi1ELi0EEEJEEEvT_T0_DpT1_: ; @_ZN2at6native12_GLOBAL__N_125multi_tensor_apply_kernelINS1_18TensorListMetadataILi1EEENS1_11ZeroFunctorIN3c108BFloat16ELi1ELi1ELi0EEEJEEEvT_T0_DpT1_
; %bb.0:
	v_mov_b32_e32 v1, s6
	global_load_ubyte v1, v1, s[4:5] offset:1760
	s_add_u32 s0, s4, s6
	s_mul_hi_u32 s1, s6, 3
	s_mul_i32 s6, s6, 3
	s_addc_u32 s2, s5, 0
	s_add_u32 s0, s0, s6
	s_addc_u32 s1, s2, s1
	s_load_dword s0, s[0:1], 0x820
	s_mov_b32 s13, 0
	s_waitcnt vmcnt(0)
	v_readfirstlane_b32 s2, v1
	s_lshl_b32 s1, s2, 3
	s_load_dwordx2 s[10:11], s[4:5], s1 offset:0x370
	s_load_dwordx2 s[2:3], s[4:5], s1 offset:0x0
	s_waitcnt lgkmcnt(0)
	s_ashr_i32 s1, s0, 31
	s_lshl_b64 s[8:9], s[0:1], 17
	s_lshl_b64 s[0:1], s[0:1], 16
	s_and_b32 s12, s2, 7
	s_sub_u32 s6, s10, s0
	s_subb_u32 s7, s11, s1
	s_and_b32 s0, s10, 3
	s_mov_b32 s1, s13
	s_or_b64 s[0:1], s[12:13], s[0:1]
	s_cmp_eq_u64 s[0:1], 0
	s_cbranch_scc1 .LBB362_13
; %bb.1:
	v_cmp_lt_i64_e64 s[0:1], s[6:7], 1
	s_and_b64 vcc, exec, s[0:1]
	s_cbranch_vccnz .LBB362_12
; %bb.2:
	s_load_dword s0, s[4:5], 0xd3c
	v_mov_b32_e32 v2, 0x10000
	v_mov_b32_e32 v3, 0
	v_cmp_lt_u64_e32 vcc, s[6:7], v[2:3]
	v_lshlrev_b32_e32 v4, 1, v0
	s_waitcnt lgkmcnt(0)
	s_and_b32 s12, s0, 0xffff
	s_and_b64 s[0:1], vcc, exec
	s_cselect_b32 s11, s7, 0
	s_cselect_b32 s10, s6, 0x10000
	s_lshl_b32 s13, s12, 1
	s_lshl_b32 s15, s12, 2
	s_add_u32 s19, s2, s8
	s_addc_u32 s20, s3, s9
	v_mov_b32_e32 v5, s20
	v_add_co_u32_e32 v4, vcc, s19, v4
	s_mul_i32 s0, s12, 3
	v_addc_co_u32_e32 v5, vcc, 0, v5, vcc
	v_add_co_u32_e32 v10, vcc, s0, v0
	v_addc_co_u32_e64 v11, s[0:1], 0, 0, vcc
	v_add_co_u32_e32 v12, vcc, s13, v0
	v_addc_co_u32_e64 v13, s[0:1], 0, 0, vcc
	v_add_co_u32_e32 v14, vcc, s12, v0
	v_lshlrev_b32_e32 v6, 1, v14
	s_mov_b32 s14, 0
	v_addc_co_u32_e64 v15, s[0:1], 0, 0, vcc
	v_mov_b32_e32 v7, s20
	v_add_co_u32_e32 v6, vcc, s19, v6
	v_mov_b32_e32 v1, 0
	s_lshl_b32 s16, s12, 3
	s_mul_i32 s17, s12, 6
	s_mov_b32 s18, s14
	v_addc_co_u32_e32 v7, vcc, 0, v7, vcc
	s_mov_b64 s[12:13], 0
	v_pk_mov_b32 v[8:9], s[6:7], s[6:7] op_sel:[0,1]
	v_mov_b32_e32 v16, s14
	s_branch .LBB362_4
.LBB362_3:                              ;   in Loop: Header=BB362_4 Depth=1
	s_or_b64 exec, exec, s[0:1]
	s_add_u32 s12, s12, s15
	s_addc_u32 s13, s13, 0
	v_cmp_lt_i64_e32 vcc, s[12:13], v[8:9]
	v_cmp_lt_u64_e64 s[0:1], s[12:13], v[2:3]
	s_and_b64 s[0:1], vcc, s[0:1]
	v_add_co_u32_e32 v4, vcc, s16, v4
	v_addc_co_u32_e32 v5, vcc, v5, v16, vcc
	v_add_co_u32_e32 v6, vcc, s16, v6
	v_addc_co_u32_e32 v7, vcc, v7, v16, vcc
	s_and_b64 vcc, exec, s[0:1]
	s_cbranch_vccz .LBB362_12
.LBB362_4:                              ; =>This Inner Loop Header: Depth=1
	v_mov_b32_e32 v17, s13
	v_add_co_u32_e32 v18, vcc, s12, v0
	v_addc_co_u32_e32 v19, vcc, 0, v17, vcc
	v_cmp_gt_u64_e32 vcc, s[10:11], v[18:19]
	s_and_saveexec_b64 s[0:1], vcc
	s_cbranch_execz .LBB362_6
; %bb.5:                                ;   in Loop: Header=BB362_4 Depth=1
	global_store_short v[4:5], v1, off
.LBB362_6:                              ;   in Loop: Header=BB362_4 Depth=1
	s_or_b64 exec, exec, s[0:1]
	v_mov_b32_e32 v17, s13
	v_add_co_u32_e32 v18, vcc, s12, v14
	v_addc_co_u32_e32 v19, vcc, v15, v17, vcc
	v_cmp_gt_u64_e32 vcc, s[10:11], v[18:19]
	s_and_saveexec_b64 s[0:1], vcc
	s_cbranch_execz .LBB362_8
; %bb.7:                                ;   in Loop: Header=BB362_4 Depth=1
	global_store_short v[6:7], v1, off
.LBB362_8:                              ;   in Loop: Header=BB362_4 Depth=1
	s_or_b64 exec, exec, s[0:1]
	v_mov_b32_e32 v17, s13
	v_add_co_u32_e32 v18, vcc, s12, v12
	v_addc_co_u32_e32 v19, vcc, v13, v17, vcc
	v_cmp_gt_u64_e32 vcc, s[10:11], v[18:19]
	s_and_saveexec_b64 s[0:1], vcc
	s_cbranch_execz .LBB362_10
; %bb.9:                                ;   in Loop: Header=BB362_4 Depth=1
	v_mov_b32_e32 v17, s14
	v_add_co_u32_e32 v18, vcc, s15, v4
	v_addc_co_u32_e32 v19, vcc, v5, v17, vcc
	global_store_short v[18:19], v1, off
.LBB362_10:                             ;   in Loop: Header=BB362_4 Depth=1
	s_or_b64 exec, exec, s[0:1]
	v_mov_b32_e32 v17, s13
	v_add_co_u32_e32 v18, vcc, s12, v10
	v_addc_co_u32_e32 v19, vcc, v11, v17, vcc
	v_cmp_gt_u64_e32 vcc, s[10:11], v[18:19]
	s_and_saveexec_b64 s[0:1], vcc
	s_cbranch_execz .LBB362_3
; %bb.11:                               ;   in Loop: Header=BB362_4 Depth=1
	v_mov_b32_e32 v17, s18
	v_add_co_u32_e32 v18, vcc, s17, v4
	v_addc_co_u32_e32 v19, vcc, v5, v17, vcc
	global_store_short v[18:19], v1, off
	s_branch .LBB362_3
.LBB362_12:
	s_cbranch_execz .LBB362_14
	s_branch .LBB362_17
.LBB362_13:
.LBB362_14:
	v_mov_b32_e32 v2, 0
	v_lshlrev_b32_e32 v4, 2, v0
	v_mov_b32_e32 v5, v2
	s_mov_b32 s0, 0
	v_cmp_gt_i64_e32 vcc, s[6:7], v[4:5]
	s_and_saveexec_b64 s[10:11], vcc
	s_cbranch_execz .LBB362_17
; %bb.15:
	s_load_dword s1, s[4:5], 0xd3c
	v_lshlrev_b32_e32 v1, 3, v0
	s_mov_b64 s[4:5], 0
	v_mov_b32_e32 v6, s0
	v_mov_b32_e32 v7, s0
	s_waitcnt lgkmcnt(0)
	s_and_b32 s1, s1, 0xffff
	s_add_u32 s2, s2, s8
	s_addc_u32 s3, s3, s9
	v_mov_b32_e32 v3, s3
	v_add_co_u32_e32 v4, vcc, s2, v1
	v_addc_co_u32_e32 v5, vcc, 0, v3, vcc
	s_lshl_b32 s10, s1, 3
	v_add_lshl_u32 v0, v0, s1, 2
	v_mov_b32_e32 v1, v2
	s_lshl_b32 s11, s1, 2
	v_mov_b32_e32 v3, v2
	s_mov_b64 s[8:9], 0xffff
.LBB362_16:                             ; =>This Inner Loop Header: Depth=1
	global_store_dwordx2 v[4:5], v[2:3], off
	v_cmp_le_i64_e32 vcc, s[6:7], v[0:1]
	v_cmp_lt_u64_e64 s[0:1], s[8:9], v[0:1]
	v_add_co_u32_e64 v4, s[2:3], s10, v4
	v_addc_co_u32_e64 v5, s[2:3], v5, v6, s[2:3]
	s_or_b64 s[0:1], vcc, s[0:1]
	v_add_co_u32_e64 v0, s[2:3], s11, v0
	s_and_b64 s[0:1], exec, s[0:1]
	s_or_b64 s[4:5], s[0:1], s[4:5]
	v_addc_co_u32_e64 v1, vcc, v1, v7, s[2:3]
	s_andn2_b64 exec, exec, s[4:5]
	s_cbranch_execnz .LBB362_16
.LBB362_17:
	s_endpgm
	.section	.rodata,"a",@progbits
	.p2align	6, 0x0
	.amdhsa_kernel _ZN2at6native12_GLOBAL__N_125multi_tensor_apply_kernelINS1_18TensorListMetadataILi1EEENS1_11ZeroFunctorIN3c108BFloat16ELi1ELi1ELi0EEEJEEEvT_T0_DpT1_
		.amdhsa_group_segment_fixed_size 0
		.amdhsa_private_segment_fixed_size 0
		.amdhsa_kernarg_size 3632
		.amdhsa_user_sgpr_count 6
		.amdhsa_user_sgpr_private_segment_buffer 1
		.amdhsa_user_sgpr_dispatch_ptr 0
		.amdhsa_user_sgpr_queue_ptr 0
		.amdhsa_user_sgpr_kernarg_segment_ptr 1
		.amdhsa_user_sgpr_dispatch_id 0
		.amdhsa_user_sgpr_flat_scratch_init 0
		.amdhsa_user_sgpr_kernarg_preload_length 0
		.amdhsa_user_sgpr_kernarg_preload_offset 0
		.amdhsa_user_sgpr_private_segment_size 0
		.amdhsa_uses_dynamic_stack 0
		.amdhsa_system_sgpr_private_segment_wavefront_offset 0
		.amdhsa_system_sgpr_workgroup_id_x 1
		.amdhsa_system_sgpr_workgroup_id_y 0
		.amdhsa_system_sgpr_workgroup_id_z 0
		.amdhsa_system_sgpr_workgroup_info 0
		.amdhsa_system_vgpr_workitem_id 0
		.amdhsa_next_free_vgpr 20
		.amdhsa_next_free_sgpr 21
		.amdhsa_accum_offset 20
		.amdhsa_reserve_vcc 1
		.amdhsa_reserve_flat_scratch 0
		.amdhsa_float_round_mode_32 0
		.amdhsa_float_round_mode_16_64 0
		.amdhsa_float_denorm_mode_32 3
		.amdhsa_float_denorm_mode_16_64 3
		.amdhsa_dx10_clamp 1
		.amdhsa_ieee_mode 1
		.amdhsa_fp16_overflow 0
		.amdhsa_tg_split 0
		.amdhsa_exception_fp_ieee_invalid_op 0
		.amdhsa_exception_fp_denorm_src 0
		.amdhsa_exception_fp_ieee_div_zero 0
		.amdhsa_exception_fp_ieee_overflow 0
		.amdhsa_exception_fp_ieee_underflow 0
		.amdhsa_exception_fp_ieee_inexact 0
		.amdhsa_exception_int_div_zero 0
	.end_amdhsa_kernel
	.section	.text._ZN2at6native12_GLOBAL__N_125multi_tensor_apply_kernelINS1_18TensorListMetadataILi1EEENS1_11ZeroFunctorIN3c108BFloat16ELi1ELi1ELi0EEEJEEEvT_T0_DpT1_,"axG",@progbits,_ZN2at6native12_GLOBAL__N_125multi_tensor_apply_kernelINS1_18TensorListMetadataILi1EEENS1_11ZeroFunctorIN3c108BFloat16ELi1ELi1ELi0EEEJEEEvT_T0_DpT1_,comdat
.Lfunc_end362:
	.size	_ZN2at6native12_GLOBAL__N_125multi_tensor_apply_kernelINS1_18TensorListMetadataILi1EEENS1_11ZeroFunctorIN3c108BFloat16ELi1ELi1ELi0EEEJEEEvT_T0_DpT1_, .Lfunc_end362-_ZN2at6native12_GLOBAL__N_125multi_tensor_apply_kernelINS1_18TensorListMetadataILi1EEENS1_11ZeroFunctorIN3c108BFloat16ELi1ELi1ELi0EEEJEEEvT_T0_DpT1_
                                        ; -- End function
	.section	.AMDGPU.csdata,"",@progbits
; Kernel info:
; codeLenInByte = 740
; NumSgprs: 25
; NumVgprs: 20
; NumAgprs: 0
; TotalNumVgprs: 20
; ScratchSize: 0
; MemoryBound: 0
; FloatMode: 240
; IeeeMode: 1
; LDSByteSize: 0 bytes/workgroup (compile time only)
; SGPRBlocks: 3
; VGPRBlocks: 2
; NumSGPRsForWavesPerEU: 25
; NumVGPRsForWavesPerEU: 20
; AccumOffset: 20
; Occupancy: 8
; WaveLimiterHint : 0
; COMPUTE_PGM_RSRC2:SCRATCH_EN: 0
; COMPUTE_PGM_RSRC2:USER_SGPR: 6
; COMPUTE_PGM_RSRC2:TRAP_HANDLER: 0
; COMPUTE_PGM_RSRC2:TGID_X_EN: 1
; COMPUTE_PGM_RSRC2:TGID_Y_EN: 0
; COMPUTE_PGM_RSRC2:TGID_Z_EN: 0
; COMPUTE_PGM_RSRC2:TIDIG_COMP_CNT: 0
; COMPUTE_PGM_RSRC3_GFX90A:ACCUM_OFFSET: 4
; COMPUTE_PGM_RSRC3_GFX90A:TG_SPLIT: 0
	.section	.text._ZN2at6native12_GLOBAL__N_125multi_tensor_apply_kernelINS1_18TensorListMetadataILi1EEENS1_11ZeroFunctorIbLi1ELi1ELi0EEEJEEEvT_T0_DpT1_,"axG",@progbits,_ZN2at6native12_GLOBAL__N_125multi_tensor_apply_kernelINS1_18TensorListMetadataILi1EEENS1_11ZeroFunctorIbLi1ELi1ELi0EEEJEEEvT_T0_DpT1_,comdat
	.globl	_ZN2at6native12_GLOBAL__N_125multi_tensor_apply_kernelINS1_18TensorListMetadataILi1EEENS1_11ZeroFunctorIbLi1ELi1ELi0EEEJEEEvT_T0_DpT1_ ; -- Begin function _ZN2at6native12_GLOBAL__N_125multi_tensor_apply_kernelINS1_18TensorListMetadataILi1EEENS1_11ZeroFunctorIbLi1ELi1ELi0EEEJEEEvT_T0_DpT1_
	.p2align	8
	.type	_ZN2at6native12_GLOBAL__N_125multi_tensor_apply_kernelINS1_18TensorListMetadataILi1EEENS1_11ZeroFunctorIbLi1ELi1ELi0EEEJEEEvT_T0_DpT1_,@function
_ZN2at6native12_GLOBAL__N_125multi_tensor_apply_kernelINS1_18TensorListMetadataILi1EEENS1_11ZeroFunctorIbLi1ELi1ELi0EEEJEEEvT_T0_DpT1_: ; @_ZN2at6native12_GLOBAL__N_125multi_tensor_apply_kernelINS1_18TensorListMetadataILi1EEENS1_11ZeroFunctorIbLi1ELi1ELi0EEEJEEEvT_T0_DpT1_
; %bb.0:
	v_mov_b32_e32 v1, s6
	global_load_ubyte v1, v1, s[4:5] offset:1760
	s_add_u32 s0, s4, s6
	s_mul_hi_u32 s1, s6, 3
	s_mul_i32 s6, s6, 3
	s_addc_u32 s2, s5, 0
	s_add_u32 s0, s0, s6
	s_addc_u32 s1, s2, s1
	s_load_dword s2, s[0:1], 0x820
	s_waitcnt vmcnt(0)
	v_readfirstlane_b32 s0, v1
	s_lshl_b32 s3, s0, 3
	s_load_dwordx2 s[0:1], s[4:5], s3 offset:0x0
	s_load_dwordx2 s[6:7], s[4:5], s3 offset:0x370
	s_waitcnt lgkmcnt(0)
	s_ashr_i32 s3, s2, 31
	s_lshl_b64 s[8:9], s[2:3], 16
	s_add_u32 s10, s0, s8
	s_addc_u32 s11, s1, s9
	s_sub_u32 s2, s6, s8
	s_subb_u32 s3, s7, s9
	s_or_b32 s6, s6, s10
	s_and_b32 s6, s6, 3
	s_cmp_eq_u32 s6, 0
	s_cbranch_scc1 .LBB363_13
; %bb.1:
	v_cmp_lt_i64_e64 s[6:7], s[2:3], 1
	s_and_b64 vcc, exec, s[6:7]
	s_cbranch_vccnz .LBB363_12
; %bb.2:
	s_load_dword s6, s[4:5], 0xd3c
	v_mov_b32_e32 v2, 0x10000
	v_mov_b32_e32 v3, 0
	v_cmp_lt_u64_e32 vcc, s[2:3], v[2:3]
	v_mov_b32_e32 v4, s9
	s_waitcnt lgkmcnt(0)
	s_and_b32 s13, s6, 0xffff
	s_and_b64 s[6:7], vcc, exec
	s_cselect_b32 s7, s3, 0
	s_cselect_b32 s6, s2, 0x10000
	s_lshl_b32 s16, s13, 1
	s_mul_i32 s14, s13, 3
	s_lshl_b32 s12, s13, 2
	s_add_u32 s15, s8, s14
	v_add_co_u32_e32 v5, vcc, s8, v0
	s_addc_u32 s17, s9, 0
	v_addc_co_u32_e32 v4, vcc, 0, v4, vcc
	s_add_u32 s15, s0, s15
	v_mov_b32_e32 v7, s1
	v_add_co_u32_e32 v6, vcc, s0, v5
	s_addc_u32 s17, s1, s17
	v_addc_co_u32_e32 v7, vcc, v7, v4, vcc
	s_add_u32 s8, s8, s16
	v_mov_b32_e32 v9, s17
	v_add_co_u32_e32 v8, vcc, s15, v0
	s_addc_u32 s9, s9, 0
	v_addc_co_u32_e32 v9, vcc, 0, v9, vcc
	s_add_u32 s8, s0, s8
	v_add_co_u32_e32 v10, vcc, s14, v0
	s_addc_u32 s9, s1, s9
	v_addc_co_u32_e64 v11, s[14:15], 0, 0, vcc
	v_mov_b32_e32 v13, s9
	v_add_co_u32_e32 v12, vcc, s8, v0
	v_addc_co_u32_e32 v13, vcc, 0, v13, vcc
	s_add_u32 s0, s0, s13
	v_add_co_u32_e32 v14, vcc, s16, v0
	s_addc_u32 s1, s1, 0
	v_addc_co_u32_e64 v15, s[8:9], 0, 0, vcc
	v_mov_b32_e32 v17, s1
	v_add_co_u32_e32 v16, vcc, s0, v5
	v_addc_co_u32_e32 v17, vcc, v17, v4, vcc
	v_add_co_u32_e32 v18, vcc, s13, v0
	v_mov_b32_e32 v1, 0
	v_addc_co_u32_e64 v19, s[0:1], 0, 0, vcc
	s_mov_b64 s[8:9], 0
	v_pk_mov_b32 v[4:5], s[2:3], s[2:3] op_sel:[0,1]
	s_branch .LBB363_4
.LBB363_3:                              ;   in Loop: Header=BB363_4 Depth=1
	s_or_b64 exec, exec, s[0:1]
	s_add_u32 s8, s8, s12
	s_addc_u32 s9, s9, 0
	v_cmp_lt_i64_e32 vcc, s[8:9], v[4:5]
	v_cmp_lt_u64_e64 s[0:1], s[8:9], v[2:3]
	s_and_b64 s[0:1], vcc, s[0:1]
	s_and_b64 vcc, exec, s[0:1]
	s_cbranch_vccz .LBB363_12
.LBB363_4:                              ; =>This Inner Loop Header: Depth=1
	v_mov_b32_e32 v21, s9
	v_add_co_u32_e32 v20, vcc, s8, v0
	v_addc_co_u32_e32 v21, vcc, 0, v21, vcc
	v_cmp_gt_u64_e32 vcc, s[6:7], v[20:21]
	s_and_saveexec_b64 s[0:1], vcc
	s_cbranch_execz .LBB363_6
; %bb.5:                                ;   in Loop: Header=BB363_4 Depth=1
	v_mov_b32_e32 v21, s9
	v_add_co_u32_e32 v20, vcc, s8, v6
	v_addc_co_u32_e32 v21, vcc, v7, v21, vcc
	global_store_byte v[20:21], v1, off
.LBB363_6:                              ;   in Loop: Header=BB363_4 Depth=1
	s_or_b64 exec, exec, s[0:1]
	v_mov_b32_e32 v21, s9
	v_add_co_u32_e32 v20, vcc, s8, v18
	v_addc_co_u32_e32 v21, vcc, v19, v21, vcc
	v_cmp_gt_u64_e32 vcc, s[6:7], v[20:21]
	s_and_saveexec_b64 s[0:1], vcc
	s_cbranch_execz .LBB363_8
; %bb.7:                                ;   in Loop: Header=BB363_4 Depth=1
	v_mov_b32_e32 v21, s9
	v_add_co_u32_e32 v20, vcc, s8, v16
	v_addc_co_u32_e32 v21, vcc, v17, v21, vcc
	global_store_byte v[20:21], v1, off
.LBB363_8:                              ;   in Loop: Header=BB363_4 Depth=1
	s_or_b64 exec, exec, s[0:1]
	v_mov_b32_e32 v21, s9
	v_add_co_u32_e32 v20, vcc, s8, v14
	v_addc_co_u32_e32 v21, vcc, v15, v21, vcc
	v_cmp_gt_u64_e32 vcc, s[6:7], v[20:21]
	s_and_saveexec_b64 s[0:1], vcc
	s_cbranch_execz .LBB363_10
; %bb.9:                                ;   in Loop: Header=BB363_4 Depth=1
	v_mov_b32_e32 v21, s9
	v_add_co_u32_e32 v20, vcc, s8, v12
	v_addc_co_u32_e32 v21, vcc, v13, v21, vcc
	global_store_byte v[20:21], v1, off
.LBB363_10:                             ;   in Loop: Header=BB363_4 Depth=1
	s_or_b64 exec, exec, s[0:1]
	v_mov_b32_e32 v21, s9
	v_add_co_u32_e32 v20, vcc, s8, v10
	v_addc_co_u32_e32 v21, vcc, v11, v21, vcc
	v_cmp_gt_u64_e32 vcc, s[6:7], v[20:21]
	s_and_saveexec_b64 s[0:1], vcc
	s_cbranch_execz .LBB363_3
; %bb.11:                               ;   in Loop: Header=BB363_4 Depth=1
	v_mov_b32_e32 v21, s9
	v_add_co_u32_e32 v20, vcc, s8, v8
	v_addc_co_u32_e32 v21, vcc, v9, v21, vcc
	global_store_byte v[20:21], v1, off
	s_branch .LBB363_3
.LBB363_12:
	s_cbranch_execz .LBB363_14
	s_branch .LBB363_17
.LBB363_13:
.LBB363_14:
	v_lshlrev_b32_e32 v0, 2, v0
	v_mov_b32_e32 v1, 0
	v_cmp_gt_i64_e32 vcc, s[2:3], v[0:1]
	s_and_saveexec_b64 s[0:1], vcc
	s_cbranch_execz .LBB363_17
; %bb.15:
	s_load_dword s0, s[4:5], 0xd3c
	s_mov_b32 s1, 0
	s_mov_b64 s[4:5], 0
	v_mov_b32_e32 v4, s11
	v_mov_b32_e32 v5, s1
	s_waitcnt lgkmcnt(0)
	s_and_b32 s0, s0, 0xffff
	s_lshl_b32 s8, s0, 2
	s_mov_b64 s[6:7], 0xffff
	v_pk_mov_b32 v[2:3], v[0:1], v[0:1] op_sel:[0,1]
.LBB363_16:                             ; =>This Inner Loop Header: Depth=1
	v_add_co_u32_e32 v6, vcc, s10, v2
	v_addc_co_u32_e32 v7, vcc, v4, v3, vcc
	v_add_co_u32_e32 v2, vcc, s8, v2
	v_addc_co_u32_e32 v3, vcc, v5, v3, vcc
	v_cmp_le_i64_e32 vcc, s[2:3], v[2:3]
	v_cmp_lt_u64_e64 s[0:1], s[6:7], v[2:3]
	s_or_b64 s[0:1], vcc, s[0:1]
	s_and_b64 s[0:1], exec, s[0:1]
	s_or_b64 s[4:5], s[0:1], s[4:5]
	global_store_dword v[6:7], v1, off
	s_andn2_b64 exec, exec, s[4:5]
	s_cbranch_execnz .LBB363_16
.LBB363_17:
	s_endpgm
	.section	.rodata,"a",@progbits
	.p2align	6, 0x0
	.amdhsa_kernel _ZN2at6native12_GLOBAL__N_125multi_tensor_apply_kernelINS1_18TensorListMetadataILi1EEENS1_11ZeroFunctorIbLi1ELi1ELi0EEEJEEEvT_T0_DpT1_
		.amdhsa_group_segment_fixed_size 0
		.amdhsa_private_segment_fixed_size 0
		.amdhsa_kernarg_size 3632
		.amdhsa_user_sgpr_count 6
		.amdhsa_user_sgpr_private_segment_buffer 1
		.amdhsa_user_sgpr_dispatch_ptr 0
		.amdhsa_user_sgpr_queue_ptr 0
		.amdhsa_user_sgpr_kernarg_segment_ptr 1
		.amdhsa_user_sgpr_dispatch_id 0
		.amdhsa_user_sgpr_flat_scratch_init 0
		.amdhsa_user_sgpr_kernarg_preload_length 0
		.amdhsa_user_sgpr_kernarg_preload_offset 0
		.amdhsa_user_sgpr_private_segment_size 0
		.amdhsa_uses_dynamic_stack 0
		.amdhsa_system_sgpr_private_segment_wavefront_offset 0
		.amdhsa_system_sgpr_workgroup_id_x 1
		.amdhsa_system_sgpr_workgroup_id_y 0
		.amdhsa_system_sgpr_workgroup_id_z 0
		.amdhsa_system_sgpr_workgroup_info 0
		.amdhsa_system_vgpr_workitem_id 0
		.amdhsa_next_free_vgpr 22
		.amdhsa_next_free_sgpr 18
		.amdhsa_accum_offset 24
		.amdhsa_reserve_vcc 1
		.amdhsa_reserve_flat_scratch 0
		.amdhsa_float_round_mode_32 0
		.amdhsa_float_round_mode_16_64 0
		.amdhsa_float_denorm_mode_32 3
		.amdhsa_float_denorm_mode_16_64 3
		.amdhsa_dx10_clamp 1
		.amdhsa_ieee_mode 1
		.amdhsa_fp16_overflow 0
		.amdhsa_tg_split 0
		.amdhsa_exception_fp_ieee_invalid_op 0
		.amdhsa_exception_fp_denorm_src 0
		.amdhsa_exception_fp_ieee_div_zero 0
		.amdhsa_exception_fp_ieee_overflow 0
		.amdhsa_exception_fp_ieee_underflow 0
		.amdhsa_exception_fp_ieee_inexact 0
		.amdhsa_exception_int_div_zero 0
	.end_amdhsa_kernel
	.section	.text._ZN2at6native12_GLOBAL__N_125multi_tensor_apply_kernelINS1_18TensorListMetadataILi1EEENS1_11ZeroFunctorIbLi1ELi1ELi0EEEJEEEvT_T0_DpT1_,"axG",@progbits,_ZN2at6native12_GLOBAL__N_125multi_tensor_apply_kernelINS1_18TensorListMetadataILi1EEENS1_11ZeroFunctorIbLi1ELi1ELi0EEEJEEEvT_T0_DpT1_,comdat
.Lfunc_end363:
	.size	_ZN2at6native12_GLOBAL__N_125multi_tensor_apply_kernelINS1_18TensorListMetadataILi1EEENS1_11ZeroFunctorIbLi1ELi1ELi0EEEJEEEvT_T0_DpT1_, .Lfunc_end363-_ZN2at6native12_GLOBAL__N_125multi_tensor_apply_kernelINS1_18TensorListMetadataILi1EEENS1_11ZeroFunctorIbLi1ELi1ELi0EEEJEEEvT_T0_DpT1_
                                        ; -- End function
	.section	.AMDGPU.csdata,"",@progbits
; Kernel info:
; codeLenInByte = 724
; NumSgprs: 22
; NumVgprs: 22
; NumAgprs: 0
; TotalNumVgprs: 22
; ScratchSize: 0
; MemoryBound: 0
; FloatMode: 240
; IeeeMode: 1
; LDSByteSize: 0 bytes/workgroup (compile time only)
; SGPRBlocks: 2
; VGPRBlocks: 2
; NumSGPRsForWavesPerEU: 22
; NumVGPRsForWavesPerEU: 22
; AccumOffset: 24
; Occupancy: 8
; WaveLimiterHint : 0
; COMPUTE_PGM_RSRC2:SCRATCH_EN: 0
; COMPUTE_PGM_RSRC2:USER_SGPR: 6
; COMPUTE_PGM_RSRC2:TRAP_HANDLER: 0
; COMPUTE_PGM_RSRC2:TGID_X_EN: 1
; COMPUTE_PGM_RSRC2:TGID_Y_EN: 0
; COMPUTE_PGM_RSRC2:TGID_Z_EN: 0
; COMPUTE_PGM_RSRC2:TIDIG_COMP_CNT: 0
; COMPUTE_PGM_RSRC3_GFX90A:ACCUM_OFFSET: 5
; COMPUTE_PGM_RSRC3_GFX90A:TG_SPLIT: 0
	.text
	.p2alignl 6, 3212836864
	.fill 256, 4, 3212836864
	.type	__hip_cuid_7495f830a6bfa1b8,@object ; @__hip_cuid_7495f830a6bfa1b8
	.section	.bss,"aw",@nobits
	.globl	__hip_cuid_7495f830a6bfa1b8
__hip_cuid_7495f830a6bfa1b8:
	.byte	0                               ; 0x0
	.size	__hip_cuid_7495f830a6bfa1b8, 1

	.ident	"AMD clang version 19.0.0git (https://github.com/RadeonOpenCompute/llvm-project roc-6.4.0 25133 c7fe45cf4b819c5991fe208aaa96edf142730f1d)"
	.section	".note.GNU-stack","",@progbits
	.addrsig
	.addrsig_sym __hip_cuid_7495f830a6bfa1b8
	.amdgpu_metadata
---
amdhsa.kernels:
  - .agpr_count:     0
    .args:
      - .offset:         0
        .size:           3144
        .value_kind:     by_value
      - .offset:         3144
        .size:           1
        .value_kind:     by_value
      - .offset:         3145
        .size:           1
        .value_kind:     by_value
      - .offset:         3152
        .size:           4
        .value_kind:     hidden_block_count_x
      - .offset:         3156
        .size:           4
        .value_kind:     hidden_block_count_y
      - .offset:         3160
        .size:           4
        .value_kind:     hidden_block_count_z
      - .offset:         3164
        .size:           2
        .value_kind:     hidden_group_size_x
      - .offset:         3166
        .size:           2
        .value_kind:     hidden_group_size_y
      - .offset:         3168
        .size:           2
        .value_kind:     hidden_group_size_z
      - .offset:         3170
        .size:           2
        .value_kind:     hidden_remainder_x
      - .offset:         3172
        .size:           2
        .value_kind:     hidden_remainder_y
      - .offset:         3174
        .size:           2
        .value_kind:     hidden_remainder_z
      - .offset:         3192
        .size:           8
        .value_kind:     hidden_global_offset_x
      - .offset:         3200
        .size:           8
        .value_kind:     hidden_global_offset_y
      - .offset:         3208
        .size:           8
        .value_kind:     hidden_global_offset_z
      - .offset:         3216
        .size:           2
        .value_kind:     hidden_grid_dims
    .group_segment_fixed_size: 0
    .kernarg_segment_align: 8
    .kernarg_segment_size: 3408
    .language:       OpenCL C
    .language_version:
      - 2
      - 0
    .max_flat_workgroup_size: 512
    .name:           _ZN2at6native12_GLOBAL__N_125multi_tensor_apply_kernelINS1_18TensorListMetadataILi2EEENS1_14UnaryOpFunctorIdLi2ELi1ELi1EEEJNS0_4ErfcIdEEEEEvT_T0_DpT1_
    .private_segment_fixed_size: 0
    .sgpr_count:     100
    .sgpr_spill_count: 4
    .symbol:         _ZN2at6native12_GLOBAL__N_125multi_tensor_apply_kernelINS1_18TensorListMetadataILi2EEENS1_14UnaryOpFunctorIdLi2ELi1ELi1EEEJNS0_4ErfcIdEEEEEvT_T0_DpT1_.kd
    .uniform_work_group_size: 1
    .uses_dynamic_stack: false
    .vgpr_count:     113
    .vgpr_spill_count: 0
    .wavefront_size: 64
  - .agpr_count:     0
    .args:
      - .offset:         0
        .size:           3144
        .value_kind:     by_value
      - .offset:         3144
        .size:           1
        .value_kind:     by_value
      - .offset:         3145
        .size:           1
        .value_kind:     by_value
      - .offset:         3152
        .size:           4
        .value_kind:     hidden_block_count_x
      - .offset:         3156
        .size:           4
        .value_kind:     hidden_block_count_y
      - .offset:         3160
        .size:           4
        .value_kind:     hidden_block_count_z
      - .offset:         3164
        .size:           2
        .value_kind:     hidden_group_size_x
      - .offset:         3166
        .size:           2
        .value_kind:     hidden_group_size_y
      - .offset:         3168
        .size:           2
        .value_kind:     hidden_group_size_z
      - .offset:         3170
        .size:           2
        .value_kind:     hidden_remainder_x
      - .offset:         3172
        .size:           2
        .value_kind:     hidden_remainder_y
      - .offset:         3174
        .size:           2
        .value_kind:     hidden_remainder_z
      - .offset:         3192
        .size:           8
        .value_kind:     hidden_global_offset_x
      - .offset:         3200
        .size:           8
        .value_kind:     hidden_global_offset_y
      - .offset:         3208
        .size:           8
        .value_kind:     hidden_global_offset_z
      - .offset:         3216
        .size:           2
        .value_kind:     hidden_grid_dims
    .group_segment_fixed_size: 0
    .kernarg_segment_align: 8
    .kernarg_segment_size: 3408
    .language:       OpenCL C
    .language_version:
      - 2
      - 0
    .max_flat_workgroup_size: 512
    .name:           _ZN2at6native12_GLOBAL__N_125multi_tensor_apply_kernelINS1_18TensorListMetadataILi2EEENS1_14UnaryOpFunctorIfLi2ELi1ELi1EEEJNS0_4ErfcIfEEEEEvT_T0_DpT1_
    .private_segment_fixed_size: 0
    .sgpr_count:     46
    .sgpr_spill_count: 0
    .symbol:         _ZN2at6native12_GLOBAL__N_125multi_tensor_apply_kernelINS1_18TensorListMetadataILi2EEENS1_14UnaryOpFunctorIfLi2ELi1ELi1EEEJNS0_4ErfcIfEEEEEvT_T0_DpT1_.kd
    .uniform_work_group_size: 1
    .uses_dynamic_stack: false
    .vgpr_count:     60
    .vgpr_spill_count: 0
    .wavefront_size: 64
  - .agpr_count:     0
    .args:
      - .offset:         0
        .size:           3144
        .value_kind:     by_value
      - .offset:         3144
        .size:           1
        .value_kind:     by_value
      - .offset:         3145
        .size:           1
        .value_kind:     by_value
      - .offset:         3152
        .size:           4
        .value_kind:     hidden_block_count_x
      - .offset:         3156
        .size:           4
        .value_kind:     hidden_block_count_y
      - .offset:         3160
        .size:           4
        .value_kind:     hidden_block_count_z
      - .offset:         3164
        .size:           2
        .value_kind:     hidden_group_size_x
      - .offset:         3166
        .size:           2
        .value_kind:     hidden_group_size_y
      - .offset:         3168
        .size:           2
        .value_kind:     hidden_group_size_z
      - .offset:         3170
        .size:           2
        .value_kind:     hidden_remainder_x
      - .offset:         3172
        .size:           2
        .value_kind:     hidden_remainder_y
      - .offset:         3174
        .size:           2
        .value_kind:     hidden_remainder_z
      - .offset:         3192
        .size:           8
        .value_kind:     hidden_global_offset_x
      - .offset:         3200
        .size:           8
        .value_kind:     hidden_global_offset_y
      - .offset:         3208
        .size:           8
        .value_kind:     hidden_global_offset_z
      - .offset:         3216
        .size:           2
        .value_kind:     hidden_grid_dims
    .group_segment_fixed_size: 0
    .kernarg_segment_align: 8
    .kernarg_segment_size: 3408
    .language:       OpenCL C
    .language_version:
      - 2
      - 0
    .max_flat_workgroup_size: 512
    .name:           _ZN2at6native12_GLOBAL__N_125multi_tensor_apply_kernelINS1_18TensorListMetadataILi2EEENS1_14UnaryOpFunctorIN3c104HalfELi2ELi1ELi1EEEJNS0_4ErfcIfEEEEEvT_T0_DpT1_
    .private_segment_fixed_size: 0
    .sgpr_count:     48
    .sgpr_spill_count: 0
    .symbol:         _ZN2at6native12_GLOBAL__N_125multi_tensor_apply_kernelINS1_18TensorListMetadataILi2EEENS1_14UnaryOpFunctorIN3c104HalfELi2ELi1ELi1EEEJNS0_4ErfcIfEEEEEvT_T0_DpT1_.kd
    .uniform_work_group_size: 1
    .uses_dynamic_stack: false
    .vgpr_count:     58
    .vgpr_spill_count: 0
    .wavefront_size: 64
  - .agpr_count:     0
    .args:
      - .offset:         0
        .size:           3144
        .value_kind:     by_value
      - .offset:         3144
        .size:           1
        .value_kind:     by_value
      - .offset:         3145
        .size:           1
        .value_kind:     by_value
      - .offset:         3152
        .size:           4
        .value_kind:     hidden_block_count_x
      - .offset:         3156
        .size:           4
        .value_kind:     hidden_block_count_y
      - .offset:         3160
        .size:           4
        .value_kind:     hidden_block_count_z
      - .offset:         3164
        .size:           2
        .value_kind:     hidden_group_size_x
      - .offset:         3166
        .size:           2
        .value_kind:     hidden_group_size_y
      - .offset:         3168
        .size:           2
        .value_kind:     hidden_group_size_z
      - .offset:         3170
        .size:           2
        .value_kind:     hidden_remainder_x
      - .offset:         3172
        .size:           2
        .value_kind:     hidden_remainder_y
      - .offset:         3174
        .size:           2
        .value_kind:     hidden_remainder_z
      - .offset:         3192
        .size:           8
        .value_kind:     hidden_global_offset_x
      - .offset:         3200
        .size:           8
        .value_kind:     hidden_global_offset_y
      - .offset:         3208
        .size:           8
        .value_kind:     hidden_global_offset_z
      - .offset:         3216
        .size:           2
        .value_kind:     hidden_grid_dims
    .group_segment_fixed_size: 0
    .kernarg_segment_align: 8
    .kernarg_segment_size: 3408
    .language:       OpenCL C
    .language_version:
      - 2
      - 0
    .max_flat_workgroup_size: 512
    .name:           _ZN2at6native12_GLOBAL__N_125multi_tensor_apply_kernelINS1_18TensorListMetadataILi2EEENS1_14UnaryOpFunctorIN3c108BFloat16ELi2ELi1ELi1EEEJNS0_4ErfcIfEEEEEvT_T0_DpT1_
    .private_segment_fixed_size: 0
    .sgpr_count:     46
    .sgpr_spill_count: 0
    .symbol:         _ZN2at6native12_GLOBAL__N_125multi_tensor_apply_kernelINS1_18TensorListMetadataILi2EEENS1_14UnaryOpFunctorIN3c108BFloat16ELi2ELi1ELi1EEEJNS0_4ErfcIfEEEEEvT_T0_DpT1_.kd
    .uniform_work_group_size: 1
    .uses_dynamic_stack: false
    .vgpr_count:     59
    .vgpr_spill_count: 0
    .wavefront_size: 64
  - .agpr_count:     0
    .args:
      - .offset:         0
        .size:           3368
        .value_kind:     by_value
      - .offset:         3368
        .size:           1
        .value_kind:     by_value
      - .offset:         3369
        .size:           1
        .value_kind:     by_value
      - .offset:         3376
        .size:           4
        .value_kind:     hidden_block_count_x
      - .offset:         3380
        .size:           4
        .value_kind:     hidden_block_count_y
      - .offset:         3384
        .size:           4
        .value_kind:     hidden_block_count_z
      - .offset:         3388
        .size:           2
        .value_kind:     hidden_group_size_x
      - .offset:         3390
        .size:           2
        .value_kind:     hidden_group_size_y
      - .offset:         3392
        .size:           2
        .value_kind:     hidden_group_size_z
      - .offset:         3394
        .size:           2
        .value_kind:     hidden_remainder_x
      - .offset:         3396
        .size:           2
        .value_kind:     hidden_remainder_y
      - .offset:         3398
        .size:           2
        .value_kind:     hidden_remainder_z
      - .offset:         3416
        .size:           8
        .value_kind:     hidden_global_offset_x
      - .offset:         3424
        .size:           8
        .value_kind:     hidden_global_offset_y
      - .offset:         3432
        .size:           8
        .value_kind:     hidden_global_offset_z
      - .offset:         3440
        .size:           2
        .value_kind:     hidden_grid_dims
    .group_segment_fixed_size: 0
    .kernarg_segment_align: 8
    .kernarg_segment_size: 3632
    .language:       OpenCL C
    .language_version:
      - 2
      - 0
    .max_flat_workgroup_size: 512
    .name:           _ZN2at6native12_GLOBAL__N_125multi_tensor_apply_kernelINS1_18TensorListMetadataILi1EEENS1_14UnaryOpFunctorIdLi1ELi1ELi0EEEJNS0_4ErfcIdEEEEEvT_T0_DpT1_
    .private_segment_fixed_size: 0
    .sgpr_count:     89
    .sgpr_spill_count: 0
    .symbol:         _ZN2at6native12_GLOBAL__N_125multi_tensor_apply_kernelINS1_18TensorListMetadataILi1EEENS1_14UnaryOpFunctorIdLi1ELi1ELi0EEEJNS0_4ErfcIdEEEEEvT_T0_DpT1_.kd
    .uniform_work_group_size: 1
    .uses_dynamic_stack: false
    .vgpr_count:     94
    .vgpr_spill_count: 0
    .wavefront_size: 64
  - .agpr_count:     0
    .args:
      - .offset:         0
        .size:           3368
        .value_kind:     by_value
      - .offset:         3368
        .size:           1
        .value_kind:     by_value
      - .offset:         3369
        .size:           1
        .value_kind:     by_value
      - .offset:         3376
        .size:           4
        .value_kind:     hidden_block_count_x
      - .offset:         3380
        .size:           4
        .value_kind:     hidden_block_count_y
      - .offset:         3384
        .size:           4
        .value_kind:     hidden_block_count_z
      - .offset:         3388
        .size:           2
        .value_kind:     hidden_group_size_x
      - .offset:         3390
        .size:           2
        .value_kind:     hidden_group_size_y
      - .offset:         3392
        .size:           2
        .value_kind:     hidden_group_size_z
      - .offset:         3394
        .size:           2
        .value_kind:     hidden_remainder_x
      - .offset:         3396
        .size:           2
        .value_kind:     hidden_remainder_y
      - .offset:         3398
        .size:           2
        .value_kind:     hidden_remainder_z
      - .offset:         3416
        .size:           8
        .value_kind:     hidden_global_offset_x
      - .offset:         3424
        .size:           8
        .value_kind:     hidden_global_offset_y
      - .offset:         3432
        .size:           8
        .value_kind:     hidden_global_offset_z
      - .offset:         3440
        .size:           2
        .value_kind:     hidden_grid_dims
    .group_segment_fixed_size: 0
    .kernarg_segment_align: 8
    .kernarg_segment_size: 3632
    .language:       OpenCL C
    .language_version:
      - 2
      - 0
    .max_flat_workgroup_size: 512
    .name:           _ZN2at6native12_GLOBAL__N_125multi_tensor_apply_kernelINS1_18TensorListMetadataILi1EEENS1_14UnaryOpFunctorIfLi1ELi1ELi0EEEJNS0_4ErfcIfEEEEEvT_T0_DpT1_
    .private_segment_fixed_size: 0
    .sgpr_count:     38
    .sgpr_spill_count: 0
    .symbol:         _ZN2at6native12_GLOBAL__N_125multi_tensor_apply_kernelINS1_18TensorListMetadataILi1EEENS1_14UnaryOpFunctorIfLi1ELi1ELi0EEEJNS0_4ErfcIfEEEEEvT_T0_DpT1_.kd
    .uniform_work_group_size: 1
    .uses_dynamic_stack: false
    .vgpr_count:     55
    .vgpr_spill_count: 0
    .wavefront_size: 64
  - .agpr_count:     0
    .args:
      - .offset:         0
        .size:           3368
        .value_kind:     by_value
      - .offset:         3368
        .size:           1
        .value_kind:     by_value
      - .offset:         3369
        .size:           1
        .value_kind:     by_value
      - .offset:         3376
        .size:           4
        .value_kind:     hidden_block_count_x
      - .offset:         3380
        .size:           4
        .value_kind:     hidden_block_count_y
      - .offset:         3384
        .size:           4
        .value_kind:     hidden_block_count_z
      - .offset:         3388
        .size:           2
        .value_kind:     hidden_group_size_x
      - .offset:         3390
        .size:           2
        .value_kind:     hidden_group_size_y
      - .offset:         3392
        .size:           2
        .value_kind:     hidden_group_size_z
      - .offset:         3394
        .size:           2
        .value_kind:     hidden_remainder_x
      - .offset:         3396
        .size:           2
        .value_kind:     hidden_remainder_y
      - .offset:         3398
        .size:           2
        .value_kind:     hidden_remainder_z
      - .offset:         3416
        .size:           8
        .value_kind:     hidden_global_offset_x
      - .offset:         3424
        .size:           8
        .value_kind:     hidden_global_offset_y
      - .offset:         3432
        .size:           8
        .value_kind:     hidden_global_offset_z
      - .offset:         3440
        .size:           2
        .value_kind:     hidden_grid_dims
    .group_segment_fixed_size: 0
    .kernarg_segment_align: 8
    .kernarg_segment_size: 3632
    .language:       OpenCL C
    .language_version:
      - 2
      - 0
    .max_flat_workgroup_size: 512
    .name:           _ZN2at6native12_GLOBAL__N_125multi_tensor_apply_kernelINS1_18TensorListMetadataILi1EEENS1_14UnaryOpFunctorIN3c104HalfELi1ELi1ELi0EEEJNS0_4ErfcIfEEEEEvT_T0_DpT1_
    .private_segment_fixed_size: 0
    .sgpr_count:     38
    .sgpr_spill_count: 0
    .symbol:         _ZN2at6native12_GLOBAL__N_125multi_tensor_apply_kernelINS1_18TensorListMetadataILi1EEENS1_14UnaryOpFunctorIN3c104HalfELi1ELi1ELi0EEEJNS0_4ErfcIfEEEEEvT_T0_DpT1_.kd
    .uniform_work_group_size: 1
    .uses_dynamic_stack: false
    .vgpr_count:     55
    .vgpr_spill_count: 0
    .wavefront_size: 64
  - .agpr_count:     0
    .args:
      - .offset:         0
        .size:           3368
        .value_kind:     by_value
      - .offset:         3368
        .size:           1
        .value_kind:     by_value
      - .offset:         3369
        .size:           1
        .value_kind:     by_value
      - .offset:         3376
        .size:           4
        .value_kind:     hidden_block_count_x
      - .offset:         3380
        .size:           4
        .value_kind:     hidden_block_count_y
      - .offset:         3384
        .size:           4
        .value_kind:     hidden_block_count_z
      - .offset:         3388
        .size:           2
        .value_kind:     hidden_group_size_x
      - .offset:         3390
        .size:           2
        .value_kind:     hidden_group_size_y
      - .offset:         3392
        .size:           2
        .value_kind:     hidden_group_size_z
      - .offset:         3394
        .size:           2
        .value_kind:     hidden_remainder_x
      - .offset:         3396
        .size:           2
        .value_kind:     hidden_remainder_y
      - .offset:         3398
        .size:           2
        .value_kind:     hidden_remainder_z
      - .offset:         3416
        .size:           8
        .value_kind:     hidden_global_offset_x
      - .offset:         3424
        .size:           8
        .value_kind:     hidden_global_offset_y
      - .offset:         3432
        .size:           8
        .value_kind:     hidden_global_offset_z
      - .offset:         3440
        .size:           2
        .value_kind:     hidden_grid_dims
    .group_segment_fixed_size: 0
    .kernarg_segment_align: 8
    .kernarg_segment_size: 3632
    .language:       OpenCL C
    .language_version:
      - 2
      - 0
    .max_flat_workgroup_size: 512
    .name:           _ZN2at6native12_GLOBAL__N_125multi_tensor_apply_kernelINS1_18TensorListMetadataILi1EEENS1_14UnaryOpFunctorIN3c108BFloat16ELi1ELi1ELi0EEEJNS0_4ErfcIfEEEEEvT_T0_DpT1_
    .private_segment_fixed_size: 0
    .sgpr_count:     38
    .sgpr_spill_count: 0
    .symbol:         _ZN2at6native12_GLOBAL__N_125multi_tensor_apply_kernelINS1_18TensorListMetadataILi1EEENS1_14UnaryOpFunctorIN3c108BFloat16ELi1ELi1ELi0EEEJNS0_4ErfcIfEEEEEvT_T0_DpT1_.kd
    .uniform_work_group_size: 1
    .uses_dynamic_stack: false
    .vgpr_count:     54
    .vgpr_spill_count: 0
    .wavefront_size: 64
  - .agpr_count:     0
    .args:
      - .offset:         0
        .size:           3144
        .value_kind:     by_value
      - .offset:         3144
        .size:           1
        .value_kind:     by_value
      - .offset:         3145
        .size:           1
        .value_kind:     by_value
      - .offset:         3152
        .size:           4
        .value_kind:     hidden_block_count_x
      - .offset:         3156
        .size:           4
        .value_kind:     hidden_block_count_y
      - .offset:         3160
        .size:           4
        .value_kind:     hidden_block_count_z
      - .offset:         3164
        .size:           2
        .value_kind:     hidden_group_size_x
      - .offset:         3166
        .size:           2
        .value_kind:     hidden_group_size_y
      - .offset:         3168
        .size:           2
        .value_kind:     hidden_group_size_z
      - .offset:         3170
        .size:           2
        .value_kind:     hidden_remainder_x
      - .offset:         3172
        .size:           2
        .value_kind:     hidden_remainder_y
      - .offset:         3174
        .size:           2
        .value_kind:     hidden_remainder_z
      - .offset:         3192
        .size:           8
        .value_kind:     hidden_global_offset_x
      - .offset:         3200
        .size:           8
        .value_kind:     hidden_global_offset_y
      - .offset:         3208
        .size:           8
        .value_kind:     hidden_global_offset_z
      - .offset:         3216
        .size:           2
        .value_kind:     hidden_grid_dims
    .group_segment_fixed_size: 0
    .kernarg_segment_align: 8
    .kernarg_segment_size: 3408
    .language:       OpenCL C
    .language_version:
      - 2
      - 0
    .max_flat_workgroup_size: 512
    .name:           _ZN2at6native12_GLOBAL__N_125multi_tensor_apply_kernelINS1_18TensorListMetadataILi2EEENS1_14UnaryOpFunctorIdLi2ELi1ELi1EEEJNS0_6LgammaIdEEEEEvT_T0_DpT1_
    .private_segment_fixed_size: 0
    .sgpr_count:     100
    .sgpr_spill_count: 0
    .symbol:         _ZN2at6native12_GLOBAL__N_125multi_tensor_apply_kernelINS1_18TensorListMetadataILi2EEENS1_14UnaryOpFunctorIdLi2ELi1ELi1EEEJNS0_6LgammaIdEEEEEvT_T0_DpT1_.kd
    .uniform_work_group_size: 1
    .uses_dynamic_stack: false
    .vgpr_count:     200
    .vgpr_spill_count: 0
    .wavefront_size: 64
  - .agpr_count:     0
    .args:
      - .offset:         0
        .size:           3144
        .value_kind:     by_value
      - .offset:         3144
        .size:           1
        .value_kind:     by_value
      - .offset:         3145
        .size:           1
        .value_kind:     by_value
      - .offset:         3152
        .size:           4
        .value_kind:     hidden_block_count_x
      - .offset:         3156
        .size:           4
        .value_kind:     hidden_block_count_y
      - .offset:         3160
        .size:           4
        .value_kind:     hidden_block_count_z
      - .offset:         3164
        .size:           2
        .value_kind:     hidden_group_size_x
      - .offset:         3166
        .size:           2
        .value_kind:     hidden_group_size_y
      - .offset:         3168
        .size:           2
        .value_kind:     hidden_group_size_z
      - .offset:         3170
        .size:           2
        .value_kind:     hidden_remainder_x
      - .offset:         3172
        .size:           2
        .value_kind:     hidden_remainder_y
      - .offset:         3174
        .size:           2
        .value_kind:     hidden_remainder_z
      - .offset:         3192
        .size:           8
        .value_kind:     hidden_global_offset_x
      - .offset:         3200
        .size:           8
        .value_kind:     hidden_global_offset_y
      - .offset:         3208
        .size:           8
        .value_kind:     hidden_global_offset_z
      - .offset:         3216
        .size:           2
        .value_kind:     hidden_grid_dims
    .group_segment_fixed_size: 0
    .kernarg_segment_align: 8
    .kernarg_segment_size: 3408
    .language:       OpenCL C
    .language_version:
      - 2
      - 0
    .max_flat_workgroup_size: 512
    .name:           _ZN2at6native12_GLOBAL__N_125multi_tensor_apply_kernelINS1_18TensorListMetadataILi2EEENS1_14UnaryOpFunctorIfLi2ELi1ELi1EEEJNS0_6LgammaIfEEEEEvT_T0_DpT1_
    .private_segment_fixed_size: 0
    .sgpr_count:     65
    .sgpr_spill_count: 0
    .symbol:         _ZN2at6native12_GLOBAL__N_125multi_tensor_apply_kernelINS1_18TensorListMetadataILi2EEENS1_14UnaryOpFunctorIfLi2ELi1ELi1EEEJNS0_6LgammaIfEEEEEvT_T0_DpT1_.kd
    .uniform_work_group_size: 1
    .uses_dynamic_stack: false
    .vgpr_count:     87
    .vgpr_spill_count: 0
    .wavefront_size: 64
  - .agpr_count:     0
    .args:
      - .offset:         0
        .size:           3144
        .value_kind:     by_value
      - .offset:         3144
        .size:           1
        .value_kind:     by_value
      - .offset:         3145
        .size:           1
        .value_kind:     by_value
      - .offset:         3152
        .size:           4
        .value_kind:     hidden_block_count_x
      - .offset:         3156
        .size:           4
        .value_kind:     hidden_block_count_y
      - .offset:         3160
        .size:           4
        .value_kind:     hidden_block_count_z
      - .offset:         3164
        .size:           2
        .value_kind:     hidden_group_size_x
      - .offset:         3166
        .size:           2
        .value_kind:     hidden_group_size_y
      - .offset:         3168
        .size:           2
        .value_kind:     hidden_group_size_z
      - .offset:         3170
        .size:           2
        .value_kind:     hidden_remainder_x
      - .offset:         3172
        .size:           2
        .value_kind:     hidden_remainder_y
      - .offset:         3174
        .size:           2
        .value_kind:     hidden_remainder_z
      - .offset:         3192
        .size:           8
        .value_kind:     hidden_global_offset_x
      - .offset:         3200
        .size:           8
        .value_kind:     hidden_global_offset_y
      - .offset:         3208
        .size:           8
        .value_kind:     hidden_global_offset_z
      - .offset:         3216
        .size:           2
        .value_kind:     hidden_grid_dims
    .group_segment_fixed_size: 0
    .kernarg_segment_align: 8
    .kernarg_segment_size: 3408
    .language:       OpenCL C
    .language_version:
      - 2
      - 0
    .max_flat_workgroup_size: 512
    .name:           _ZN2at6native12_GLOBAL__N_125multi_tensor_apply_kernelINS1_18TensorListMetadataILi2EEENS1_14UnaryOpFunctorIN3c104HalfELi2ELi1ELi1EEEJNS0_6LgammaIfEEEEEvT_T0_DpT1_
    .private_segment_fixed_size: 0
    .sgpr_count:     66
    .sgpr_spill_count: 0
    .symbol:         _ZN2at6native12_GLOBAL__N_125multi_tensor_apply_kernelINS1_18TensorListMetadataILi2EEENS1_14UnaryOpFunctorIN3c104HalfELi2ELi1ELi1EEEJNS0_6LgammaIfEEEEEvT_T0_DpT1_.kd
    .uniform_work_group_size: 1
    .uses_dynamic_stack: false
    .vgpr_count:     92
    .vgpr_spill_count: 0
    .wavefront_size: 64
  - .agpr_count:     0
    .args:
      - .offset:         0
        .size:           3144
        .value_kind:     by_value
      - .offset:         3144
        .size:           1
        .value_kind:     by_value
      - .offset:         3145
        .size:           1
        .value_kind:     by_value
      - .offset:         3152
        .size:           4
        .value_kind:     hidden_block_count_x
      - .offset:         3156
        .size:           4
        .value_kind:     hidden_block_count_y
      - .offset:         3160
        .size:           4
        .value_kind:     hidden_block_count_z
      - .offset:         3164
        .size:           2
        .value_kind:     hidden_group_size_x
      - .offset:         3166
        .size:           2
        .value_kind:     hidden_group_size_y
      - .offset:         3168
        .size:           2
        .value_kind:     hidden_group_size_z
      - .offset:         3170
        .size:           2
        .value_kind:     hidden_remainder_x
      - .offset:         3172
        .size:           2
        .value_kind:     hidden_remainder_y
      - .offset:         3174
        .size:           2
        .value_kind:     hidden_remainder_z
      - .offset:         3192
        .size:           8
        .value_kind:     hidden_global_offset_x
      - .offset:         3200
        .size:           8
        .value_kind:     hidden_global_offset_y
      - .offset:         3208
        .size:           8
        .value_kind:     hidden_global_offset_z
      - .offset:         3216
        .size:           2
        .value_kind:     hidden_grid_dims
    .group_segment_fixed_size: 0
    .kernarg_segment_align: 8
    .kernarg_segment_size: 3408
    .language:       OpenCL C
    .language_version:
      - 2
      - 0
    .max_flat_workgroup_size: 512
    .name:           _ZN2at6native12_GLOBAL__N_125multi_tensor_apply_kernelINS1_18TensorListMetadataILi2EEENS1_14UnaryOpFunctorIN3c108BFloat16ELi2ELi1ELi1EEEJNS0_6LgammaIfEEEEEvT_T0_DpT1_
    .private_segment_fixed_size: 0
    .sgpr_count:     64
    .sgpr_spill_count: 0
    .symbol:         _ZN2at6native12_GLOBAL__N_125multi_tensor_apply_kernelINS1_18TensorListMetadataILi2EEENS1_14UnaryOpFunctorIN3c108BFloat16ELi2ELi1ELi1EEEJNS0_6LgammaIfEEEEEvT_T0_DpT1_.kd
    .uniform_work_group_size: 1
    .uses_dynamic_stack: false
    .vgpr_count:     88
    .vgpr_spill_count: 0
    .wavefront_size: 64
  - .agpr_count:     0
    .args:
      - .offset:         0
        .size:           3368
        .value_kind:     by_value
      - .offset:         3368
        .size:           1
        .value_kind:     by_value
      - .offset:         3369
        .size:           1
        .value_kind:     by_value
      - .offset:         3376
        .size:           4
        .value_kind:     hidden_block_count_x
      - .offset:         3380
        .size:           4
        .value_kind:     hidden_block_count_y
      - .offset:         3384
        .size:           4
        .value_kind:     hidden_block_count_z
      - .offset:         3388
        .size:           2
        .value_kind:     hidden_group_size_x
      - .offset:         3390
        .size:           2
        .value_kind:     hidden_group_size_y
      - .offset:         3392
        .size:           2
        .value_kind:     hidden_group_size_z
      - .offset:         3394
        .size:           2
        .value_kind:     hidden_remainder_x
      - .offset:         3396
        .size:           2
        .value_kind:     hidden_remainder_y
      - .offset:         3398
        .size:           2
        .value_kind:     hidden_remainder_z
      - .offset:         3416
        .size:           8
        .value_kind:     hidden_global_offset_x
      - .offset:         3424
        .size:           8
        .value_kind:     hidden_global_offset_y
      - .offset:         3432
        .size:           8
        .value_kind:     hidden_global_offset_z
      - .offset:         3440
        .size:           2
        .value_kind:     hidden_grid_dims
    .group_segment_fixed_size: 0
    .kernarg_segment_align: 8
    .kernarg_segment_size: 3632
    .language:       OpenCL C
    .language_version:
      - 2
      - 0
    .max_flat_workgroup_size: 512
    .name:           _ZN2at6native12_GLOBAL__N_125multi_tensor_apply_kernelINS1_18TensorListMetadataILi1EEENS1_14UnaryOpFunctorIdLi1ELi1ELi0EEEJNS0_6LgammaIdEEEEEvT_T0_DpT1_
    .private_segment_fixed_size: 0
    .sgpr_count:     100
    .sgpr_spill_count: 1
    .symbol:         _ZN2at6native12_GLOBAL__N_125multi_tensor_apply_kernelINS1_18TensorListMetadataILi1EEENS1_14UnaryOpFunctorIdLi1ELi1ELi0EEEJNS0_6LgammaIdEEEEEvT_T0_DpT1_.kd
    .uniform_work_group_size: 1
    .uses_dynamic_stack: false
    .vgpr_count:     189
    .vgpr_spill_count: 0
    .wavefront_size: 64
  - .agpr_count:     0
    .args:
      - .offset:         0
        .size:           3368
        .value_kind:     by_value
      - .offset:         3368
        .size:           1
        .value_kind:     by_value
      - .offset:         3369
        .size:           1
        .value_kind:     by_value
      - .offset:         3376
        .size:           4
        .value_kind:     hidden_block_count_x
      - .offset:         3380
        .size:           4
        .value_kind:     hidden_block_count_y
      - .offset:         3384
        .size:           4
        .value_kind:     hidden_block_count_z
      - .offset:         3388
        .size:           2
        .value_kind:     hidden_group_size_x
      - .offset:         3390
        .size:           2
        .value_kind:     hidden_group_size_y
      - .offset:         3392
        .size:           2
        .value_kind:     hidden_group_size_z
      - .offset:         3394
        .size:           2
        .value_kind:     hidden_remainder_x
      - .offset:         3396
        .size:           2
        .value_kind:     hidden_remainder_y
      - .offset:         3398
        .size:           2
        .value_kind:     hidden_remainder_z
      - .offset:         3416
        .size:           8
        .value_kind:     hidden_global_offset_x
      - .offset:         3424
        .size:           8
        .value_kind:     hidden_global_offset_y
      - .offset:         3432
        .size:           8
        .value_kind:     hidden_global_offset_z
      - .offset:         3440
        .size:           2
        .value_kind:     hidden_grid_dims
    .group_segment_fixed_size: 0
    .kernarg_segment_align: 8
    .kernarg_segment_size: 3632
    .language:       OpenCL C
    .language_version:
      - 2
      - 0
    .max_flat_workgroup_size: 512
    .name:           _ZN2at6native12_GLOBAL__N_125multi_tensor_apply_kernelINS1_18TensorListMetadataILi1EEENS1_14UnaryOpFunctorIfLi1ELi1ELi0EEEJNS0_6LgammaIfEEEEEvT_T0_DpT1_
    .private_segment_fixed_size: 0
    .sgpr_count:     69
    .sgpr_spill_count: 0
    .symbol:         _ZN2at6native12_GLOBAL__N_125multi_tensor_apply_kernelINS1_18TensorListMetadataILi1EEENS1_14UnaryOpFunctorIfLi1ELi1ELi0EEEJNS0_6LgammaIfEEEEEvT_T0_DpT1_.kd
    .uniform_work_group_size: 1
    .uses_dynamic_stack: false
    .vgpr_count:     75
    .vgpr_spill_count: 0
    .wavefront_size: 64
  - .agpr_count:     0
    .args:
      - .offset:         0
        .size:           3368
        .value_kind:     by_value
      - .offset:         3368
        .size:           1
        .value_kind:     by_value
      - .offset:         3369
        .size:           1
        .value_kind:     by_value
      - .offset:         3376
        .size:           4
        .value_kind:     hidden_block_count_x
      - .offset:         3380
        .size:           4
        .value_kind:     hidden_block_count_y
      - .offset:         3384
        .size:           4
        .value_kind:     hidden_block_count_z
      - .offset:         3388
        .size:           2
        .value_kind:     hidden_group_size_x
      - .offset:         3390
        .size:           2
        .value_kind:     hidden_group_size_y
      - .offset:         3392
        .size:           2
        .value_kind:     hidden_group_size_z
      - .offset:         3394
        .size:           2
        .value_kind:     hidden_remainder_x
      - .offset:         3396
        .size:           2
        .value_kind:     hidden_remainder_y
      - .offset:         3398
        .size:           2
        .value_kind:     hidden_remainder_z
      - .offset:         3416
        .size:           8
        .value_kind:     hidden_global_offset_x
      - .offset:         3424
        .size:           8
        .value_kind:     hidden_global_offset_y
      - .offset:         3432
        .size:           8
        .value_kind:     hidden_global_offset_z
      - .offset:         3440
        .size:           2
        .value_kind:     hidden_grid_dims
    .group_segment_fixed_size: 0
    .kernarg_segment_align: 8
    .kernarg_segment_size: 3632
    .language:       OpenCL C
    .language_version:
      - 2
      - 0
    .max_flat_workgroup_size: 512
    .name:           _ZN2at6native12_GLOBAL__N_125multi_tensor_apply_kernelINS1_18TensorListMetadataILi1EEENS1_14UnaryOpFunctorIN3c104HalfELi1ELi1ELi0EEEJNS0_6LgammaIfEEEEEvT_T0_DpT1_
    .private_segment_fixed_size: 0
    .sgpr_count:     68
    .sgpr_spill_count: 0
    .symbol:         _ZN2at6native12_GLOBAL__N_125multi_tensor_apply_kernelINS1_18TensorListMetadataILi1EEENS1_14UnaryOpFunctorIN3c104HalfELi1ELi1ELi0EEEJNS0_6LgammaIfEEEEEvT_T0_DpT1_.kd
    .uniform_work_group_size: 1
    .uses_dynamic_stack: false
    .vgpr_count:     78
    .vgpr_spill_count: 0
    .wavefront_size: 64
  - .agpr_count:     0
    .args:
      - .offset:         0
        .size:           3368
        .value_kind:     by_value
      - .offset:         3368
        .size:           1
        .value_kind:     by_value
      - .offset:         3369
        .size:           1
        .value_kind:     by_value
      - .offset:         3376
        .size:           4
        .value_kind:     hidden_block_count_x
      - .offset:         3380
        .size:           4
        .value_kind:     hidden_block_count_y
      - .offset:         3384
        .size:           4
        .value_kind:     hidden_block_count_z
      - .offset:         3388
        .size:           2
        .value_kind:     hidden_group_size_x
      - .offset:         3390
        .size:           2
        .value_kind:     hidden_group_size_y
      - .offset:         3392
        .size:           2
        .value_kind:     hidden_group_size_z
      - .offset:         3394
        .size:           2
        .value_kind:     hidden_remainder_x
      - .offset:         3396
        .size:           2
        .value_kind:     hidden_remainder_y
      - .offset:         3398
        .size:           2
        .value_kind:     hidden_remainder_z
      - .offset:         3416
        .size:           8
        .value_kind:     hidden_global_offset_x
      - .offset:         3424
        .size:           8
        .value_kind:     hidden_global_offset_y
      - .offset:         3432
        .size:           8
        .value_kind:     hidden_global_offset_z
      - .offset:         3440
        .size:           2
        .value_kind:     hidden_grid_dims
    .group_segment_fixed_size: 0
    .kernarg_segment_align: 8
    .kernarg_segment_size: 3632
    .language:       OpenCL C
    .language_version:
      - 2
      - 0
    .max_flat_workgroup_size: 512
    .name:           _ZN2at6native12_GLOBAL__N_125multi_tensor_apply_kernelINS1_18TensorListMetadataILi1EEENS1_14UnaryOpFunctorIN3c108BFloat16ELi1ELi1ELi0EEEJNS0_6LgammaIfEEEEEvT_T0_DpT1_
    .private_segment_fixed_size: 0
    .sgpr_count:     70
    .sgpr_spill_count: 0
    .symbol:         _ZN2at6native12_GLOBAL__N_125multi_tensor_apply_kernelINS1_18TensorListMetadataILi1EEENS1_14UnaryOpFunctorIN3c108BFloat16ELi1ELi1ELi0EEEJNS0_6LgammaIfEEEEEvT_T0_DpT1_.kd
    .uniform_work_group_size: 1
    .uses_dynamic_stack: false
    .vgpr_count:     76
    .vgpr_spill_count: 0
    .wavefront_size: 64
  - .agpr_count:     0
    .args:
      - .offset:         0
        .size:           3144
        .value_kind:     by_value
      - .offset:         3144
        .size:           1
        .value_kind:     by_value
      - .offset:         3145
        .size:           1
        .value_kind:     by_value
      - .offset:         3152
        .size:           4
        .value_kind:     hidden_block_count_x
      - .offset:         3156
        .size:           4
        .value_kind:     hidden_block_count_y
      - .offset:         3160
        .size:           4
        .value_kind:     hidden_block_count_z
      - .offset:         3164
        .size:           2
        .value_kind:     hidden_group_size_x
      - .offset:         3166
        .size:           2
        .value_kind:     hidden_group_size_y
      - .offset:         3168
        .size:           2
        .value_kind:     hidden_group_size_z
      - .offset:         3170
        .size:           2
        .value_kind:     hidden_remainder_x
      - .offset:         3172
        .size:           2
        .value_kind:     hidden_remainder_y
      - .offset:         3174
        .size:           2
        .value_kind:     hidden_remainder_z
      - .offset:         3192
        .size:           8
        .value_kind:     hidden_global_offset_x
      - .offset:         3200
        .size:           8
        .value_kind:     hidden_global_offset_y
      - .offset:         3208
        .size:           8
        .value_kind:     hidden_global_offset_z
      - .offset:         3216
        .size:           2
        .value_kind:     hidden_grid_dims
    .group_segment_fixed_size: 0
    .kernarg_segment_align: 8
    .kernarg_segment_size: 3408
    .language:       OpenCL C
    .language_version:
      - 2
      - 0
    .max_flat_workgroup_size: 512
    .name:           _ZN2at6native12_GLOBAL__N_125multi_tensor_apply_kernelINS1_18TensorListMetadataILi2EEENS1_14UnaryOpFunctorIdLi2ELi1ELi1EEEJNS0_6TruncfIdEEEEEvT_T0_DpT1_
    .private_segment_fixed_size: 0
    .sgpr_count:     30
    .sgpr_spill_count: 0
    .symbol:         _ZN2at6native12_GLOBAL__N_125multi_tensor_apply_kernelINS1_18TensorListMetadataILi2EEENS1_14UnaryOpFunctorIdLi2ELi1ELi1EEEJNS0_6TruncfIdEEEEEvT_T0_DpT1_.kd
    .uniform_work_group_size: 1
    .uses_dynamic_stack: false
    .vgpr_count:     34
    .vgpr_spill_count: 0
    .wavefront_size: 64
  - .agpr_count:     0
    .args:
      - .offset:         0
        .size:           3144
        .value_kind:     by_value
      - .offset:         3144
        .size:           1
        .value_kind:     by_value
      - .offset:         3145
        .size:           1
        .value_kind:     by_value
      - .offset:         3152
        .size:           4
        .value_kind:     hidden_block_count_x
      - .offset:         3156
        .size:           4
        .value_kind:     hidden_block_count_y
      - .offset:         3160
        .size:           4
        .value_kind:     hidden_block_count_z
      - .offset:         3164
        .size:           2
        .value_kind:     hidden_group_size_x
      - .offset:         3166
        .size:           2
        .value_kind:     hidden_group_size_y
      - .offset:         3168
        .size:           2
        .value_kind:     hidden_group_size_z
      - .offset:         3170
        .size:           2
        .value_kind:     hidden_remainder_x
      - .offset:         3172
        .size:           2
        .value_kind:     hidden_remainder_y
      - .offset:         3174
        .size:           2
        .value_kind:     hidden_remainder_z
      - .offset:         3192
        .size:           8
        .value_kind:     hidden_global_offset_x
      - .offset:         3200
        .size:           8
        .value_kind:     hidden_global_offset_y
      - .offset:         3208
        .size:           8
        .value_kind:     hidden_global_offset_z
      - .offset:         3216
        .size:           2
        .value_kind:     hidden_grid_dims
    .group_segment_fixed_size: 0
    .kernarg_segment_align: 8
    .kernarg_segment_size: 3408
    .language:       OpenCL C
    .language_version:
      - 2
      - 0
    .max_flat_workgroup_size: 512
    .name:           _ZN2at6native12_GLOBAL__N_125multi_tensor_apply_kernelINS1_18TensorListMetadataILi2EEENS1_14UnaryOpFunctorIfLi2ELi1ELi1EEEJNS0_6TruncfIfEEEEEvT_T0_DpT1_
    .private_segment_fixed_size: 0
    .sgpr_count:     26
    .sgpr_spill_count: 0
    .symbol:         _ZN2at6native12_GLOBAL__N_125multi_tensor_apply_kernelINS1_18TensorListMetadataILi2EEENS1_14UnaryOpFunctorIfLi2ELi1ELi1EEEJNS0_6TruncfIfEEEEEvT_T0_DpT1_.kd
    .uniform_work_group_size: 1
    .uses_dynamic_stack: false
    .vgpr_count:     30
    .vgpr_spill_count: 0
    .wavefront_size: 64
  - .agpr_count:     0
    .args:
      - .offset:         0
        .size:           3144
        .value_kind:     by_value
      - .offset:         3144
        .size:           1
        .value_kind:     by_value
      - .offset:         3145
        .size:           1
        .value_kind:     by_value
      - .offset:         3152
        .size:           4
        .value_kind:     hidden_block_count_x
      - .offset:         3156
        .size:           4
        .value_kind:     hidden_block_count_y
      - .offset:         3160
        .size:           4
        .value_kind:     hidden_block_count_z
      - .offset:         3164
        .size:           2
        .value_kind:     hidden_group_size_x
      - .offset:         3166
        .size:           2
        .value_kind:     hidden_group_size_y
      - .offset:         3168
        .size:           2
        .value_kind:     hidden_group_size_z
      - .offset:         3170
        .size:           2
        .value_kind:     hidden_remainder_x
      - .offset:         3172
        .size:           2
        .value_kind:     hidden_remainder_y
      - .offset:         3174
        .size:           2
        .value_kind:     hidden_remainder_z
      - .offset:         3192
        .size:           8
        .value_kind:     hidden_global_offset_x
      - .offset:         3200
        .size:           8
        .value_kind:     hidden_global_offset_y
      - .offset:         3208
        .size:           8
        .value_kind:     hidden_global_offset_z
      - .offset:         3216
        .size:           2
        .value_kind:     hidden_grid_dims
    .group_segment_fixed_size: 0
    .kernarg_segment_align: 8
    .kernarg_segment_size: 3408
    .language:       OpenCL C
    .language_version:
      - 2
      - 0
    .max_flat_workgroup_size: 512
    .name:           _ZN2at6native12_GLOBAL__N_125multi_tensor_apply_kernelINS1_18TensorListMetadataILi2EEENS1_14UnaryOpFunctorIN3c104HalfELi2ELi1ELi1EEEJNS0_6TruncfIfEEEEEvT_T0_DpT1_
    .private_segment_fixed_size: 0
    .sgpr_count:     30
    .sgpr_spill_count: 0
    .symbol:         _ZN2at6native12_GLOBAL__N_125multi_tensor_apply_kernelINS1_18TensorListMetadataILi2EEENS1_14UnaryOpFunctorIN3c104HalfELi2ELi1ELi1EEEJNS0_6TruncfIfEEEEEvT_T0_DpT1_.kd
    .uniform_work_group_size: 1
    .uses_dynamic_stack: false
    .vgpr_count:     30
    .vgpr_spill_count: 0
    .wavefront_size: 64
  - .agpr_count:     0
    .args:
      - .offset:         0
        .size:           3144
        .value_kind:     by_value
      - .offset:         3144
        .size:           1
        .value_kind:     by_value
      - .offset:         3145
        .size:           1
        .value_kind:     by_value
      - .offset:         3152
        .size:           4
        .value_kind:     hidden_block_count_x
      - .offset:         3156
        .size:           4
        .value_kind:     hidden_block_count_y
      - .offset:         3160
        .size:           4
        .value_kind:     hidden_block_count_z
      - .offset:         3164
        .size:           2
        .value_kind:     hidden_group_size_x
      - .offset:         3166
        .size:           2
        .value_kind:     hidden_group_size_y
      - .offset:         3168
        .size:           2
        .value_kind:     hidden_group_size_z
      - .offset:         3170
        .size:           2
        .value_kind:     hidden_remainder_x
      - .offset:         3172
        .size:           2
        .value_kind:     hidden_remainder_y
      - .offset:         3174
        .size:           2
        .value_kind:     hidden_remainder_z
      - .offset:         3192
        .size:           8
        .value_kind:     hidden_global_offset_x
      - .offset:         3200
        .size:           8
        .value_kind:     hidden_global_offset_y
      - .offset:         3208
        .size:           8
        .value_kind:     hidden_global_offset_z
      - .offset:         3216
        .size:           2
        .value_kind:     hidden_grid_dims
    .group_segment_fixed_size: 0
    .kernarg_segment_align: 8
    .kernarg_segment_size: 3408
    .language:       OpenCL C
    .language_version:
      - 2
      - 0
    .max_flat_workgroup_size: 512
    .name:           _ZN2at6native12_GLOBAL__N_125multi_tensor_apply_kernelINS1_18TensorListMetadataILi2EEENS1_14UnaryOpFunctorIN3c108BFloat16ELi2ELi1ELi1EEEJNS0_6TruncfIfEEEEEvT_T0_DpT1_
    .private_segment_fixed_size: 0
    .sgpr_count:     27
    .sgpr_spill_count: 0
    .symbol:         _ZN2at6native12_GLOBAL__N_125multi_tensor_apply_kernelINS1_18TensorListMetadataILi2EEENS1_14UnaryOpFunctorIN3c108BFloat16ELi2ELi1ELi1EEEJNS0_6TruncfIfEEEEEvT_T0_DpT1_.kd
    .uniform_work_group_size: 1
    .uses_dynamic_stack: false
    .vgpr_count:     30
    .vgpr_spill_count: 0
    .wavefront_size: 64
  - .agpr_count:     0
    .args:
      - .offset:         0
        .size:           3368
        .value_kind:     by_value
      - .offset:         3368
        .size:           1
        .value_kind:     by_value
      - .offset:         3369
        .size:           1
        .value_kind:     by_value
      - .offset:         3376
        .size:           4
        .value_kind:     hidden_block_count_x
      - .offset:         3380
        .size:           4
        .value_kind:     hidden_block_count_y
      - .offset:         3384
        .size:           4
        .value_kind:     hidden_block_count_z
      - .offset:         3388
        .size:           2
        .value_kind:     hidden_group_size_x
      - .offset:         3390
        .size:           2
        .value_kind:     hidden_group_size_y
      - .offset:         3392
        .size:           2
        .value_kind:     hidden_group_size_z
      - .offset:         3394
        .size:           2
        .value_kind:     hidden_remainder_x
      - .offset:         3396
        .size:           2
        .value_kind:     hidden_remainder_y
      - .offset:         3398
        .size:           2
        .value_kind:     hidden_remainder_z
      - .offset:         3416
        .size:           8
        .value_kind:     hidden_global_offset_x
      - .offset:         3424
        .size:           8
        .value_kind:     hidden_global_offset_y
      - .offset:         3432
        .size:           8
        .value_kind:     hidden_global_offset_z
      - .offset:         3440
        .size:           2
        .value_kind:     hidden_grid_dims
    .group_segment_fixed_size: 0
    .kernarg_segment_align: 8
    .kernarg_segment_size: 3632
    .language:       OpenCL C
    .language_version:
      - 2
      - 0
    .max_flat_workgroup_size: 512
    .name:           _ZN2at6native12_GLOBAL__N_125multi_tensor_apply_kernelINS1_18TensorListMetadataILi1EEENS1_14UnaryOpFunctorIdLi1ELi1ELi0EEEJNS0_6TruncfIdEEEEEvT_T0_DpT1_
    .private_segment_fixed_size: 0
    .sgpr_count:     32
    .sgpr_spill_count: 0
    .symbol:         _ZN2at6native12_GLOBAL__N_125multi_tensor_apply_kernelINS1_18TensorListMetadataILi1EEENS1_14UnaryOpFunctorIdLi1ELi1ELi0EEEJNS0_6TruncfIdEEEEEvT_T0_DpT1_.kd
    .uniform_work_group_size: 1
    .uses_dynamic_stack: false
    .vgpr_count:     26
    .vgpr_spill_count: 0
    .wavefront_size: 64
  - .agpr_count:     0
    .args:
      - .offset:         0
        .size:           3368
        .value_kind:     by_value
      - .offset:         3368
        .size:           1
        .value_kind:     by_value
      - .offset:         3369
        .size:           1
        .value_kind:     by_value
      - .offset:         3376
        .size:           4
        .value_kind:     hidden_block_count_x
      - .offset:         3380
        .size:           4
        .value_kind:     hidden_block_count_y
      - .offset:         3384
        .size:           4
        .value_kind:     hidden_block_count_z
      - .offset:         3388
        .size:           2
        .value_kind:     hidden_group_size_x
      - .offset:         3390
        .size:           2
        .value_kind:     hidden_group_size_y
      - .offset:         3392
        .size:           2
        .value_kind:     hidden_group_size_z
      - .offset:         3394
        .size:           2
        .value_kind:     hidden_remainder_x
      - .offset:         3396
        .size:           2
        .value_kind:     hidden_remainder_y
      - .offset:         3398
        .size:           2
        .value_kind:     hidden_remainder_z
      - .offset:         3416
        .size:           8
        .value_kind:     hidden_global_offset_x
      - .offset:         3424
        .size:           8
        .value_kind:     hidden_global_offset_y
      - .offset:         3432
        .size:           8
        .value_kind:     hidden_global_offset_z
      - .offset:         3440
        .size:           2
        .value_kind:     hidden_grid_dims
    .group_segment_fixed_size: 0
    .kernarg_segment_align: 8
    .kernarg_segment_size: 3632
    .language:       OpenCL C
    .language_version:
      - 2
      - 0
    .max_flat_workgroup_size: 512
    .name:           _ZN2at6native12_GLOBAL__N_125multi_tensor_apply_kernelINS1_18TensorListMetadataILi1EEENS1_14UnaryOpFunctorIfLi1ELi1ELi0EEEJNS0_6TruncfIfEEEEEvT_T0_DpT1_
    .private_segment_fixed_size: 0
    .sgpr_count:     32
    .sgpr_spill_count: 0
    .symbol:         _ZN2at6native12_GLOBAL__N_125multi_tensor_apply_kernelINS1_18TensorListMetadataILi1EEENS1_14UnaryOpFunctorIfLi1ELi1ELi0EEEJNS0_6TruncfIfEEEEEvT_T0_DpT1_.kd
    .uniform_work_group_size: 1
    .uses_dynamic_stack: false
    .vgpr_count:     22
    .vgpr_spill_count: 0
    .wavefront_size: 64
  - .agpr_count:     0
    .args:
      - .offset:         0
        .size:           3368
        .value_kind:     by_value
      - .offset:         3368
        .size:           1
        .value_kind:     by_value
      - .offset:         3369
        .size:           1
        .value_kind:     by_value
      - .offset:         3376
        .size:           4
        .value_kind:     hidden_block_count_x
      - .offset:         3380
        .size:           4
        .value_kind:     hidden_block_count_y
      - .offset:         3384
        .size:           4
        .value_kind:     hidden_block_count_z
      - .offset:         3388
        .size:           2
        .value_kind:     hidden_group_size_x
      - .offset:         3390
        .size:           2
        .value_kind:     hidden_group_size_y
      - .offset:         3392
        .size:           2
        .value_kind:     hidden_group_size_z
      - .offset:         3394
        .size:           2
        .value_kind:     hidden_remainder_x
      - .offset:         3396
        .size:           2
        .value_kind:     hidden_remainder_y
      - .offset:         3398
        .size:           2
        .value_kind:     hidden_remainder_z
      - .offset:         3416
        .size:           8
        .value_kind:     hidden_global_offset_x
      - .offset:         3424
        .size:           8
        .value_kind:     hidden_global_offset_y
      - .offset:         3432
        .size:           8
        .value_kind:     hidden_global_offset_z
      - .offset:         3440
        .size:           2
        .value_kind:     hidden_grid_dims
    .group_segment_fixed_size: 0
    .kernarg_segment_align: 8
    .kernarg_segment_size: 3632
    .language:       OpenCL C
    .language_version:
      - 2
      - 0
    .max_flat_workgroup_size: 512
    .name:           _ZN2at6native12_GLOBAL__N_125multi_tensor_apply_kernelINS1_18TensorListMetadataILi1EEENS1_14UnaryOpFunctorIN3c104HalfELi1ELi1ELi0EEEJNS0_6TruncfIfEEEEEvT_T0_DpT1_
    .private_segment_fixed_size: 0
    .sgpr_count:     31
    .sgpr_spill_count: 0
    .symbol:         _ZN2at6native12_GLOBAL__N_125multi_tensor_apply_kernelINS1_18TensorListMetadataILi1EEENS1_14UnaryOpFunctorIN3c104HalfELi1ELi1ELi0EEEJNS0_6TruncfIfEEEEEvT_T0_DpT1_.kd
    .uniform_work_group_size: 1
    .uses_dynamic_stack: false
    .vgpr_count:     22
    .vgpr_spill_count: 0
    .wavefront_size: 64
  - .agpr_count:     0
    .args:
      - .offset:         0
        .size:           3368
        .value_kind:     by_value
      - .offset:         3368
        .size:           1
        .value_kind:     by_value
      - .offset:         3369
        .size:           1
        .value_kind:     by_value
      - .offset:         3376
        .size:           4
        .value_kind:     hidden_block_count_x
      - .offset:         3380
        .size:           4
        .value_kind:     hidden_block_count_y
      - .offset:         3384
        .size:           4
        .value_kind:     hidden_block_count_z
      - .offset:         3388
        .size:           2
        .value_kind:     hidden_group_size_x
      - .offset:         3390
        .size:           2
        .value_kind:     hidden_group_size_y
      - .offset:         3392
        .size:           2
        .value_kind:     hidden_group_size_z
      - .offset:         3394
        .size:           2
        .value_kind:     hidden_remainder_x
      - .offset:         3396
        .size:           2
        .value_kind:     hidden_remainder_y
      - .offset:         3398
        .size:           2
        .value_kind:     hidden_remainder_z
      - .offset:         3416
        .size:           8
        .value_kind:     hidden_global_offset_x
      - .offset:         3424
        .size:           8
        .value_kind:     hidden_global_offset_y
      - .offset:         3432
        .size:           8
        .value_kind:     hidden_global_offset_z
      - .offset:         3440
        .size:           2
        .value_kind:     hidden_grid_dims
    .group_segment_fixed_size: 0
    .kernarg_segment_align: 8
    .kernarg_segment_size: 3632
    .language:       OpenCL C
    .language_version:
      - 2
      - 0
    .max_flat_workgroup_size: 512
    .name:           _ZN2at6native12_GLOBAL__N_125multi_tensor_apply_kernelINS1_18TensorListMetadataILi1EEENS1_14UnaryOpFunctorIN3c108BFloat16ELi1ELi1ELi0EEEJNS0_6TruncfIfEEEEEvT_T0_DpT1_
    .private_segment_fixed_size: 0
    .sgpr_count:     32
    .sgpr_spill_count: 0
    .symbol:         _ZN2at6native12_GLOBAL__N_125multi_tensor_apply_kernelINS1_18TensorListMetadataILi1EEENS1_14UnaryOpFunctorIN3c108BFloat16ELi1ELi1ELi0EEEJNS0_6TruncfIfEEEEEvT_T0_DpT1_.kd
    .uniform_work_group_size: 1
    .uses_dynamic_stack: false
    .vgpr_count:     24
    .vgpr_spill_count: 0
    .wavefront_size: 64
  - .agpr_count:     0
    .args:
      - .offset:         0
        .size:           3144
        .value_kind:     by_value
      - .offset:         3144
        .size:           1
        .value_kind:     by_value
      - .offset:         3145
        .size:           1
        .value_kind:     by_value
      - .offset:         3152
        .size:           4
        .value_kind:     hidden_block_count_x
      - .offset:         3156
        .size:           4
        .value_kind:     hidden_block_count_y
      - .offset:         3160
        .size:           4
        .value_kind:     hidden_block_count_z
      - .offset:         3164
        .size:           2
        .value_kind:     hidden_group_size_x
      - .offset:         3166
        .size:           2
        .value_kind:     hidden_group_size_y
      - .offset:         3168
        .size:           2
        .value_kind:     hidden_group_size_z
      - .offset:         3170
        .size:           2
        .value_kind:     hidden_remainder_x
      - .offset:         3172
        .size:           2
        .value_kind:     hidden_remainder_y
      - .offset:         3174
        .size:           2
        .value_kind:     hidden_remainder_z
      - .offset:         3192
        .size:           8
        .value_kind:     hidden_global_offset_x
      - .offset:         3200
        .size:           8
        .value_kind:     hidden_global_offset_y
      - .offset:         3208
        .size:           8
        .value_kind:     hidden_global_offset_z
      - .offset:         3216
        .size:           2
        .value_kind:     hidden_grid_dims
    .group_segment_fixed_size: 0
    .kernarg_segment_align: 8
    .kernarg_segment_size: 3408
    .language:       OpenCL C
    .language_version:
      - 2
      - 0
    .max_flat_workgroup_size: 512
    .name:           _ZN2at6native12_GLOBAL__N_125multi_tensor_apply_kernelINS1_18TensorListMetadataILi2EEENS1_14UnaryOpFunctorIdLi2ELi1ELi1EEEJNS0_5FloorIdEEEEEvT_T0_DpT1_
    .private_segment_fixed_size: 0
    .sgpr_count:     30
    .sgpr_spill_count: 0
    .symbol:         _ZN2at6native12_GLOBAL__N_125multi_tensor_apply_kernelINS1_18TensorListMetadataILi2EEENS1_14UnaryOpFunctorIdLi2ELi1ELi1EEEJNS0_5FloorIdEEEEEvT_T0_DpT1_.kd
    .uniform_work_group_size: 1
    .uses_dynamic_stack: false
    .vgpr_count:     34
    .vgpr_spill_count: 0
    .wavefront_size: 64
  - .agpr_count:     0
    .args:
      - .offset:         0
        .size:           3144
        .value_kind:     by_value
      - .offset:         3144
        .size:           1
        .value_kind:     by_value
      - .offset:         3145
        .size:           1
        .value_kind:     by_value
      - .offset:         3152
        .size:           4
        .value_kind:     hidden_block_count_x
      - .offset:         3156
        .size:           4
        .value_kind:     hidden_block_count_y
      - .offset:         3160
        .size:           4
        .value_kind:     hidden_block_count_z
      - .offset:         3164
        .size:           2
        .value_kind:     hidden_group_size_x
      - .offset:         3166
        .size:           2
        .value_kind:     hidden_group_size_y
      - .offset:         3168
        .size:           2
        .value_kind:     hidden_group_size_z
      - .offset:         3170
        .size:           2
        .value_kind:     hidden_remainder_x
      - .offset:         3172
        .size:           2
        .value_kind:     hidden_remainder_y
      - .offset:         3174
        .size:           2
        .value_kind:     hidden_remainder_z
      - .offset:         3192
        .size:           8
        .value_kind:     hidden_global_offset_x
      - .offset:         3200
        .size:           8
        .value_kind:     hidden_global_offset_y
      - .offset:         3208
        .size:           8
        .value_kind:     hidden_global_offset_z
      - .offset:         3216
        .size:           2
        .value_kind:     hidden_grid_dims
    .group_segment_fixed_size: 0
    .kernarg_segment_align: 8
    .kernarg_segment_size: 3408
    .language:       OpenCL C
    .language_version:
      - 2
      - 0
    .max_flat_workgroup_size: 512
    .name:           _ZN2at6native12_GLOBAL__N_125multi_tensor_apply_kernelINS1_18TensorListMetadataILi2EEENS1_14UnaryOpFunctorIfLi2ELi1ELi1EEEJNS0_5FloorIfEEEEEvT_T0_DpT1_
    .private_segment_fixed_size: 0
    .sgpr_count:     26
    .sgpr_spill_count: 0
    .symbol:         _ZN2at6native12_GLOBAL__N_125multi_tensor_apply_kernelINS1_18TensorListMetadataILi2EEENS1_14UnaryOpFunctorIfLi2ELi1ELi1EEEJNS0_5FloorIfEEEEEvT_T0_DpT1_.kd
    .uniform_work_group_size: 1
    .uses_dynamic_stack: false
    .vgpr_count:     30
    .vgpr_spill_count: 0
    .wavefront_size: 64
  - .agpr_count:     0
    .args:
      - .offset:         0
        .size:           3144
        .value_kind:     by_value
      - .offset:         3144
        .size:           1
        .value_kind:     by_value
      - .offset:         3145
        .size:           1
        .value_kind:     by_value
      - .offset:         3152
        .size:           4
        .value_kind:     hidden_block_count_x
      - .offset:         3156
        .size:           4
        .value_kind:     hidden_block_count_y
      - .offset:         3160
        .size:           4
        .value_kind:     hidden_block_count_z
      - .offset:         3164
        .size:           2
        .value_kind:     hidden_group_size_x
      - .offset:         3166
        .size:           2
        .value_kind:     hidden_group_size_y
      - .offset:         3168
        .size:           2
        .value_kind:     hidden_group_size_z
      - .offset:         3170
        .size:           2
        .value_kind:     hidden_remainder_x
      - .offset:         3172
        .size:           2
        .value_kind:     hidden_remainder_y
      - .offset:         3174
        .size:           2
        .value_kind:     hidden_remainder_z
      - .offset:         3192
        .size:           8
        .value_kind:     hidden_global_offset_x
      - .offset:         3200
        .size:           8
        .value_kind:     hidden_global_offset_y
      - .offset:         3208
        .size:           8
        .value_kind:     hidden_global_offset_z
      - .offset:         3216
        .size:           2
        .value_kind:     hidden_grid_dims
    .group_segment_fixed_size: 0
    .kernarg_segment_align: 8
    .kernarg_segment_size: 3408
    .language:       OpenCL C
    .language_version:
      - 2
      - 0
    .max_flat_workgroup_size: 512
    .name:           _ZN2at6native12_GLOBAL__N_125multi_tensor_apply_kernelINS1_18TensorListMetadataILi2EEENS1_14UnaryOpFunctorIN3c104HalfELi2ELi1ELi1EEEJNS0_5FloorIfEEEEEvT_T0_DpT1_
    .private_segment_fixed_size: 0
    .sgpr_count:     30
    .sgpr_spill_count: 0
    .symbol:         _ZN2at6native12_GLOBAL__N_125multi_tensor_apply_kernelINS1_18TensorListMetadataILi2EEENS1_14UnaryOpFunctorIN3c104HalfELi2ELi1ELi1EEEJNS0_5FloorIfEEEEEvT_T0_DpT1_.kd
    .uniform_work_group_size: 1
    .uses_dynamic_stack: false
    .vgpr_count:     30
    .vgpr_spill_count: 0
    .wavefront_size: 64
  - .agpr_count:     0
    .args:
      - .offset:         0
        .size:           3144
        .value_kind:     by_value
      - .offset:         3144
        .size:           1
        .value_kind:     by_value
      - .offset:         3145
        .size:           1
        .value_kind:     by_value
      - .offset:         3152
        .size:           4
        .value_kind:     hidden_block_count_x
      - .offset:         3156
        .size:           4
        .value_kind:     hidden_block_count_y
      - .offset:         3160
        .size:           4
        .value_kind:     hidden_block_count_z
      - .offset:         3164
        .size:           2
        .value_kind:     hidden_group_size_x
      - .offset:         3166
        .size:           2
        .value_kind:     hidden_group_size_y
      - .offset:         3168
        .size:           2
        .value_kind:     hidden_group_size_z
      - .offset:         3170
        .size:           2
        .value_kind:     hidden_remainder_x
      - .offset:         3172
        .size:           2
        .value_kind:     hidden_remainder_y
      - .offset:         3174
        .size:           2
        .value_kind:     hidden_remainder_z
      - .offset:         3192
        .size:           8
        .value_kind:     hidden_global_offset_x
      - .offset:         3200
        .size:           8
        .value_kind:     hidden_global_offset_y
      - .offset:         3208
        .size:           8
        .value_kind:     hidden_global_offset_z
      - .offset:         3216
        .size:           2
        .value_kind:     hidden_grid_dims
    .group_segment_fixed_size: 0
    .kernarg_segment_align: 8
    .kernarg_segment_size: 3408
    .language:       OpenCL C
    .language_version:
      - 2
      - 0
    .max_flat_workgroup_size: 512
    .name:           _ZN2at6native12_GLOBAL__N_125multi_tensor_apply_kernelINS1_18TensorListMetadataILi2EEENS1_14UnaryOpFunctorIN3c108BFloat16ELi2ELi1ELi1EEEJNS0_5FloorIfEEEEEvT_T0_DpT1_
    .private_segment_fixed_size: 0
    .sgpr_count:     27
    .sgpr_spill_count: 0
    .symbol:         _ZN2at6native12_GLOBAL__N_125multi_tensor_apply_kernelINS1_18TensorListMetadataILi2EEENS1_14UnaryOpFunctorIN3c108BFloat16ELi2ELi1ELi1EEEJNS0_5FloorIfEEEEEvT_T0_DpT1_.kd
    .uniform_work_group_size: 1
    .uses_dynamic_stack: false
    .vgpr_count:     30
    .vgpr_spill_count: 0
    .wavefront_size: 64
  - .agpr_count:     0
    .args:
      - .offset:         0
        .size:           3368
        .value_kind:     by_value
      - .offset:         3368
        .size:           1
        .value_kind:     by_value
      - .offset:         3369
        .size:           1
        .value_kind:     by_value
      - .offset:         3376
        .size:           4
        .value_kind:     hidden_block_count_x
      - .offset:         3380
        .size:           4
        .value_kind:     hidden_block_count_y
      - .offset:         3384
        .size:           4
        .value_kind:     hidden_block_count_z
      - .offset:         3388
        .size:           2
        .value_kind:     hidden_group_size_x
      - .offset:         3390
        .size:           2
        .value_kind:     hidden_group_size_y
      - .offset:         3392
        .size:           2
        .value_kind:     hidden_group_size_z
      - .offset:         3394
        .size:           2
        .value_kind:     hidden_remainder_x
      - .offset:         3396
        .size:           2
        .value_kind:     hidden_remainder_y
      - .offset:         3398
        .size:           2
        .value_kind:     hidden_remainder_z
      - .offset:         3416
        .size:           8
        .value_kind:     hidden_global_offset_x
      - .offset:         3424
        .size:           8
        .value_kind:     hidden_global_offset_y
      - .offset:         3432
        .size:           8
        .value_kind:     hidden_global_offset_z
      - .offset:         3440
        .size:           2
        .value_kind:     hidden_grid_dims
    .group_segment_fixed_size: 0
    .kernarg_segment_align: 8
    .kernarg_segment_size: 3632
    .language:       OpenCL C
    .language_version:
      - 2
      - 0
    .max_flat_workgroup_size: 512
    .name:           _ZN2at6native12_GLOBAL__N_125multi_tensor_apply_kernelINS1_18TensorListMetadataILi1EEENS1_14UnaryOpFunctorIdLi1ELi1ELi0EEEJNS0_5FloorIdEEEEEvT_T0_DpT1_
    .private_segment_fixed_size: 0
    .sgpr_count:     32
    .sgpr_spill_count: 0
    .symbol:         _ZN2at6native12_GLOBAL__N_125multi_tensor_apply_kernelINS1_18TensorListMetadataILi1EEENS1_14UnaryOpFunctorIdLi1ELi1ELi0EEEJNS0_5FloorIdEEEEEvT_T0_DpT1_.kd
    .uniform_work_group_size: 1
    .uses_dynamic_stack: false
    .vgpr_count:     26
    .vgpr_spill_count: 0
    .wavefront_size: 64
  - .agpr_count:     0
    .args:
      - .offset:         0
        .size:           3368
        .value_kind:     by_value
      - .offset:         3368
        .size:           1
        .value_kind:     by_value
      - .offset:         3369
        .size:           1
        .value_kind:     by_value
      - .offset:         3376
        .size:           4
        .value_kind:     hidden_block_count_x
      - .offset:         3380
        .size:           4
        .value_kind:     hidden_block_count_y
      - .offset:         3384
        .size:           4
        .value_kind:     hidden_block_count_z
      - .offset:         3388
        .size:           2
        .value_kind:     hidden_group_size_x
      - .offset:         3390
        .size:           2
        .value_kind:     hidden_group_size_y
      - .offset:         3392
        .size:           2
        .value_kind:     hidden_group_size_z
      - .offset:         3394
        .size:           2
        .value_kind:     hidden_remainder_x
      - .offset:         3396
        .size:           2
        .value_kind:     hidden_remainder_y
      - .offset:         3398
        .size:           2
        .value_kind:     hidden_remainder_z
      - .offset:         3416
        .size:           8
        .value_kind:     hidden_global_offset_x
      - .offset:         3424
        .size:           8
        .value_kind:     hidden_global_offset_y
      - .offset:         3432
        .size:           8
        .value_kind:     hidden_global_offset_z
      - .offset:         3440
        .size:           2
        .value_kind:     hidden_grid_dims
    .group_segment_fixed_size: 0
    .kernarg_segment_align: 8
    .kernarg_segment_size: 3632
    .language:       OpenCL C
    .language_version:
      - 2
      - 0
    .max_flat_workgroup_size: 512
    .name:           _ZN2at6native12_GLOBAL__N_125multi_tensor_apply_kernelINS1_18TensorListMetadataILi1EEENS1_14UnaryOpFunctorIfLi1ELi1ELi0EEEJNS0_5FloorIfEEEEEvT_T0_DpT1_
    .private_segment_fixed_size: 0
    .sgpr_count:     32
    .sgpr_spill_count: 0
    .symbol:         _ZN2at6native12_GLOBAL__N_125multi_tensor_apply_kernelINS1_18TensorListMetadataILi1EEENS1_14UnaryOpFunctorIfLi1ELi1ELi0EEEJNS0_5FloorIfEEEEEvT_T0_DpT1_.kd
    .uniform_work_group_size: 1
    .uses_dynamic_stack: false
    .vgpr_count:     22
    .vgpr_spill_count: 0
    .wavefront_size: 64
  - .agpr_count:     0
    .args:
      - .offset:         0
        .size:           3368
        .value_kind:     by_value
      - .offset:         3368
        .size:           1
        .value_kind:     by_value
      - .offset:         3369
        .size:           1
        .value_kind:     by_value
      - .offset:         3376
        .size:           4
        .value_kind:     hidden_block_count_x
      - .offset:         3380
        .size:           4
        .value_kind:     hidden_block_count_y
      - .offset:         3384
        .size:           4
        .value_kind:     hidden_block_count_z
      - .offset:         3388
        .size:           2
        .value_kind:     hidden_group_size_x
      - .offset:         3390
        .size:           2
        .value_kind:     hidden_group_size_y
      - .offset:         3392
        .size:           2
        .value_kind:     hidden_group_size_z
      - .offset:         3394
        .size:           2
        .value_kind:     hidden_remainder_x
      - .offset:         3396
        .size:           2
        .value_kind:     hidden_remainder_y
      - .offset:         3398
        .size:           2
        .value_kind:     hidden_remainder_z
      - .offset:         3416
        .size:           8
        .value_kind:     hidden_global_offset_x
      - .offset:         3424
        .size:           8
        .value_kind:     hidden_global_offset_y
      - .offset:         3432
        .size:           8
        .value_kind:     hidden_global_offset_z
      - .offset:         3440
        .size:           2
        .value_kind:     hidden_grid_dims
    .group_segment_fixed_size: 0
    .kernarg_segment_align: 8
    .kernarg_segment_size: 3632
    .language:       OpenCL C
    .language_version:
      - 2
      - 0
    .max_flat_workgroup_size: 512
    .name:           _ZN2at6native12_GLOBAL__N_125multi_tensor_apply_kernelINS1_18TensorListMetadataILi1EEENS1_14UnaryOpFunctorIN3c104HalfELi1ELi1ELi0EEEJNS0_5FloorIfEEEEEvT_T0_DpT1_
    .private_segment_fixed_size: 0
    .sgpr_count:     31
    .sgpr_spill_count: 0
    .symbol:         _ZN2at6native12_GLOBAL__N_125multi_tensor_apply_kernelINS1_18TensorListMetadataILi1EEENS1_14UnaryOpFunctorIN3c104HalfELi1ELi1ELi0EEEJNS0_5FloorIfEEEEEvT_T0_DpT1_.kd
    .uniform_work_group_size: 1
    .uses_dynamic_stack: false
    .vgpr_count:     22
    .vgpr_spill_count: 0
    .wavefront_size: 64
  - .agpr_count:     0
    .args:
      - .offset:         0
        .size:           3368
        .value_kind:     by_value
      - .offset:         3368
        .size:           1
        .value_kind:     by_value
      - .offset:         3369
        .size:           1
        .value_kind:     by_value
      - .offset:         3376
        .size:           4
        .value_kind:     hidden_block_count_x
      - .offset:         3380
        .size:           4
        .value_kind:     hidden_block_count_y
      - .offset:         3384
        .size:           4
        .value_kind:     hidden_block_count_z
      - .offset:         3388
        .size:           2
        .value_kind:     hidden_group_size_x
      - .offset:         3390
        .size:           2
        .value_kind:     hidden_group_size_y
      - .offset:         3392
        .size:           2
        .value_kind:     hidden_group_size_z
      - .offset:         3394
        .size:           2
        .value_kind:     hidden_remainder_x
      - .offset:         3396
        .size:           2
        .value_kind:     hidden_remainder_y
      - .offset:         3398
        .size:           2
        .value_kind:     hidden_remainder_z
      - .offset:         3416
        .size:           8
        .value_kind:     hidden_global_offset_x
      - .offset:         3424
        .size:           8
        .value_kind:     hidden_global_offset_y
      - .offset:         3432
        .size:           8
        .value_kind:     hidden_global_offset_z
      - .offset:         3440
        .size:           2
        .value_kind:     hidden_grid_dims
    .group_segment_fixed_size: 0
    .kernarg_segment_align: 8
    .kernarg_segment_size: 3632
    .language:       OpenCL C
    .language_version:
      - 2
      - 0
    .max_flat_workgroup_size: 512
    .name:           _ZN2at6native12_GLOBAL__N_125multi_tensor_apply_kernelINS1_18TensorListMetadataILi1EEENS1_14UnaryOpFunctorIN3c108BFloat16ELi1ELi1ELi0EEEJNS0_5FloorIfEEEEEvT_T0_DpT1_
    .private_segment_fixed_size: 0
    .sgpr_count:     32
    .sgpr_spill_count: 0
    .symbol:         _ZN2at6native12_GLOBAL__N_125multi_tensor_apply_kernelINS1_18TensorListMetadataILi1EEENS1_14UnaryOpFunctorIN3c108BFloat16ELi1ELi1ELi0EEEJNS0_5FloorIfEEEEEvT_T0_DpT1_.kd
    .uniform_work_group_size: 1
    .uses_dynamic_stack: false
    .vgpr_count:     24
    .vgpr_spill_count: 0
    .wavefront_size: 64
  - .agpr_count:     0
    .args:
      - .offset:         0
        .size:           3144
        .value_kind:     by_value
      - .offset:         3144
        .size:           1
        .value_kind:     by_value
      - .offset:         3145
        .size:           1
        .value_kind:     by_value
      - .offset:         3152
        .size:           4
        .value_kind:     hidden_block_count_x
      - .offset:         3156
        .size:           4
        .value_kind:     hidden_block_count_y
      - .offset:         3160
        .size:           4
        .value_kind:     hidden_block_count_z
      - .offset:         3164
        .size:           2
        .value_kind:     hidden_group_size_x
      - .offset:         3166
        .size:           2
        .value_kind:     hidden_group_size_y
      - .offset:         3168
        .size:           2
        .value_kind:     hidden_group_size_z
      - .offset:         3170
        .size:           2
        .value_kind:     hidden_remainder_x
      - .offset:         3172
        .size:           2
        .value_kind:     hidden_remainder_y
      - .offset:         3174
        .size:           2
        .value_kind:     hidden_remainder_z
      - .offset:         3192
        .size:           8
        .value_kind:     hidden_global_offset_x
      - .offset:         3200
        .size:           8
        .value_kind:     hidden_global_offset_y
      - .offset:         3208
        .size:           8
        .value_kind:     hidden_global_offset_z
      - .offset:         3216
        .size:           2
        .value_kind:     hidden_grid_dims
    .group_segment_fixed_size: 0
    .kernarg_segment_align: 8
    .kernarg_segment_size: 3408
    .language:       OpenCL C
    .language_version:
      - 2
      - 0
    .max_flat_workgroup_size: 512
    .name:           _ZN2at6native12_GLOBAL__N_125multi_tensor_apply_kernelINS1_18TensorListMetadataILi2EEENS1_14UnaryOpFunctorIdLi2ELi1ELi1EEEJNS0_4CeilIdEEEEEvT_T0_DpT1_
    .private_segment_fixed_size: 0
    .sgpr_count:     30
    .sgpr_spill_count: 0
    .symbol:         _ZN2at6native12_GLOBAL__N_125multi_tensor_apply_kernelINS1_18TensorListMetadataILi2EEENS1_14UnaryOpFunctorIdLi2ELi1ELi1EEEJNS0_4CeilIdEEEEEvT_T0_DpT1_.kd
    .uniform_work_group_size: 1
    .uses_dynamic_stack: false
    .vgpr_count:     34
    .vgpr_spill_count: 0
    .wavefront_size: 64
  - .agpr_count:     0
    .args:
      - .offset:         0
        .size:           3144
        .value_kind:     by_value
      - .offset:         3144
        .size:           1
        .value_kind:     by_value
      - .offset:         3145
        .size:           1
        .value_kind:     by_value
      - .offset:         3152
        .size:           4
        .value_kind:     hidden_block_count_x
      - .offset:         3156
        .size:           4
        .value_kind:     hidden_block_count_y
      - .offset:         3160
        .size:           4
        .value_kind:     hidden_block_count_z
      - .offset:         3164
        .size:           2
        .value_kind:     hidden_group_size_x
      - .offset:         3166
        .size:           2
        .value_kind:     hidden_group_size_y
      - .offset:         3168
        .size:           2
        .value_kind:     hidden_group_size_z
      - .offset:         3170
        .size:           2
        .value_kind:     hidden_remainder_x
      - .offset:         3172
        .size:           2
        .value_kind:     hidden_remainder_y
      - .offset:         3174
        .size:           2
        .value_kind:     hidden_remainder_z
      - .offset:         3192
        .size:           8
        .value_kind:     hidden_global_offset_x
      - .offset:         3200
        .size:           8
        .value_kind:     hidden_global_offset_y
      - .offset:         3208
        .size:           8
        .value_kind:     hidden_global_offset_z
      - .offset:         3216
        .size:           2
        .value_kind:     hidden_grid_dims
    .group_segment_fixed_size: 0
    .kernarg_segment_align: 8
    .kernarg_segment_size: 3408
    .language:       OpenCL C
    .language_version:
      - 2
      - 0
    .max_flat_workgroup_size: 512
    .name:           _ZN2at6native12_GLOBAL__N_125multi_tensor_apply_kernelINS1_18TensorListMetadataILi2EEENS1_14UnaryOpFunctorIfLi2ELi1ELi1EEEJNS0_4CeilIfEEEEEvT_T0_DpT1_
    .private_segment_fixed_size: 0
    .sgpr_count:     26
    .sgpr_spill_count: 0
    .symbol:         _ZN2at6native12_GLOBAL__N_125multi_tensor_apply_kernelINS1_18TensorListMetadataILi2EEENS1_14UnaryOpFunctorIfLi2ELi1ELi1EEEJNS0_4CeilIfEEEEEvT_T0_DpT1_.kd
    .uniform_work_group_size: 1
    .uses_dynamic_stack: false
    .vgpr_count:     30
    .vgpr_spill_count: 0
    .wavefront_size: 64
  - .agpr_count:     0
    .args:
      - .offset:         0
        .size:           3144
        .value_kind:     by_value
      - .offset:         3144
        .size:           1
        .value_kind:     by_value
      - .offset:         3145
        .size:           1
        .value_kind:     by_value
      - .offset:         3152
        .size:           4
        .value_kind:     hidden_block_count_x
      - .offset:         3156
        .size:           4
        .value_kind:     hidden_block_count_y
      - .offset:         3160
        .size:           4
        .value_kind:     hidden_block_count_z
      - .offset:         3164
        .size:           2
        .value_kind:     hidden_group_size_x
      - .offset:         3166
        .size:           2
        .value_kind:     hidden_group_size_y
      - .offset:         3168
        .size:           2
        .value_kind:     hidden_group_size_z
      - .offset:         3170
        .size:           2
        .value_kind:     hidden_remainder_x
      - .offset:         3172
        .size:           2
        .value_kind:     hidden_remainder_y
      - .offset:         3174
        .size:           2
        .value_kind:     hidden_remainder_z
      - .offset:         3192
        .size:           8
        .value_kind:     hidden_global_offset_x
      - .offset:         3200
        .size:           8
        .value_kind:     hidden_global_offset_y
      - .offset:         3208
        .size:           8
        .value_kind:     hidden_global_offset_z
      - .offset:         3216
        .size:           2
        .value_kind:     hidden_grid_dims
    .group_segment_fixed_size: 0
    .kernarg_segment_align: 8
    .kernarg_segment_size: 3408
    .language:       OpenCL C
    .language_version:
      - 2
      - 0
    .max_flat_workgroup_size: 512
    .name:           _ZN2at6native12_GLOBAL__N_125multi_tensor_apply_kernelINS1_18TensorListMetadataILi2EEENS1_14UnaryOpFunctorIN3c104HalfELi2ELi1ELi1EEEJNS0_4CeilIfEEEEEvT_T0_DpT1_
    .private_segment_fixed_size: 0
    .sgpr_count:     30
    .sgpr_spill_count: 0
    .symbol:         _ZN2at6native12_GLOBAL__N_125multi_tensor_apply_kernelINS1_18TensorListMetadataILi2EEENS1_14UnaryOpFunctorIN3c104HalfELi2ELi1ELi1EEEJNS0_4CeilIfEEEEEvT_T0_DpT1_.kd
    .uniform_work_group_size: 1
    .uses_dynamic_stack: false
    .vgpr_count:     30
    .vgpr_spill_count: 0
    .wavefront_size: 64
  - .agpr_count:     0
    .args:
      - .offset:         0
        .size:           3144
        .value_kind:     by_value
      - .offset:         3144
        .size:           1
        .value_kind:     by_value
      - .offset:         3145
        .size:           1
        .value_kind:     by_value
      - .offset:         3152
        .size:           4
        .value_kind:     hidden_block_count_x
      - .offset:         3156
        .size:           4
        .value_kind:     hidden_block_count_y
      - .offset:         3160
        .size:           4
        .value_kind:     hidden_block_count_z
      - .offset:         3164
        .size:           2
        .value_kind:     hidden_group_size_x
      - .offset:         3166
        .size:           2
        .value_kind:     hidden_group_size_y
      - .offset:         3168
        .size:           2
        .value_kind:     hidden_group_size_z
      - .offset:         3170
        .size:           2
        .value_kind:     hidden_remainder_x
      - .offset:         3172
        .size:           2
        .value_kind:     hidden_remainder_y
      - .offset:         3174
        .size:           2
        .value_kind:     hidden_remainder_z
      - .offset:         3192
        .size:           8
        .value_kind:     hidden_global_offset_x
      - .offset:         3200
        .size:           8
        .value_kind:     hidden_global_offset_y
      - .offset:         3208
        .size:           8
        .value_kind:     hidden_global_offset_z
      - .offset:         3216
        .size:           2
        .value_kind:     hidden_grid_dims
    .group_segment_fixed_size: 0
    .kernarg_segment_align: 8
    .kernarg_segment_size: 3408
    .language:       OpenCL C
    .language_version:
      - 2
      - 0
    .max_flat_workgroup_size: 512
    .name:           _ZN2at6native12_GLOBAL__N_125multi_tensor_apply_kernelINS1_18TensorListMetadataILi2EEENS1_14UnaryOpFunctorIN3c108BFloat16ELi2ELi1ELi1EEEJNS0_4CeilIfEEEEEvT_T0_DpT1_
    .private_segment_fixed_size: 0
    .sgpr_count:     27
    .sgpr_spill_count: 0
    .symbol:         _ZN2at6native12_GLOBAL__N_125multi_tensor_apply_kernelINS1_18TensorListMetadataILi2EEENS1_14UnaryOpFunctorIN3c108BFloat16ELi2ELi1ELi1EEEJNS0_4CeilIfEEEEEvT_T0_DpT1_.kd
    .uniform_work_group_size: 1
    .uses_dynamic_stack: false
    .vgpr_count:     30
    .vgpr_spill_count: 0
    .wavefront_size: 64
  - .agpr_count:     0
    .args:
      - .offset:         0
        .size:           3368
        .value_kind:     by_value
      - .offset:         3368
        .size:           1
        .value_kind:     by_value
      - .offset:         3369
        .size:           1
        .value_kind:     by_value
      - .offset:         3376
        .size:           4
        .value_kind:     hidden_block_count_x
      - .offset:         3380
        .size:           4
        .value_kind:     hidden_block_count_y
      - .offset:         3384
        .size:           4
        .value_kind:     hidden_block_count_z
      - .offset:         3388
        .size:           2
        .value_kind:     hidden_group_size_x
      - .offset:         3390
        .size:           2
        .value_kind:     hidden_group_size_y
      - .offset:         3392
        .size:           2
        .value_kind:     hidden_group_size_z
      - .offset:         3394
        .size:           2
        .value_kind:     hidden_remainder_x
      - .offset:         3396
        .size:           2
        .value_kind:     hidden_remainder_y
      - .offset:         3398
        .size:           2
        .value_kind:     hidden_remainder_z
      - .offset:         3416
        .size:           8
        .value_kind:     hidden_global_offset_x
      - .offset:         3424
        .size:           8
        .value_kind:     hidden_global_offset_y
      - .offset:         3432
        .size:           8
        .value_kind:     hidden_global_offset_z
      - .offset:         3440
        .size:           2
        .value_kind:     hidden_grid_dims
    .group_segment_fixed_size: 0
    .kernarg_segment_align: 8
    .kernarg_segment_size: 3632
    .language:       OpenCL C
    .language_version:
      - 2
      - 0
    .max_flat_workgroup_size: 512
    .name:           _ZN2at6native12_GLOBAL__N_125multi_tensor_apply_kernelINS1_18TensorListMetadataILi1EEENS1_14UnaryOpFunctorIdLi1ELi1ELi0EEEJNS0_4CeilIdEEEEEvT_T0_DpT1_
    .private_segment_fixed_size: 0
    .sgpr_count:     32
    .sgpr_spill_count: 0
    .symbol:         _ZN2at6native12_GLOBAL__N_125multi_tensor_apply_kernelINS1_18TensorListMetadataILi1EEENS1_14UnaryOpFunctorIdLi1ELi1ELi0EEEJNS0_4CeilIdEEEEEvT_T0_DpT1_.kd
    .uniform_work_group_size: 1
    .uses_dynamic_stack: false
    .vgpr_count:     26
    .vgpr_spill_count: 0
    .wavefront_size: 64
  - .agpr_count:     0
    .args:
      - .offset:         0
        .size:           3368
        .value_kind:     by_value
      - .offset:         3368
        .size:           1
        .value_kind:     by_value
      - .offset:         3369
        .size:           1
        .value_kind:     by_value
      - .offset:         3376
        .size:           4
        .value_kind:     hidden_block_count_x
      - .offset:         3380
        .size:           4
        .value_kind:     hidden_block_count_y
      - .offset:         3384
        .size:           4
        .value_kind:     hidden_block_count_z
      - .offset:         3388
        .size:           2
        .value_kind:     hidden_group_size_x
      - .offset:         3390
        .size:           2
        .value_kind:     hidden_group_size_y
      - .offset:         3392
        .size:           2
        .value_kind:     hidden_group_size_z
      - .offset:         3394
        .size:           2
        .value_kind:     hidden_remainder_x
      - .offset:         3396
        .size:           2
        .value_kind:     hidden_remainder_y
      - .offset:         3398
        .size:           2
        .value_kind:     hidden_remainder_z
      - .offset:         3416
        .size:           8
        .value_kind:     hidden_global_offset_x
      - .offset:         3424
        .size:           8
        .value_kind:     hidden_global_offset_y
      - .offset:         3432
        .size:           8
        .value_kind:     hidden_global_offset_z
      - .offset:         3440
        .size:           2
        .value_kind:     hidden_grid_dims
    .group_segment_fixed_size: 0
    .kernarg_segment_align: 8
    .kernarg_segment_size: 3632
    .language:       OpenCL C
    .language_version:
      - 2
      - 0
    .max_flat_workgroup_size: 512
    .name:           _ZN2at6native12_GLOBAL__N_125multi_tensor_apply_kernelINS1_18TensorListMetadataILi1EEENS1_14UnaryOpFunctorIfLi1ELi1ELi0EEEJNS0_4CeilIfEEEEEvT_T0_DpT1_
    .private_segment_fixed_size: 0
    .sgpr_count:     32
    .sgpr_spill_count: 0
    .symbol:         _ZN2at6native12_GLOBAL__N_125multi_tensor_apply_kernelINS1_18TensorListMetadataILi1EEENS1_14UnaryOpFunctorIfLi1ELi1ELi0EEEJNS0_4CeilIfEEEEEvT_T0_DpT1_.kd
    .uniform_work_group_size: 1
    .uses_dynamic_stack: false
    .vgpr_count:     22
    .vgpr_spill_count: 0
    .wavefront_size: 64
  - .agpr_count:     0
    .args:
      - .offset:         0
        .size:           3368
        .value_kind:     by_value
      - .offset:         3368
        .size:           1
        .value_kind:     by_value
      - .offset:         3369
        .size:           1
        .value_kind:     by_value
      - .offset:         3376
        .size:           4
        .value_kind:     hidden_block_count_x
      - .offset:         3380
        .size:           4
        .value_kind:     hidden_block_count_y
      - .offset:         3384
        .size:           4
        .value_kind:     hidden_block_count_z
      - .offset:         3388
        .size:           2
        .value_kind:     hidden_group_size_x
      - .offset:         3390
        .size:           2
        .value_kind:     hidden_group_size_y
      - .offset:         3392
        .size:           2
        .value_kind:     hidden_group_size_z
      - .offset:         3394
        .size:           2
        .value_kind:     hidden_remainder_x
      - .offset:         3396
        .size:           2
        .value_kind:     hidden_remainder_y
      - .offset:         3398
        .size:           2
        .value_kind:     hidden_remainder_z
      - .offset:         3416
        .size:           8
        .value_kind:     hidden_global_offset_x
      - .offset:         3424
        .size:           8
        .value_kind:     hidden_global_offset_y
      - .offset:         3432
        .size:           8
        .value_kind:     hidden_global_offset_z
      - .offset:         3440
        .size:           2
        .value_kind:     hidden_grid_dims
    .group_segment_fixed_size: 0
    .kernarg_segment_align: 8
    .kernarg_segment_size: 3632
    .language:       OpenCL C
    .language_version:
      - 2
      - 0
    .max_flat_workgroup_size: 512
    .name:           _ZN2at6native12_GLOBAL__N_125multi_tensor_apply_kernelINS1_18TensorListMetadataILi1EEENS1_14UnaryOpFunctorIN3c104HalfELi1ELi1ELi0EEEJNS0_4CeilIfEEEEEvT_T0_DpT1_
    .private_segment_fixed_size: 0
    .sgpr_count:     31
    .sgpr_spill_count: 0
    .symbol:         _ZN2at6native12_GLOBAL__N_125multi_tensor_apply_kernelINS1_18TensorListMetadataILi1EEENS1_14UnaryOpFunctorIN3c104HalfELi1ELi1ELi0EEEJNS0_4CeilIfEEEEEvT_T0_DpT1_.kd
    .uniform_work_group_size: 1
    .uses_dynamic_stack: false
    .vgpr_count:     22
    .vgpr_spill_count: 0
    .wavefront_size: 64
  - .agpr_count:     0
    .args:
      - .offset:         0
        .size:           3368
        .value_kind:     by_value
      - .offset:         3368
        .size:           1
        .value_kind:     by_value
      - .offset:         3369
        .size:           1
        .value_kind:     by_value
      - .offset:         3376
        .size:           4
        .value_kind:     hidden_block_count_x
      - .offset:         3380
        .size:           4
        .value_kind:     hidden_block_count_y
      - .offset:         3384
        .size:           4
        .value_kind:     hidden_block_count_z
      - .offset:         3388
        .size:           2
        .value_kind:     hidden_group_size_x
      - .offset:         3390
        .size:           2
        .value_kind:     hidden_group_size_y
      - .offset:         3392
        .size:           2
        .value_kind:     hidden_group_size_z
      - .offset:         3394
        .size:           2
        .value_kind:     hidden_remainder_x
      - .offset:         3396
        .size:           2
        .value_kind:     hidden_remainder_y
      - .offset:         3398
        .size:           2
        .value_kind:     hidden_remainder_z
      - .offset:         3416
        .size:           8
        .value_kind:     hidden_global_offset_x
      - .offset:         3424
        .size:           8
        .value_kind:     hidden_global_offset_y
      - .offset:         3432
        .size:           8
        .value_kind:     hidden_global_offset_z
      - .offset:         3440
        .size:           2
        .value_kind:     hidden_grid_dims
    .group_segment_fixed_size: 0
    .kernarg_segment_align: 8
    .kernarg_segment_size: 3632
    .language:       OpenCL C
    .language_version:
      - 2
      - 0
    .max_flat_workgroup_size: 512
    .name:           _ZN2at6native12_GLOBAL__N_125multi_tensor_apply_kernelINS1_18TensorListMetadataILi1EEENS1_14UnaryOpFunctorIN3c108BFloat16ELi1ELi1ELi0EEEJNS0_4CeilIfEEEEEvT_T0_DpT1_
    .private_segment_fixed_size: 0
    .sgpr_count:     32
    .sgpr_spill_count: 0
    .symbol:         _ZN2at6native12_GLOBAL__N_125multi_tensor_apply_kernelINS1_18TensorListMetadataILi1EEENS1_14UnaryOpFunctorIN3c108BFloat16ELi1ELi1ELi0EEEJNS0_4CeilIfEEEEEvT_T0_DpT1_.kd
    .uniform_work_group_size: 1
    .uses_dynamic_stack: false
    .vgpr_count:     24
    .vgpr_spill_count: 0
    .wavefront_size: 64
  - .agpr_count:     0
    .args:
      - .offset:         0
        .size:           3144
        .value_kind:     by_value
      - .offset:         3144
        .size:           1
        .value_kind:     by_value
      - .offset:         3145
        .size:           1
        .value_kind:     by_value
      - .offset:         3152
        .size:           4
        .value_kind:     hidden_block_count_x
      - .offset:         3156
        .size:           4
        .value_kind:     hidden_block_count_y
      - .offset:         3160
        .size:           4
        .value_kind:     hidden_block_count_z
      - .offset:         3164
        .size:           2
        .value_kind:     hidden_group_size_x
      - .offset:         3166
        .size:           2
        .value_kind:     hidden_group_size_y
      - .offset:         3168
        .size:           2
        .value_kind:     hidden_group_size_z
      - .offset:         3170
        .size:           2
        .value_kind:     hidden_remainder_x
      - .offset:         3172
        .size:           2
        .value_kind:     hidden_remainder_y
      - .offset:         3174
        .size:           2
        .value_kind:     hidden_remainder_z
      - .offset:         3192
        .size:           8
        .value_kind:     hidden_global_offset_x
      - .offset:         3200
        .size:           8
        .value_kind:     hidden_global_offset_y
      - .offset:         3208
        .size:           8
        .value_kind:     hidden_global_offset_z
      - .offset:         3216
        .size:           2
        .value_kind:     hidden_grid_dims
    .group_segment_fixed_size: 0
    .kernarg_segment_align: 8
    .kernarg_segment_size: 3408
    .language:       OpenCL C
    .language_version:
      - 2
      - 0
    .max_flat_workgroup_size: 512
    .name:           _ZN2at6native12_GLOBAL__N_125multi_tensor_apply_kernelINS1_18TensorListMetadataILi2EEENS1_14UnaryOpFunctorIdLi2ELi1ELi1EEEJNS0_4AcosIdEEEEEvT_T0_DpT1_
    .private_segment_fixed_size: 0
    .sgpr_count:     35
    .sgpr_spill_count: 0
    .symbol:         _ZN2at6native12_GLOBAL__N_125multi_tensor_apply_kernelINS1_18TensorListMetadataILi2EEENS1_14UnaryOpFunctorIdLi2ELi1ELi1EEEJNS0_4AcosIdEEEEEvT_T0_DpT1_.kd
    .uniform_work_group_size: 1
    .uses_dynamic_stack: false
    .vgpr_count:     70
    .vgpr_spill_count: 0
    .wavefront_size: 64
  - .agpr_count:     0
    .args:
      - .offset:         0
        .size:           3144
        .value_kind:     by_value
      - .offset:         3144
        .size:           1
        .value_kind:     by_value
      - .offset:         3145
        .size:           1
        .value_kind:     by_value
      - .offset:         3152
        .size:           4
        .value_kind:     hidden_block_count_x
      - .offset:         3156
        .size:           4
        .value_kind:     hidden_block_count_y
      - .offset:         3160
        .size:           4
        .value_kind:     hidden_block_count_z
      - .offset:         3164
        .size:           2
        .value_kind:     hidden_group_size_x
      - .offset:         3166
        .size:           2
        .value_kind:     hidden_group_size_y
      - .offset:         3168
        .size:           2
        .value_kind:     hidden_group_size_z
      - .offset:         3170
        .size:           2
        .value_kind:     hidden_remainder_x
      - .offset:         3172
        .size:           2
        .value_kind:     hidden_remainder_y
      - .offset:         3174
        .size:           2
        .value_kind:     hidden_remainder_z
      - .offset:         3192
        .size:           8
        .value_kind:     hidden_global_offset_x
      - .offset:         3200
        .size:           8
        .value_kind:     hidden_global_offset_y
      - .offset:         3208
        .size:           8
        .value_kind:     hidden_global_offset_z
      - .offset:         3216
        .size:           2
        .value_kind:     hidden_grid_dims
    .group_segment_fixed_size: 0
    .kernarg_segment_align: 8
    .kernarg_segment_size: 3408
    .language:       OpenCL C
    .language_version:
      - 2
      - 0
    .max_flat_workgroup_size: 512
    .name:           _ZN2at6native12_GLOBAL__N_125multi_tensor_apply_kernelINS1_18TensorListMetadataILi2EEENS1_14UnaryOpFunctorIfLi2ELi1ELi1EEEJNS0_4AcosIfEEEEEvT_T0_DpT1_
    .private_segment_fixed_size: 0
    .sgpr_count:     50
    .sgpr_spill_count: 0
    .symbol:         _ZN2at6native12_GLOBAL__N_125multi_tensor_apply_kernelINS1_18TensorListMetadataILi2EEENS1_14UnaryOpFunctorIfLi2ELi1ELi1EEEJNS0_4AcosIfEEEEEvT_T0_DpT1_.kd
    .uniform_work_group_size: 1
    .uses_dynamic_stack: false
    .vgpr_count:     34
    .vgpr_spill_count: 0
    .wavefront_size: 64
  - .agpr_count:     0
    .args:
      - .offset:         0
        .size:           3144
        .value_kind:     by_value
      - .offset:         3144
        .size:           1
        .value_kind:     by_value
      - .offset:         3145
        .size:           1
        .value_kind:     by_value
      - .offset:         3152
        .size:           4
        .value_kind:     hidden_block_count_x
      - .offset:         3156
        .size:           4
        .value_kind:     hidden_block_count_y
      - .offset:         3160
        .size:           4
        .value_kind:     hidden_block_count_z
      - .offset:         3164
        .size:           2
        .value_kind:     hidden_group_size_x
      - .offset:         3166
        .size:           2
        .value_kind:     hidden_group_size_y
      - .offset:         3168
        .size:           2
        .value_kind:     hidden_group_size_z
      - .offset:         3170
        .size:           2
        .value_kind:     hidden_remainder_x
      - .offset:         3172
        .size:           2
        .value_kind:     hidden_remainder_y
      - .offset:         3174
        .size:           2
        .value_kind:     hidden_remainder_z
      - .offset:         3192
        .size:           8
        .value_kind:     hidden_global_offset_x
      - .offset:         3200
        .size:           8
        .value_kind:     hidden_global_offset_y
      - .offset:         3208
        .size:           8
        .value_kind:     hidden_global_offset_z
      - .offset:         3216
        .size:           2
        .value_kind:     hidden_grid_dims
    .group_segment_fixed_size: 0
    .kernarg_segment_align: 8
    .kernarg_segment_size: 3408
    .language:       OpenCL C
    .language_version:
      - 2
      - 0
    .max_flat_workgroup_size: 512
    .name:           _ZN2at6native12_GLOBAL__N_125multi_tensor_apply_kernelINS1_18TensorListMetadataILi2EEENS1_14UnaryOpFunctorIN3c107complexIdEELi2ELi1ELi1EEEJNS0_4AcosIS8_EEEEEvT_T0_DpT1_
    .private_segment_fixed_size: 24
    .sgpr_count:     68
    .sgpr_spill_count: 0
    .symbol:         _ZN2at6native12_GLOBAL__N_125multi_tensor_apply_kernelINS1_18TensorListMetadataILi2EEENS1_14UnaryOpFunctorIN3c107complexIdEELi2ELi1ELi1EEEJNS0_4AcosIS8_EEEEEvT_T0_DpT1_.kd
    .uniform_work_group_size: 1
    .uses_dynamic_stack: false
    .vgpr_count:     78
    .vgpr_spill_count: 0
    .wavefront_size: 64
  - .agpr_count:     0
    .args:
      - .offset:         0
        .size:           3144
        .value_kind:     by_value
      - .offset:         3144
        .size:           1
        .value_kind:     by_value
      - .offset:         3145
        .size:           1
        .value_kind:     by_value
      - .offset:         3152
        .size:           4
        .value_kind:     hidden_block_count_x
      - .offset:         3156
        .size:           4
        .value_kind:     hidden_block_count_y
      - .offset:         3160
        .size:           4
        .value_kind:     hidden_block_count_z
      - .offset:         3164
        .size:           2
        .value_kind:     hidden_group_size_x
      - .offset:         3166
        .size:           2
        .value_kind:     hidden_group_size_y
      - .offset:         3168
        .size:           2
        .value_kind:     hidden_group_size_z
      - .offset:         3170
        .size:           2
        .value_kind:     hidden_remainder_x
      - .offset:         3172
        .size:           2
        .value_kind:     hidden_remainder_y
      - .offset:         3174
        .size:           2
        .value_kind:     hidden_remainder_z
      - .offset:         3192
        .size:           8
        .value_kind:     hidden_global_offset_x
      - .offset:         3200
        .size:           8
        .value_kind:     hidden_global_offset_y
      - .offset:         3208
        .size:           8
        .value_kind:     hidden_global_offset_z
      - .offset:         3216
        .size:           2
        .value_kind:     hidden_grid_dims
    .group_segment_fixed_size: 0
    .kernarg_segment_align: 8
    .kernarg_segment_size: 3408
    .language:       OpenCL C
    .language_version:
      - 2
      - 0
    .max_flat_workgroup_size: 512
    .name:           _ZN2at6native12_GLOBAL__N_125multi_tensor_apply_kernelINS1_18TensorListMetadataILi2EEENS1_14UnaryOpFunctorIN3c107complexIfEELi2ELi1ELi1EEEJNS0_4AcosIS8_EEEEEvT_T0_DpT1_
    .private_segment_fixed_size: 16
    .sgpr_count:     98
    .sgpr_spill_count: 0
    .symbol:         _ZN2at6native12_GLOBAL__N_125multi_tensor_apply_kernelINS1_18TensorListMetadataILi2EEENS1_14UnaryOpFunctorIN3c107complexIfEELi2ELi1ELi1EEEJNS0_4AcosIS8_EEEEEvT_T0_DpT1_.kd
    .uniform_work_group_size: 1
    .uses_dynamic_stack: false
    .vgpr_count:     78
    .vgpr_spill_count: 0
    .wavefront_size: 64
  - .agpr_count:     0
    .args:
      - .offset:         0
        .size:           3144
        .value_kind:     by_value
      - .offset:         3144
        .size:           1
        .value_kind:     by_value
      - .offset:         3145
        .size:           1
        .value_kind:     by_value
      - .offset:         3152
        .size:           4
        .value_kind:     hidden_block_count_x
      - .offset:         3156
        .size:           4
        .value_kind:     hidden_block_count_y
      - .offset:         3160
        .size:           4
        .value_kind:     hidden_block_count_z
      - .offset:         3164
        .size:           2
        .value_kind:     hidden_group_size_x
      - .offset:         3166
        .size:           2
        .value_kind:     hidden_group_size_y
      - .offset:         3168
        .size:           2
        .value_kind:     hidden_group_size_z
      - .offset:         3170
        .size:           2
        .value_kind:     hidden_remainder_x
      - .offset:         3172
        .size:           2
        .value_kind:     hidden_remainder_y
      - .offset:         3174
        .size:           2
        .value_kind:     hidden_remainder_z
      - .offset:         3192
        .size:           8
        .value_kind:     hidden_global_offset_x
      - .offset:         3200
        .size:           8
        .value_kind:     hidden_global_offset_y
      - .offset:         3208
        .size:           8
        .value_kind:     hidden_global_offset_z
      - .offset:         3216
        .size:           2
        .value_kind:     hidden_grid_dims
    .group_segment_fixed_size: 0
    .kernarg_segment_align: 8
    .kernarg_segment_size: 3408
    .language:       OpenCL C
    .language_version:
      - 2
      - 0
    .max_flat_workgroup_size: 512
    .name:           _ZN2at6native12_GLOBAL__N_125multi_tensor_apply_kernelINS1_18TensorListMetadataILi2EEENS1_14UnaryOpFunctorIN3c104HalfELi2ELi1ELi1EEEJNS0_4AcosIfEEEEEvT_T0_DpT1_
    .private_segment_fixed_size: 0
    .sgpr_count:     48
    .sgpr_spill_count: 0
    .symbol:         _ZN2at6native12_GLOBAL__N_125multi_tensor_apply_kernelINS1_18TensorListMetadataILi2EEENS1_14UnaryOpFunctorIN3c104HalfELi2ELi1ELi1EEEJNS0_4AcosIfEEEEEvT_T0_DpT1_.kd
    .uniform_work_group_size: 1
    .uses_dynamic_stack: false
    .vgpr_count:     36
    .vgpr_spill_count: 0
    .wavefront_size: 64
  - .agpr_count:     0
    .args:
      - .offset:         0
        .size:           3144
        .value_kind:     by_value
      - .offset:         3144
        .size:           1
        .value_kind:     by_value
      - .offset:         3145
        .size:           1
        .value_kind:     by_value
      - .offset:         3152
        .size:           4
        .value_kind:     hidden_block_count_x
      - .offset:         3156
        .size:           4
        .value_kind:     hidden_block_count_y
      - .offset:         3160
        .size:           4
        .value_kind:     hidden_block_count_z
      - .offset:         3164
        .size:           2
        .value_kind:     hidden_group_size_x
      - .offset:         3166
        .size:           2
        .value_kind:     hidden_group_size_y
      - .offset:         3168
        .size:           2
        .value_kind:     hidden_group_size_z
      - .offset:         3170
        .size:           2
        .value_kind:     hidden_remainder_x
      - .offset:         3172
        .size:           2
        .value_kind:     hidden_remainder_y
      - .offset:         3174
        .size:           2
        .value_kind:     hidden_remainder_z
      - .offset:         3192
        .size:           8
        .value_kind:     hidden_global_offset_x
      - .offset:         3200
        .size:           8
        .value_kind:     hidden_global_offset_y
      - .offset:         3208
        .size:           8
        .value_kind:     hidden_global_offset_z
      - .offset:         3216
        .size:           2
        .value_kind:     hidden_grid_dims
    .group_segment_fixed_size: 0
    .kernarg_segment_align: 8
    .kernarg_segment_size: 3408
    .language:       OpenCL C
    .language_version:
      - 2
      - 0
    .max_flat_workgroup_size: 512
    .name:           _ZN2at6native12_GLOBAL__N_125multi_tensor_apply_kernelINS1_18TensorListMetadataILi2EEENS1_14UnaryOpFunctorIN3c108BFloat16ELi2ELi1ELi1EEEJNS0_4AcosIfEEEEEvT_T0_DpT1_
    .private_segment_fixed_size: 0
    .sgpr_count:     44
    .sgpr_spill_count: 0
    .symbol:         _ZN2at6native12_GLOBAL__N_125multi_tensor_apply_kernelINS1_18TensorListMetadataILi2EEENS1_14UnaryOpFunctorIN3c108BFloat16ELi2ELi1ELi1EEEJNS0_4AcosIfEEEEEvT_T0_DpT1_.kd
    .uniform_work_group_size: 1
    .uses_dynamic_stack: false
    .vgpr_count:     35
    .vgpr_spill_count: 0
    .wavefront_size: 64
  - .agpr_count:     0
    .args:
      - .offset:         0
        .size:           3368
        .value_kind:     by_value
      - .offset:         3368
        .size:           1
        .value_kind:     by_value
      - .offset:         3369
        .size:           1
        .value_kind:     by_value
      - .offset:         3376
        .size:           4
        .value_kind:     hidden_block_count_x
      - .offset:         3380
        .size:           4
        .value_kind:     hidden_block_count_y
      - .offset:         3384
        .size:           4
        .value_kind:     hidden_block_count_z
      - .offset:         3388
        .size:           2
        .value_kind:     hidden_group_size_x
      - .offset:         3390
        .size:           2
        .value_kind:     hidden_group_size_y
      - .offset:         3392
        .size:           2
        .value_kind:     hidden_group_size_z
      - .offset:         3394
        .size:           2
        .value_kind:     hidden_remainder_x
      - .offset:         3396
        .size:           2
        .value_kind:     hidden_remainder_y
      - .offset:         3398
        .size:           2
        .value_kind:     hidden_remainder_z
      - .offset:         3416
        .size:           8
        .value_kind:     hidden_global_offset_x
      - .offset:         3424
        .size:           8
        .value_kind:     hidden_global_offset_y
      - .offset:         3432
        .size:           8
        .value_kind:     hidden_global_offset_z
      - .offset:         3440
        .size:           2
        .value_kind:     hidden_grid_dims
    .group_segment_fixed_size: 0
    .kernarg_segment_align: 8
    .kernarg_segment_size: 3632
    .language:       OpenCL C
    .language_version:
      - 2
      - 0
    .max_flat_workgroup_size: 512
    .name:           _ZN2at6native12_GLOBAL__N_125multi_tensor_apply_kernelINS1_18TensorListMetadataILi1EEENS1_14UnaryOpFunctorIdLi1ELi1ELi0EEEJNS0_4AcosIdEEEEEvT_T0_DpT1_
    .private_segment_fixed_size: 0
    .sgpr_count:     40
    .sgpr_spill_count: 0
    .symbol:         _ZN2at6native12_GLOBAL__N_125multi_tensor_apply_kernelINS1_18TensorListMetadataILi1EEENS1_14UnaryOpFunctorIdLi1ELi1ELi0EEEJNS0_4AcosIdEEEEEvT_T0_DpT1_.kd
    .uniform_work_group_size: 1
    .uses_dynamic_stack: false
    .vgpr_count:     62
    .vgpr_spill_count: 0
    .wavefront_size: 64
  - .agpr_count:     0
    .args:
      - .offset:         0
        .size:           3368
        .value_kind:     by_value
      - .offset:         3368
        .size:           1
        .value_kind:     by_value
      - .offset:         3369
        .size:           1
        .value_kind:     by_value
      - .offset:         3376
        .size:           4
        .value_kind:     hidden_block_count_x
      - .offset:         3380
        .size:           4
        .value_kind:     hidden_block_count_y
      - .offset:         3384
        .size:           4
        .value_kind:     hidden_block_count_z
      - .offset:         3388
        .size:           2
        .value_kind:     hidden_group_size_x
      - .offset:         3390
        .size:           2
        .value_kind:     hidden_group_size_y
      - .offset:         3392
        .size:           2
        .value_kind:     hidden_group_size_z
      - .offset:         3394
        .size:           2
        .value_kind:     hidden_remainder_x
      - .offset:         3396
        .size:           2
        .value_kind:     hidden_remainder_y
      - .offset:         3398
        .size:           2
        .value_kind:     hidden_remainder_z
      - .offset:         3416
        .size:           8
        .value_kind:     hidden_global_offset_x
      - .offset:         3424
        .size:           8
        .value_kind:     hidden_global_offset_y
      - .offset:         3432
        .size:           8
        .value_kind:     hidden_global_offset_z
      - .offset:         3440
        .size:           2
        .value_kind:     hidden_grid_dims
    .group_segment_fixed_size: 0
    .kernarg_segment_align: 8
    .kernarg_segment_size: 3632
    .language:       OpenCL C
    .language_version:
      - 2
      - 0
    .max_flat_workgroup_size: 512
    .name:           _ZN2at6native12_GLOBAL__N_125multi_tensor_apply_kernelINS1_18TensorListMetadataILi1EEENS1_14UnaryOpFunctorIfLi1ELi1ELi0EEEJNS0_4AcosIfEEEEEvT_T0_DpT1_
    .private_segment_fixed_size: 0
    .sgpr_count:     32
    .sgpr_spill_count: 0
    .symbol:         _ZN2at6native12_GLOBAL__N_125multi_tensor_apply_kernelINS1_18TensorListMetadataILi1EEENS1_14UnaryOpFunctorIfLi1ELi1ELi0EEEJNS0_4AcosIfEEEEEvT_T0_DpT1_.kd
    .uniform_work_group_size: 1
    .uses_dynamic_stack: false
    .vgpr_count:     25
    .vgpr_spill_count: 0
    .wavefront_size: 64
  - .agpr_count:     0
    .args:
      - .offset:         0
        .size:           3368
        .value_kind:     by_value
      - .offset:         3368
        .size:           1
        .value_kind:     by_value
      - .offset:         3369
        .size:           1
        .value_kind:     by_value
      - .offset:         3376
        .size:           4
        .value_kind:     hidden_block_count_x
      - .offset:         3380
        .size:           4
        .value_kind:     hidden_block_count_y
      - .offset:         3384
        .size:           4
        .value_kind:     hidden_block_count_z
      - .offset:         3388
        .size:           2
        .value_kind:     hidden_group_size_x
      - .offset:         3390
        .size:           2
        .value_kind:     hidden_group_size_y
      - .offset:         3392
        .size:           2
        .value_kind:     hidden_group_size_z
      - .offset:         3394
        .size:           2
        .value_kind:     hidden_remainder_x
      - .offset:         3396
        .size:           2
        .value_kind:     hidden_remainder_y
      - .offset:         3398
        .size:           2
        .value_kind:     hidden_remainder_z
      - .offset:         3416
        .size:           8
        .value_kind:     hidden_global_offset_x
      - .offset:         3424
        .size:           8
        .value_kind:     hidden_global_offset_y
      - .offset:         3432
        .size:           8
        .value_kind:     hidden_global_offset_z
      - .offset:         3440
        .size:           2
        .value_kind:     hidden_grid_dims
    .group_segment_fixed_size: 0
    .kernarg_segment_align: 8
    .kernarg_segment_size: 3632
    .language:       OpenCL C
    .language_version:
      - 2
      - 0
    .max_flat_workgroup_size: 512
    .name:           _ZN2at6native12_GLOBAL__N_125multi_tensor_apply_kernelINS1_18TensorListMetadataILi1EEENS1_14UnaryOpFunctorIN3c107complexIdEELi1ELi1ELi0EEEJNS0_4AcosIS8_EEEEEvT_T0_DpT1_
    .private_segment_fixed_size: 24
    .sgpr_count:     64
    .sgpr_spill_count: 0
    .symbol:         _ZN2at6native12_GLOBAL__N_125multi_tensor_apply_kernelINS1_18TensorListMetadataILi1EEENS1_14UnaryOpFunctorIN3c107complexIdEELi1ELi1ELi0EEEJNS0_4AcosIS8_EEEEEvT_T0_DpT1_.kd
    .uniform_work_group_size: 1
    .uses_dynamic_stack: false
    .vgpr_count:     73
    .vgpr_spill_count: 0
    .wavefront_size: 64
  - .agpr_count:     0
    .args:
      - .offset:         0
        .size:           3368
        .value_kind:     by_value
      - .offset:         3368
        .size:           1
        .value_kind:     by_value
      - .offset:         3369
        .size:           1
        .value_kind:     by_value
      - .offset:         3376
        .size:           4
        .value_kind:     hidden_block_count_x
      - .offset:         3380
        .size:           4
        .value_kind:     hidden_block_count_y
      - .offset:         3384
        .size:           4
        .value_kind:     hidden_block_count_z
      - .offset:         3388
        .size:           2
        .value_kind:     hidden_group_size_x
      - .offset:         3390
        .size:           2
        .value_kind:     hidden_group_size_y
      - .offset:         3392
        .size:           2
        .value_kind:     hidden_group_size_z
      - .offset:         3394
        .size:           2
        .value_kind:     hidden_remainder_x
      - .offset:         3396
        .size:           2
        .value_kind:     hidden_remainder_y
      - .offset:         3398
        .size:           2
        .value_kind:     hidden_remainder_z
      - .offset:         3416
        .size:           8
        .value_kind:     hidden_global_offset_x
      - .offset:         3424
        .size:           8
        .value_kind:     hidden_global_offset_y
      - .offset:         3432
        .size:           8
        .value_kind:     hidden_global_offset_z
      - .offset:         3440
        .size:           2
        .value_kind:     hidden_grid_dims
    .group_segment_fixed_size: 0
    .kernarg_segment_align: 8
    .kernarg_segment_size: 3632
    .language:       OpenCL C
    .language_version:
      - 2
      - 0
    .max_flat_workgroup_size: 512
    .name:           _ZN2at6native12_GLOBAL__N_125multi_tensor_apply_kernelINS1_18TensorListMetadataILi1EEENS1_14UnaryOpFunctorIN3c107complexIfEELi1ELi1ELi0EEEJNS0_4AcosIS8_EEEEEvT_T0_DpT1_
    .private_segment_fixed_size: 16
    .sgpr_count:     94
    .sgpr_spill_count: 0
    .symbol:         _ZN2at6native12_GLOBAL__N_125multi_tensor_apply_kernelINS1_18TensorListMetadataILi1EEENS1_14UnaryOpFunctorIN3c107complexIfEELi1ELi1ELi0EEEJNS0_4AcosIS8_EEEEEvT_T0_DpT1_.kd
    .uniform_work_group_size: 1
    .uses_dynamic_stack: false
    .vgpr_count:     74
    .vgpr_spill_count: 0
    .wavefront_size: 64
  - .agpr_count:     0
    .args:
      - .offset:         0
        .size:           3368
        .value_kind:     by_value
      - .offset:         3368
        .size:           1
        .value_kind:     by_value
      - .offset:         3369
        .size:           1
        .value_kind:     by_value
      - .offset:         3376
        .size:           4
        .value_kind:     hidden_block_count_x
      - .offset:         3380
        .size:           4
        .value_kind:     hidden_block_count_y
      - .offset:         3384
        .size:           4
        .value_kind:     hidden_block_count_z
      - .offset:         3388
        .size:           2
        .value_kind:     hidden_group_size_x
      - .offset:         3390
        .size:           2
        .value_kind:     hidden_group_size_y
      - .offset:         3392
        .size:           2
        .value_kind:     hidden_group_size_z
      - .offset:         3394
        .size:           2
        .value_kind:     hidden_remainder_x
      - .offset:         3396
        .size:           2
        .value_kind:     hidden_remainder_y
      - .offset:         3398
        .size:           2
        .value_kind:     hidden_remainder_z
      - .offset:         3416
        .size:           8
        .value_kind:     hidden_global_offset_x
      - .offset:         3424
        .size:           8
        .value_kind:     hidden_global_offset_y
      - .offset:         3432
        .size:           8
        .value_kind:     hidden_global_offset_z
      - .offset:         3440
        .size:           2
        .value_kind:     hidden_grid_dims
    .group_segment_fixed_size: 0
    .kernarg_segment_align: 8
    .kernarg_segment_size: 3632
    .language:       OpenCL C
    .language_version:
      - 2
      - 0
    .max_flat_workgroup_size: 512
    .name:           _ZN2at6native12_GLOBAL__N_125multi_tensor_apply_kernelINS1_18TensorListMetadataILi1EEENS1_14UnaryOpFunctorIN3c104HalfELi1ELi1ELi0EEEJNS0_4AcosIfEEEEEvT_T0_DpT1_
    .private_segment_fixed_size: 0
    .sgpr_count:     32
    .sgpr_spill_count: 0
    .symbol:         _ZN2at6native12_GLOBAL__N_125multi_tensor_apply_kernelINS1_18TensorListMetadataILi1EEENS1_14UnaryOpFunctorIN3c104HalfELi1ELi1ELi0EEEJNS0_4AcosIfEEEEEvT_T0_DpT1_.kd
    .uniform_work_group_size: 1
    .uses_dynamic_stack: false
    .vgpr_count:     28
    .vgpr_spill_count: 0
    .wavefront_size: 64
  - .agpr_count:     0
    .args:
      - .offset:         0
        .size:           3368
        .value_kind:     by_value
      - .offset:         3368
        .size:           1
        .value_kind:     by_value
      - .offset:         3369
        .size:           1
        .value_kind:     by_value
      - .offset:         3376
        .size:           4
        .value_kind:     hidden_block_count_x
      - .offset:         3380
        .size:           4
        .value_kind:     hidden_block_count_y
      - .offset:         3384
        .size:           4
        .value_kind:     hidden_block_count_z
      - .offset:         3388
        .size:           2
        .value_kind:     hidden_group_size_x
      - .offset:         3390
        .size:           2
        .value_kind:     hidden_group_size_y
      - .offset:         3392
        .size:           2
        .value_kind:     hidden_group_size_z
      - .offset:         3394
        .size:           2
        .value_kind:     hidden_remainder_x
      - .offset:         3396
        .size:           2
        .value_kind:     hidden_remainder_y
      - .offset:         3398
        .size:           2
        .value_kind:     hidden_remainder_z
      - .offset:         3416
        .size:           8
        .value_kind:     hidden_global_offset_x
      - .offset:         3424
        .size:           8
        .value_kind:     hidden_global_offset_y
      - .offset:         3432
        .size:           8
        .value_kind:     hidden_global_offset_z
      - .offset:         3440
        .size:           2
        .value_kind:     hidden_grid_dims
    .group_segment_fixed_size: 0
    .kernarg_segment_align: 8
    .kernarg_segment_size: 3632
    .language:       OpenCL C
    .language_version:
      - 2
      - 0
    .max_flat_workgroup_size: 512
    .name:           _ZN2at6native12_GLOBAL__N_125multi_tensor_apply_kernelINS1_18TensorListMetadataILi1EEENS1_14UnaryOpFunctorIN3c108BFloat16ELi1ELi1ELi0EEEJNS0_4AcosIfEEEEEvT_T0_DpT1_
    .private_segment_fixed_size: 0
    .sgpr_count:     32
    .sgpr_spill_count: 0
    .symbol:         _ZN2at6native12_GLOBAL__N_125multi_tensor_apply_kernelINS1_18TensorListMetadataILi1EEENS1_14UnaryOpFunctorIN3c108BFloat16ELi1ELi1ELi0EEEJNS0_4AcosIfEEEEEvT_T0_DpT1_.kd
    .uniform_work_group_size: 1
    .uses_dynamic_stack: false
    .vgpr_count:     26
    .vgpr_spill_count: 0
    .wavefront_size: 64
  - .agpr_count:     0
    .args:
      - .offset:         0
        .size:           3144
        .value_kind:     by_value
      - .offset:         3144
        .size:           1
        .value_kind:     by_value
      - .offset:         3145
        .size:           1
        .value_kind:     by_value
      - .offset:         3152
        .size:           4
        .value_kind:     hidden_block_count_x
      - .offset:         3156
        .size:           4
        .value_kind:     hidden_block_count_y
      - .offset:         3160
        .size:           4
        .value_kind:     hidden_block_count_z
      - .offset:         3164
        .size:           2
        .value_kind:     hidden_group_size_x
      - .offset:         3166
        .size:           2
        .value_kind:     hidden_group_size_y
      - .offset:         3168
        .size:           2
        .value_kind:     hidden_group_size_z
      - .offset:         3170
        .size:           2
        .value_kind:     hidden_remainder_x
      - .offset:         3172
        .size:           2
        .value_kind:     hidden_remainder_y
      - .offset:         3174
        .size:           2
        .value_kind:     hidden_remainder_z
      - .offset:         3192
        .size:           8
        .value_kind:     hidden_global_offset_x
      - .offset:         3200
        .size:           8
        .value_kind:     hidden_global_offset_y
      - .offset:         3208
        .size:           8
        .value_kind:     hidden_global_offset_z
      - .offset:         3216
        .size:           2
        .value_kind:     hidden_grid_dims
    .group_segment_fixed_size: 0
    .kernarg_segment_align: 8
    .kernarg_segment_size: 3408
    .language:       OpenCL C
    .language_version:
      - 2
      - 0
    .max_flat_workgroup_size: 512
    .name:           _ZN2at6native12_GLOBAL__N_125multi_tensor_apply_kernelINS1_18TensorListMetadataILi2EEENS1_14UnaryOpFunctorIdLi2ELi1ELi1EEEJNS0_4AsinIdEEEEEvT_T0_DpT1_
    .private_segment_fixed_size: 0
    .sgpr_count:     36
    .sgpr_spill_count: 0
    .symbol:         _ZN2at6native12_GLOBAL__N_125multi_tensor_apply_kernelINS1_18TensorListMetadataILi2EEENS1_14UnaryOpFunctorIdLi2ELi1ELi1EEEJNS0_4AsinIdEEEEEvT_T0_DpT1_.kd
    .uniform_work_group_size: 1
    .uses_dynamic_stack: false
    .vgpr_count:     74
    .vgpr_spill_count: 0
    .wavefront_size: 64
  - .agpr_count:     0
    .args:
      - .offset:         0
        .size:           3144
        .value_kind:     by_value
      - .offset:         3144
        .size:           1
        .value_kind:     by_value
      - .offset:         3145
        .size:           1
        .value_kind:     by_value
      - .offset:         3152
        .size:           4
        .value_kind:     hidden_block_count_x
      - .offset:         3156
        .size:           4
        .value_kind:     hidden_block_count_y
      - .offset:         3160
        .size:           4
        .value_kind:     hidden_block_count_z
      - .offset:         3164
        .size:           2
        .value_kind:     hidden_group_size_x
      - .offset:         3166
        .size:           2
        .value_kind:     hidden_group_size_y
      - .offset:         3168
        .size:           2
        .value_kind:     hidden_group_size_z
      - .offset:         3170
        .size:           2
        .value_kind:     hidden_remainder_x
      - .offset:         3172
        .size:           2
        .value_kind:     hidden_remainder_y
      - .offset:         3174
        .size:           2
        .value_kind:     hidden_remainder_z
      - .offset:         3192
        .size:           8
        .value_kind:     hidden_global_offset_x
      - .offset:         3200
        .size:           8
        .value_kind:     hidden_global_offset_y
      - .offset:         3208
        .size:           8
        .value_kind:     hidden_global_offset_z
      - .offset:         3216
        .size:           2
        .value_kind:     hidden_grid_dims
    .group_segment_fixed_size: 0
    .kernarg_segment_align: 8
    .kernarg_segment_size: 3408
    .language:       OpenCL C
    .language_version:
      - 2
      - 0
    .max_flat_workgroup_size: 512
    .name:           _ZN2at6native12_GLOBAL__N_125multi_tensor_apply_kernelINS1_18TensorListMetadataILi2EEENS1_14UnaryOpFunctorIfLi2ELi1ELi1EEEJNS0_4AsinIfEEEEEvT_T0_DpT1_
    .private_segment_fixed_size: 0
    .sgpr_count:     40
    .sgpr_spill_count: 0
    .symbol:         _ZN2at6native12_GLOBAL__N_125multi_tensor_apply_kernelINS1_18TensorListMetadataILi2EEENS1_14UnaryOpFunctorIfLi2ELi1ELi1EEEJNS0_4AsinIfEEEEEvT_T0_DpT1_.kd
    .uniform_work_group_size: 1
    .uses_dynamic_stack: false
    .vgpr_count:     34
    .vgpr_spill_count: 0
    .wavefront_size: 64
  - .agpr_count:     0
    .args:
      - .offset:         0
        .size:           3144
        .value_kind:     by_value
      - .offset:         3144
        .size:           1
        .value_kind:     by_value
      - .offset:         3145
        .size:           1
        .value_kind:     by_value
      - .offset:         3152
        .size:           4
        .value_kind:     hidden_block_count_x
      - .offset:         3156
        .size:           4
        .value_kind:     hidden_block_count_y
      - .offset:         3160
        .size:           4
        .value_kind:     hidden_block_count_z
      - .offset:         3164
        .size:           2
        .value_kind:     hidden_group_size_x
      - .offset:         3166
        .size:           2
        .value_kind:     hidden_group_size_y
      - .offset:         3168
        .size:           2
        .value_kind:     hidden_group_size_z
      - .offset:         3170
        .size:           2
        .value_kind:     hidden_remainder_x
      - .offset:         3172
        .size:           2
        .value_kind:     hidden_remainder_y
      - .offset:         3174
        .size:           2
        .value_kind:     hidden_remainder_z
      - .offset:         3192
        .size:           8
        .value_kind:     hidden_global_offset_x
      - .offset:         3200
        .size:           8
        .value_kind:     hidden_global_offset_y
      - .offset:         3208
        .size:           8
        .value_kind:     hidden_global_offset_z
      - .offset:         3216
        .size:           2
        .value_kind:     hidden_grid_dims
    .group_segment_fixed_size: 0
    .kernarg_segment_align: 8
    .kernarg_segment_size: 3408
    .language:       OpenCL C
    .language_version:
      - 2
      - 0
    .max_flat_workgroup_size: 512
    .name:           _ZN2at6native12_GLOBAL__N_125multi_tensor_apply_kernelINS1_18TensorListMetadataILi2EEENS1_14UnaryOpFunctorIN3c107complexIdEELi2ELi1ELi1EEEJNS0_4AsinIS8_EEEEEvT_T0_DpT1_
    .private_segment_fixed_size: 12
    .sgpr_count:     66
    .sgpr_spill_count: 0
    .symbol:         _ZN2at6native12_GLOBAL__N_125multi_tensor_apply_kernelINS1_18TensorListMetadataILi2EEENS1_14UnaryOpFunctorIN3c107complexIdEELi2ELi1ELi1EEEJNS0_4AsinIS8_EEEEEvT_T0_DpT1_.kd
    .uniform_work_group_size: 1
    .uses_dynamic_stack: false
    .vgpr_count:     78
    .vgpr_spill_count: 0
    .wavefront_size: 64
  - .agpr_count:     0
    .args:
      - .offset:         0
        .size:           3144
        .value_kind:     by_value
      - .offset:         3144
        .size:           1
        .value_kind:     by_value
      - .offset:         3145
        .size:           1
        .value_kind:     by_value
      - .offset:         3152
        .size:           4
        .value_kind:     hidden_block_count_x
      - .offset:         3156
        .size:           4
        .value_kind:     hidden_block_count_y
      - .offset:         3160
        .size:           4
        .value_kind:     hidden_block_count_z
      - .offset:         3164
        .size:           2
        .value_kind:     hidden_group_size_x
      - .offset:         3166
        .size:           2
        .value_kind:     hidden_group_size_y
      - .offset:         3168
        .size:           2
        .value_kind:     hidden_group_size_z
      - .offset:         3170
        .size:           2
        .value_kind:     hidden_remainder_x
      - .offset:         3172
        .size:           2
        .value_kind:     hidden_remainder_y
      - .offset:         3174
        .size:           2
        .value_kind:     hidden_remainder_z
      - .offset:         3192
        .size:           8
        .value_kind:     hidden_global_offset_x
      - .offset:         3200
        .size:           8
        .value_kind:     hidden_global_offset_y
      - .offset:         3208
        .size:           8
        .value_kind:     hidden_global_offset_z
      - .offset:         3216
        .size:           2
        .value_kind:     hidden_grid_dims
    .group_segment_fixed_size: 0
    .kernarg_segment_align: 8
    .kernarg_segment_size: 3408
    .language:       OpenCL C
    .language_version:
      - 2
      - 0
    .max_flat_workgroup_size: 512
    .name:           _ZN2at6native12_GLOBAL__N_125multi_tensor_apply_kernelINS1_18TensorListMetadataILi2EEENS1_14UnaryOpFunctorIN3c107complexIfEELi2ELi1ELi1EEEJNS0_4AsinIS8_EEEEEvT_T0_DpT1_
    .private_segment_fixed_size: 12
    .sgpr_count:     86
    .sgpr_spill_count: 0
    .symbol:         _ZN2at6native12_GLOBAL__N_125multi_tensor_apply_kernelINS1_18TensorListMetadataILi2EEENS1_14UnaryOpFunctorIN3c107complexIfEELi2ELi1ELi1EEEJNS0_4AsinIS8_EEEEEvT_T0_DpT1_.kd
    .uniform_work_group_size: 1
    .uses_dynamic_stack: false
    .vgpr_count:     82
    .vgpr_spill_count: 0
    .wavefront_size: 64
  - .agpr_count:     0
    .args:
      - .offset:         0
        .size:           3144
        .value_kind:     by_value
      - .offset:         3144
        .size:           1
        .value_kind:     by_value
      - .offset:         3145
        .size:           1
        .value_kind:     by_value
      - .offset:         3152
        .size:           4
        .value_kind:     hidden_block_count_x
      - .offset:         3156
        .size:           4
        .value_kind:     hidden_block_count_y
      - .offset:         3160
        .size:           4
        .value_kind:     hidden_block_count_z
      - .offset:         3164
        .size:           2
        .value_kind:     hidden_group_size_x
      - .offset:         3166
        .size:           2
        .value_kind:     hidden_group_size_y
      - .offset:         3168
        .size:           2
        .value_kind:     hidden_group_size_z
      - .offset:         3170
        .size:           2
        .value_kind:     hidden_remainder_x
      - .offset:         3172
        .size:           2
        .value_kind:     hidden_remainder_y
      - .offset:         3174
        .size:           2
        .value_kind:     hidden_remainder_z
      - .offset:         3192
        .size:           8
        .value_kind:     hidden_global_offset_x
      - .offset:         3200
        .size:           8
        .value_kind:     hidden_global_offset_y
      - .offset:         3208
        .size:           8
        .value_kind:     hidden_global_offset_z
      - .offset:         3216
        .size:           2
        .value_kind:     hidden_grid_dims
    .group_segment_fixed_size: 0
    .kernarg_segment_align: 8
    .kernarg_segment_size: 3408
    .language:       OpenCL C
    .language_version:
      - 2
      - 0
    .max_flat_workgroup_size: 512
    .name:           _ZN2at6native12_GLOBAL__N_125multi_tensor_apply_kernelINS1_18TensorListMetadataILi2EEENS1_14UnaryOpFunctorIN3c104HalfELi2ELi1ELi1EEEJNS0_4AsinIfEEEEEvT_T0_DpT1_
    .private_segment_fixed_size: 0
    .sgpr_count:     36
    .sgpr_spill_count: 0
    .symbol:         _ZN2at6native12_GLOBAL__N_125multi_tensor_apply_kernelINS1_18TensorListMetadataILi2EEENS1_14UnaryOpFunctorIN3c104HalfELi2ELi1ELi1EEEJNS0_4AsinIfEEEEEvT_T0_DpT1_.kd
    .uniform_work_group_size: 1
    .uses_dynamic_stack: false
    .vgpr_count:     37
    .vgpr_spill_count: 0
    .wavefront_size: 64
  - .agpr_count:     0
    .args:
      - .offset:         0
        .size:           3144
        .value_kind:     by_value
      - .offset:         3144
        .size:           1
        .value_kind:     by_value
      - .offset:         3145
        .size:           1
        .value_kind:     by_value
      - .offset:         3152
        .size:           4
        .value_kind:     hidden_block_count_x
      - .offset:         3156
        .size:           4
        .value_kind:     hidden_block_count_y
      - .offset:         3160
        .size:           4
        .value_kind:     hidden_block_count_z
      - .offset:         3164
        .size:           2
        .value_kind:     hidden_group_size_x
      - .offset:         3166
        .size:           2
        .value_kind:     hidden_group_size_y
      - .offset:         3168
        .size:           2
        .value_kind:     hidden_group_size_z
      - .offset:         3170
        .size:           2
        .value_kind:     hidden_remainder_x
      - .offset:         3172
        .size:           2
        .value_kind:     hidden_remainder_y
      - .offset:         3174
        .size:           2
        .value_kind:     hidden_remainder_z
      - .offset:         3192
        .size:           8
        .value_kind:     hidden_global_offset_x
      - .offset:         3200
        .size:           8
        .value_kind:     hidden_global_offset_y
      - .offset:         3208
        .size:           8
        .value_kind:     hidden_global_offset_z
      - .offset:         3216
        .size:           2
        .value_kind:     hidden_grid_dims
    .group_segment_fixed_size: 0
    .kernarg_segment_align: 8
    .kernarg_segment_size: 3408
    .language:       OpenCL C
    .language_version:
      - 2
      - 0
    .max_flat_workgroup_size: 512
    .name:           _ZN2at6native12_GLOBAL__N_125multi_tensor_apply_kernelINS1_18TensorListMetadataILi2EEENS1_14UnaryOpFunctorIN3c108BFloat16ELi2ELi1ELi1EEEJNS0_4AsinIfEEEEEvT_T0_DpT1_
    .private_segment_fixed_size: 0
    .sgpr_count:     34
    .sgpr_spill_count: 0
    .symbol:         _ZN2at6native12_GLOBAL__N_125multi_tensor_apply_kernelINS1_18TensorListMetadataILi2EEENS1_14UnaryOpFunctorIN3c108BFloat16ELi2ELi1ELi1EEEJNS0_4AsinIfEEEEEvT_T0_DpT1_.kd
    .uniform_work_group_size: 1
    .uses_dynamic_stack: false
    .vgpr_count:     36
    .vgpr_spill_count: 0
    .wavefront_size: 64
  - .agpr_count:     0
    .args:
      - .offset:         0
        .size:           3368
        .value_kind:     by_value
      - .offset:         3368
        .size:           1
        .value_kind:     by_value
      - .offset:         3369
        .size:           1
        .value_kind:     by_value
      - .offset:         3376
        .size:           4
        .value_kind:     hidden_block_count_x
      - .offset:         3380
        .size:           4
        .value_kind:     hidden_block_count_y
      - .offset:         3384
        .size:           4
        .value_kind:     hidden_block_count_z
      - .offset:         3388
        .size:           2
        .value_kind:     hidden_group_size_x
      - .offset:         3390
        .size:           2
        .value_kind:     hidden_group_size_y
      - .offset:         3392
        .size:           2
        .value_kind:     hidden_group_size_z
      - .offset:         3394
        .size:           2
        .value_kind:     hidden_remainder_x
      - .offset:         3396
        .size:           2
        .value_kind:     hidden_remainder_y
      - .offset:         3398
        .size:           2
        .value_kind:     hidden_remainder_z
      - .offset:         3416
        .size:           8
        .value_kind:     hidden_global_offset_x
      - .offset:         3424
        .size:           8
        .value_kind:     hidden_global_offset_y
      - .offset:         3432
        .size:           8
        .value_kind:     hidden_global_offset_z
      - .offset:         3440
        .size:           2
        .value_kind:     hidden_grid_dims
    .group_segment_fixed_size: 0
    .kernarg_segment_align: 8
    .kernarg_segment_size: 3632
    .language:       OpenCL C
    .language_version:
      - 2
      - 0
    .max_flat_workgroup_size: 512
    .name:           _ZN2at6native12_GLOBAL__N_125multi_tensor_apply_kernelINS1_18TensorListMetadataILi1EEENS1_14UnaryOpFunctorIdLi1ELi1ELi0EEEJNS0_4AsinIdEEEEEvT_T0_DpT1_
    .private_segment_fixed_size: 0
    .sgpr_count:     41
    .sgpr_spill_count: 0
    .symbol:         _ZN2at6native12_GLOBAL__N_125multi_tensor_apply_kernelINS1_18TensorListMetadataILi1EEENS1_14UnaryOpFunctorIdLi1ELi1ELi0EEEJNS0_4AsinIdEEEEEvT_T0_DpT1_.kd
    .uniform_work_group_size: 1
    .uses_dynamic_stack: false
    .vgpr_count:     66
    .vgpr_spill_count: 0
    .wavefront_size: 64
  - .agpr_count:     0
    .args:
      - .offset:         0
        .size:           3368
        .value_kind:     by_value
      - .offset:         3368
        .size:           1
        .value_kind:     by_value
      - .offset:         3369
        .size:           1
        .value_kind:     by_value
      - .offset:         3376
        .size:           4
        .value_kind:     hidden_block_count_x
      - .offset:         3380
        .size:           4
        .value_kind:     hidden_block_count_y
      - .offset:         3384
        .size:           4
        .value_kind:     hidden_block_count_z
      - .offset:         3388
        .size:           2
        .value_kind:     hidden_group_size_x
      - .offset:         3390
        .size:           2
        .value_kind:     hidden_group_size_y
      - .offset:         3392
        .size:           2
        .value_kind:     hidden_group_size_z
      - .offset:         3394
        .size:           2
        .value_kind:     hidden_remainder_x
      - .offset:         3396
        .size:           2
        .value_kind:     hidden_remainder_y
      - .offset:         3398
        .size:           2
        .value_kind:     hidden_remainder_z
      - .offset:         3416
        .size:           8
        .value_kind:     hidden_global_offset_x
      - .offset:         3424
        .size:           8
        .value_kind:     hidden_global_offset_y
      - .offset:         3432
        .size:           8
        .value_kind:     hidden_global_offset_z
      - .offset:         3440
        .size:           2
        .value_kind:     hidden_grid_dims
    .group_segment_fixed_size: 0
    .kernarg_segment_align: 8
    .kernarg_segment_size: 3632
    .language:       OpenCL C
    .language_version:
      - 2
      - 0
    .max_flat_workgroup_size: 512
    .name:           _ZN2at6native12_GLOBAL__N_125multi_tensor_apply_kernelINS1_18TensorListMetadataILi1EEENS1_14UnaryOpFunctorIfLi1ELi1ELi0EEEJNS0_4AsinIfEEEEEvT_T0_DpT1_
    .private_segment_fixed_size: 0
    .sgpr_count:     33
    .sgpr_spill_count: 0
    .symbol:         _ZN2at6native12_GLOBAL__N_125multi_tensor_apply_kernelINS1_18TensorListMetadataILi1EEENS1_14UnaryOpFunctorIfLi1ELi1ELi0EEEJNS0_4AsinIfEEEEEvT_T0_DpT1_.kd
    .uniform_work_group_size: 1
    .uses_dynamic_stack: false
    .vgpr_count:     28
    .vgpr_spill_count: 0
    .wavefront_size: 64
  - .agpr_count:     0
    .args:
      - .offset:         0
        .size:           3368
        .value_kind:     by_value
      - .offset:         3368
        .size:           1
        .value_kind:     by_value
      - .offset:         3369
        .size:           1
        .value_kind:     by_value
      - .offset:         3376
        .size:           4
        .value_kind:     hidden_block_count_x
      - .offset:         3380
        .size:           4
        .value_kind:     hidden_block_count_y
      - .offset:         3384
        .size:           4
        .value_kind:     hidden_block_count_z
      - .offset:         3388
        .size:           2
        .value_kind:     hidden_group_size_x
      - .offset:         3390
        .size:           2
        .value_kind:     hidden_group_size_y
      - .offset:         3392
        .size:           2
        .value_kind:     hidden_group_size_z
      - .offset:         3394
        .size:           2
        .value_kind:     hidden_remainder_x
      - .offset:         3396
        .size:           2
        .value_kind:     hidden_remainder_y
      - .offset:         3398
        .size:           2
        .value_kind:     hidden_remainder_z
      - .offset:         3416
        .size:           8
        .value_kind:     hidden_global_offset_x
      - .offset:         3424
        .size:           8
        .value_kind:     hidden_global_offset_y
      - .offset:         3432
        .size:           8
        .value_kind:     hidden_global_offset_z
      - .offset:         3440
        .size:           2
        .value_kind:     hidden_grid_dims
    .group_segment_fixed_size: 0
    .kernarg_segment_align: 8
    .kernarg_segment_size: 3632
    .language:       OpenCL C
    .language_version:
      - 2
      - 0
    .max_flat_workgroup_size: 512
    .name:           _ZN2at6native12_GLOBAL__N_125multi_tensor_apply_kernelINS1_18TensorListMetadataILi1EEENS1_14UnaryOpFunctorIN3c107complexIdEELi1ELi1ELi0EEEJNS0_4AsinIS8_EEEEEvT_T0_DpT1_
    .private_segment_fixed_size: 12
    .sgpr_count:     62
    .sgpr_spill_count: 0
    .symbol:         _ZN2at6native12_GLOBAL__N_125multi_tensor_apply_kernelINS1_18TensorListMetadataILi1EEENS1_14UnaryOpFunctorIN3c107complexIdEELi1ELi1ELi0EEEJNS0_4AsinIS8_EEEEEvT_T0_DpT1_.kd
    .uniform_work_group_size: 1
    .uses_dynamic_stack: false
    .vgpr_count:     72
    .vgpr_spill_count: 0
    .wavefront_size: 64
  - .agpr_count:     0
    .args:
      - .offset:         0
        .size:           3368
        .value_kind:     by_value
      - .offset:         3368
        .size:           1
        .value_kind:     by_value
      - .offset:         3369
        .size:           1
        .value_kind:     by_value
      - .offset:         3376
        .size:           4
        .value_kind:     hidden_block_count_x
      - .offset:         3380
        .size:           4
        .value_kind:     hidden_block_count_y
      - .offset:         3384
        .size:           4
        .value_kind:     hidden_block_count_z
      - .offset:         3388
        .size:           2
        .value_kind:     hidden_group_size_x
      - .offset:         3390
        .size:           2
        .value_kind:     hidden_group_size_y
      - .offset:         3392
        .size:           2
        .value_kind:     hidden_group_size_z
      - .offset:         3394
        .size:           2
        .value_kind:     hidden_remainder_x
      - .offset:         3396
        .size:           2
        .value_kind:     hidden_remainder_y
      - .offset:         3398
        .size:           2
        .value_kind:     hidden_remainder_z
      - .offset:         3416
        .size:           8
        .value_kind:     hidden_global_offset_x
      - .offset:         3424
        .size:           8
        .value_kind:     hidden_global_offset_y
      - .offset:         3432
        .size:           8
        .value_kind:     hidden_global_offset_z
      - .offset:         3440
        .size:           2
        .value_kind:     hidden_grid_dims
    .group_segment_fixed_size: 0
    .kernarg_segment_align: 8
    .kernarg_segment_size: 3632
    .language:       OpenCL C
    .language_version:
      - 2
      - 0
    .max_flat_workgroup_size: 512
    .name:           _ZN2at6native12_GLOBAL__N_125multi_tensor_apply_kernelINS1_18TensorListMetadataILi1EEENS1_14UnaryOpFunctorIN3c107complexIfEELi1ELi1ELi0EEEJNS0_4AsinIS8_EEEEEvT_T0_DpT1_
    .private_segment_fixed_size: 12
    .sgpr_count:     90
    .sgpr_spill_count: 0
    .symbol:         _ZN2at6native12_GLOBAL__N_125multi_tensor_apply_kernelINS1_18TensorListMetadataILi1EEENS1_14UnaryOpFunctorIN3c107complexIfEELi1ELi1ELi0EEEJNS0_4AsinIS8_EEEEEvT_T0_DpT1_.kd
    .uniform_work_group_size: 1
    .uses_dynamic_stack: false
    .vgpr_count:     70
    .vgpr_spill_count: 0
    .wavefront_size: 64
  - .agpr_count:     0
    .args:
      - .offset:         0
        .size:           3368
        .value_kind:     by_value
      - .offset:         3368
        .size:           1
        .value_kind:     by_value
      - .offset:         3369
        .size:           1
        .value_kind:     by_value
      - .offset:         3376
        .size:           4
        .value_kind:     hidden_block_count_x
      - .offset:         3380
        .size:           4
        .value_kind:     hidden_block_count_y
      - .offset:         3384
        .size:           4
        .value_kind:     hidden_block_count_z
      - .offset:         3388
        .size:           2
        .value_kind:     hidden_group_size_x
      - .offset:         3390
        .size:           2
        .value_kind:     hidden_group_size_y
      - .offset:         3392
        .size:           2
        .value_kind:     hidden_group_size_z
      - .offset:         3394
        .size:           2
        .value_kind:     hidden_remainder_x
      - .offset:         3396
        .size:           2
        .value_kind:     hidden_remainder_y
      - .offset:         3398
        .size:           2
        .value_kind:     hidden_remainder_z
      - .offset:         3416
        .size:           8
        .value_kind:     hidden_global_offset_x
      - .offset:         3424
        .size:           8
        .value_kind:     hidden_global_offset_y
      - .offset:         3432
        .size:           8
        .value_kind:     hidden_global_offset_z
      - .offset:         3440
        .size:           2
        .value_kind:     hidden_grid_dims
    .group_segment_fixed_size: 0
    .kernarg_segment_align: 8
    .kernarg_segment_size: 3632
    .language:       OpenCL C
    .language_version:
      - 2
      - 0
    .max_flat_workgroup_size: 512
    .name:           _ZN2at6native12_GLOBAL__N_125multi_tensor_apply_kernelINS1_18TensorListMetadataILi1EEENS1_14UnaryOpFunctorIN3c104HalfELi1ELi1ELi0EEEJNS0_4AsinIfEEEEEvT_T0_DpT1_
    .private_segment_fixed_size: 0
    .sgpr_count:     33
    .sgpr_spill_count: 0
    .symbol:         _ZN2at6native12_GLOBAL__N_125multi_tensor_apply_kernelINS1_18TensorListMetadataILi1EEENS1_14UnaryOpFunctorIN3c104HalfELi1ELi1ELi0EEEJNS0_4AsinIfEEEEEvT_T0_DpT1_.kd
    .uniform_work_group_size: 1
    .uses_dynamic_stack: false
    .vgpr_count:     32
    .vgpr_spill_count: 0
    .wavefront_size: 64
  - .agpr_count:     0
    .args:
      - .offset:         0
        .size:           3368
        .value_kind:     by_value
      - .offset:         3368
        .size:           1
        .value_kind:     by_value
      - .offset:         3369
        .size:           1
        .value_kind:     by_value
      - .offset:         3376
        .size:           4
        .value_kind:     hidden_block_count_x
      - .offset:         3380
        .size:           4
        .value_kind:     hidden_block_count_y
      - .offset:         3384
        .size:           4
        .value_kind:     hidden_block_count_z
      - .offset:         3388
        .size:           2
        .value_kind:     hidden_group_size_x
      - .offset:         3390
        .size:           2
        .value_kind:     hidden_group_size_y
      - .offset:         3392
        .size:           2
        .value_kind:     hidden_group_size_z
      - .offset:         3394
        .size:           2
        .value_kind:     hidden_remainder_x
      - .offset:         3396
        .size:           2
        .value_kind:     hidden_remainder_y
      - .offset:         3398
        .size:           2
        .value_kind:     hidden_remainder_z
      - .offset:         3416
        .size:           8
        .value_kind:     hidden_global_offset_x
      - .offset:         3424
        .size:           8
        .value_kind:     hidden_global_offset_y
      - .offset:         3432
        .size:           8
        .value_kind:     hidden_global_offset_z
      - .offset:         3440
        .size:           2
        .value_kind:     hidden_grid_dims
    .group_segment_fixed_size: 0
    .kernarg_segment_align: 8
    .kernarg_segment_size: 3632
    .language:       OpenCL C
    .language_version:
      - 2
      - 0
    .max_flat_workgroup_size: 512
    .name:           _ZN2at6native12_GLOBAL__N_125multi_tensor_apply_kernelINS1_18TensorListMetadataILi1EEENS1_14UnaryOpFunctorIN3c108BFloat16ELi1ELi1ELi0EEEJNS0_4AsinIfEEEEEvT_T0_DpT1_
    .private_segment_fixed_size: 0
    .sgpr_count:     33
    .sgpr_spill_count: 0
    .symbol:         _ZN2at6native12_GLOBAL__N_125multi_tensor_apply_kernelINS1_18TensorListMetadataILi1EEENS1_14UnaryOpFunctorIN3c108BFloat16ELi1ELi1ELi0EEEJNS0_4AsinIfEEEEEvT_T0_DpT1_.kd
    .uniform_work_group_size: 1
    .uses_dynamic_stack: false
    .vgpr_count:     30
    .vgpr_spill_count: 0
    .wavefront_size: 64
  - .agpr_count:     0
    .args:
      - .offset:         0
        .size:           3144
        .value_kind:     by_value
      - .offset:         3144
        .size:           1
        .value_kind:     by_value
      - .offset:         3145
        .size:           1
        .value_kind:     by_value
      - .offset:         3152
        .size:           4
        .value_kind:     hidden_block_count_x
      - .offset:         3156
        .size:           4
        .value_kind:     hidden_block_count_y
      - .offset:         3160
        .size:           4
        .value_kind:     hidden_block_count_z
      - .offset:         3164
        .size:           2
        .value_kind:     hidden_group_size_x
      - .offset:         3166
        .size:           2
        .value_kind:     hidden_group_size_y
      - .offset:         3168
        .size:           2
        .value_kind:     hidden_group_size_z
      - .offset:         3170
        .size:           2
        .value_kind:     hidden_remainder_x
      - .offset:         3172
        .size:           2
        .value_kind:     hidden_remainder_y
      - .offset:         3174
        .size:           2
        .value_kind:     hidden_remainder_z
      - .offset:         3192
        .size:           8
        .value_kind:     hidden_global_offset_x
      - .offset:         3200
        .size:           8
        .value_kind:     hidden_global_offset_y
      - .offset:         3208
        .size:           8
        .value_kind:     hidden_global_offset_z
      - .offset:         3216
        .size:           2
        .value_kind:     hidden_grid_dims
    .group_segment_fixed_size: 0
    .kernarg_segment_align: 8
    .kernarg_segment_size: 3408
    .language:       OpenCL C
    .language_version:
      - 2
      - 0
    .max_flat_workgroup_size: 512
    .name:           _ZN2at6native12_GLOBAL__N_125multi_tensor_apply_kernelINS1_18TensorListMetadataILi2EEENS1_14UnaryOpFunctorIdLi2ELi1ELi1EEEJNS0_4AtanIdEEEEEvT_T0_DpT1_
    .private_segment_fixed_size: 0
    .sgpr_count:     74
    .sgpr_spill_count: 0
    .symbol:         _ZN2at6native12_GLOBAL__N_125multi_tensor_apply_kernelINS1_18TensorListMetadataILi2EEENS1_14UnaryOpFunctorIdLi2ELi1ELi1EEEJNS0_4AtanIdEEEEEvT_T0_DpT1_.kd
    .uniform_work_group_size: 1
    .uses_dynamic_stack: false
    .vgpr_count:     82
    .vgpr_spill_count: 0
    .wavefront_size: 64
  - .agpr_count:     0
    .args:
      - .offset:         0
        .size:           3144
        .value_kind:     by_value
      - .offset:         3144
        .size:           1
        .value_kind:     by_value
      - .offset:         3145
        .size:           1
        .value_kind:     by_value
      - .offset:         3152
        .size:           4
        .value_kind:     hidden_block_count_x
      - .offset:         3156
        .size:           4
        .value_kind:     hidden_block_count_y
      - .offset:         3160
        .size:           4
        .value_kind:     hidden_block_count_z
      - .offset:         3164
        .size:           2
        .value_kind:     hidden_group_size_x
      - .offset:         3166
        .size:           2
        .value_kind:     hidden_group_size_y
      - .offset:         3168
        .size:           2
        .value_kind:     hidden_group_size_z
      - .offset:         3170
        .size:           2
        .value_kind:     hidden_remainder_x
      - .offset:         3172
        .size:           2
        .value_kind:     hidden_remainder_y
      - .offset:         3174
        .size:           2
        .value_kind:     hidden_remainder_z
      - .offset:         3192
        .size:           8
        .value_kind:     hidden_global_offset_x
      - .offset:         3200
        .size:           8
        .value_kind:     hidden_global_offset_y
      - .offset:         3208
        .size:           8
        .value_kind:     hidden_global_offset_z
      - .offset:         3216
        .size:           2
        .value_kind:     hidden_grid_dims
    .group_segment_fixed_size: 0
    .kernarg_segment_align: 8
    .kernarg_segment_size: 3408
    .language:       OpenCL C
    .language_version:
      - 2
      - 0
    .max_flat_workgroup_size: 512
    .name:           _ZN2at6native12_GLOBAL__N_125multi_tensor_apply_kernelINS1_18TensorListMetadataILi2EEENS1_14UnaryOpFunctorIfLi2ELi1ELi1EEEJNS0_4AtanIfEEEEEvT_T0_DpT1_
    .private_segment_fixed_size: 0
    .sgpr_count:     44
    .sgpr_spill_count: 0
    .symbol:         _ZN2at6native12_GLOBAL__N_125multi_tensor_apply_kernelINS1_18TensorListMetadataILi2EEENS1_14UnaryOpFunctorIfLi2ELi1ELi1EEEJNS0_4AtanIfEEEEEvT_T0_DpT1_.kd
    .uniform_work_group_size: 1
    .uses_dynamic_stack: false
    .vgpr_count:     37
    .vgpr_spill_count: 0
    .wavefront_size: 64
  - .agpr_count:     0
    .args:
      - .offset:         0
        .size:           3144
        .value_kind:     by_value
      - .offset:         3144
        .size:           1
        .value_kind:     by_value
      - .offset:         3145
        .size:           1
        .value_kind:     by_value
      - .offset:         3152
        .size:           4
        .value_kind:     hidden_block_count_x
      - .offset:         3156
        .size:           4
        .value_kind:     hidden_block_count_y
      - .offset:         3160
        .size:           4
        .value_kind:     hidden_block_count_z
      - .offset:         3164
        .size:           2
        .value_kind:     hidden_group_size_x
      - .offset:         3166
        .size:           2
        .value_kind:     hidden_group_size_y
      - .offset:         3168
        .size:           2
        .value_kind:     hidden_group_size_z
      - .offset:         3170
        .size:           2
        .value_kind:     hidden_remainder_x
      - .offset:         3172
        .size:           2
        .value_kind:     hidden_remainder_y
      - .offset:         3174
        .size:           2
        .value_kind:     hidden_remainder_z
      - .offset:         3192
        .size:           8
        .value_kind:     hidden_global_offset_x
      - .offset:         3200
        .size:           8
        .value_kind:     hidden_global_offset_y
      - .offset:         3208
        .size:           8
        .value_kind:     hidden_global_offset_z
      - .offset:         3216
        .size:           2
        .value_kind:     hidden_grid_dims
    .group_segment_fixed_size: 0
    .kernarg_segment_align: 8
    .kernarg_segment_size: 3408
    .language:       OpenCL C
    .language_version:
      - 2
      - 0
    .max_flat_workgroup_size: 512
    .name:           _ZN2at6native12_GLOBAL__N_125multi_tensor_apply_kernelINS1_18TensorListMetadataILi2EEENS1_14UnaryOpFunctorIN3c107complexIdEELi2ELi1ELi1EEEJNS0_4AtanIS8_EEEEEvT_T0_DpT1_
    .private_segment_fixed_size: 0
    .sgpr_count:     97
    .sgpr_spill_count: 0
    .symbol:         _ZN2at6native12_GLOBAL__N_125multi_tensor_apply_kernelINS1_18TensorListMetadataILi2EEENS1_14UnaryOpFunctorIN3c107complexIdEELi2ELi1ELi1EEEJNS0_4AtanIS8_EEEEEvT_T0_DpT1_.kd
    .uniform_work_group_size: 1
    .uses_dynamic_stack: false
    .vgpr_count:     108
    .vgpr_spill_count: 0
    .wavefront_size: 64
  - .agpr_count:     0
    .args:
      - .offset:         0
        .size:           3144
        .value_kind:     by_value
      - .offset:         3144
        .size:           1
        .value_kind:     by_value
      - .offset:         3145
        .size:           1
        .value_kind:     by_value
      - .offset:         3152
        .size:           4
        .value_kind:     hidden_block_count_x
      - .offset:         3156
        .size:           4
        .value_kind:     hidden_block_count_y
      - .offset:         3160
        .size:           4
        .value_kind:     hidden_block_count_z
      - .offset:         3164
        .size:           2
        .value_kind:     hidden_group_size_x
      - .offset:         3166
        .size:           2
        .value_kind:     hidden_group_size_y
      - .offset:         3168
        .size:           2
        .value_kind:     hidden_group_size_z
      - .offset:         3170
        .size:           2
        .value_kind:     hidden_remainder_x
      - .offset:         3172
        .size:           2
        .value_kind:     hidden_remainder_y
      - .offset:         3174
        .size:           2
        .value_kind:     hidden_remainder_z
      - .offset:         3192
        .size:           8
        .value_kind:     hidden_global_offset_x
      - .offset:         3200
        .size:           8
        .value_kind:     hidden_global_offset_y
      - .offset:         3208
        .size:           8
        .value_kind:     hidden_global_offset_z
      - .offset:         3216
        .size:           2
        .value_kind:     hidden_grid_dims
    .group_segment_fixed_size: 0
    .kernarg_segment_align: 8
    .kernarg_segment_size: 3408
    .language:       OpenCL C
    .language_version:
      - 2
      - 0
    .max_flat_workgroup_size: 512
    .name:           _ZN2at6native12_GLOBAL__N_125multi_tensor_apply_kernelINS1_18TensorListMetadataILi2EEENS1_14UnaryOpFunctorIN3c107complexIfEELi2ELi1ELi1EEEJNS0_4AtanIS8_EEEEEvT_T0_DpT1_
    .private_segment_fixed_size: 16
    .sgpr_count:     71
    .sgpr_spill_count: 0
    .symbol:         _ZN2at6native12_GLOBAL__N_125multi_tensor_apply_kernelINS1_18TensorListMetadataILi2EEENS1_14UnaryOpFunctorIN3c107complexIfEELi2ELi1ELi1EEEJNS0_4AtanIS8_EEEEEvT_T0_DpT1_.kd
    .uniform_work_group_size: 1
    .uses_dynamic_stack: false
    .vgpr_count:     70
    .vgpr_spill_count: 0
    .wavefront_size: 64
  - .agpr_count:     0
    .args:
      - .offset:         0
        .size:           3144
        .value_kind:     by_value
      - .offset:         3144
        .size:           1
        .value_kind:     by_value
      - .offset:         3145
        .size:           1
        .value_kind:     by_value
      - .offset:         3152
        .size:           4
        .value_kind:     hidden_block_count_x
      - .offset:         3156
        .size:           4
        .value_kind:     hidden_block_count_y
      - .offset:         3160
        .size:           4
        .value_kind:     hidden_block_count_z
      - .offset:         3164
        .size:           2
        .value_kind:     hidden_group_size_x
      - .offset:         3166
        .size:           2
        .value_kind:     hidden_group_size_y
      - .offset:         3168
        .size:           2
        .value_kind:     hidden_group_size_z
      - .offset:         3170
        .size:           2
        .value_kind:     hidden_remainder_x
      - .offset:         3172
        .size:           2
        .value_kind:     hidden_remainder_y
      - .offset:         3174
        .size:           2
        .value_kind:     hidden_remainder_z
      - .offset:         3192
        .size:           8
        .value_kind:     hidden_global_offset_x
      - .offset:         3200
        .size:           8
        .value_kind:     hidden_global_offset_y
      - .offset:         3208
        .size:           8
        .value_kind:     hidden_global_offset_z
      - .offset:         3216
        .size:           2
        .value_kind:     hidden_grid_dims
    .group_segment_fixed_size: 0
    .kernarg_segment_align: 8
    .kernarg_segment_size: 3408
    .language:       OpenCL C
    .language_version:
      - 2
      - 0
    .max_flat_workgroup_size: 512
    .name:           _ZN2at6native12_GLOBAL__N_125multi_tensor_apply_kernelINS1_18TensorListMetadataILi2EEENS1_14UnaryOpFunctorIN3c104HalfELi2ELi1ELi1EEEJNS0_4AtanIfEEEEEvT_T0_DpT1_
    .private_segment_fixed_size: 0
    .sgpr_count:     42
    .sgpr_spill_count: 0
    .symbol:         _ZN2at6native12_GLOBAL__N_125multi_tensor_apply_kernelINS1_18TensorListMetadataILi2EEENS1_14UnaryOpFunctorIN3c104HalfELi2ELi1ELi1EEEJNS0_4AtanIfEEEEEvT_T0_DpT1_.kd
    .uniform_work_group_size: 1
    .uses_dynamic_stack: false
    .vgpr_count:     36
    .vgpr_spill_count: 0
    .wavefront_size: 64
  - .agpr_count:     0
    .args:
      - .offset:         0
        .size:           3144
        .value_kind:     by_value
      - .offset:         3144
        .size:           1
        .value_kind:     by_value
      - .offset:         3145
        .size:           1
        .value_kind:     by_value
      - .offset:         3152
        .size:           4
        .value_kind:     hidden_block_count_x
      - .offset:         3156
        .size:           4
        .value_kind:     hidden_block_count_y
      - .offset:         3160
        .size:           4
        .value_kind:     hidden_block_count_z
      - .offset:         3164
        .size:           2
        .value_kind:     hidden_group_size_x
      - .offset:         3166
        .size:           2
        .value_kind:     hidden_group_size_y
      - .offset:         3168
        .size:           2
        .value_kind:     hidden_group_size_z
      - .offset:         3170
        .size:           2
        .value_kind:     hidden_remainder_x
      - .offset:         3172
        .size:           2
        .value_kind:     hidden_remainder_y
      - .offset:         3174
        .size:           2
        .value_kind:     hidden_remainder_z
      - .offset:         3192
        .size:           8
        .value_kind:     hidden_global_offset_x
      - .offset:         3200
        .size:           8
        .value_kind:     hidden_global_offset_y
      - .offset:         3208
        .size:           8
        .value_kind:     hidden_global_offset_z
      - .offset:         3216
        .size:           2
        .value_kind:     hidden_grid_dims
    .group_segment_fixed_size: 0
    .kernarg_segment_align: 8
    .kernarg_segment_size: 3408
    .language:       OpenCL C
    .language_version:
      - 2
      - 0
    .max_flat_workgroup_size: 512
    .name:           _ZN2at6native12_GLOBAL__N_125multi_tensor_apply_kernelINS1_18TensorListMetadataILi2EEENS1_14UnaryOpFunctorIN3c108BFloat16ELi2ELi1ELi1EEEJNS0_4AtanIfEEEEEvT_T0_DpT1_
    .private_segment_fixed_size: 0
    .sgpr_count:     42
    .sgpr_spill_count: 0
    .symbol:         _ZN2at6native12_GLOBAL__N_125multi_tensor_apply_kernelINS1_18TensorListMetadataILi2EEENS1_14UnaryOpFunctorIN3c108BFloat16ELi2ELi1ELi1EEEJNS0_4AtanIfEEEEEvT_T0_DpT1_.kd
    .uniform_work_group_size: 1
    .uses_dynamic_stack: false
    .vgpr_count:     37
    .vgpr_spill_count: 0
    .wavefront_size: 64
  - .agpr_count:     0
    .args:
      - .offset:         0
        .size:           3368
        .value_kind:     by_value
      - .offset:         3368
        .size:           1
        .value_kind:     by_value
      - .offset:         3369
        .size:           1
        .value_kind:     by_value
      - .offset:         3376
        .size:           4
        .value_kind:     hidden_block_count_x
      - .offset:         3380
        .size:           4
        .value_kind:     hidden_block_count_y
      - .offset:         3384
        .size:           4
        .value_kind:     hidden_block_count_z
      - .offset:         3388
        .size:           2
        .value_kind:     hidden_group_size_x
      - .offset:         3390
        .size:           2
        .value_kind:     hidden_group_size_y
      - .offset:         3392
        .size:           2
        .value_kind:     hidden_group_size_z
      - .offset:         3394
        .size:           2
        .value_kind:     hidden_remainder_x
      - .offset:         3396
        .size:           2
        .value_kind:     hidden_remainder_y
      - .offset:         3398
        .size:           2
        .value_kind:     hidden_remainder_z
      - .offset:         3416
        .size:           8
        .value_kind:     hidden_global_offset_x
      - .offset:         3424
        .size:           8
        .value_kind:     hidden_global_offset_y
      - .offset:         3432
        .size:           8
        .value_kind:     hidden_global_offset_z
      - .offset:         3440
        .size:           2
        .value_kind:     hidden_grid_dims
    .group_segment_fixed_size: 0
    .kernarg_segment_align: 8
    .kernarg_segment_size: 3632
    .language:       OpenCL C
    .language_version:
      - 2
      - 0
    .max_flat_workgroup_size: 512
    .name:           _ZN2at6native12_GLOBAL__N_125multi_tensor_apply_kernelINS1_18TensorListMetadataILi1EEENS1_14UnaryOpFunctorIdLi1ELi1ELi0EEEJNS0_4AtanIdEEEEEvT_T0_DpT1_
    .private_segment_fixed_size: 0
    .sgpr_count:     58
    .sgpr_spill_count: 0
    .symbol:         _ZN2at6native12_GLOBAL__N_125multi_tensor_apply_kernelINS1_18TensorListMetadataILi1EEENS1_14UnaryOpFunctorIdLi1ELi1ELi0EEEJNS0_4AtanIdEEEEEvT_T0_DpT1_.kd
    .uniform_work_group_size: 1
    .uses_dynamic_stack: false
    .vgpr_count:     70
    .vgpr_spill_count: 0
    .wavefront_size: 64
  - .agpr_count:     0
    .args:
      - .offset:         0
        .size:           3368
        .value_kind:     by_value
      - .offset:         3368
        .size:           1
        .value_kind:     by_value
      - .offset:         3369
        .size:           1
        .value_kind:     by_value
      - .offset:         3376
        .size:           4
        .value_kind:     hidden_block_count_x
      - .offset:         3380
        .size:           4
        .value_kind:     hidden_block_count_y
      - .offset:         3384
        .size:           4
        .value_kind:     hidden_block_count_z
      - .offset:         3388
        .size:           2
        .value_kind:     hidden_group_size_x
      - .offset:         3390
        .size:           2
        .value_kind:     hidden_group_size_y
      - .offset:         3392
        .size:           2
        .value_kind:     hidden_group_size_z
      - .offset:         3394
        .size:           2
        .value_kind:     hidden_remainder_x
      - .offset:         3396
        .size:           2
        .value_kind:     hidden_remainder_y
      - .offset:         3398
        .size:           2
        .value_kind:     hidden_remainder_z
      - .offset:         3416
        .size:           8
        .value_kind:     hidden_global_offset_x
      - .offset:         3424
        .size:           8
        .value_kind:     hidden_global_offset_y
      - .offset:         3432
        .size:           8
        .value_kind:     hidden_global_offset_z
      - .offset:         3440
        .size:           2
        .value_kind:     hidden_grid_dims
    .group_segment_fixed_size: 0
    .kernarg_segment_align: 8
    .kernarg_segment_size: 3632
    .language:       OpenCL C
    .language_version:
      - 2
      - 0
    .max_flat_workgroup_size: 512
    .name:           _ZN2at6native12_GLOBAL__N_125multi_tensor_apply_kernelINS1_18TensorListMetadataILi1EEENS1_14UnaryOpFunctorIfLi1ELi1ELi0EEEJNS0_4AtanIfEEEEEvT_T0_DpT1_
    .private_segment_fixed_size: 0
    .sgpr_count:     33
    .sgpr_spill_count: 0
    .symbol:         _ZN2at6native12_GLOBAL__N_125multi_tensor_apply_kernelINS1_18TensorListMetadataILi1EEENS1_14UnaryOpFunctorIfLi1ELi1ELi0EEEJNS0_4AtanIfEEEEEvT_T0_DpT1_.kd
    .uniform_work_group_size: 1
    .uses_dynamic_stack: false
    .vgpr_count:     27
    .vgpr_spill_count: 0
    .wavefront_size: 64
  - .agpr_count:     0
    .args:
      - .offset:         0
        .size:           3368
        .value_kind:     by_value
      - .offset:         3368
        .size:           1
        .value_kind:     by_value
      - .offset:         3369
        .size:           1
        .value_kind:     by_value
      - .offset:         3376
        .size:           4
        .value_kind:     hidden_block_count_x
      - .offset:         3380
        .size:           4
        .value_kind:     hidden_block_count_y
      - .offset:         3384
        .size:           4
        .value_kind:     hidden_block_count_z
      - .offset:         3388
        .size:           2
        .value_kind:     hidden_group_size_x
      - .offset:         3390
        .size:           2
        .value_kind:     hidden_group_size_y
      - .offset:         3392
        .size:           2
        .value_kind:     hidden_group_size_z
      - .offset:         3394
        .size:           2
        .value_kind:     hidden_remainder_x
      - .offset:         3396
        .size:           2
        .value_kind:     hidden_remainder_y
      - .offset:         3398
        .size:           2
        .value_kind:     hidden_remainder_z
      - .offset:         3416
        .size:           8
        .value_kind:     hidden_global_offset_x
      - .offset:         3424
        .size:           8
        .value_kind:     hidden_global_offset_y
      - .offset:         3432
        .size:           8
        .value_kind:     hidden_global_offset_z
      - .offset:         3440
        .size:           2
        .value_kind:     hidden_grid_dims
    .group_segment_fixed_size: 0
    .kernarg_segment_align: 8
    .kernarg_segment_size: 3632
    .language:       OpenCL C
    .language_version:
      - 2
      - 0
    .max_flat_workgroup_size: 512
    .name:           _ZN2at6native12_GLOBAL__N_125multi_tensor_apply_kernelINS1_18TensorListMetadataILi1EEENS1_14UnaryOpFunctorIN3c107complexIdEELi1ELi1ELi0EEEJNS0_4AtanIS8_EEEEEvT_T0_DpT1_
    .private_segment_fixed_size: 0
    .sgpr_count:     82
    .sgpr_spill_count: 0
    .symbol:         _ZN2at6native12_GLOBAL__N_125multi_tensor_apply_kernelINS1_18TensorListMetadataILi1EEENS1_14UnaryOpFunctorIN3c107complexIdEELi1ELi1ELi0EEEJNS0_4AtanIS8_EEEEEvT_T0_DpT1_.kd
    .uniform_work_group_size: 1
    .uses_dynamic_stack: false
    .vgpr_count:     96
    .vgpr_spill_count: 0
    .wavefront_size: 64
  - .agpr_count:     0
    .args:
      - .offset:         0
        .size:           3368
        .value_kind:     by_value
      - .offset:         3368
        .size:           1
        .value_kind:     by_value
      - .offset:         3369
        .size:           1
        .value_kind:     by_value
      - .offset:         3376
        .size:           4
        .value_kind:     hidden_block_count_x
      - .offset:         3380
        .size:           4
        .value_kind:     hidden_block_count_y
      - .offset:         3384
        .size:           4
        .value_kind:     hidden_block_count_z
      - .offset:         3388
        .size:           2
        .value_kind:     hidden_group_size_x
      - .offset:         3390
        .size:           2
        .value_kind:     hidden_group_size_y
      - .offset:         3392
        .size:           2
        .value_kind:     hidden_group_size_z
      - .offset:         3394
        .size:           2
        .value_kind:     hidden_remainder_x
      - .offset:         3396
        .size:           2
        .value_kind:     hidden_remainder_y
      - .offset:         3398
        .size:           2
        .value_kind:     hidden_remainder_z
      - .offset:         3416
        .size:           8
        .value_kind:     hidden_global_offset_x
      - .offset:         3424
        .size:           8
        .value_kind:     hidden_global_offset_y
      - .offset:         3432
        .size:           8
        .value_kind:     hidden_global_offset_z
      - .offset:         3440
        .size:           2
        .value_kind:     hidden_grid_dims
    .group_segment_fixed_size: 0
    .kernarg_segment_align: 8
    .kernarg_segment_size: 3632
    .language:       OpenCL C
    .language_version:
      - 2
      - 0
    .max_flat_workgroup_size: 512
    .name:           _ZN2at6native12_GLOBAL__N_125multi_tensor_apply_kernelINS1_18TensorListMetadataILi1EEENS1_14UnaryOpFunctorIN3c107complexIfEELi1ELi1ELi0EEEJNS0_4AtanIS8_EEEEEvT_T0_DpT1_
    .private_segment_fixed_size: 16
    .sgpr_count:     75
    .sgpr_spill_count: 0
    .symbol:         _ZN2at6native12_GLOBAL__N_125multi_tensor_apply_kernelINS1_18TensorListMetadataILi1EEENS1_14UnaryOpFunctorIN3c107complexIfEELi1ELi1ELi0EEEJNS0_4AtanIS8_EEEEEvT_T0_DpT1_.kd
    .uniform_work_group_size: 1
    .uses_dynamic_stack: false
    .vgpr_count:     60
    .vgpr_spill_count: 0
    .wavefront_size: 64
  - .agpr_count:     0
    .args:
      - .offset:         0
        .size:           3368
        .value_kind:     by_value
      - .offset:         3368
        .size:           1
        .value_kind:     by_value
      - .offset:         3369
        .size:           1
        .value_kind:     by_value
      - .offset:         3376
        .size:           4
        .value_kind:     hidden_block_count_x
      - .offset:         3380
        .size:           4
        .value_kind:     hidden_block_count_y
      - .offset:         3384
        .size:           4
        .value_kind:     hidden_block_count_z
      - .offset:         3388
        .size:           2
        .value_kind:     hidden_group_size_x
      - .offset:         3390
        .size:           2
        .value_kind:     hidden_group_size_y
      - .offset:         3392
        .size:           2
        .value_kind:     hidden_group_size_z
      - .offset:         3394
        .size:           2
        .value_kind:     hidden_remainder_x
      - .offset:         3396
        .size:           2
        .value_kind:     hidden_remainder_y
      - .offset:         3398
        .size:           2
        .value_kind:     hidden_remainder_z
      - .offset:         3416
        .size:           8
        .value_kind:     hidden_global_offset_x
      - .offset:         3424
        .size:           8
        .value_kind:     hidden_global_offset_y
      - .offset:         3432
        .size:           8
        .value_kind:     hidden_global_offset_z
      - .offset:         3440
        .size:           2
        .value_kind:     hidden_grid_dims
    .group_segment_fixed_size: 0
    .kernarg_segment_align: 8
    .kernarg_segment_size: 3632
    .language:       OpenCL C
    .language_version:
      - 2
      - 0
    .max_flat_workgroup_size: 512
    .name:           _ZN2at6native12_GLOBAL__N_125multi_tensor_apply_kernelINS1_18TensorListMetadataILi1EEENS1_14UnaryOpFunctorIN3c104HalfELi1ELi1ELi0EEEJNS0_4AtanIfEEEEEvT_T0_DpT1_
    .private_segment_fixed_size: 0
    .sgpr_count:     32
    .sgpr_spill_count: 0
    .symbol:         _ZN2at6native12_GLOBAL__N_125multi_tensor_apply_kernelINS1_18TensorListMetadataILi1EEENS1_14UnaryOpFunctorIN3c104HalfELi1ELi1ELi0EEEJNS0_4AtanIfEEEEEvT_T0_DpT1_.kd
    .uniform_work_group_size: 1
    .uses_dynamic_stack: false
    .vgpr_count:     27
    .vgpr_spill_count: 0
    .wavefront_size: 64
  - .agpr_count:     0
    .args:
      - .offset:         0
        .size:           3368
        .value_kind:     by_value
      - .offset:         3368
        .size:           1
        .value_kind:     by_value
      - .offset:         3369
        .size:           1
        .value_kind:     by_value
      - .offset:         3376
        .size:           4
        .value_kind:     hidden_block_count_x
      - .offset:         3380
        .size:           4
        .value_kind:     hidden_block_count_y
      - .offset:         3384
        .size:           4
        .value_kind:     hidden_block_count_z
      - .offset:         3388
        .size:           2
        .value_kind:     hidden_group_size_x
      - .offset:         3390
        .size:           2
        .value_kind:     hidden_group_size_y
      - .offset:         3392
        .size:           2
        .value_kind:     hidden_group_size_z
      - .offset:         3394
        .size:           2
        .value_kind:     hidden_remainder_x
      - .offset:         3396
        .size:           2
        .value_kind:     hidden_remainder_y
      - .offset:         3398
        .size:           2
        .value_kind:     hidden_remainder_z
      - .offset:         3416
        .size:           8
        .value_kind:     hidden_global_offset_x
      - .offset:         3424
        .size:           8
        .value_kind:     hidden_global_offset_y
      - .offset:         3432
        .size:           8
        .value_kind:     hidden_global_offset_z
      - .offset:         3440
        .size:           2
        .value_kind:     hidden_grid_dims
    .group_segment_fixed_size: 0
    .kernarg_segment_align: 8
    .kernarg_segment_size: 3632
    .language:       OpenCL C
    .language_version:
      - 2
      - 0
    .max_flat_workgroup_size: 512
    .name:           _ZN2at6native12_GLOBAL__N_125multi_tensor_apply_kernelINS1_18TensorListMetadataILi1EEENS1_14UnaryOpFunctorIN3c108BFloat16ELi1ELi1ELi0EEEJNS0_4AtanIfEEEEEvT_T0_DpT1_
    .private_segment_fixed_size: 0
    .sgpr_count:     33
    .sgpr_spill_count: 0
    .symbol:         _ZN2at6native12_GLOBAL__N_125multi_tensor_apply_kernelINS1_18TensorListMetadataILi1EEENS1_14UnaryOpFunctorIN3c108BFloat16ELi1ELi1ELi0EEEJNS0_4AtanIfEEEEEvT_T0_DpT1_.kd
    .uniform_work_group_size: 1
    .uses_dynamic_stack: false
    .vgpr_count:     28
    .vgpr_spill_count: 0
    .wavefront_size: 64
  - .agpr_count:     0
    .args:
      - .offset:         0
        .size:           3144
        .value_kind:     by_value
      - .offset:         3144
        .size:           1
        .value_kind:     by_value
      - .offset:         3145
        .size:           1
        .value_kind:     by_value
      - .offset:         3152
        .size:           4
        .value_kind:     hidden_block_count_x
      - .offset:         3156
        .size:           4
        .value_kind:     hidden_block_count_y
      - .offset:         3160
        .size:           4
        .value_kind:     hidden_block_count_z
      - .offset:         3164
        .size:           2
        .value_kind:     hidden_group_size_x
      - .offset:         3166
        .size:           2
        .value_kind:     hidden_group_size_y
      - .offset:         3168
        .size:           2
        .value_kind:     hidden_group_size_z
      - .offset:         3170
        .size:           2
        .value_kind:     hidden_remainder_x
      - .offset:         3172
        .size:           2
        .value_kind:     hidden_remainder_y
      - .offset:         3174
        .size:           2
        .value_kind:     hidden_remainder_z
      - .offset:         3192
        .size:           8
        .value_kind:     hidden_global_offset_x
      - .offset:         3200
        .size:           8
        .value_kind:     hidden_global_offset_y
      - .offset:         3208
        .size:           8
        .value_kind:     hidden_global_offset_z
      - .offset:         3216
        .size:           2
        .value_kind:     hidden_grid_dims
    .group_segment_fixed_size: 0
    .kernarg_segment_align: 8
    .kernarg_segment_size: 3408
    .language:       OpenCL C
    .language_version:
      - 2
      - 0
    .max_flat_workgroup_size: 512
    .name:           _ZN2at6native12_GLOBAL__N_125multi_tensor_apply_kernelINS1_18TensorListMetadataILi2EEENS1_14UnaryOpFunctorIdLi2ELi1ELi1EEEJNS0_4CoshIdEEEEEvT_T0_DpT1_
    .private_segment_fixed_size: 0
    .sgpr_count:     63
    .sgpr_spill_count: 0
    .symbol:         _ZN2at6native12_GLOBAL__N_125multi_tensor_apply_kernelINS1_18TensorListMetadataILi2EEENS1_14UnaryOpFunctorIdLi2ELi1ELi1EEEJNS0_4CoshIdEEEEEvT_T0_DpT1_.kd
    .uniform_work_group_size: 1
    .uses_dynamic_stack: false
    .vgpr_count:     74
    .vgpr_spill_count: 0
    .wavefront_size: 64
  - .agpr_count:     0
    .args:
      - .offset:         0
        .size:           3144
        .value_kind:     by_value
      - .offset:         3144
        .size:           1
        .value_kind:     by_value
      - .offset:         3145
        .size:           1
        .value_kind:     by_value
      - .offset:         3152
        .size:           4
        .value_kind:     hidden_block_count_x
      - .offset:         3156
        .size:           4
        .value_kind:     hidden_block_count_y
      - .offset:         3160
        .size:           4
        .value_kind:     hidden_block_count_z
      - .offset:         3164
        .size:           2
        .value_kind:     hidden_group_size_x
      - .offset:         3166
        .size:           2
        .value_kind:     hidden_group_size_y
      - .offset:         3168
        .size:           2
        .value_kind:     hidden_group_size_z
      - .offset:         3170
        .size:           2
        .value_kind:     hidden_remainder_x
      - .offset:         3172
        .size:           2
        .value_kind:     hidden_remainder_y
      - .offset:         3174
        .size:           2
        .value_kind:     hidden_remainder_z
      - .offset:         3192
        .size:           8
        .value_kind:     hidden_global_offset_x
      - .offset:         3200
        .size:           8
        .value_kind:     hidden_global_offset_y
      - .offset:         3208
        .size:           8
        .value_kind:     hidden_global_offset_z
      - .offset:         3216
        .size:           2
        .value_kind:     hidden_grid_dims
    .group_segment_fixed_size: 0
    .kernarg_segment_align: 8
    .kernarg_segment_size: 3408
    .language:       OpenCL C
    .language_version:
      - 2
      - 0
    .max_flat_workgroup_size: 512
    .name:           _ZN2at6native12_GLOBAL__N_125multi_tensor_apply_kernelINS1_18TensorListMetadataILi2EEENS1_14UnaryOpFunctorIfLi2ELi1ELi1EEEJNS0_4CoshIfEEEEEvT_T0_DpT1_
    .private_segment_fixed_size: 0
    .sgpr_count:     29
    .sgpr_spill_count: 0
    .symbol:         _ZN2at6native12_GLOBAL__N_125multi_tensor_apply_kernelINS1_18TensorListMetadataILi2EEENS1_14UnaryOpFunctorIfLi2ELi1ELi1EEEJNS0_4CoshIfEEEEEvT_T0_DpT1_.kd
    .uniform_work_group_size: 1
    .uses_dynamic_stack: false
    .vgpr_count:     54
    .vgpr_spill_count: 0
    .wavefront_size: 64
  - .agpr_count:     0
    .args:
      - .offset:         0
        .size:           3144
        .value_kind:     by_value
      - .offset:         3144
        .size:           1
        .value_kind:     by_value
      - .offset:         3145
        .size:           1
        .value_kind:     by_value
      - .offset:         3152
        .size:           4
        .value_kind:     hidden_block_count_x
      - .offset:         3156
        .size:           4
        .value_kind:     hidden_block_count_y
      - .offset:         3160
        .size:           4
        .value_kind:     hidden_block_count_z
      - .offset:         3164
        .size:           2
        .value_kind:     hidden_group_size_x
      - .offset:         3166
        .size:           2
        .value_kind:     hidden_group_size_y
      - .offset:         3168
        .size:           2
        .value_kind:     hidden_group_size_z
      - .offset:         3170
        .size:           2
        .value_kind:     hidden_remainder_x
      - .offset:         3172
        .size:           2
        .value_kind:     hidden_remainder_y
      - .offset:         3174
        .size:           2
        .value_kind:     hidden_remainder_z
      - .offset:         3192
        .size:           8
        .value_kind:     hidden_global_offset_x
      - .offset:         3200
        .size:           8
        .value_kind:     hidden_global_offset_y
      - .offset:         3208
        .size:           8
        .value_kind:     hidden_global_offset_z
      - .offset:         3216
        .size:           2
        .value_kind:     hidden_grid_dims
    .group_segment_fixed_size: 0
    .kernarg_segment_align: 8
    .kernarg_segment_size: 3408
    .language:       OpenCL C
    .language_version:
      - 2
      - 0
    .max_flat_workgroup_size: 512
    .name:           _ZN2at6native12_GLOBAL__N_125multi_tensor_apply_kernelINS1_18TensorListMetadataILi2EEENS1_14UnaryOpFunctorIN3c107complexIdEELi2ELi1ELi1EEEJNS0_4CoshIS8_EEEEEvT_T0_DpT1_
    .private_segment_fixed_size: 8
    .sgpr_count:     71
    .sgpr_spill_count: 0
    .symbol:         _ZN2at6native12_GLOBAL__N_125multi_tensor_apply_kernelINS1_18TensorListMetadataILi2EEENS1_14UnaryOpFunctorIN3c107complexIdEELi2ELi1ELi1EEEJNS0_4CoshIS8_EEEEEvT_T0_DpT1_.kd
    .uniform_work_group_size: 1
    .uses_dynamic_stack: false
    .vgpr_count:     72
    .vgpr_spill_count: 0
    .wavefront_size: 64
  - .agpr_count:     0
    .args:
      - .offset:         0
        .size:           3144
        .value_kind:     by_value
      - .offset:         3144
        .size:           1
        .value_kind:     by_value
      - .offset:         3145
        .size:           1
        .value_kind:     by_value
      - .offset:         3152
        .size:           4
        .value_kind:     hidden_block_count_x
      - .offset:         3156
        .size:           4
        .value_kind:     hidden_block_count_y
      - .offset:         3160
        .size:           4
        .value_kind:     hidden_block_count_z
      - .offset:         3164
        .size:           2
        .value_kind:     hidden_group_size_x
      - .offset:         3166
        .size:           2
        .value_kind:     hidden_group_size_y
      - .offset:         3168
        .size:           2
        .value_kind:     hidden_group_size_z
      - .offset:         3170
        .size:           2
        .value_kind:     hidden_remainder_x
      - .offset:         3172
        .size:           2
        .value_kind:     hidden_remainder_y
      - .offset:         3174
        .size:           2
        .value_kind:     hidden_remainder_z
      - .offset:         3192
        .size:           8
        .value_kind:     hidden_global_offset_x
      - .offset:         3200
        .size:           8
        .value_kind:     hidden_global_offset_y
      - .offset:         3208
        .size:           8
        .value_kind:     hidden_global_offset_z
      - .offset:         3216
        .size:           2
        .value_kind:     hidden_grid_dims
    .group_segment_fixed_size: 0
    .kernarg_segment_align: 8
    .kernarg_segment_size: 3408
    .language:       OpenCL C
    .language_version:
      - 2
      - 0
    .max_flat_workgroup_size: 512
    .name:           _ZN2at6native12_GLOBAL__N_125multi_tensor_apply_kernelINS1_18TensorListMetadataILi2EEENS1_14UnaryOpFunctorIN3c107complexIfEELi2ELi1ELi1EEEJNS0_4CoshIS8_EEEEEvT_T0_DpT1_
    .private_segment_fixed_size: 0
    .sgpr_count:     60
    .sgpr_spill_count: 0
    .symbol:         _ZN2at6native12_GLOBAL__N_125multi_tensor_apply_kernelINS1_18TensorListMetadataILi2EEENS1_14UnaryOpFunctorIN3c107complexIfEELi2ELi1ELi1EEEJNS0_4CoshIS8_EEEEEvT_T0_DpT1_.kd
    .uniform_work_group_size: 1
    .uses_dynamic_stack: false
    .vgpr_count:     47
    .vgpr_spill_count: 0
    .wavefront_size: 64
  - .agpr_count:     0
    .args:
      - .offset:         0
        .size:           3144
        .value_kind:     by_value
      - .offset:         3144
        .size:           1
        .value_kind:     by_value
      - .offset:         3145
        .size:           1
        .value_kind:     by_value
      - .offset:         3152
        .size:           4
        .value_kind:     hidden_block_count_x
      - .offset:         3156
        .size:           4
        .value_kind:     hidden_block_count_y
      - .offset:         3160
        .size:           4
        .value_kind:     hidden_block_count_z
      - .offset:         3164
        .size:           2
        .value_kind:     hidden_group_size_x
      - .offset:         3166
        .size:           2
        .value_kind:     hidden_group_size_y
      - .offset:         3168
        .size:           2
        .value_kind:     hidden_group_size_z
      - .offset:         3170
        .size:           2
        .value_kind:     hidden_remainder_x
      - .offset:         3172
        .size:           2
        .value_kind:     hidden_remainder_y
      - .offset:         3174
        .size:           2
        .value_kind:     hidden_remainder_z
      - .offset:         3192
        .size:           8
        .value_kind:     hidden_global_offset_x
      - .offset:         3200
        .size:           8
        .value_kind:     hidden_global_offset_y
      - .offset:         3208
        .size:           8
        .value_kind:     hidden_global_offset_z
      - .offset:         3216
        .size:           2
        .value_kind:     hidden_grid_dims
    .group_segment_fixed_size: 0
    .kernarg_segment_align: 8
    .kernarg_segment_size: 3408
    .language:       OpenCL C
    .language_version:
      - 2
      - 0
    .max_flat_workgroup_size: 512
    .name:           _ZN2at6native12_GLOBAL__N_125multi_tensor_apply_kernelINS1_18TensorListMetadataILi2EEENS1_14UnaryOpFunctorIN3c104HalfELi2ELi1ELi1EEEJNS0_4CoshIfEEEEEvT_T0_DpT1_
    .private_segment_fixed_size: 0
    .sgpr_count:     28
    .sgpr_spill_count: 0
    .symbol:         _ZN2at6native12_GLOBAL__N_125multi_tensor_apply_kernelINS1_18TensorListMetadataILi2EEENS1_14UnaryOpFunctorIN3c104HalfELi2ELi1ELi1EEEJNS0_4CoshIfEEEEEvT_T0_DpT1_.kd
    .uniform_work_group_size: 1
    .uses_dynamic_stack: false
    .vgpr_count:     54
    .vgpr_spill_count: 0
    .wavefront_size: 64
  - .agpr_count:     0
    .args:
      - .offset:         0
        .size:           3144
        .value_kind:     by_value
      - .offset:         3144
        .size:           1
        .value_kind:     by_value
      - .offset:         3145
        .size:           1
        .value_kind:     by_value
      - .offset:         3152
        .size:           4
        .value_kind:     hidden_block_count_x
      - .offset:         3156
        .size:           4
        .value_kind:     hidden_block_count_y
      - .offset:         3160
        .size:           4
        .value_kind:     hidden_block_count_z
      - .offset:         3164
        .size:           2
        .value_kind:     hidden_group_size_x
      - .offset:         3166
        .size:           2
        .value_kind:     hidden_group_size_y
      - .offset:         3168
        .size:           2
        .value_kind:     hidden_group_size_z
      - .offset:         3170
        .size:           2
        .value_kind:     hidden_remainder_x
      - .offset:         3172
        .size:           2
        .value_kind:     hidden_remainder_y
      - .offset:         3174
        .size:           2
        .value_kind:     hidden_remainder_z
      - .offset:         3192
        .size:           8
        .value_kind:     hidden_global_offset_x
      - .offset:         3200
        .size:           8
        .value_kind:     hidden_global_offset_y
      - .offset:         3208
        .size:           8
        .value_kind:     hidden_global_offset_z
      - .offset:         3216
        .size:           2
        .value_kind:     hidden_grid_dims
    .group_segment_fixed_size: 0
    .kernarg_segment_align: 8
    .kernarg_segment_size: 3408
    .language:       OpenCL C
    .language_version:
      - 2
      - 0
    .max_flat_workgroup_size: 512
    .name:           _ZN2at6native12_GLOBAL__N_125multi_tensor_apply_kernelINS1_18TensorListMetadataILi2EEENS1_14UnaryOpFunctorIN3c108BFloat16ELi2ELi1ELi1EEEJNS0_4CoshIfEEEEEvT_T0_DpT1_
    .private_segment_fixed_size: 0
    .sgpr_count:     30
    .sgpr_spill_count: 0
    .symbol:         _ZN2at6native12_GLOBAL__N_125multi_tensor_apply_kernelINS1_18TensorListMetadataILi2EEENS1_14UnaryOpFunctorIN3c108BFloat16ELi2ELi1ELi1EEEJNS0_4CoshIfEEEEEvT_T0_DpT1_.kd
    .uniform_work_group_size: 1
    .uses_dynamic_stack: false
    .vgpr_count:     55
    .vgpr_spill_count: 0
    .wavefront_size: 64
  - .agpr_count:     0
    .args:
      - .offset:         0
        .size:           3368
        .value_kind:     by_value
      - .offset:         3368
        .size:           1
        .value_kind:     by_value
      - .offset:         3369
        .size:           1
        .value_kind:     by_value
      - .offset:         3376
        .size:           4
        .value_kind:     hidden_block_count_x
      - .offset:         3380
        .size:           4
        .value_kind:     hidden_block_count_y
      - .offset:         3384
        .size:           4
        .value_kind:     hidden_block_count_z
      - .offset:         3388
        .size:           2
        .value_kind:     hidden_group_size_x
      - .offset:         3390
        .size:           2
        .value_kind:     hidden_group_size_y
      - .offset:         3392
        .size:           2
        .value_kind:     hidden_group_size_z
      - .offset:         3394
        .size:           2
        .value_kind:     hidden_remainder_x
      - .offset:         3396
        .size:           2
        .value_kind:     hidden_remainder_y
      - .offset:         3398
        .size:           2
        .value_kind:     hidden_remainder_z
      - .offset:         3416
        .size:           8
        .value_kind:     hidden_global_offset_x
      - .offset:         3424
        .size:           8
        .value_kind:     hidden_global_offset_y
      - .offset:         3432
        .size:           8
        .value_kind:     hidden_global_offset_z
      - .offset:         3440
        .size:           2
        .value_kind:     hidden_grid_dims
    .group_segment_fixed_size: 0
    .kernarg_segment_align: 8
    .kernarg_segment_size: 3632
    .language:       OpenCL C
    .language_version:
      - 2
      - 0
    .max_flat_workgroup_size: 512
    .name:           _ZN2at6native12_GLOBAL__N_125multi_tensor_apply_kernelINS1_18TensorListMetadataILi1EEENS1_14UnaryOpFunctorIdLi1ELi1ELi0EEEJNS0_4CoshIdEEEEEvT_T0_DpT1_
    .private_segment_fixed_size: 0
    .sgpr_count:     52
    .sgpr_spill_count: 0
    .symbol:         _ZN2at6native12_GLOBAL__N_125multi_tensor_apply_kernelINS1_18TensorListMetadataILi1EEENS1_14UnaryOpFunctorIdLi1ELi1ELi0EEEJNS0_4CoshIdEEEEEvT_T0_DpT1_.kd
    .uniform_work_group_size: 1
    .uses_dynamic_stack: false
    .vgpr_count:     62
    .vgpr_spill_count: 0
    .wavefront_size: 64
  - .agpr_count:     0
    .args:
      - .offset:         0
        .size:           3368
        .value_kind:     by_value
      - .offset:         3368
        .size:           1
        .value_kind:     by_value
      - .offset:         3369
        .size:           1
        .value_kind:     by_value
      - .offset:         3376
        .size:           4
        .value_kind:     hidden_block_count_x
      - .offset:         3380
        .size:           4
        .value_kind:     hidden_block_count_y
      - .offset:         3384
        .size:           4
        .value_kind:     hidden_block_count_z
      - .offset:         3388
        .size:           2
        .value_kind:     hidden_group_size_x
      - .offset:         3390
        .size:           2
        .value_kind:     hidden_group_size_y
      - .offset:         3392
        .size:           2
        .value_kind:     hidden_group_size_z
      - .offset:         3394
        .size:           2
        .value_kind:     hidden_remainder_x
      - .offset:         3396
        .size:           2
        .value_kind:     hidden_remainder_y
      - .offset:         3398
        .size:           2
        .value_kind:     hidden_remainder_z
      - .offset:         3416
        .size:           8
        .value_kind:     hidden_global_offset_x
      - .offset:         3424
        .size:           8
        .value_kind:     hidden_global_offset_y
      - .offset:         3432
        .size:           8
        .value_kind:     hidden_global_offset_z
      - .offset:         3440
        .size:           2
        .value_kind:     hidden_grid_dims
    .group_segment_fixed_size: 0
    .kernarg_segment_align: 8
    .kernarg_segment_size: 3632
    .language:       OpenCL C
    .language_version:
      - 2
      - 0
    .max_flat_workgroup_size: 512
    .name:           _ZN2at6native12_GLOBAL__N_125multi_tensor_apply_kernelINS1_18TensorListMetadataILi1EEENS1_14UnaryOpFunctorIfLi1ELi1ELi0EEEJNS0_4CoshIfEEEEEvT_T0_DpT1_
    .private_segment_fixed_size: 0
    .sgpr_count:     36
    .sgpr_spill_count: 0
    .symbol:         _ZN2at6native12_GLOBAL__N_125multi_tensor_apply_kernelINS1_18TensorListMetadataILi1EEENS1_14UnaryOpFunctorIfLi1ELi1ELi0EEEJNS0_4CoshIfEEEEEvT_T0_DpT1_.kd
    .uniform_work_group_size: 1
    .uses_dynamic_stack: false
    .vgpr_count:     37
    .vgpr_spill_count: 0
    .wavefront_size: 64
  - .agpr_count:     0
    .args:
      - .offset:         0
        .size:           3368
        .value_kind:     by_value
      - .offset:         3368
        .size:           1
        .value_kind:     by_value
      - .offset:         3369
        .size:           1
        .value_kind:     by_value
      - .offset:         3376
        .size:           4
        .value_kind:     hidden_block_count_x
      - .offset:         3380
        .size:           4
        .value_kind:     hidden_block_count_y
      - .offset:         3384
        .size:           4
        .value_kind:     hidden_block_count_z
      - .offset:         3388
        .size:           2
        .value_kind:     hidden_group_size_x
      - .offset:         3390
        .size:           2
        .value_kind:     hidden_group_size_y
      - .offset:         3392
        .size:           2
        .value_kind:     hidden_group_size_z
      - .offset:         3394
        .size:           2
        .value_kind:     hidden_remainder_x
      - .offset:         3396
        .size:           2
        .value_kind:     hidden_remainder_y
      - .offset:         3398
        .size:           2
        .value_kind:     hidden_remainder_z
      - .offset:         3416
        .size:           8
        .value_kind:     hidden_global_offset_x
      - .offset:         3424
        .size:           8
        .value_kind:     hidden_global_offset_y
      - .offset:         3432
        .size:           8
        .value_kind:     hidden_global_offset_z
      - .offset:         3440
        .size:           2
        .value_kind:     hidden_grid_dims
    .group_segment_fixed_size: 0
    .kernarg_segment_align: 8
    .kernarg_segment_size: 3632
    .language:       OpenCL C
    .language_version:
      - 2
      - 0
    .max_flat_workgroup_size: 512
    .name:           _ZN2at6native12_GLOBAL__N_125multi_tensor_apply_kernelINS1_18TensorListMetadataILi1EEENS1_14UnaryOpFunctorIN3c107complexIdEELi1ELi1ELi0EEEJNS0_4CoshIS8_EEEEEvT_T0_DpT1_
    .private_segment_fixed_size: 8
    .sgpr_count:     69
    .sgpr_spill_count: 0
    .symbol:         _ZN2at6native12_GLOBAL__N_125multi_tensor_apply_kernelINS1_18TensorListMetadataILi1EEENS1_14UnaryOpFunctorIN3c107complexIdEELi1ELi1ELi0EEEJNS0_4CoshIS8_EEEEEvT_T0_DpT1_.kd
    .uniform_work_group_size: 1
    .uses_dynamic_stack: false
    .vgpr_count:     66
    .vgpr_spill_count: 0
    .wavefront_size: 64
  - .agpr_count:     0
    .args:
      - .offset:         0
        .size:           3368
        .value_kind:     by_value
      - .offset:         3368
        .size:           1
        .value_kind:     by_value
      - .offset:         3369
        .size:           1
        .value_kind:     by_value
      - .offset:         3376
        .size:           4
        .value_kind:     hidden_block_count_x
      - .offset:         3380
        .size:           4
        .value_kind:     hidden_block_count_y
      - .offset:         3384
        .size:           4
        .value_kind:     hidden_block_count_z
      - .offset:         3388
        .size:           2
        .value_kind:     hidden_group_size_x
      - .offset:         3390
        .size:           2
        .value_kind:     hidden_group_size_y
      - .offset:         3392
        .size:           2
        .value_kind:     hidden_group_size_z
      - .offset:         3394
        .size:           2
        .value_kind:     hidden_remainder_x
      - .offset:         3396
        .size:           2
        .value_kind:     hidden_remainder_y
      - .offset:         3398
        .size:           2
        .value_kind:     hidden_remainder_z
      - .offset:         3416
        .size:           8
        .value_kind:     hidden_global_offset_x
      - .offset:         3424
        .size:           8
        .value_kind:     hidden_global_offset_y
      - .offset:         3432
        .size:           8
        .value_kind:     hidden_global_offset_z
      - .offset:         3440
        .size:           2
        .value_kind:     hidden_grid_dims
    .group_segment_fixed_size: 0
    .kernarg_segment_align: 8
    .kernarg_segment_size: 3632
    .language:       OpenCL C
    .language_version:
      - 2
      - 0
    .max_flat_workgroup_size: 512
    .name:           _ZN2at6native12_GLOBAL__N_125multi_tensor_apply_kernelINS1_18TensorListMetadataILi1EEENS1_14UnaryOpFunctorIN3c107complexIfEELi1ELi1ELi0EEEJNS0_4CoshIS8_EEEEEvT_T0_DpT1_
    .private_segment_fixed_size: 0
    .sgpr_count:     59
    .sgpr_spill_count: 0
    .symbol:         _ZN2at6native12_GLOBAL__N_125multi_tensor_apply_kernelINS1_18TensorListMetadataILi1EEENS1_14UnaryOpFunctorIN3c107complexIfEELi1ELi1ELi0EEEJNS0_4CoshIS8_EEEEEvT_T0_DpT1_.kd
    .uniform_work_group_size: 1
    .uses_dynamic_stack: false
    .vgpr_count:     43
    .vgpr_spill_count: 0
    .wavefront_size: 64
  - .agpr_count:     0
    .args:
      - .offset:         0
        .size:           3368
        .value_kind:     by_value
      - .offset:         3368
        .size:           1
        .value_kind:     by_value
      - .offset:         3369
        .size:           1
        .value_kind:     by_value
      - .offset:         3376
        .size:           4
        .value_kind:     hidden_block_count_x
      - .offset:         3380
        .size:           4
        .value_kind:     hidden_block_count_y
      - .offset:         3384
        .size:           4
        .value_kind:     hidden_block_count_z
      - .offset:         3388
        .size:           2
        .value_kind:     hidden_group_size_x
      - .offset:         3390
        .size:           2
        .value_kind:     hidden_group_size_y
      - .offset:         3392
        .size:           2
        .value_kind:     hidden_group_size_z
      - .offset:         3394
        .size:           2
        .value_kind:     hidden_remainder_x
      - .offset:         3396
        .size:           2
        .value_kind:     hidden_remainder_y
      - .offset:         3398
        .size:           2
        .value_kind:     hidden_remainder_z
      - .offset:         3416
        .size:           8
        .value_kind:     hidden_global_offset_x
      - .offset:         3424
        .size:           8
        .value_kind:     hidden_global_offset_y
      - .offset:         3432
        .size:           8
        .value_kind:     hidden_global_offset_z
      - .offset:         3440
        .size:           2
        .value_kind:     hidden_grid_dims
    .group_segment_fixed_size: 0
    .kernarg_segment_align: 8
    .kernarg_segment_size: 3632
    .language:       OpenCL C
    .language_version:
      - 2
      - 0
    .max_flat_workgroup_size: 512
    .name:           _ZN2at6native12_GLOBAL__N_125multi_tensor_apply_kernelINS1_18TensorListMetadataILi1EEENS1_14UnaryOpFunctorIN3c104HalfELi1ELi1ELi0EEEJNS0_4CoshIfEEEEEvT_T0_DpT1_
    .private_segment_fixed_size: 0
    .sgpr_count:     34
    .sgpr_spill_count: 0
    .symbol:         _ZN2at6native12_GLOBAL__N_125multi_tensor_apply_kernelINS1_18TensorListMetadataILi1EEENS1_14UnaryOpFunctorIN3c104HalfELi1ELi1ELi0EEEJNS0_4CoshIfEEEEEvT_T0_DpT1_.kd
    .uniform_work_group_size: 1
    .uses_dynamic_stack: false
    .vgpr_count:     42
    .vgpr_spill_count: 0
    .wavefront_size: 64
  - .agpr_count:     0
    .args:
      - .offset:         0
        .size:           3368
        .value_kind:     by_value
      - .offset:         3368
        .size:           1
        .value_kind:     by_value
      - .offset:         3369
        .size:           1
        .value_kind:     by_value
      - .offset:         3376
        .size:           4
        .value_kind:     hidden_block_count_x
      - .offset:         3380
        .size:           4
        .value_kind:     hidden_block_count_y
      - .offset:         3384
        .size:           4
        .value_kind:     hidden_block_count_z
      - .offset:         3388
        .size:           2
        .value_kind:     hidden_group_size_x
      - .offset:         3390
        .size:           2
        .value_kind:     hidden_group_size_y
      - .offset:         3392
        .size:           2
        .value_kind:     hidden_group_size_z
      - .offset:         3394
        .size:           2
        .value_kind:     hidden_remainder_x
      - .offset:         3396
        .size:           2
        .value_kind:     hidden_remainder_y
      - .offset:         3398
        .size:           2
        .value_kind:     hidden_remainder_z
      - .offset:         3416
        .size:           8
        .value_kind:     hidden_global_offset_x
      - .offset:         3424
        .size:           8
        .value_kind:     hidden_global_offset_y
      - .offset:         3432
        .size:           8
        .value_kind:     hidden_global_offset_z
      - .offset:         3440
        .size:           2
        .value_kind:     hidden_grid_dims
    .group_segment_fixed_size: 0
    .kernarg_segment_align: 8
    .kernarg_segment_size: 3632
    .language:       OpenCL C
    .language_version:
      - 2
      - 0
    .max_flat_workgroup_size: 512
    .name:           _ZN2at6native12_GLOBAL__N_125multi_tensor_apply_kernelINS1_18TensorListMetadataILi1EEENS1_14UnaryOpFunctorIN3c108BFloat16ELi1ELi1ELi0EEEJNS0_4CoshIfEEEEEvT_T0_DpT1_
    .private_segment_fixed_size: 0
    .sgpr_count:     36
    .sgpr_spill_count: 0
    .symbol:         _ZN2at6native12_GLOBAL__N_125multi_tensor_apply_kernelINS1_18TensorListMetadataILi1EEENS1_14UnaryOpFunctorIN3c108BFloat16ELi1ELi1ELi0EEEJNS0_4CoshIfEEEEEvT_T0_DpT1_.kd
    .uniform_work_group_size: 1
    .uses_dynamic_stack: false
    .vgpr_count:     38
    .vgpr_spill_count: 0
    .wavefront_size: 64
  - .agpr_count:     0
    .args:
      - .offset:         0
        .size:           3144
        .value_kind:     by_value
      - .offset:         3144
        .size:           1
        .value_kind:     by_value
      - .offset:         3145
        .size:           1
        .value_kind:     by_value
      - .offset:         3152
        .size:           4
        .value_kind:     hidden_block_count_x
      - .offset:         3156
        .size:           4
        .value_kind:     hidden_block_count_y
      - .offset:         3160
        .size:           4
        .value_kind:     hidden_block_count_z
      - .offset:         3164
        .size:           2
        .value_kind:     hidden_group_size_x
      - .offset:         3166
        .size:           2
        .value_kind:     hidden_group_size_y
      - .offset:         3168
        .size:           2
        .value_kind:     hidden_group_size_z
      - .offset:         3170
        .size:           2
        .value_kind:     hidden_remainder_x
      - .offset:         3172
        .size:           2
        .value_kind:     hidden_remainder_y
      - .offset:         3174
        .size:           2
        .value_kind:     hidden_remainder_z
      - .offset:         3192
        .size:           8
        .value_kind:     hidden_global_offset_x
      - .offset:         3200
        .size:           8
        .value_kind:     hidden_global_offset_y
      - .offset:         3208
        .size:           8
        .value_kind:     hidden_global_offset_z
      - .offset:         3216
        .size:           2
        .value_kind:     hidden_grid_dims
    .group_segment_fixed_size: 0
    .kernarg_segment_align: 8
    .kernarg_segment_size: 3408
    .language:       OpenCL C
    .language_version:
      - 2
      - 0
    .max_flat_workgroup_size: 512
    .name:           _ZN2at6native12_GLOBAL__N_125multi_tensor_apply_kernelINS1_18TensorListMetadataILi2EEENS1_14UnaryOpFunctorIdLi2ELi1ELi1EEEJNS0_3TanIdEEEEEvT_T0_DpT1_
    .private_segment_fixed_size: 0
    .sgpr_count:     82
    .sgpr_spill_count: 0
    .symbol:         _ZN2at6native12_GLOBAL__N_125multi_tensor_apply_kernelINS1_18TensorListMetadataILi2EEENS1_14UnaryOpFunctorIdLi2ELi1ELi1EEEJNS0_3TanIdEEEEEvT_T0_DpT1_.kd
    .uniform_work_group_size: 1
    .uses_dynamic_stack: false
    .vgpr_count:     100
    .vgpr_spill_count: 0
    .wavefront_size: 64
  - .agpr_count:     0
    .args:
      - .offset:         0
        .size:           3144
        .value_kind:     by_value
      - .offset:         3144
        .size:           1
        .value_kind:     by_value
      - .offset:         3145
        .size:           1
        .value_kind:     by_value
      - .offset:         3152
        .size:           4
        .value_kind:     hidden_block_count_x
      - .offset:         3156
        .size:           4
        .value_kind:     hidden_block_count_y
      - .offset:         3160
        .size:           4
        .value_kind:     hidden_block_count_z
      - .offset:         3164
        .size:           2
        .value_kind:     hidden_group_size_x
      - .offset:         3166
        .size:           2
        .value_kind:     hidden_group_size_y
      - .offset:         3168
        .size:           2
        .value_kind:     hidden_group_size_z
      - .offset:         3170
        .size:           2
        .value_kind:     hidden_remainder_x
      - .offset:         3172
        .size:           2
        .value_kind:     hidden_remainder_y
      - .offset:         3174
        .size:           2
        .value_kind:     hidden_remainder_z
      - .offset:         3192
        .size:           8
        .value_kind:     hidden_global_offset_x
      - .offset:         3200
        .size:           8
        .value_kind:     hidden_global_offset_y
      - .offset:         3208
        .size:           8
        .value_kind:     hidden_global_offset_z
      - .offset:         3216
        .size:           2
        .value_kind:     hidden_grid_dims
    .group_segment_fixed_size: 0
    .kernarg_segment_align: 8
    .kernarg_segment_size: 3408
    .language:       OpenCL C
    .language_version:
      - 2
      - 0
    .max_flat_workgroup_size: 512
    .name:           _ZN2at6native12_GLOBAL__N_125multi_tensor_apply_kernelINS1_18TensorListMetadataILi2EEENS1_14UnaryOpFunctorIfLi2ELi1ELi1EEEJNS0_3TanIfEEEEEvT_T0_DpT1_
    .private_segment_fixed_size: 0
    .sgpr_count:     48
    .sgpr_spill_count: 0
    .symbol:         _ZN2at6native12_GLOBAL__N_125multi_tensor_apply_kernelINS1_18TensorListMetadataILi2EEENS1_14UnaryOpFunctorIfLi2ELi1ELi1EEEJNS0_3TanIfEEEEEvT_T0_DpT1_.kd
    .uniform_work_group_size: 1
    .uses_dynamic_stack: false
    .vgpr_count:     58
    .vgpr_spill_count: 0
    .wavefront_size: 64
  - .agpr_count:     0
    .args:
      - .offset:         0
        .size:           3144
        .value_kind:     by_value
      - .offset:         3144
        .size:           1
        .value_kind:     by_value
      - .offset:         3145
        .size:           1
        .value_kind:     by_value
      - .offset:         3152
        .size:           4
        .value_kind:     hidden_block_count_x
      - .offset:         3156
        .size:           4
        .value_kind:     hidden_block_count_y
      - .offset:         3160
        .size:           4
        .value_kind:     hidden_block_count_z
      - .offset:         3164
        .size:           2
        .value_kind:     hidden_group_size_x
      - .offset:         3166
        .size:           2
        .value_kind:     hidden_group_size_y
      - .offset:         3168
        .size:           2
        .value_kind:     hidden_group_size_z
      - .offset:         3170
        .size:           2
        .value_kind:     hidden_remainder_x
      - .offset:         3172
        .size:           2
        .value_kind:     hidden_remainder_y
      - .offset:         3174
        .size:           2
        .value_kind:     hidden_remainder_z
      - .offset:         3192
        .size:           8
        .value_kind:     hidden_global_offset_x
      - .offset:         3200
        .size:           8
        .value_kind:     hidden_global_offset_y
      - .offset:         3208
        .size:           8
        .value_kind:     hidden_global_offset_z
      - .offset:         3216
        .size:           2
        .value_kind:     hidden_grid_dims
    .group_segment_fixed_size: 0
    .kernarg_segment_align: 8
    .kernarg_segment_size: 3408
    .language:       OpenCL C
    .language_version:
      - 2
      - 0
    .max_flat_workgroup_size: 512
    .name:           _ZN2at6native12_GLOBAL__N_125multi_tensor_apply_kernelINS1_18TensorListMetadataILi2EEENS1_14UnaryOpFunctorIN3c107complexIdEELi2ELi1ELi1EEEJNS0_3TanIS8_EEEEEvT_T0_DpT1_
    .private_segment_fixed_size: 0
    .sgpr_count:     100
    .sgpr_spill_count: 4
    .symbol:         _ZN2at6native12_GLOBAL__N_125multi_tensor_apply_kernelINS1_18TensorListMetadataILi2EEENS1_14UnaryOpFunctorIN3c107complexIdEELi2ELi1ELi1EEEJNS0_3TanIS8_EEEEEvT_T0_DpT1_.kd
    .uniform_work_group_size: 1
    .uses_dynamic_stack: false
    .vgpr_count:     115
    .vgpr_spill_count: 0
    .wavefront_size: 64
  - .agpr_count:     0
    .args:
      - .offset:         0
        .size:           3144
        .value_kind:     by_value
      - .offset:         3144
        .size:           1
        .value_kind:     by_value
      - .offset:         3145
        .size:           1
        .value_kind:     by_value
      - .offset:         3152
        .size:           4
        .value_kind:     hidden_block_count_x
      - .offset:         3156
        .size:           4
        .value_kind:     hidden_block_count_y
      - .offset:         3160
        .size:           4
        .value_kind:     hidden_block_count_z
      - .offset:         3164
        .size:           2
        .value_kind:     hidden_group_size_x
      - .offset:         3166
        .size:           2
        .value_kind:     hidden_group_size_y
      - .offset:         3168
        .size:           2
        .value_kind:     hidden_group_size_z
      - .offset:         3170
        .size:           2
        .value_kind:     hidden_remainder_x
      - .offset:         3172
        .size:           2
        .value_kind:     hidden_remainder_y
      - .offset:         3174
        .size:           2
        .value_kind:     hidden_remainder_z
      - .offset:         3192
        .size:           8
        .value_kind:     hidden_global_offset_x
      - .offset:         3200
        .size:           8
        .value_kind:     hidden_global_offset_y
      - .offset:         3208
        .size:           8
        .value_kind:     hidden_global_offset_z
      - .offset:         3216
        .size:           2
        .value_kind:     hidden_grid_dims
    .group_segment_fixed_size: 0
    .kernarg_segment_align: 8
    .kernarg_segment_size: 3408
    .language:       OpenCL C
    .language_version:
      - 2
      - 0
    .max_flat_workgroup_size: 512
    .name:           _ZN2at6native12_GLOBAL__N_125multi_tensor_apply_kernelINS1_18TensorListMetadataILi2EEENS1_14UnaryOpFunctorIN3c107complexIfEELi2ELi1ELi1EEEJNS0_3TanIS8_EEEEEvT_T0_DpT1_
    .private_segment_fixed_size: 0
    .sgpr_count:     71
    .sgpr_spill_count: 0
    .symbol:         _ZN2at6native12_GLOBAL__N_125multi_tensor_apply_kernelINS1_18TensorListMetadataILi2EEENS1_14UnaryOpFunctorIN3c107complexIfEELi2ELi1ELi1EEEJNS0_3TanIS8_EEEEEvT_T0_DpT1_.kd
    .uniform_work_group_size: 1
    .uses_dynamic_stack: false
    .vgpr_count:     60
    .vgpr_spill_count: 0
    .wavefront_size: 64
  - .agpr_count:     0
    .args:
      - .offset:         0
        .size:           3144
        .value_kind:     by_value
      - .offset:         3144
        .size:           1
        .value_kind:     by_value
      - .offset:         3145
        .size:           1
        .value_kind:     by_value
      - .offset:         3152
        .size:           4
        .value_kind:     hidden_block_count_x
      - .offset:         3156
        .size:           4
        .value_kind:     hidden_block_count_y
      - .offset:         3160
        .size:           4
        .value_kind:     hidden_block_count_z
      - .offset:         3164
        .size:           2
        .value_kind:     hidden_group_size_x
      - .offset:         3166
        .size:           2
        .value_kind:     hidden_group_size_y
      - .offset:         3168
        .size:           2
        .value_kind:     hidden_group_size_z
      - .offset:         3170
        .size:           2
        .value_kind:     hidden_remainder_x
      - .offset:         3172
        .size:           2
        .value_kind:     hidden_remainder_y
      - .offset:         3174
        .size:           2
        .value_kind:     hidden_remainder_z
      - .offset:         3192
        .size:           8
        .value_kind:     hidden_global_offset_x
      - .offset:         3200
        .size:           8
        .value_kind:     hidden_global_offset_y
      - .offset:         3208
        .size:           8
        .value_kind:     hidden_global_offset_z
      - .offset:         3216
        .size:           2
        .value_kind:     hidden_grid_dims
    .group_segment_fixed_size: 0
    .kernarg_segment_align: 8
    .kernarg_segment_size: 3408
    .language:       OpenCL C
    .language_version:
      - 2
      - 0
    .max_flat_workgroup_size: 512
    .name:           _ZN2at6native12_GLOBAL__N_125multi_tensor_apply_kernelINS1_18TensorListMetadataILi2EEENS1_14UnaryOpFunctorIN3c104HalfELi2ELi1ELi1EEEJNS0_3TanIfEEEEEvT_T0_DpT1_
    .private_segment_fixed_size: 0
    .sgpr_count:     48
    .sgpr_spill_count: 0
    .symbol:         _ZN2at6native12_GLOBAL__N_125multi_tensor_apply_kernelINS1_18TensorListMetadataILi2EEENS1_14UnaryOpFunctorIN3c104HalfELi2ELi1ELi1EEEJNS0_3TanIfEEEEEvT_T0_DpT1_.kd
    .uniform_work_group_size: 1
    .uses_dynamic_stack: false
    .vgpr_count:     58
    .vgpr_spill_count: 0
    .wavefront_size: 64
  - .agpr_count:     0
    .args:
      - .offset:         0
        .size:           3144
        .value_kind:     by_value
      - .offset:         3144
        .size:           1
        .value_kind:     by_value
      - .offset:         3145
        .size:           1
        .value_kind:     by_value
      - .offset:         3152
        .size:           4
        .value_kind:     hidden_block_count_x
      - .offset:         3156
        .size:           4
        .value_kind:     hidden_block_count_y
      - .offset:         3160
        .size:           4
        .value_kind:     hidden_block_count_z
      - .offset:         3164
        .size:           2
        .value_kind:     hidden_group_size_x
      - .offset:         3166
        .size:           2
        .value_kind:     hidden_group_size_y
      - .offset:         3168
        .size:           2
        .value_kind:     hidden_group_size_z
      - .offset:         3170
        .size:           2
        .value_kind:     hidden_remainder_x
      - .offset:         3172
        .size:           2
        .value_kind:     hidden_remainder_y
      - .offset:         3174
        .size:           2
        .value_kind:     hidden_remainder_z
      - .offset:         3192
        .size:           8
        .value_kind:     hidden_global_offset_x
      - .offset:         3200
        .size:           8
        .value_kind:     hidden_global_offset_y
      - .offset:         3208
        .size:           8
        .value_kind:     hidden_global_offset_z
      - .offset:         3216
        .size:           2
        .value_kind:     hidden_grid_dims
    .group_segment_fixed_size: 0
    .kernarg_segment_align: 8
    .kernarg_segment_size: 3408
    .language:       OpenCL C
    .language_version:
      - 2
      - 0
    .max_flat_workgroup_size: 512
    .name:           _ZN2at6native12_GLOBAL__N_125multi_tensor_apply_kernelINS1_18TensorListMetadataILi2EEENS1_14UnaryOpFunctorIN3c108BFloat16ELi2ELi1ELi1EEEJNS0_3TanIfEEEEEvT_T0_DpT1_
    .private_segment_fixed_size: 0
    .sgpr_count:     46
    .sgpr_spill_count: 0
    .symbol:         _ZN2at6native12_GLOBAL__N_125multi_tensor_apply_kernelINS1_18TensorListMetadataILi2EEENS1_14UnaryOpFunctorIN3c108BFloat16ELi2ELi1ELi1EEEJNS0_3TanIfEEEEEvT_T0_DpT1_.kd
    .uniform_work_group_size: 1
    .uses_dynamic_stack: false
    .vgpr_count:     59
    .vgpr_spill_count: 0
    .wavefront_size: 64
  - .agpr_count:     0
    .args:
      - .offset:         0
        .size:           3368
        .value_kind:     by_value
      - .offset:         3368
        .size:           1
        .value_kind:     by_value
      - .offset:         3369
        .size:           1
        .value_kind:     by_value
      - .offset:         3376
        .size:           4
        .value_kind:     hidden_block_count_x
      - .offset:         3380
        .size:           4
        .value_kind:     hidden_block_count_y
      - .offset:         3384
        .size:           4
        .value_kind:     hidden_block_count_z
      - .offset:         3388
        .size:           2
        .value_kind:     hidden_group_size_x
      - .offset:         3390
        .size:           2
        .value_kind:     hidden_group_size_y
      - .offset:         3392
        .size:           2
        .value_kind:     hidden_group_size_z
      - .offset:         3394
        .size:           2
        .value_kind:     hidden_remainder_x
      - .offset:         3396
        .size:           2
        .value_kind:     hidden_remainder_y
      - .offset:         3398
        .size:           2
        .value_kind:     hidden_remainder_z
      - .offset:         3416
        .size:           8
        .value_kind:     hidden_global_offset_x
      - .offset:         3424
        .size:           8
        .value_kind:     hidden_global_offset_y
      - .offset:         3432
        .size:           8
        .value_kind:     hidden_global_offset_z
      - .offset:         3440
        .size:           2
        .value_kind:     hidden_grid_dims
    .group_segment_fixed_size: 0
    .kernarg_segment_align: 8
    .kernarg_segment_size: 3632
    .language:       OpenCL C
    .language_version:
      - 2
      - 0
    .max_flat_workgroup_size: 512
    .name:           _ZN2at6native12_GLOBAL__N_125multi_tensor_apply_kernelINS1_18TensorListMetadataILi1EEENS1_14UnaryOpFunctorIdLi1ELi1ELi0EEEJNS0_3TanIdEEEEEvT_T0_DpT1_
    .private_segment_fixed_size: 0
    .sgpr_count:     69
    .sgpr_spill_count: 0
    .symbol:         _ZN2at6native12_GLOBAL__N_125multi_tensor_apply_kernelINS1_18TensorListMetadataILi1EEENS1_14UnaryOpFunctorIdLi1ELi1ELi0EEEJNS0_3TanIdEEEEEvT_T0_DpT1_.kd
    .uniform_work_group_size: 1
    .uses_dynamic_stack: false
    .vgpr_count:     88
    .vgpr_spill_count: 0
    .wavefront_size: 64
  - .agpr_count:     0
    .args:
      - .offset:         0
        .size:           3368
        .value_kind:     by_value
      - .offset:         3368
        .size:           1
        .value_kind:     by_value
      - .offset:         3369
        .size:           1
        .value_kind:     by_value
      - .offset:         3376
        .size:           4
        .value_kind:     hidden_block_count_x
      - .offset:         3380
        .size:           4
        .value_kind:     hidden_block_count_y
      - .offset:         3384
        .size:           4
        .value_kind:     hidden_block_count_z
      - .offset:         3388
        .size:           2
        .value_kind:     hidden_group_size_x
      - .offset:         3390
        .size:           2
        .value_kind:     hidden_group_size_y
      - .offset:         3392
        .size:           2
        .value_kind:     hidden_group_size_z
      - .offset:         3394
        .size:           2
        .value_kind:     hidden_remainder_x
      - .offset:         3396
        .size:           2
        .value_kind:     hidden_remainder_y
      - .offset:         3398
        .size:           2
        .value_kind:     hidden_remainder_z
      - .offset:         3416
        .size:           8
        .value_kind:     hidden_global_offset_x
      - .offset:         3424
        .size:           8
        .value_kind:     hidden_global_offset_y
      - .offset:         3432
        .size:           8
        .value_kind:     hidden_global_offset_z
      - .offset:         3440
        .size:           2
        .value_kind:     hidden_grid_dims
    .group_segment_fixed_size: 0
    .kernarg_segment_align: 8
    .kernarg_segment_size: 3632
    .language:       OpenCL C
    .language_version:
      - 2
      - 0
    .max_flat_workgroup_size: 512
    .name:           _ZN2at6native12_GLOBAL__N_125multi_tensor_apply_kernelINS1_18TensorListMetadataILi1EEENS1_14UnaryOpFunctorIfLi1ELi1ELi0EEEJNS0_3TanIfEEEEEvT_T0_DpT1_
    .private_segment_fixed_size: 0
    .sgpr_count:     52
    .sgpr_spill_count: 0
    .symbol:         _ZN2at6native12_GLOBAL__N_125multi_tensor_apply_kernelINS1_18TensorListMetadataILi1EEENS1_14UnaryOpFunctorIfLi1ELi1ELi0EEEJNS0_3TanIfEEEEEvT_T0_DpT1_.kd
    .uniform_work_group_size: 1
    .uses_dynamic_stack: false
    .vgpr_count:     46
    .vgpr_spill_count: 0
    .wavefront_size: 64
  - .agpr_count:     0
    .args:
      - .offset:         0
        .size:           3368
        .value_kind:     by_value
      - .offset:         3368
        .size:           1
        .value_kind:     by_value
      - .offset:         3369
        .size:           1
        .value_kind:     by_value
      - .offset:         3376
        .size:           4
        .value_kind:     hidden_block_count_x
      - .offset:         3380
        .size:           4
        .value_kind:     hidden_block_count_y
      - .offset:         3384
        .size:           4
        .value_kind:     hidden_block_count_z
      - .offset:         3388
        .size:           2
        .value_kind:     hidden_group_size_x
      - .offset:         3390
        .size:           2
        .value_kind:     hidden_group_size_y
      - .offset:         3392
        .size:           2
        .value_kind:     hidden_group_size_z
      - .offset:         3394
        .size:           2
        .value_kind:     hidden_remainder_x
      - .offset:         3396
        .size:           2
        .value_kind:     hidden_remainder_y
      - .offset:         3398
        .size:           2
        .value_kind:     hidden_remainder_z
      - .offset:         3416
        .size:           8
        .value_kind:     hidden_global_offset_x
      - .offset:         3424
        .size:           8
        .value_kind:     hidden_global_offset_y
      - .offset:         3432
        .size:           8
        .value_kind:     hidden_global_offset_z
      - .offset:         3440
        .size:           2
        .value_kind:     hidden_grid_dims
    .group_segment_fixed_size: 0
    .kernarg_segment_align: 8
    .kernarg_segment_size: 3632
    .language:       OpenCL C
    .language_version:
      - 2
      - 0
    .max_flat_workgroup_size: 512
    .name:           _ZN2at6native12_GLOBAL__N_125multi_tensor_apply_kernelINS1_18TensorListMetadataILi1EEENS1_14UnaryOpFunctorIN3c107complexIdEELi1ELi1ELi0EEEJNS0_3TanIS8_EEEEEvT_T0_DpT1_
    .private_segment_fixed_size: 0
    .sgpr_count:     100
    .sgpr_spill_count: 4
    .symbol:         _ZN2at6native12_GLOBAL__N_125multi_tensor_apply_kernelINS1_18TensorListMetadataILi1EEENS1_14UnaryOpFunctorIN3c107complexIdEELi1ELi1ELi0EEEJNS0_3TanIS8_EEEEEvT_T0_DpT1_.kd
    .uniform_work_group_size: 1
    .uses_dynamic_stack: false
    .vgpr_count:     113
    .vgpr_spill_count: 0
    .wavefront_size: 64
  - .agpr_count:     0
    .args:
      - .offset:         0
        .size:           3368
        .value_kind:     by_value
      - .offset:         3368
        .size:           1
        .value_kind:     by_value
      - .offset:         3369
        .size:           1
        .value_kind:     by_value
      - .offset:         3376
        .size:           4
        .value_kind:     hidden_block_count_x
      - .offset:         3380
        .size:           4
        .value_kind:     hidden_block_count_y
      - .offset:         3384
        .size:           4
        .value_kind:     hidden_block_count_z
      - .offset:         3388
        .size:           2
        .value_kind:     hidden_group_size_x
      - .offset:         3390
        .size:           2
        .value_kind:     hidden_group_size_y
      - .offset:         3392
        .size:           2
        .value_kind:     hidden_group_size_z
      - .offset:         3394
        .size:           2
        .value_kind:     hidden_remainder_x
      - .offset:         3396
        .size:           2
        .value_kind:     hidden_remainder_y
      - .offset:         3398
        .size:           2
        .value_kind:     hidden_remainder_z
      - .offset:         3416
        .size:           8
        .value_kind:     hidden_global_offset_x
      - .offset:         3424
        .size:           8
        .value_kind:     hidden_global_offset_y
      - .offset:         3432
        .size:           8
        .value_kind:     hidden_global_offset_z
      - .offset:         3440
        .size:           2
        .value_kind:     hidden_grid_dims
    .group_segment_fixed_size: 0
    .kernarg_segment_align: 8
    .kernarg_segment_size: 3632
    .language:       OpenCL C
    .language_version:
      - 2
      - 0
    .max_flat_workgroup_size: 512
    .name:           _ZN2at6native12_GLOBAL__N_125multi_tensor_apply_kernelINS1_18TensorListMetadataILi1EEENS1_14UnaryOpFunctorIN3c107complexIfEELi1ELi1ELi0EEEJNS0_3TanIS8_EEEEEvT_T0_DpT1_
    .private_segment_fixed_size: 0
    .sgpr_count:     69
    .sgpr_spill_count: 0
    .symbol:         _ZN2at6native12_GLOBAL__N_125multi_tensor_apply_kernelINS1_18TensorListMetadataILi1EEENS1_14UnaryOpFunctorIN3c107complexIfEELi1ELi1ELi0EEEJNS0_3TanIS8_EEEEEvT_T0_DpT1_.kd
    .uniform_work_group_size: 1
    .uses_dynamic_stack: false
    .vgpr_count:     56
    .vgpr_spill_count: 0
    .wavefront_size: 64
  - .agpr_count:     0
    .args:
      - .offset:         0
        .size:           3368
        .value_kind:     by_value
      - .offset:         3368
        .size:           1
        .value_kind:     by_value
      - .offset:         3369
        .size:           1
        .value_kind:     by_value
      - .offset:         3376
        .size:           4
        .value_kind:     hidden_block_count_x
      - .offset:         3380
        .size:           4
        .value_kind:     hidden_block_count_y
      - .offset:         3384
        .size:           4
        .value_kind:     hidden_block_count_z
      - .offset:         3388
        .size:           2
        .value_kind:     hidden_group_size_x
      - .offset:         3390
        .size:           2
        .value_kind:     hidden_group_size_y
      - .offset:         3392
        .size:           2
        .value_kind:     hidden_group_size_z
      - .offset:         3394
        .size:           2
        .value_kind:     hidden_remainder_x
      - .offset:         3396
        .size:           2
        .value_kind:     hidden_remainder_y
      - .offset:         3398
        .size:           2
        .value_kind:     hidden_remainder_z
      - .offset:         3416
        .size:           8
        .value_kind:     hidden_global_offset_x
      - .offset:         3424
        .size:           8
        .value_kind:     hidden_global_offset_y
      - .offset:         3432
        .size:           8
        .value_kind:     hidden_global_offset_z
      - .offset:         3440
        .size:           2
        .value_kind:     hidden_grid_dims
    .group_segment_fixed_size: 0
    .kernarg_segment_align: 8
    .kernarg_segment_size: 3632
    .language:       OpenCL C
    .language_version:
      - 2
      - 0
    .max_flat_workgroup_size: 512
    .name:           _ZN2at6native12_GLOBAL__N_125multi_tensor_apply_kernelINS1_18TensorListMetadataILi1EEENS1_14UnaryOpFunctorIN3c104HalfELi1ELi1ELi0EEEJNS0_3TanIfEEEEEvT_T0_DpT1_
    .private_segment_fixed_size: 0
    .sgpr_count:     51
    .sgpr_spill_count: 0
    .symbol:         _ZN2at6native12_GLOBAL__N_125multi_tensor_apply_kernelINS1_18TensorListMetadataILi1EEENS1_14UnaryOpFunctorIN3c104HalfELi1ELi1ELi0EEEJNS0_3TanIfEEEEEvT_T0_DpT1_.kd
    .uniform_work_group_size: 1
    .uses_dynamic_stack: false
    .vgpr_count:     46
    .vgpr_spill_count: 0
    .wavefront_size: 64
  - .agpr_count:     0
    .args:
      - .offset:         0
        .size:           3368
        .value_kind:     by_value
      - .offset:         3368
        .size:           1
        .value_kind:     by_value
      - .offset:         3369
        .size:           1
        .value_kind:     by_value
      - .offset:         3376
        .size:           4
        .value_kind:     hidden_block_count_x
      - .offset:         3380
        .size:           4
        .value_kind:     hidden_block_count_y
      - .offset:         3384
        .size:           4
        .value_kind:     hidden_block_count_z
      - .offset:         3388
        .size:           2
        .value_kind:     hidden_group_size_x
      - .offset:         3390
        .size:           2
        .value_kind:     hidden_group_size_y
      - .offset:         3392
        .size:           2
        .value_kind:     hidden_group_size_z
      - .offset:         3394
        .size:           2
        .value_kind:     hidden_remainder_x
      - .offset:         3396
        .size:           2
        .value_kind:     hidden_remainder_y
      - .offset:         3398
        .size:           2
        .value_kind:     hidden_remainder_z
      - .offset:         3416
        .size:           8
        .value_kind:     hidden_global_offset_x
      - .offset:         3424
        .size:           8
        .value_kind:     hidden_global_offset_y
      - .offset:         3432
        .size:           8
        .value_kind:     hidden_global_offset_z
      - .offset:         3440
        .size:           2
        .value_kind:     hidden_grid_dims
    .group_segment_fixed_size: 0
    .kernarg_segment_align: 8
    .kernarg_segment_size: 3632
    .language:       OpenCL C
    .language_version:
      - 2
      - 0
    .max_flat_workgroup_size: 512
    .name:           _ZN2at6native12_GLOBAL__N_125multi_tensor_apply_kernelINS1_18TensorListMetadataILi1EEENS1_14UnaryOpFunctorIN3c108BFloat16ELi1ELi1ELi0EEEJNS0_3TanIfEEEEEvT_T0_DpT1_
    .private_segment_fixed_size: 0
    .sgpr_count:     52
    .sgpr_spill_count: 0
    .symbol:         _ZN2at6native12_GLOBAL__N_125multi_tensor_apply_kernelINS1_18TensorListMetadataILi1EEENS1_14UnaryOpFunctorIN3c108BFloat16ELi1ELi1ELi0EEEJNS0_3TanIfEEEEEvT_T0_DpT1_.kd
    .uniform_work_group_size: 1
    .uses_dynamic_stack: false
    .vgpr_count:     47
    .vgpr_spill_count: 0
    .wavefront_size: 64
  - .agpr_count:     0
    .args:
      - .offset:         0
        .size:           3144
        .value_kind:     by_value
      - .offset:         3144
        .size:           1
        .value_kind:     by_value
      - .offset:         3145
        .size:           1
        .value_kind:     by_value
      - .offset:         3152
        .size:           4
        .value_kind:     hidden_block_count_x
      - .offset:         3156
        .size:           4
        .value_kind:     hidden_block_count_y
      - .offset:         3160
        .size:           4
        .value_kind:     hidden_block_count_z
      - .offset:         3164
        .size:           2
        .value_kind:     hidden_group_size_x
      - .offset:         3166
        .size:           2
        .value_kind:     hidden_group_size_y
      - .offset:         3168
        .size:           2
        .value_kind:     hidden_group_size_z
      - .offset:         3170
        .size:           2
        .value_kind:     hidden_remainder_x
      - .offset:         3172
        .size:           2
        .value_kind:     hidden_remainder_y
      - .offset:         3174
        .size:           2
        .value_kind:     hidden_remainder_z
      - .offset:         3192
        .size:           8
        .value_kind:     hidden_global_offset_x
      - .offset:         3200
        .size:           8
        .value_kind:     hidden_global_offset_y
      - .offset:         3208
        .size:           8
        .value_kind:     hidden_global_offset_z
      - .offset:         3216
        .size:           2
        .value_kind:     hidden_grid_dims
    .group_segment_fixed_size: 0
    .kernarg_segment_align: 8
    .kernarg_segment_size: 3408
    .language:       OpenCL C
    .language_version:
      - 2
      - 0
    .max_flat_workgroup_size: 512
    .name:           _ZN2at6native12_GLOBAL__N_125multi_tensor_apply_kernelINS1_18TensorListMetadataILi2EEENS1_14UnaryOpFunctorIdLi2ELi1ELi1EEEJNS0_3SinIdEEEEEvT_T0_DpT1_
    .private_segment_fixed_size: 0
    .sgpr_count:     78
    .sgpr_spill_count: 0
    .symbol:         _ZN2at6native12_GLOBAL__N_125multi_tensor_apply_kernelINS1_18TensorListMetadataILi2EEENS1_14UnaryOpFunctorIdLi2ELi1ELi1EEEJNS0_3SinIdEEEEEvT_T0_DpT1_.kd
    .uniform_work_group_size: 1
    .uses_dynamic_stack: false
    .vgpr_count:     92
    .vgpr_spill_count: 0
    .wavefront_size: 64
  - .agpr_count:     0
    .args:
      - .offset:         0
        .size:           3144
        .value_kind:     by_value
      - .offset:         3144
        .size:           1
        .value_kind:     by_value
      - .offset:         3145
        .size:           1
        .value_kind:     by_value
      - .offset:         3152
        .size:           4
        .value_kind:     hidden_block_count_x
      - .offset:         3156
        .size:           4
        .value_kind:     hidden_block_count_y
      - .offset:         3160
        .size:           4
        .value_kind:     hidden_block_count_z
      - .offset:         3164
        .size:           2
        .value_kind:     hidden_group_size_x
      - .offset:         3166
        .size:           2
        .value_kind:     hidden_group_size_y
      - .offset:         3168
        .size:           2
        .value_kind:     hidden_group_size_z
      - .offset:         3170
        .size:           2
        .value_kind:     hidden_remainder_x
      - .offset:         3172
        .size:           2
        .value_kind:     hidden_remainder_y
      - .offset:         3174
        .size:           2
        .value_kind:     hidden_remainder_z
      - .offset:         3192
        .size:           8
        .value_kind:     hidden_global_offset_x
      - .offset:         3200
        .size:           8
        .value_kind:     hidden_global_offset_y
      - .offset:         3208
        .size:           8
        .value_kind:     hidden_global_offset_z
      - .offset:         3216
        .size:           2
        .value_kind:     hidden_grid_dims
    .group_segment_fixed_size: 0
    .kernarg_segment_align: 8
    .kernarg_segment_size: 3408
    .language:       OpenCL C
    .language_version:
      - 2
      - 0
    .max_flat_workgroup_size: 512
    .name:           _ZN2at6native12_GLOBAL__N_125multi_tensor_apply_kernelINS1_18TensorListMetadataILi2EEENS1_14UnaryOpFunctorIfLi2ELi1ELi1EEEJNS0_3SinIfEEEEEvT_T0_DpT1_
    .private_segment_fixed_size: 0
    .sgpr_count:     48
    .sgpr_spill_count: 0
    .symbol:         _ZN2at6native12_GLOBAL__N_125multi_tensor_apply_kernelINS1_18TensorListMetadataILi2EEENS1_14UnaryOpFunctorIfLi2ELi1ELi1EEEJNS0_3SinIfEEEEEvT_T0_DpT1_.kd
    .uniform_work_group_size: 1
    .uses_dynamic_stack: false
    .vgpr_count:     60
    .vgpr_spill_count: 0
    .wavefront_size: 64
  - .agpr_count:     0
    .args:
      - .offset:         0
        .size:           3144
        .value_kind:     by_value
      - .offset:         3144
        .size:           1
        .value_kind:     by_value
      - .offset:         3145
        .size:           1
        .value_kind:     by_value
      - .offset:         3152
        .size:           4
        .value_kind:     hidden_block_count_x
      - .offset:         3156
        .size:           4
        .value_kind:     hidden_block_count_y
      - .offset:         3160
        .size:           4
        .value_kind:     hidden_block_count_z
      - .offset:         3164
        .size:           2
        .value_kind:     hidden_group_size_x
      - .offset:         3166
        .size:           2
        .value_kind:     hidden_group_size_y
      - .offset:         3168
        .size:           2
        .value_kind:     hidden_group_size_z
      - .offset:         3170
        .size:           2
        .value_kind:     hidden_remainder_x
      - .offset:         3172
        .size:           2
        .value_kind:     hidden_remainder_y
      - .offset:         3174
        .size:           2
        .value_kind:     hidden_remainder_z
      - .offset:         3192
        .size:           8
        .value_kind:     hidden_global_offset_x
      - .offset:         3200
        .size:           8
        .value_kind:     hidden_global_offset_y
      - .offset:         3208
        .size:           8
        .value_kind:     hidden_global_offset_z
      - .offset:         3216
        .size:           2
        .value_kind:     hidden_grid_dims
    .group_segment_fixed_size: 0
    .kernarg_segment_align: 8
    .kernarg_segment_size: 3408
    .language:       OpenCL C
    .language_version:
      - 2
      - 0
    .max_flat_workgroup_size: 512
    .name:           _ZN2at6native12_GLOBAL__N_125multi_tensor_apply_kernelINS1_18TensorListMetadataILi2EEENS1_14UnaryOpFunctorIN3c107complexIdEELi2ELi1ELi1EEEJNS0_3SinIS8_EEEEEvT_T0_DpT1_
    .private_segment_fixed_size: 8
    .sgpr_count:     71
    .sgpr_spill_count: 0
    .symbol:         _ZN2at6native12_GLOBAL__N_125multi_tensor_apply_kernelINS1_18TensorListMetadataILi2EEENS1_14UnaryOpFunctorIN3c107complexIdEELi2ELi1ELi1EEEJNS0_3SinIS8_EEEEEvT_T0_DpT1_.kd
    .uniform_work_group_size: 1
    .uses_dynamic_stack: false
    .vgpr_count:     68
    .vgpr_spill_count: 0
    .wavefront_size: 64
  - .agpr_count:     0
    .args:
      - .offset:         0
        .size:           3144
        .value_kind:     by_value
      - .offset:         3144
        .size:           1
        .value_kind:     by_value
      - .offset:         3145
        .size:           1
        .value_kind:     by_value
      - .offset:         3152
        .size:           4
        .value_kind:     hidden_block_count_x
      - .offset:         3156
        .size:           4
        .value_kind:     hidden_block_count_y
      - .offset:         3160
        .size:           4
        .value_kind:     hidden_block_count_z
      - .offset:         3164
        .size:           2
        .value_kind:     hidden_group_size_x
      - .offset:         3166
        .size:           2
        .value_kind:     hidden_group_size_y
      - .offset:         3168
        .size:           2
        .value_kind:     hidden_group_size_z
      - .offset:         3170
        .size:           2
        .value_kind:     hidden_remainder_x
      - .offset:         3172
        .size:           2
        .value_kind:     hidden_remainder_y
      - .offset:         3174
        .size:           2
        .value_kind:     hidden_remainder_z
      - .offset:         3192
        .size:           8
        .value_kind:     hidden_global_offset_x
      - .offset:         3200
        .size:           8
        .value_kind:     hidden_global_offset_y
      - .offset:         3208
        .size:           8
        .value_kind:     hidden_global_offset_z
      - .offset:         3216
        .size:           2
        .value_kind:     hidden_grid_dims
    .group_segment_fixed_size: 0
    .kernarg_segment_align: 8
    .kernarg_segment_size: 3408
    .language:       OpenCL C
    .language_version:
      - 2
      - 0
    .max_flat_workgroup_size: 512
    .name:           _ZN2at6native12_GLOBAL__N_125multi_tensor_apply_kernelINS1_18TensorListMetadataILi2EEENS1_14UnaryOpFunctorIN3c107complexIfEELi2ELi1ELi1EEEJNS0_3SinIS8_EEEEEvT_T0_DpT1_
    .private_segment_fixed_size: 0
    .sgpr_count:     60
    .sgpr_spill_count: 0
    .symbol:         _ZN2at6native12_GLOBAL__N_125multi_tensor_apply_kernelINS1_18TensorListMetadataILi2EEENS1_14UnaryOpFunctorIN3c107complexIfEELi2ELi1ELi1EEEJNS0_3SinIS8_EEEEEvT_T0_DpT1_.kd
    .uniform_work_group_size: 1
    .uses_dynamic_stack: false
    .vgpr_count:     50
    .vgpr_spill_count: 0
    .wavefront_size: 64
  - .agpr_count:     0
    .args:
      - .offset:         0
        .size:           3144
        .value_kind:     by_value
      - .offset:         3144
        .size:           1
        .value_kind:     by_value
      - .offset:         3145
        .size:           1
        .value_kind:     by_value
      - .offset:         3152
        .size:           4
        .value_kind:     hidden_block_count_x
      - .offset:         3156
        .size:           4
        .value_kind:     hidden_block_count_y
      - .offset:         3160
        .size:           4
        .value_kind:     hidden_block_count_z
      - .offset:         3164
        .size:           2
        .value_kind:     hidden_group_size_x
      - .offset:         3166
        .size:           2
        .value_kind:     hidden_group_size_y
      - .offset:         3168
        .size:           2
        .value_kind:     hidden_group_size_z
      - .offset:         3170
        .size:           2
        .value_kind:     hidden_remainder_x
      - .offset:         3172
        .size:           2
        .value_kind:     hidden_remainder_y
      - .offset:         3174
        .size:           2
        .value_kind:     hidden_remainder_z
      - .offset:         3192
        .size:           8
        .value_kind:     hidden_global_offset_x
      - .offset:         3200
        .size:           8
        .value_kind:     hidden_global_offset_y
      - .offset:         3208
        .size:           8
        .value_kind:     hidden_global_offset_z
      - .offset:         3216
        .size:           2
        .value_kind:     hidden_grid_dims
    .group_segment_fixed_size: 0
    .kernarg_segment_align: 8
    .kernarg_segment_size: 3408
    .language:       OpenCL C
    .language_version:
      - 2
      - 0
    .max_flat_workgroup_size: 512
    .name:           _ZN2at6native12_GLOBAL__N_125multi_tensor_apply_kernelINS1_18TensorListMetadataILi2EEENS1_14UnaryOpFunctorIN3c104HalfELi2ELi1ELi1EEEJNS0_3SinIfEEEEEvT_T0_DpT1_
    .private_segment_fixed_size: 0
    .sgpr_count:     48
    .sgpr_spill_count: 0
    .symbol:         _ZN2at6native12_GLOBAL__N_125multi_tensor_apply_kernelINS1_18TensorListMetadataILi2EEENS1_14UnaryOpFunctorIN3c104HalfELi2ELi1ELi1EEEJNS0_3SinIfEEEEEvT_T0_DpT1_.kd
    .uniform_work_group_size: 1
    .uses_dynamic_stack: false
    .vgpr_count:     60
    .vgpr_spill_count: 0
    .wavefront_size: 64
  - .agpr_count:     0
    .args:
      - .offset:         0
        .size:           3144
        .value_kind:     by_value
      - .offset:         3144
        .size:           1
        .value_kind:     by_value
      - .offset:         3145
        .size:           1
        .value_kind:     by_value
      - .offset:         3152
        .size:           4
        .value_kind:     hidden_block_count_x
      - .offset:         3156
        .size:           4
        .value_kind:     hidden_block_count_y
      - .offset:         3160
        .size:           4
        .value_kind:     hidden_block_count_z
      - .offset:         3164
        .size:           2
        .value_kind:     hidden_group_size_x
      - .offset:         3166
        .size:           2
        .value_kind:     hidden_group_size_y
      - .offset:         3168
        .size:           2
        .value_kind:     hidden_group_size_z
      - .offset:         3170
        .size:           2
        .value_kind:     hidden_remainder_x
      - .offset:         3172
        .size:           2
        .value_kind:     hidden_remainder_y
      - .offset:         3174
        .size:           2
        .value_kind:     hidden_remainder_z
      - .offset:         3192
        .size:           8
        .value_kind:     hidden_global_offset_x
      - .offset:         3200
        .size:           8
        .value_kind:     hidden_global_offset_y
      - .offset:         3208
        .size:           8
        .value_kind:     hidden_global_offset_z
      - .offset:         3216
        .size:           2
        .value_kind:     hidden_grid_dims
    .group_segment_fixed_size: 0
    .kernarg_segment_align: 8
    .kernarg_segment_size: 3408
    .language:       OpenCL C
    .language_version:
      - 2
      - 0
    .max_flat_workgroup_size: 512
    .name:           _ZN2at6native12_GLOBAL__N_125multi_tensor_apply_kernelINS1_18TensorListMetadataILi2EEENS1_14UnaryOpFunctorIN3c108BFloat16ELi2ELi1ELi1EEEJNS0_3SinIfEEEEEvT_T0_DpT1_
    .private_segment_fixed_size: 0
    .sgpr_count:     46
    .sgpr_spill_count: 0
    .symbol:         _ZN2at6native12_GLOBAL__N_125multi_tensor_apply_kernelINS1_18TensorListMetadataILi2EEENS1_14UnaryOpFunctorIN3c108BFloat16ELi2ELi1ELi1EEEJNS0_3SinIfEEEEEvT_T0_DpT1_.kd
    .uniform_work_group_size: 1
    .uses_dynamic_stack: false
    .vgpr_count:     61
    .vgpr_spill_count: 0
    .wavefront_size: 64
  - .agpr_count:     0
    .args:
      - .offset:         0
        .size:           3368
        .value_kind:     by_value
      - .offset:         3368
        .size:           1
        .value_kind:     by_value
      - .offset:         3369
        .size:           1
        .value_kind:     by_value
      - .offset:         3376
        .size:           4
        .value_kind:     hidden_block_count_x
      - .offset:         3380
        .size:           4
        .value_kind:     hidden_block_count_y
      - .offset:         3384
        .size:           4
        .value_kind:     hidden_block_count_z
      - .offset:         3388
        .size:           2
        .value_kind:     hidden_group_size_x
      - .offset:         3390
        .size:           2
        .value_kind:     hidden_group_size_y
      - .offset:         3392
        .size:           2
        .value_kind:     hidden_group_size_z
      - .offset:         3394
        .size:           2
        .value_kind:     hidden_remainder_x
      - .offset:         3396
        .size:           2
        .value_kind:     hidden_remainder_y
      - .offset:         3398
        .size:           2
        .value_kind:     hidden_remainder_z
      - .offset:         3416
        .size:           8
        .value_kind:     hidden_global_offset_x
      - .offset:         3424
        .size:           8
        .value_kind:     hidden_global_offset_y
      - .offset:         3432
        .size:           8
        .value_kind:     hidden_global_offset_z
      - .offset:         3440
        .size:           2
        .value_kind:     hidden_grid_dims
    .group_segment_fixed_size: 0
    .kernarg_segment_align: 8
    .kernarg_segment_size: 3632
    .language:       OpenCL C
    .language_version:
      - 2
      - 0
    .max_flat_workgroup_size: 512
    .name:           _ZN2at6native12_GLOBAL__N_125multi_tensor_apply_kernelINS1_18TensorListMetadataILi1EEENS1_14UnaryOpFunctorIdLi1ELi1ELi0EEEJNS0_3SinIdEEEEEvT_T0_DpT1_
    .private_segment_fixed_size: 0
    .sgpr_count:     65
    .sgpr_spill_count: 0
    .symbol:         _ZN2at6native12_GLOBAL__N_125multi_tensor_apply_kernelINS1_18TensorListMetadataILi1EEENS1_14UnaryOpFunctorIdLi1ELi1ELi0EEEJNS0_3SinIdEEEEEvT_T0_DpT1_.kd
    .uniform_work_group_size: 1
    .uses_dynamic_stack: false
    .vgpr_count:     80
    .vgpr_spill_count: 0
    .wavefront_size: 64
  - .agpr_count:     0
    .args:
      - .offset:         0
        .size:           3368
        .value_kind:     by_value
      - .offset:         3368
        .size:           1
        .value_kind:     by_value
      - .offset:         3369
        .size:           1
        .value_kind:     by_value
      - .offset:         3376
        .size:           4
        .value_kind:     hidden_block_count_x
      - .offset:         3380
        .size:           4
        .value_kind:     hidden_block_count_y
      - .offset:         3384
        .size:           4
        .value_kind:     hidden_block_count_z
      - .offset:         3388
        .size:           2
        .value_kind:     hidden_group_size_x
      - .offset:         3390
        .size:           2
        .value_kind:     hidden_group_size_y
      - .offset:         3392
        .size:           2
        .value_kind:     hidden_group_size_z
      - .offset:         3394
        .size:           2
        .value_kind:     hidden_remainder_x
      - .offset:         3396
        .size:           2
        .value_kind:     hidden_remainder_y
      - .offset:         3398
        .size:           2
        .value_kind:     hidden_remainder_z
      - .offset:         3416
        .size:           8
        .value_kind:     hidden_global_offset_x
      - .offset:         3424
        .size:           8
        .value_kind:     hidden_global_offset_y
      - .offset:         3432
        .size:           8
        .value_kind:     hidden_global_offset_z
      - .offset:         3440
        .size:           2
        .value_kind:     hidden_grid_dims
    .group_segment_fixed_size: 0
    .kernarg_segment_align: 8
    .kernarg_segment_size: 3632
    .language:       OpenCL C
    .language_version:
      - 2
      - 0
    .max_flat_workgroup_size: 512
    .name:           _ZN2at6native12_GLOBAL__N_125multi_tensor_apply_kernelINS1_18TensorListMetadataILi1EEENS1_14UnaryOpFunctorIfLi1ELi1ELi0EEEJNS0_3SinIfEEEEEvT_T0_DpT1_
    .private_segment_fixed_size: 0
    .sgpr_count:     52
    .sgpr_spill_count: 0
    .symbol:         _ZN2at6native12_GLOBAL__N_125multi_tensor_apply_kernelINS1_18TensorListMetadataILi1EEENS1_14UnaryOpFunctorIfLi1ELi1ELi0EEEJNS0_3SinIfEEEEEvT_T0_DpT1_.kd
    .uniform_work_group_size: 1
    .uses_dynamic_stack: false
    .vgpr_count:     48
    .vgpr_spill_count: 0
    .wavefront_size: 64
  - .agpr_count:     0
    .args:
      - .offset:         0
        .size:           3368
        .value_kind:     by_value
      - .offset:         3368
        .size:           1
        .value_kind:     by_value
      - .offset:         3369
        .size:           1
        .value_kind:     by_value
      - .offset:         3376
        .size:           4
        .value_kind:     hidden_block_count_x
      - .offset:         3380
        .size:           4
        .value_kind:     hidden_block_count_y
      - .offset:         3384
        .size:           4
        .value_kind:     hidden_block_count_z
      - .offset:         3388
        .size:           2
        .value_kind:     hidden_group_size_x
      - .offset:         3390
        .size:           2
        .value_kind:     hidden_group_size_y
      - .offset:         3392
        .size:           2
        .value_kind:     hidden_group_size_z
      - .offset:         3394
        .size:           2
        .value_kind:     hidden_remainder_x
      - .offset:         3396
        .size:           2
        .value_kind:     hidden_remainder_y
      - .offset:         3398
        .size:           2
        .value_kind:     hidden_remainder_z
      - .offset:         3416
        .size:           8
        .value_kind:     hidden_global_offset_x
      - .offset:         3424
        .size:           8
        .value_kind:     hidden_global_offset_y
      - .offset:         3432
        .size:           8
        .value_kind:     hidden_global_offset_z
      - .offset:         3440
        .size:           2
        .value_kind:     hidden_grid_dims
    .group_segment_fixed_size: 0
    .kernarg_segment_align: 8
    .kernarg_segment_size: 3632
    .language:       OpenCL C
    .language_version:
      - 2
      - 0
    .max_flat_workgroup_size: 512
    .name:           _ZN2at6native12_GLOBAL__N_125multi_tensor_apply_kernelINS1_18TensorListMetadataILi1EEENS1_14UnaryOpFunctorIN3c107complexIdEELi1ELi1ELi0EEEJNS0_3SinIS8_EEEEEvT_T0_DpT1_
    .private_segment_fixed_size: 8
    .sgpr_count:     69
    .sgpr_spill_count: 0
    .symbol:         _ZN2at6native12_GLOBAL__N_125multi_tensor_apply_kernelINS1_18TensorListMetadataILi1EEENS1_14UnaryOpFunctorIN3c107complexIdEELi1ELi1ELi0EEEJNS0_3SinIS8_EEEEEvT_T0_DpT1_.kd
    .uniform_work_group_size: 1
    .uses_dynamic_stack: false
    .vgpr_count:     63
    .vgpr_spill_count: 0
    .wavefront_size: 64
  - .agpr_count:     0
    .args:
      - .offset:         0
        .size:           3368
        .value_kind:     by_value
      - .offset:         3368
        .size:           1
        .value_kind:     by_value
      - .offset:         3369
        .size:           1
        .value_kind:     by_value
      - .offset:         3376
        .size:           4
        .value_kind:     hidden_block_count_x
      - .offset:         3380
        .size:           4
        .value_kind:     hidden_block_count_y
      - .offset:         3384
        .size:           4
        .value_kind:     hidden_block_count_z
      - .offset:         3388
        .size:           2
        .value_kind:     hidden_group_size_x
      - .offset:         3390
        .size:           2
        .value_kind:     hidden_group_size_y
      - .offset:         3392
        .size:           2
        .value_kind:     hidden_group_size_z
      - .offset:         3394
        .size:           2
        .value_kind:     hidden_remainder_x
      - .offset:         3396
        .size:           2
        .value_kind:     hidden_remainder_y
      - .offset:         3398
        .size:           2
        .value_kind:     hidden_remainder_z
      - .offset:         3416
        .size:           8
        .value_kind:     hidden_global_offset_x
      - .offset:         3424
        .size:           8
        .value_kind:     hidden_global_offset_y
      - .offset:         3432
        .size:           8
        .value_kind:     hidden_global_offset_z
      - .offset:         3440
        .size:           2
        .value_kind:     hidden_grid_dims
    .group_segment_fixed_size: 0
    .kernarg_segment_align: 8
    .kernarg_segment_size: 3632
    .language:       OpenCL C
    .language_version:
      - 2
      - 0
    .max_flat_workgroup_size: 512
    .name:           _ZN2at6native12_GLOBAL__N_125multi_tensor_apply_kernelINS1_18TensorListMetadataILi1EEENS1_14UnaryOpFunctorIN3c107complexIfEELi1ELi1ELi0EEEJNS0_3SinIS8_EEEEEvT_T0_DpT1_
    .private_segment_fixed_size: 0
    .sgpr_count:     59
    .sgpr_spill_count: 0
    .symbol:         _ZN2at6native12_GLOBAL__N_125multi_tensor_apply_kernelINS1_18TensorListMetadataILi1EEENS1_14UnaryOpFunctorIN3c107complexIfEELi1ELi1ELi0EEEJNS0_3SinIS8_EEEEEvT_T0_DpT1_.kd
    .uniform_work_group_size: 1
    .uses_dynamic_stack: false
    .vgpr_count:     42
    .vgpr_spill_count: 0
    .wavefront_size: 64
  - .agpr_count:     0
    .args:
      - .offset:         0
        .size:           3368
        .value_kind:     by_value
      - .offset:         3368
        .size:           1
        .value_kind:     by_value
      - .offset:         3369
        .size:           1
        .value_kind:     by_value
      - .offset:         3376
        .size:           4
        .value_kind:     hidden_block_count_x
      - .offset:         3380
        .size:           4
        .value_kind:     hidden_block_count_y
      - .offset:         3384
        .size:           4
        .value_kind:     hidden_block_count_z
      - .offset:         3388
        .size:           2
        .value_kind:     hidden_group_size_x
      - .offset:         3390
        .size:           2
        .value_kind:     hidden_group_size_y
      - .offset:         3392
        .size:           2
        .value_kind:     hidden_group_size_z
      - .offset:         3394
        .size:           2
        .value_kind:     hidden_remainder_x
      - .offset:         3396
        .size:           2
        .value_kind:     hidden_remainder_y
      - .offset:         3398
        .size:           2
        .value_kind:     hidden_remainder_z
      - .offset:         3416
        .size:           8
        .value_kind:     hidden_global_offset_x
      - .offset:         3424
        .size:           8
        .value_kind:     hidden_global_offset_y
      - .offset:         3432
        .size:           8
        .value_kind:     hidden_global_offset_z
      - .offset:         3440
        .size:           2
        .value_kind:     hidden_grid_dims
    .group_segment_fixed_size: 0
    .kernarg_segment_align: 8
    .kernarg_segment_size: 3632
    .language:       OpenCL C
    .language_version:
      - 2
      - 0
    .max_flat_workgroup_size: 512
    .name:           _ZN2at6native12_GLOBAL__N_125multi_tensor_apply_kernelINS1_18TensorListMetadataILi1EEENS1_14UnaryOpFunctorIN3c104HalfELi1ELi1ELi0EEEJNS0_3SinIfEEEEEvT_T0_DpT1_
    .private_segment_fixed_size: 0
    .sgpr_count:     51
    .sgpr_spill_count: 0
    .symbol:         _ZN2at6native12_GLOBAL__N_125multi_tensor_apply_kernelINS1_18TensorListMetadataILi1EEENS1_14UnaryOpFunctorIN3c104HalfELi1ELi1ELi0EEEJNS0_3SinIfEEEEEvT_T0_DpT1_.kd
    .uniform_work_group_size: 1
    .uses_dynamic_stack: false
    .vgpr_count:     48
    .vgpr_spill_count: 0
    .wavefront_size: 64
  - .agpr_count:     0
    .args:
      - .offset:         0
        .size:           3368
        .value_kind:     by_value
      - .offset:         3368
        .size:           1
        .value_kind:     by_value
      - .offset:         3369
        .size:           1
        .value_kind:     by_value
      - .offset:         3376
        .size:           4
        .value_kind:     hidden_block_count_x
      - .offset:         3380
        .size:           4
        .value_kind:     hidden_block_count_y
      - .offset:         3384
        .size:           4
        .value_kind:     hidden_block_count_z
      - .offset:         3388
        .size:           2
        .value_kind:     hidden_group_size_x
      - .offset:         3390
        .size:           2
        .value_kind:     hidden_group_size_y
      - .offset:         3392
        .size:           2
        .value_kind:     hidden_group_size_z
      - .offset:         3394
        .size:           2
        .value_kind:     hidden_remainder_x
      - .offset:         3396
        .size:           2
        .value_kind:     hidden_remainder_y
      - .offset:         3398
        .size:           2
        .value_kind:     hidden_remainder_z
      - .offset:         3416
        .size:           8
        .value_kind:     hidden_global_offset_x
      - .offset:         3424
        .size:           8
        .value_kind:     hidden_global_offset_y
      - .offset:         3432
        .size:           8
        .value_kind:     hidden_global_offset_z
      - .offset:         3440
        .size:           2
        .value_kind:     hidden_grid_dims
    .group_segment_fixed_size: 0
    .kernarg_segment_align: 8
    .kernarg_segment_size: 3632
    .language:       OpenCL C
    .language_version:
      - 2
      - 0
    .max_flat_workgroup_size: 512
    .name:           _ZN2at6native12_GLOBAL__N_125multi_tensor_apply_kernelINS1_18TensorListMetadataILi1EEENS1_14UnaryOpFunctorIN3c108BFloat16ELi1ELi1ELi0EEEJNS0_3SinIfEEEEEvT_T0_DpT1_
    .private_segment_fixed_size: 0
    .sgpr_count:     52
    .sgpr_spill_count: 0
    .symbol:         _ZN2at6native12_GLOBAL__N_125multi_tensor_apply_kernelINS1_18TensorListMetadataILi1EEENS1_14UnaryOpFunctorIN3c108BFloat16ELi1ELi1ELi0EEEJNS0_3SinIfEEEEEvT_T0_DpT1_.kd
    .uniform_work_group_size: 1
    .uses_dynamic_stack: false
    .vgpr_count:     49
    .vgpr_spill_count: 0
    .wavefront_size: 64
  - .agpr_count:     0
    .args:
      - .offset:         0
        .size:           3144
        .value_kind:     by_value
      - .offset:         3144
        .size:           1
        .value_kind:     by_value
      - .offset:         3145
        .size:           1
        .value_kind:     by_value
      - .offset:         3152
        .size:           4
        .value_kind:     hidden_block_count_x
      - .offset:         3156
        .size:           4
        .value_kind:     hidden_block_count_y
      - .offset:         3160
        .size:           4
        .value_kind:     hidden_block_count_z
      - .offset:         3164
        .size:           2
        .value_kind:     hidden_group_size_x
      - .offset:         3166
        .size:           2
        .value_kind:     hidden_group_size_y
      - .offset:         3168
        .size:           2
        .value_kind:     hidden_group_size_z
      - .offset:         3170
        .size:           2
        .value_kind:     hidden_remainder_x
      - .offset:         3172
        .size:           2
        .value_kind:     hidden_remainder_y
      - .offset:         3174
        .size:           2
        .value_kind:     hidden_remainder_z
      - .offset:         3192
        .size:           8
        .value_kind:     hidden_global_offset_x
      - .offset:         3200
        .size:           8
        .value_kind:     hidden_global_offset_y
      - .offset:         3208
        .size:           8
        .value_kind:     hidden_global_offset_z
      - .offset:         3216
        .size:           2
        .value_kind:     hidden_grid_dims
    .group_segment_fixed_size: 0
    .kernarg_segment_align: 8
    .kernarg_segment_size: 3408
    .language:       OpenCL C
    .language_version:
      - 2
      - 0
    .max_flat_workgroup_size: 512
    .name:           _ZN2at6native12_GLOBAL__N_125multi_tensor_apply_kernelINS1_18TensorListMetadataILi2EEENS1_14UnaryOpFunctorIdLi2ELi1ELi1EEEJNS0_4SinhIdEEEEEvT_T0_DpT1_
    .private_segment_fixed_size: 0
    .sgpr_count:     66
    .sgpr_spill_count: 0
    .symbol:         _ZN2at6native12_GLOBAL__N_125multi_tensor_apply_kernelINS1_18TensorListMetadataILi2EEENS1_14UnaryOpFunctorIdLi2ELi1ELi1EEEJNS0_4SinhIdEEEEEvT_T0_DpT1_.kd
    .uniform_work_group_size: 1
    .uses_dynamic_stack: false
    .vgpr_count:     75
    .vgpr_spill_count: 0
    .wavefront_size: 64
  - .agpr_count:     0
    .args:
      - .offset:         0
        .size:           3144
        .value_kind:     by_value
      - .offset:         3144
        .size:           1
        .value_kind:     by_value
      - .offset:         3145
        .size:           1
        .value_kind:     by_value
      - .offset:         3152
        .size:           4
        .value_kind:     hidden_block_count_x
      - .offset:         3156
        .size:           4
        .value_kind:     hidden_block_count_y
      - .offset:         3160
        .size:           4
        .value_kind:     hidden_block_count_z
      - .offset:         3164
        .size:           2
        .value_kind:     hidden_group_size_x
      - .offset:         3166
        .size:           2
        .value_kind:     hidden_group_size_y
      - .offset:         3168
        .size:           2
        .value_kind:     hidden_group_size_z
      - .offset:         3170
        .size:           2
        .value_kind:     hidden_remainder_x
      - .offset:         3172
        .size:           2
        .value_kind:     hidden_remainder_y
      - .offset:         3174
        .size:           2
        .value_kind:     hidden_remainder_z
      - .offset:         3192
        .size:           8
        .value_kind:     hidden_global_offset_x
      - .offset:         3200
        .size:           8
        .value_kind:     hidden_global_offset_y
      - .offset:         3208
        .size:           8
        .value_kind:     hidden_global_offset_z
      - .offset:         3216
        .size:           2
        .value_kind:     hidden_grid_dims
    .group_segment_fixed_size: 0
    .kernarg_segment_align: 8
    .kernarg_segment_size: 3408
    .language:       OpenCL C
    .language_version:
      - 2
      - 0
    .max_flat_workgroup_size: 512
    .name:           _ZN2at6native12_GLOBAL__N_125multi_tensor_apply_kernelINS1_18TensorListMetadataILi2EEENS1_14UnaryOpFunctorIfLi2ELi1ELi1EEEJNS0_4SinhIfEEEEEvT_T0_DpT1_
    .private_segment_fixed_size: 0
    .sgpr_count:     31
    .sgpr_spill_count: 0
    .symbol:         _ZN2at6native12_GLOBAL__N_125multi_tensor_apply_kernelINS1_18TensorListMetadataILi2EEENS1_14UnaryOpFunctorIfLi2ELi1ELi1EEEJNS0_4SinhIfEEEEEvT_T0_DpT1_.kd
    .uniform_work_group_size: 1
    .uses_dynamic_stack: false
    .vgpr_count:     54
    .vgpr_spill_count: 0
    .wavefront_size: 64
  - .agpr_count:     0
    .args:
      - .offset:         0
        .size:           3144
        .value_kind:     by_value
      - .offset:         3144
        .size:           1
        .value_kind:     by_value
      - .offset:         3145
        .size:           1
        .value_kind:     by_value
      - .offset:         3152
        .size:           4
        .value_kind:     hidden_block_count_x
      - .offset:         3156
        .size:           4
        .value_kind:     hidden_block_count_y
      - .offset:         3160
        .size:           4
        .value_kind:     hidden_block_count_z
      - .offset:         3164
        .size:           2
        .value_kind:     hidden_group_size_x
      - .offset:         3166
        .size:           2
        .value_kind:     hidden_group_size_y
      - .offset:         3168
        .size:           2
        .value_kind:     hidden_group_size_z
      - .offset:         3170
        .size:           2
        .value_kind:     hidden_remainder_x
      - .offset:         3172
        .size:           2
        .value_kind:     hidden_remainder_y
      - .offset:         3174
        .size:           2
        .value_kind:     hidden_remainder_z
      - .offset:         3192
        .size:           8
        .value_kind:     hidden_global_offset_x
      - .offset:         3200
        .size:           8
        .value_kind:     hidden_global_offset_y
      - .offset:         3208
        .size:           8
        .value_kind:     hidden_global_offset_z
      - .offset:         3216
        .size:           2
        .value_kind:     hidden_grid_dims
    .group_segment_fixed_size: 0
    .kernarg_segment_align: 8
    .kernarg_segment_size: 3408
    .language:       OpenCL C
    .language_version:
      - 2
      - 0
    .max_flat_workgroup_size: 512
    .name:           _ZN2at6native12_GLOBAL__N_125multi_tensor_apply_kernelINS1_18TensorListMetadataILi2EEENS1_14UnaryOpFunctorIN3c107complexIdEELi2ELi1ELi1EEEJNS0_4SinhIS8_EEEEEvT_T0_DpT1_
    .private_segment_fixed_size: 8
    .sgpr_count:     71
    .sgpr_spill_count: 0
    .symbol:         _ZN2at6native12_GLOBAL__N_125multi_tensor_apply_kernelINS1_18TensorListMetadataILi2EEENS1_14UnaryOpFunctorIN3c107complexIdEELi2ELi1ELi1EEEJNS0_4SinhIS8_EEEEEvT_T0_DpT1_.kd
    .uniform_work_group_size: 1
    .uses_dynamic_stack: false
    .vgpr_count:     68
    .vgpr_spill_count: 0
    .wavefront_size: 64
  - .agpr_count:     0
    .args:
      - .offset:         0
        .size:           3144
        .value_kind:     by_value
      - .offset:         3144
        .size:           1
        .value_kind:     by_value
      - .offset:         3145
        .size:           1
        .value_kind:     by_value
      - .offset:         3152
        .size:           4
        .value_kind:     hidden_block_count_x
      - .offset:         3156
        .size:           4
        .value_kind:     hidden_block_count_y
      - .offset:         3160
        .size:           4
        .value_kind:     hidden_block_count_z
      - .offset:         3164
        .size:           2
        .value_kind:     hidden_group_size_x
      - .offset:         3166
        .size:           2
        .value_kind:     hidden_group_size_y
      - .offset:         3168
        .size:           2
        .value_kind:     hidden_group_size_z
      - .offset:         3170
        .size:           2
        .value_kind:     hidden_remainder_x
      - .offset:         3172
        .size:           2
        .value_kind:     hidden_remainder_y
      - .offset:         3174
        .size:           2
        .value_kind:     hidden_remainder_z
      - .offset:         3192
        .size:           8
        .value_kind:     hidden_global_offset_x
      - .offset:         3200
        .size:           8
        .value_kind:     hidden_global_offset_y
      - .offset:         3208
        .size:           8
        .value_kind:     hidden_global_offset_z
      - .offset:         3216
        .size:           2
        .value_kind:     hidden_grid_dims
    .group_segment_fixed_size: 0
    .kernarg_segment_align: 8
    .kernarg_segment_size: 3408
    .language:       OpenCL C
    .language_version:
      - 2
      - 0
    .max_flat_workgroup_size: 512
    .name:           _ZN2at6native12_GLOBAL__N_125multi_tensor_apply_kernelINS1_18TensorListMetadataILi2EEENS1_14UnaryOpFunctorIN3c107complexIfEELi2ELi1ELi1EEEJNS0_4SinhIS8_EEEEEvT_T0_DpT1_
    .private_segment_fixed_size: 0
    .sgpr_count:     60
    .sgpr_spill_count: 0
    .symbol:         _ZN2at6native12_GLOBAL__N_125multi_tensor_apply_kernelINS1_18TensorListMetadataILi2EEENS1_14UnaryOpFunctorIN3c107complexIfEELi2ELi1ELi1EEEJNS0_4SinhIS8_EEEEEvT_T0_DpT1_.kd
    .uniform_work_group_size: 1
    .uses_dynamic_stack: false
    .vgpr_count:     46
    .vgpr_spill_count: 0
    .wavefront_size: 64
  - .agpr_count:     0
    .args:
      - .offset:         0
        .size:           3144
        .value_kind:     by_value
      - .offset:         3144
        .size:           1
        .value_kind:     by_value
      - .offset:         3145
        .size:           1
        .value_kind:     by_value
      - .offset:         3152
        .size:           4
        .value_kind:     hidden_block_count_x
      - .offset:         3156
        .size:           4
        .value_kind:     hidden_block_count_y
      - .offset:         3160
        .size:           4
        .value_kind:     hidden_block_count_z
      - .offset:         3164
        .size:           2
        .value_kind:     hidden_group_size_x
      - .offset:         3166
        .size:           2
        .value_kind:     hidden_group_size_y
      - .offset:         3168
        .size:           2
        .value_kind:     hidden_group_size_z
      - .offset:         3170
        .size:           2
        .value_kind:     hidden_remainder_x
      - .offset:         3172
        .size:           2
        .value_kind:     hidden_remainder_y
      - .offset:         3174
        .size:           2
        .value_kind:     hidden_remainder_z
      - .offset:         3192
        .size:           8
        .value_kind:     hidden_global_offset_x
      - .offset:         3200
        .size:           8
        .value_kind:     hidden_global_offset_y
      - .offset:         3208
        .size:           8
        .value_kind:     hidden_global_offset_z
      - .offset:         3216
        .size:           2
        .value_kind:     hidden_grid_dims
    .group_segment_fixed_size: 0
    .kernarg_segment_align: 8
    .kernarg_segment_size: 3408
    .language:       OpenCL C
    .language_version:
      - 2
      - 0
    .max_flat_workgroup_size: 512
    .name:           _ZN2at6native12_GLOBAL__N_125multi_tensor_apply_kernelINS1_18TensorListMetadataILi2EEENS1_14UnaryOpFunctorIN3c104HalfELi2ELi1ELi1EEEJNS0_4SinhIfEEEEEvT_T0_DpT1_
    .private_segment_fixed_size: 0
    .sgpr_count:     31
    .sgpr_spill_count: 0
    .symbol:         _ZN2at6native12_GLOBAL__N_125multi_tensor_apply_kernelINS1_18TensorListMetadataILi2EEENS1_14UnaryOpFunctorIN3c104HalfELi2ELi1ELi1EEEJNS0_4SinhIfEEEEEvT_T0_DpT1_.kd
    .uniform_work_group_size: 1
    .uses_dynamic_stack: false
    .vgpr_count:     56
    .vgpr_spill_count: 0
    .wavefront_size: 64
  - .agpr_count:     0
    .args:
      - .offset:         0
        .size:           3144
        .value_kind:     by_value
      - .offset:         3144
        .size:           1
        .value_kind:     by_value
      - .offset:         3145
        .size:           1
        .value_kind:     by_value
      - .offset:         3152
        .size:           4
        .value_kind:     hidden_block_count_x
      - .offset:         3156
        .size:           4
        .value_kind:     hidden_block_count_y
      - .offset:         3160
        .size:           4
        .value_kind:     hidden_block_count_z
      - .offset:         3164
        .size:           2
        .value_kind:     hidden_group_size_x
      - .offset:         3166
        .size:           2
        .value_kind:     hidden_group_size_y
      - .offset:         3168
        .size:           2
        .value_kind:     hidden_group_size_z
      - .offset:         3170
        .size:           2
        .value_kind:     hidden_remainder_x
      - .offset:         3172
        .size:           2
        .value_kind:     hidden_remainder_y
      - .offset:         3174
        .size:           2
        .value_kind:     hidden_remainder_z
      - .offset:         3192
        .size:           8
        .value_kind:     hidden_global_offset_x
      - .offset:         3200
        .size:           8
        .value_kind:     hidden_global_offset_y
      - .offset:         3208
        .size:           8
        .value_kind:     hidden_global_offset_z
      - .offset:         3216
        .size:           2
        .value_kind:     hidden_grid_dims
    .group_segment_fixed_size: 0
    .kernarg_segment_align: 8
    .kernarg_segment_size: 3408
    .language:       OpenCL C
    .language_version:
      - 2
      - 0
    .max_flat_workgroup_size: 512
    .name:           _ZN2at6native12_GLOBAL__N_125multi_tensor_apply_kernelINS1_18TensorListMetadataILi2EEENS1_14UnaryOpFunctorIN3c108BFloat16ELi2ELi1ELi1EEEJNS0_4SinhIfEEEEEvT_T0_DpT1_
    .private_segment_fixed_size: 0
    .sgpr_count:     32
    .sgpr_spill_count: 0
    .symbol:         _ZN2at6native12_GLOBAL__N_125multi_tensor_apply_kernelINS1_18TensorListMetadataILi2EEENS1_14UnaryOpFunctorIN3c108BFloat16ELi2ELi1ELi1EEEJNS0_4SinhIfEEEEEvT_T0_DpT1_.kd
    .uniform_work_group_size: 1
    .uses_dynamic_stack: false
    .vgpr_count:     55
    .vgpr_spill_count: 0
    .wavefront_size: 64
  - .agpr_count:     0
    .args:
      - .offset:         0
        .size:           3368
        .value_kind:     by_value
      - .offset:         3368
        .size:           1
        .value_kind:     by_value
      - .offset:         3369
        .size:           1
        .value_kind:     by_value
      - .offset:         3376
        .size:           4
        .value_kind:     hidden_block_count_x
      - .offset:         3380
        .size:           4
        .value_kind:     hidden_block_count_y
      - .offset:         3384
        .size:           4
        .value_kind:     hidden_block_count_z
      - .offset:         3388
        .size:           2
        .value_kind:     hidden_group_size_x
      - .offset:         3390
        .size:           2
        .value_kind:     hidden_group_size_y
      - .offset:         3392
        .size:           2
        .value_kind:     hidden_group_size_z
      - .offset:         3394
        .size:           2
        .value_kind:     hidden_remainder_x
      - .offset:         3396
        .size:           2
        .value_kind:     hidden_remainder_y
      - .offset:         3398
        .size:           2
        .value_kind:     hidden_remainder_z
      - .offset:         3416
        .size:           8
        .value_kind:     hidden_global_offset_x
      - .offset:         3424
        .size:           8
        .value_kind:     hidden_global_offset_y
      - .offset:         3432
        .size:           8
        .value_kind:     hidden_global_offset_z
      - .offset:         3440
        .size:           2
        .value_kind:     hidden_grid_dims
    .group_segment_fixed_size: 0
    .kernarg_segment_align: 8
    .kernarg_segment_size: 3632
    .language:       OpenCL C
    .language_version:
      - 2
      - 0
    .max_flat_workgroup_size: 512
    .name:           _ZN2at6native12_GLOBAL__N_125multi_tensor_apply_kernelINS1_18TensorListMetadataILi1EEENS1_14UnaryOpFunctorIdLi1ELi1ELi0EEEJNS0_4SinhIdEEEEEvT_T0_DpT1_
    .private_segment_fixed_size: 0
    .sgpr_count:     55
    .sgpr_spill_count: 0
    .symbol:         _ZN2at6native12_GLOBAL__N_125multi_tensor_apply_kernelINS1_18TensorListMetadataILi1EEENS1_14UnaryOpFunctorIdLi1ELi1ELi0EEEJNS0_4SinhIdEEEEEvT_T0_DpT1_.kd
    .uniform_work_group_size: 1
    .uses_dynamic_stack: false
    .vgpr_count:     63
    .vgpr_spill_count: 0
    .wavefront_size: 64
  - .agpr_count:     0
    .args:
      - .offset:         0
        .size:           3368
        .value_kind:     by_value
      - .offset:         3368
        .size:           1
        .value_kind:     by_value
      - .offset:         3369
        .size:           1
        .value_kind:     by_value
      - .offset:         3376
        .size:           4
        .value_kind:     hidden_block_count_x
      - .offset:         3380
        .size:           4
        .value_kind:     hidden_block_count_y
      - .offset:         3384
        .size:           4
        .value_kind:     hidden_block_count_z
      - .offset:         3388
        .size:           2
        .value_kind:     hidden_group_size_x
      - .offset:         3390
        .size:           2
        .value_kind:     hidden_group_size_y
      - .offset:         3392
        .size:           2
        .value_kind:     hidden_group_size_z
      - .offset:         3394
        .size:           2
        .value_kind:     hidden_remainder_x
      - .offset:         3396
        .size:           2
        .value_kind:     hidden_remainder_y
      - .offset:         3398
        .size:           2
        .value_kind:     hidden_remainder_z
      - .offset:         3416
        .size:           8
        .value_kind:     hidden_global_offset_x
      - .offset:         3424
        .size:           8
        .value_kind:     hidden_global_offset_y
      - .offset:         3432
        .size:           8
        .value_kind:     hidden_global_offset_z
      - .offset:         3440
        .size:           2
        .value_kind:     hidden_grid_dims
    .group_segment_fixed_size: 0
    .kernarg_segment_align: 8
    .kernarg_segment_size: 3632
    .language:       OpenCL C
    .language_version:
      - 2
      - 0
    .max_flat_workgroup_size: 512
    .name:           _ZN2at6native12_GLOBAL__N_125multi_tensor_apply_kernelINS1_18TensorListMetadataILi1EEENS1_14UnaryOpFunctorIfLi1ELi1ELi0EEEJNS0_4SinhIfEEEEEvT_T0_DpT1_
    .private_segment_fixed_size: 0
    .sgpr_count:     39
    .sgpr_spill_count: 0
    .symbol:         _ZN2at6native12_GLOBAL__N_125multi_tensor_apply_kernelINS1_18TensorListMetadataILi1EEENS1_14UnaryOpFunctorIfLi1ELi1ELi0EEEJNS0_4SinhIfEEEEEvT_T0_DpT1_.kd
    .uniform_work_group_size: 1
    .uses_dynamic_stack: false
    .vgpr_count:     37
    .vgpr_spill_count: 0
    .wavefront_size: 64
  - .agpr_count:     0
    .args:
      - .offset:         0
        .size:           3368
        .value_kind:     by_value
      - .offset:         3368
        .size:           1
        .value_kind:     by_value
      - .offset:         3369
        .size:           1
        .value_kind:     by_value
      - .offset:         3376
        .size:           4
        .value_kind:     hidden_block_count_x
      - .offset:         3380
        .size:           4
        .value_kind:     hidden_block_count_y
      - .offset:         3384
        .size:           4
        .value_kind:     hidden_block_count_z
      - .offset:         3388
        .size:           2
        .value_kind:     hidden_group_size_x
      - .offset:         3390
        .size:           2
        .value_kind:     hidden_group_size_y
      - .offset:         3392
        .size:           2
        .value_kind:     hidden_group_size_z
      - .offset:         3394
        .size:           2
        .value_kind:     hidden_remainder_x
      - .offset:         3396
        .size:           2
        .value_kind:     hidden_remainder_y
      - .offset:         3398
        .size:           2
        .value_kind:     hidden_remainder_z
      - .offset:         3416
        .size:           8
        .value_kind:     hidden_global_offset_x
      - .offset:         3424
        .size:           8
        .value_kind:     hidden_global_offset_y
      - .offset:         3432
        .size:           8
        .value_kind:     hidden_global_offset_z
      - .offset:         3440
        .size:           2
        .value_kind:     hidden_grid_dims
    .group_segment_fixed_size: 0
    .kernarg_segment_align: 8
    .kernarg_segment_size: 3632
    .language:       OpenCL C
    .language_version:
      - 2
      - 0
    .max_flat_workgroup_size: 512
    .name:           _ZN2at6native12_GLOBAL__N_125multi_tensor_apply_kernelINS1_18TensorListMetadataILi1EEENS1_14UnaryOpFunctorIN3c107complexIdEELi1ELi1ELi0EEEJNS0_4SinhIS8_EEEEEvT_T0_DpT1_
    .private_segment_fixed_size: 8
    .sgpr_count:     69
    .sgpr_spill_count: 0
    .symbol:         _ZN2at6native12_GLOBAL__N_125multi_tensor_apply_kernelINS1_18TensorListMetadataILi1EEENS1_14UnaryOpFunctorIN3c107complexIdEELi1ELi1ELi0EEEJNS0_4SinhIS8_EEEEEvT_T0_DpT1_.kd
    .uniform_work_group_size: 1
    .uses_dynamic_stack: false
    .vgpr_count:     63
    .vgpr_spill_count: 0
    .wavefront_size: 64
  - .agpr_count:     0
    .args:
      - .offset:         0
        .size:           3368
        .value_kind:     by_value
      - .offset:         3368
        .size:           1
        .value_kind:     by_value
      - .offset:         3369
        .size:           1
        .value_kind:     by_value
      - .offset:         3376
        .size:           4
        .value_kind:     hidden_block_count_x
      - .offset:         3380
        .size:           4
        .value_kind:     hidden_block_count_y
      - .offset:         3384
        .size:           4
        .value_kind:     hidden_block_count_z
      - .offset:         3388
        .size:           2
        .value_kind:     hidden_group_size_x
      - .offset:         3390
        .size:           2
        .value_kind:     hidden_group_size_y
      - .offset:         3392
        .size:           2
        .value_kind:     hidden_group_size_z
      - .offset:         3394
        .size:           2
        .value_kind:     hidden_remainder_x
      - .offset:         3396
        .size:           2
        .value_kind:     hidden_remainder_y
      - .offset:         3398
        .size:           2
        .value_kind:     hidden_remainder_z
      - .offset:         3416
        .size:           8
        .value_kind:     hidden_global_offset_x
      - .offset:         3424
        .size:           8
        .value_kind:     hidden_global_offset_y
      - .offset:         3432
        .size:           8
        .value_kind:     hidden_global_offset_z
      - .offset:         3440
        .size:           2
        .value_kind:     hidden_grid_dims
    .group_segment_fixed_size: 0
    .kernarg_segment_align: 8
    .kernarg_segment_size: 3632
    .language:       OpenCL C
    .language_version:
      - 2
      - 0
    .max_flat_workgroup_size: 512
    .name:           _ZN2at6native12_GLOBAL__N_125multi_tensor_apply_kernelINS1_18TensorListMetadataILi1EEENS1_14UnaryOpFunctorIN3c107complexIfEELi1ELi1ELi0EEEJNS0_4SinhIS8_EEEEEvT_T0_DpT1_
    .private_segment_fixed_size: 0
    .sgpr_count:     59
    .sgpr_spill_count: 0
    .symbol:         _ZN2at6native12_GLOBAL__N_125multi_tensor_apply_kernelINS1_18TensorListMetadataILi1EEENS1_14UnaryOpFunctorIN3c107complexIfEELi1ELi1ELi0EEEJNS0_4SinhIS8_EEEEEvT_T0_DpT1_.kd
    .uniform_work_group_size: 1
    .uses_dynamic_stack: false
    .vgpr_count:     42
    .vgpr_spill_count: 0
    .wavefront_size: 64
  - .agpr_count:     0
    .args:
      - .offset:         0
        .size:           3368
        .value_kind:     by_value
      - .offset:         3368
        .size:           1
        .value_kind:     by_value
      - .offset:         3369
        .size:           1
        .value_kind:     by_value
      - .offset:         3376
        .size:           4
        .value_kind:     hidden_block_count_x
      - .offset:         3380
        .size:           4
        .value_kind:     hidden_block_count_y
      - .offset:         3384
        .size:           4
        .value_kind:     hidden_block_count_z
      - .offset:         3388
        .size:           2
        .value_kind:     hidden_group_size_x
      - .offset:         3390
        .size:           2
        .value_kind:     hidden_group_size_y
      - .offset:         3392
        .size:           2
        .value_kind:     hidden_group_size_z
      - .offset:         3394
        .size:           2
        .value_kind:     hidden_remainder_x
      - .offset:         3396
        .size:           2
        .value_kind:     hidden_remainder_y
      - .offset:         3398
        .size:           2
        .value_kind:     hidden_remainder_z
      - .offset:         3416
        .size:           8
        .value_kind:     hidden_global_offset_x
      - .offset:         3424
        .size:           8
        .value_kind:     hidden_global_offset_y
      - .offset:         3432
        .size:           8
        .value_kind:     hidden_global_offset_z
      - .offset:         3440
        .size:           2
        .value_kind:     hidden_grid_dims
    .group_segment_fixed_size: 0
    .kernarg_segment_align: 8
    .kernarg_segment_size: 3632
    .language:       OpenCL C
    .language_version:
      - 2
      - 0
    .max_flat_workgroup_size: 512
    .name:           _ZN2at6native12_GLOBAL__N_125multi_tensor_apply_kernelINS1_18TensorListMetadataILi1EEENS1_14UnaryOpFunctorIN3c104HalfELi1ELi1ELi0EEEJNS0_4SinhIfEEEEEvT_T0_DpT1_
    .private_segment_fixed_size: 0
    .sgpr_count:     38
    .sgpr_spill_count: 0
    .symbol:         _ZN2at6native12_GLOBAL__N_125multi_tensor_apply_kernelINS1_18TensorListMetadataILi1EEENS1_14UnaryOpFunctorIN3c104HalfELi1ELi1ELi0EEEJNS0_4SinhIfEEEEEvT_T0_DpT1_.kd
    .uniform_work_group_size: 1
    .uses_dynamic_stack: false
    .vgpr_count:     44
    .vgpr_spill_count: 0
    .wavefront_size: 64
  - .agpr_count:     0
    .args:
      - .offset:         0
        .size:           3368
        .value_kind:     by_value
      - .offset:         3368
        .size:           1
        .value_kind:     by_value
      - .offset:         3369
        .size:           1
        .value_kind:     by_value
      - .offset:         3376
        .size:           4
        .value_kind:     hidden_block_count_x
      - .offset:         3380
        .size:           4
        .value_kind:     hidden_block_count_y
      - .offset:         3384
        .size:           4
        .value_kind:     hidden_block_count_z
      - .offset:         3388
        .size:           2
        .value_kind:     hidden_group_size_x
      - .offset:         3390
        .size:           2
        .value_kind:     hidden_group_size_y
      - .offset:         3392
        .size:           2
        .value_kind:     hidden_group_size_z
      - .offset:         3394
        .size:           2
        .value_kind:     hidden_remainder_x
      - .offset:         3396
        .size:           2
        .value_kind:     hidden_remainder_y
      - .offset:         3398
        .size:           2
        .value_kind:     hidden_remainder_z
      - .offset:         3416
        .size:           8
        .value_kind:     hidden_global_offset_x
      - .offset:         3424
        .size:           8
        .value_kind:     hidden_global_offset_y
      - .offset:         3432
        .size:           8
        .value_kind:     hidden_global_offset_z
      - .offset:         3440
        .size:           2
        .value_kind:     hidden_grid_dims
    .group_segment_fixed_size: 0
    .kernarg_segment_align: 8
    .kernarg_segment_size: 3632
    .language:       OpenCL C
    .language_version:
      - 2
      - 0
    .max_flat_workgroup_size: 512
    .name:           _ZN2at6native12_GLOBAL__N_125multi_tensor_apply_kernelINS1_18TensorListMetadataILi1EEENS1_14UnaryOpFunctorIN3c108BFloat16ELi1ELi1ELi0EEEJNS0_4SinhIfEEEEEvT_T0_DpT1_
    .private_segment_fixed_size: 0
    .sgpr_count:     39
    .sgpr_spill_count: 0
    .symbol:         _ZN2at6native12_GLOBAL__N_125multi_tensor_apply_kernelINS1_18TensorListMetadataILi1EEENS1_14UnaryOpFunctorIN3c108BFloat16ELi1ELi1ELi0EEEJNS0_4SinhIfEEEEEvT_T0_DpT1_.kd
    .uniform_work_group_size: 1
    .uses_dynamic_stack: false
    .vgpr_count:     38
    .vgpr_spill_count: 0
    .wavefront_size: 64
  - .agpr_count:     0
    .args:
      - .offset:         0
        .size:           3144
        .value_kind:     by_value
      - .offset:         3144
        .size:           1
        .value_kind:     by_value
      - .offset:         3145
        .size:           1
        .value_kind:     by_value
      - .offset:         3152
        .size:           4
        .value_kind:     hidden_block_count_x
      - .offset:         3156
        .size:           4
        .value_kind:     hidden_block_count_y
      - .offset:         3160
        .size:           4
        .value_kind:     hidden_block_count_z
      - .offset:         3164
        .size:           2
        .value_kind:     hidden_group_size_x
      - .offset:         3166
        .size:           2
        .value_kind:     hidden_group_size_y
      - .offset:         3168
        .size:           2
        .value_kind:     hidden_group_size_z
      - .offset:         3170
        .size:           2
        .value_kind:     hidden_remainder_x
      - .offset:         3172
        .size:           2
        .value_kind:     hidden_remainder_y
      - .offset:         3174
        .size:           2
        .value_kind:     hidden_remainder_z
      - .offset:         3192
        .size:           8
        .value_kind:     hidden_global_offset_x
      - .offset:         3200
        .size:           8
        .value_kind:     hidden_global_offset_y
      - .offset:         3208
        .size:           8
        .value_kind:     hidden_global_offset_z
      - .offset:         3216
        .size:           2
        .value_kind:     hidden_grid_dims
    .group_segment_fixed_size: 0
    .kernarg_segment_align: 8
    .kernarg_segment_size: 3408
    .language:       OpenCL C
    .language_version:
      - 2
      - 0
    .max_flat_workgroup_size: 512
    .name:           _ZN2at6native12_GLOBAL__N_125multi_tensor_apply_kernelINS1_18TensorListMetadataILi2EEENS1_14UnaryOpFunctorIdLi2ELi1ELi1EEEJNS0_3ExpIdEEEEEvT_T0_DpT1_
    .private_segment_fixed_size: 0
    .sgpr_count:     71
    .sgpr_spill_count: 0
    .symbol:         _ZN2at6native12_GLOBAL__N_125multi_tensor_apply_kernelINS1_18TensorListMetadataILi2EEENS1_14UnaryOpFunctorIdLi2ELi1ELi1EEEJNS0_3ExpIdEEEEEvT_T0_DpT1_.kd
    .uniform_work_group_size: 1
    .uses_dynamic_stack: false
    .vgpr_count:     58
    .vgpr_spill_count: 0
    .wavefront_size: 64
  - .agpr_count:     0
    .args:
      - .offset:         0
        .size:           3144
        .value_kind:     by_value
      - .offset:         3144
        .size:           1
        .value_kind:     by_value
      - .offset:         3145
        .size:           1
        .value_kind:     by_value
      - .offset:         3152
        .size:           4
        .value_kind:     hidden_block_count_x
      - .offset:         3156
        .size:           4
        .value_kind:     hidden_block_count_y
      - .offset:         3160
        .size:           4
        .value_kind:     hidden_block_count_z
      - .offset:         3164
        .size:           2
        .value_kind:     hidden_group_size_x
      - .offset:         3166
        .size:           2
        .value_kind:     hidden_group_size_y
      - .offset:         3168
        .size:           2
        .value_kind:     hidden_group_size_z
      - .offset:         3170
        .size:           2
        .value_kind:     hidden_remainder_x
      - .offset:         3172
        .size:           2
        .value_kind:     hidden_remainder_y
      - .offset:         3174
        .size:           2
        .value_kind:     hidden_remainder_z
      - .offset:         3192
        .size:           8
        .value_kind:     hidden_global_offset_x
      - .offset:         3200
        .size:           8
        .value_kind:     hidden_global_offset_y
      - .offset:         3208
        .size:           8
        .value_kind:     hidden_global_offset_z
      - .offset:         3216
        .size:           2
        .value_kind:     hidden_grid_dims
    .group_segment_fixed_size: 0
    .kernarg_segment_align: 8
    .kernarg_segment_size: 3408
    .language:       OpenCL C
    .language_version:
      - 2
      - 0
    .max_flat_workgroup_size: 512
    .name:           _ZN2at6native12_GLOBAL__N_125multi_tensor_apply_kernelINS1_18TensorListMetadataILi2EEENS1_14UnaryOpFunctorIfLi2ELi1ELi1EEEJNS0_3ExpIfEEEEEvT_T0_DpT1_
    .private_segment_fixed_size: 0
    .sgpr_count:     31
    .sgpr_spill_count: 0
    .symbol:         _ZN2at6native12_GLOBAL__N_125multi_tensor_apply_kernelINS1_18TensorListMetadataILi2EEENS1_14UnaryOpFunctorIfLi2ELi1ELi1EEEJNS0_3ExpIfEEEEEvT_T0_DpT1_.kd
    .uniform_work_group_size: 1
    .uses_dynamic_stack: false
    .vgpr_count:     32
    .vgpr_spill_count: 0
    .wavefront_size: 64
  - .agpr_count:     0
    .args:
      - .offset:         0
        .size:           3144
        .value_kind:     by_value
      - .offset:         3144
        .size:           1
        .value_kind:     by_value
      - .offset:         3145
        .size:           1
        .value_kind:     by_value
      - .offset:         3152
        .size:           4
        .value_kind:     hidden_block_count_x
      - .offset:         3156
        .size:           4
        .value_kind:     hidden_block_count_y
      - .offset:         3160
        .size:           4
        .value_kind:     hidden_block_count_z
      - .offset:         3164
        .size:           2
        .value_kind:     hidden_group_size_x
      - .offset:         3166
        .size:           2
        .value_kind:     hidden_group_size_y
      - .offset:         3168
        .size:           2
        .value_kind:     hidden_group_size_z
      - .offset:         3170
        .size:           2
        .value_kind:     hidden_remainder_x
      - .offset:         3172
        .size:           2
        .value_kind:     hidden_remainder_y
      - .offset:         3174
        .size:           2
        .value_kind:     hidden_remainder_z
      - .offset:         3192
        .size:           8
        .value_kind:     hidden_global_offset_x
      - .offset:         3200
        .size:           8
        .value_kind:     hidden_global_offset_y
      - .offset:         3208
        .size:           8
        .value_kind:     hidden_global_offset_z
      - .offset:         3216
        .size:           2
        .value_kind:     hidden_grid_dims
    .group_segment_fixed_size: 0
    .kernarg_segment_align: 8
    .kernarg_segment_size: 3408
    .language:       OpenCL C
    .language_version:
      - 2
      - 0
    .max_flat_workgroup_size: 512
    .name:           _ZN2at6native12_GLOBAL__N_125multi_tensor_apply_kernelINS1_18TensorListMetadataILi2EEENS1_14UnaryOpFunctorIN3c107complexIdEELi2ELi1ELi1EEEJNS0_3ExpIS8_EEEEEvT_T0_DpT1_
    .private_segment_fixed_size: 0
    .sgpr_count:     100
    .sgpr_spill_count: 2
    .symbol:         _ZN2at6native12_GLOBAL__N_125multi_tensor_apply_kernelINS1_18TensorListMetadataILi2EEENS1_14UnaryOpFunctorIN3c107complexIdEELi2ELi1ELi1EEEJNS0_3ExpIS8_EEEEEvT_T0_DpT1_.kd
    .uniform_work_group_size: 1
    .uses_dynamic_stack: false
    .vgpr_count:     87
    .vgpr_spill_count: 0
    .wavefront_size: 64
  - .agpr_count:     0
    .args:
      - .offset:         0
        .size:           3144
        .value_kind:     by_value
      - .offset:         3144
        .size:           1
        .value_kind:     by_value
      - .offset:         3145
        .size:           1
        .value_kind:     by_value
      - .offset:         3152
        .size:           4
        .value_kind:     hidden_block_count_x
      - .offset:         3156
        .size:           4
        .value_kind:     hidden_block_count_y
      - .offset:         3160
        .size:           4
        .value_kind:     hidden_block_count_z
      - .offset:         3164
        .size:           2
        .value_kind:     hidden_group_size_x
      - .offset:         3166
        .size:           2
        .value_kind:     hidden_group_size_y
      - .offset:         3168
        .size:           2
        .value_kind:     hidden_group_size_z
      - .offset:         3170
        .size:           2
        .value_kind:     hidden_remainder_x
      - .offset:         3172
        .size:           2
        .value_kind:     hidden_remainder_y
      - .offset:         3174
        .size:           2
        .value_kind:     hidden_remainder_z
      - .offset:         3192
        .size:           8
        .value_kind:     hidden_global_offset_x
      - .offset:         3200
        .size:           8
        .value_kind:     hidden_global_offset_y
      - .offset:         3208
        .size:           8
        .value_kind:     hidden_global_offset_z
      - .offset:         3216
        .size:           2
        .value_kind:     hidden_grid_dims
    .group_segment_fixed_size: 0
    .kernarg_segment_align: 8
    .kernarg_segment_size: 3408
    .language:       OpenCL C
    .language_version:
      - 2
      - 0
    .max_flat_workgroup_size: 512
    .name:           _ZN2at6native12_GLOBAL__N_125multi_tensor_apply_kernelINS1_18TensorListMetadataILi2EEENS1_14UnaryOpFunctorIN3c107complexIfEELi2ELi1ELi1EEEJNS0_3ExpIS8_EEEEEvT_T0_DpT1_
    .private_segment_fixed_size: 0
    .sgpr_count:     67
    .sgpr_spill_count: 0
    .symbol:         _ZN2at6native12_GLOBAL__N_125multi_tensor_apply_kernelINS1_18TensorListMetadataILi2EEENS1_14UnaryOpFunctorIN3c107complexIfEELi2ELi1ELi1EEEJNS0_3ExpIS8_EEEEEvT_T0_DpT1_.kd
    .uniform_work_group_size: 1
    .uses_dynamic_stack: false
    .vgpr_count:     53
    .vgpr_spill_count: 0
    .wavefront_size: 64
  - .agpr_count:     0
    .args:
      - .offset:         0
        .size:           3144
        .value_kind:     by_value
      - .offset:         3144
        .size:           1
        .value_kind:     by_value
      - .offset:         3145
        .size:           1
        .value_kind:     by_value
      - .offset:         3152
        .size:           4
        .value_kind:     hidden_block_count_x
      - .offset:         3156
        .size:           4
        .value_kind:     hidden_block_count_y
      - .offset:         3160
        .size:           4
        .value_kind:     hidden_block_count_z
      - .offset:         3164
        .size:           2
        .value_kind:     hidden_group_size_x
      - .offset:         3166
        .size:           2
        .value_kind:     hidden_group_size_y
      - .offset:         3168
        .size:           2
        .value_kind:     hidden_group_size_z
      - .offset:         3170
        .size:           2
        .value_kind:     hidden_remainder_x
      - .offset:         3172
        .size:           2
        .value_kind:     hidden_remainder_y
      - .offset:         3174
        .size:           2
        .value_kind:     hidden_remainder_z
      - .offset:         3192
        .size:           8
        .value_kind:     hidden_global_offset_x
      - .offset:         3200
        .size:           8
        .value_kind:     hidden_global_offset_y
      - .offset:         3208
        .size:           8
        .value_kind:     hidden_global_offset_z
      - .offset:         3216
        .size:           2
        .value_kind:     hidden_grid_dims
    .group_segment_fixed_size: 0
    .kernarg_segment_align: 8
    .kernarg_segment_size: 3408
    .language:       OpenCL C
    .language_version:
      - 2
      - 0
    .max_flat_workgroup_size: 512
    .name:           _ZN2at6native12_GLOBAL__N_125multi_tensor_apply_kernelINS1_18TensorListMetadataILi2EEENS1_14UnaryOpFunctorIN3c104HalfELi2ELi1ELi1EEEJNS0_3ExpIfEEEEEvT_T0_DpT1_
    .private_segment_fixed_size: 0
    .sgpr_count:     40
    .sgpr_spill_count: 0
    .symbol:         _ZN2at6native12_GLOBAL__N_125multi_tensor_apply_kernelINS1_18TensorListMetadataILi2EEENS1_14UnaryOpFunctorIN3c104HalfELi2ELi1ELi1EEEJNS0_3ExpIfEEEEEvT_T0_DpT1_.kd
    .uniform_work_group_size: 1
    .uses_dynamic_stack: false
    .vgpr_count:     32
    .vgpr_spill_count: 0
    .wavefront_size: 64
  - .agpr_count:     0
    .args:
      - .offset:         0
        .size:           3144
        .value_kind:     by_value
      - .offset:         3144
        .size:           1
        .value_kind:     by_value
      - .offset:         3145
        .size:           1
        .value_kind:     by_value
      - .offset:         3152
        .size:           4
        .value_kind:     hidden_block_count_x
      - .offset:         3156
        .size:           4
        .value_kind:     hidden_block_count_y
      - .offset:         3160
        .size:           4
        .value_kind:     hidden_block_count_z
      - .offset:         3164
        .size:           2
        .value_kind:     hidden_group_size_x
      - .offset:         3166
        .size:           2
        .value_kind:     hidden_group_size_y
      - .offset:         3168
        .size:           2
        .value_kind:     hidden_group_size_z
      - .offset:         3170
        .size:           2
        .value_kind:     hidden_remainder_x
      - .offset:         3172
        .size:           2
        .value_kind:     hidden_remainder_y
      - .offset:         3174
        .size:           2
        .value_kind:     hidden_remainder_z
      - .offset:         3192
        .size:           8
        .value_kind:     hidden_global_offset_x
      - .offset:         3200
        .size:           8
        .value_kind:     hidden_global_offset_y
      - .offset:         3208
        .size:           8
        .value_kind:     hidden_global_offset_z
      - .offset:         3216
        .size:           2
        .value_kind:     hidden_grid_dims
    .group_segment_fixed_size: 0
    .kernarg_segment_align: 8
    .kernarg_segment_size: 3408
    .language:       OpenCL C
    .language_version:
      - 2
      - 0
    .max_flat_workgroup_size: 512
    .name:           _ZN2at6native12_GLOBAL__N_125multi_tensor_apply_kernelINS1_18TensorListMetadataILi2EEENS1_14UnaryOpFunctorIN3c108BFloat16ELi2ELi1ELi1EEEJNS0_3ExpIfEEEEEvT_T0_DpT1_
    .private_segment_fixed_size: 0
    .sgpr_count:     32
    .sgpr_spill_count: 0
    .symbol:         _ZN2at6native12_GLOBAL__N_125multi_tensor_apply_kernelINS1_18TensorListMetadataILi2EEENS1_14UnaryOpFunctorIN3c108BFloat16ELi2ELi1ELi1EEEJNS0_3ExpIfEEEEEvT_T0_DpT1_.kd
    .uniform_work_group_size: 1
    .uses_dynamic_stack: false
    .vgpr_count:     32
    .vgpr_spill_count: 0
    .wavefront_size: 64
  - .agpr_count:     0
    .args:
      - .offset:         0
        .size:           3368
        .value_kind:     by_value
      - .offset:         3368
        .size:           1
        .value_kind:     by_value
      - .offset:         3369
        .size:           1
        .value_kind:     by_value
      - .offset:         3376
        .size:           4
        .value_kind:     hidden_block_count_x
      - .offset:         3380
        .size:           4
        .value_kind:     hidden_block_count_y
      - .offset:         3384
        .size:           4
        .value_kind:     hidden_block_count_z
      - .offset:         3388
        .size:           2
        .value_kind:     hidden_group_size_x
      - .offset:         3390
        .size:           2
        .value_kind:     hidden_group_size_y
      - .offset:         3392
        .size:           2
        .value_kind:     hidden_group_size_z
      - .offset:         3394
        .size:           2
        .value_kind:     hidden_remainder_x
      - .offset:         3396
        .size:           2
        .value_kind:     hidden_remainder_y
      - .offset:         3398
        .size:           2
        .value_kind:     hidden_remainder_z
      - .offset:         3416
        .size:           8
        .value_kind:     hidden_global_offset_x
      - .offset:         3424
        .size:           8
        .value_kind:     hidden_global_offset_y
      - .offset:         3432
        .size:           8
        .value_kind:     hidden_global_offset_z
      - .offset:         3440
        .size:           2
        .value_kind:     hidden_grid_dims
    .group_segment_fixed_size: 0
    .kernarg_segment_align: 8
    .kernarg_segment_size: 3632
    .language:       OpenCL C
    .language_version:
      - 2
      - 0
    .max_flat_workgroup_size: 512
    .name:           _ZN2at6native12_GLOBAL__N_125multi_tensor_apply_kernelINS1_18TensorListMetadataILi1EEENS1_14UnaryOpFunctorIdLi1ELi1ELi0EEEJNS0_3ExpIdEEEEEvT_T0_DpT1_
    .private_segment_fixed_size: 0
    .sgpr_count:     57
    .sgpr_spill_count: 0
    .symbol:         _ZN2at6native12_GLOBAL__N_125multi_tensor_apply_kernelINS1_18TensorListMetadataILi1EEENS1_14UnaryOpFunctorIdLi1ELi1ELi0EEEJNS0_3ExpIdEEEEEvT_T0_DpT1_.kd
    .uniform_work_group_size: 1
    .uses_dynamic_stack: false
    .vgpr_count:     46
    .vgpr_spill_count: 0
    .wavefront_size: 64
  - .agpr_count:     0
    .args:
      - .offset:         0
        .size:           3368
        .value_kind:     by_value
      - .offset:         3368
        .size:           1
        .value_kind:     by_value
      - .offset:         3369
        .size:           1
        .value_kind:     by_value
      - .offset:         3376
        .size:           4
        .value_kind:     hidden_block_count_x
      - .offset:         3380
        .size:           4
        .value_kind:     hidden_block_count_y
      - .offset:         3384
        .size:           4
        .value_kind:     hidden_block_count_z
      - .offset:         3388
        .size:           2
        .value_kind:     hidden_group_size_x
      - .offset:         3390
        .size:           2
        .value_kind:     hidden_group_size_y
      - .offset:         3392
        .size:           2
        .value_kind:     hidden_group_size_z
      - .offset:         3394
        .size:           2
        .value_kind:     hidden_remainder_x
      - .offset:         3396
        .size:           2
        .value_kind:     hidden_remainder_y
      - .offset:         3398
        .size:           2
        .value_kind:     hidden_remainder_z
      - .offset:         3416
        .size:           8
        .value_kind:     hidden_global_offset_x
      - .offset:         3424
        .size:           8
        .value_kind:     hidden_global_offset_y
      - .offset:         3432
        .size:           8
        .value_kind:     hidden_global_offset_z
      - .offset:         3440
        .size:           2
        .value_kind:     hidden_grid_dims
    .group_segment_fixed_size: 0
    .kernarg_segment_align: 8
    .kernarg_segment_size: 3632
    .language:       OpenCL C
    .language_version:
      - 2
      - 0
    .max_flat_workgroup_size: 512
    .name:           _ZN2at6native12_GLOBAL__N_125multi_tensor_apply_kernelINS1_18TensorListMetadataILi1EEENS1_14UnaryOpFunctorIfLi1ELi1ELi0EEEJNS0_3ExpIfEEEEEvT_T0_DpT1_
    .private_segment_fixed_size: 0
    .sgpr_count:     35
    .sgpr_spill_count: 0
    .symbol:         _ZN2at6native12_GLOBAL__N_125multi_tensor_apply_kernelINS1_18TensorListMetadataILi1EEENS1_14UnaryOpFunctorIfLi1ELi1ELi0EEEJNS0_3ExpIfEEEEEvT_T0_DpT1_.kd
    .uniform_work_group_size: 1
    .uses_dynamic_stack: false
    .vgpr_count:     24
    .vgpr_spill_count: 0
    .wavefront_size: 64
  - .agpr_count:     0
    .args:
      - .offset:         0
        .size:           3368
        .value_kind:     by_value
      - .offset:         3368
        .size:           1
        .value_kind:     by_value
      - .offset:         3369
        .size:           1
        .value_kind:     by_value
      - .offset:         3376
        .size:           4
        .value_kind:     hidden_block_count_x
      - .offset:         3380
        .size:           4
        .value_kind:     hidden_block_count_y
      - .offset:         3384
        .size:           4
        .value_kind:     hidden_block_count_z
      - .offset:         3388
        .size:           2
        .value_kind:     hidden_group_size_x
      - .offset:         3390
        .size:           2
        .value_kind:     hidden_group_size_y
      - .offset:         3392
        .size:           2
        .value_kind:     hidden_group_size_z
      - .offset:         3394
        .size:           2
        .value_kind:     hidden_remainder_x
      - .offset:         3396
        .size:           2
        .value_kind:     hidden_remainder_y
      - .offset:         3398
        .size:           2
        .value_kind:     hidden_remainder_z
      - .offset:         3416
        .size:           8
        .value_kind:     hidden_global_offset_x
      - .offset:         3424
        .size:           8
        .value_kind:     hidden_global_offset_y
      - .offset:         3432
        .size:           8
        .value_kind:     hidden_global_offset_z
      - .offset:         3440
        .size:           2
        .value_kind:     hidden_grid_dims
    .group_segment_fixed_size: 0
    .kernarg_segment_align: 8
    .kernarg_segment_size: 3632
    .language:       OpenCL C
    .language_version:
      - 2
      - 0
    .max_flat_workgroup_size: 512
    .name:           _ZN2at6native12_GLOBAL__N_125multi_tensor_apply_kernelINS1_18TensorListMetadataILi1EEENS1_14UnaryOpFunctorIN3c107complexIdEELi1ELi1ELi0EEEJNS0_3ExpIS8_EEEEEvT_T0_DpT1_
    .private_segment_fixed_size: 0
    .sgpr_count:     100
    .sgpr_spill_count: 2
    .symbol:         _ZN2at6native12_GLOBAL__N_125multi_tensor_apply_kernelINS1_18TensorListMetadataILi1EEENS1_14UnaryOpFunctorIN3c107complexIdEELi1ELi1ELi0EEEJNS0_3ExpIS8_EEEEEvT_T0_DpT1_.kd
    .uniform_work_group_size: 1
    .uses_dynamic_stack: false
    .vgpr_count:     83
    .vgpr_spill_count: 0
    .wavefront_size: 64
  - .agpr_count:     0
    .args:
      - .offset:         0
        .size:           3368
        .value_kind:     by_value
      - .offset:         3368
        .size:           1
        .value_kind:     by_value
      - .offset:         3369
        .size:           1
        .value_kind:     by_value
      - .offset:         3376
        .size:           4
        .value_kind:     hidden_block_count_x
      - .offset:         3380
        .size:           4
        .value_kind:     hidden_block_count_y
      - .offset:         3384
        .size:           4
        .value_kind:     hidden_block_count_z
      - .offset:         3388
        .size:           2
        .value_kind:     hidden_group_size_x
      - .offset:         3390
        .size:           2
        .value_kind:     hidden_group_size_y
      - .offset:         3392
        .size:           2
        .value_kind:     hidden_group_size_z
      - .offset:         3394
        .size:           2
        .value_kind:     hidden_remainder_x
      - .offset:         3396
        .size:           2
        .value_kind:     hidden_remainder_y
      - .offset:         3398
        .size:           2
        .value_kind:     hidden_remainder_z
      - .offset:         3416
        .size:           8
        .value_kind:     hidden_global_offset_x
      - .offset:         3424
        .size:           8
        .value_kind:     hidden_global_offset_y
      - .offset:         3432
        .size:           8
        .value_kind:     hidden_global_offset_z
      - .offset:         3440
        .size:           2
        .value_kind:     hidden_grid_dims
    .group_segment_fixed_size: 0
    .kernarg_segment_align: 8
    .kernarg_segment_size: 3632
    .language:       OpenCL C
    .language_version:
      - 2
      - 0
    .max_flat_workgroup_size: 512
    .name:           _ZN2at6native12_GLOBAL__N_125multi_tensor_apply_kernelINS1_18TensorListMetadataILi1EEENS1_14UnaryOpFunctorIN3c107complexIfEELi1ELi1ELi0EEEJNS0_3ExpIS8_EEEEEvT_T0_DpT1_
    .private_segment_fixed_size: 0
    .sgpr_count:     65
    .sgpr_spill_count: 0
    .symbol:         _ZN2at6native12_GLOBAL__N_125multi_tensor_apply_kernelINS1_18TensorListMetadataILi1EEENS1_14UnaryOpFunctorIN3c107complexIfEELi1ELi1ELi0EEEJNS0_3ExpIS8_EEEEEvT_T0_DpT1_.kd
    .uniform_work_group_size: 1
    .uses_dynamic_stack: false
    .vgpr_count:     48
    .vgpr_spill_count: 0
    .wavefront_size: 64
  - .agpr_count:     0
    .args:
      - .offset:         0
        .size:           3368
        .value_kind:     by_value
      - .offset:         3368
        .size:           1
        .value_kind:     by_value
      - .offset:         3369
        .size:           1
        .value_kind:     by_value
      - .offset:         3376
        .size:           4
        .value_kind:     hidden_block_count_x
      - .offset:         3380
        .size:           4
        .value_kind:     hidden_block_count_y
      - .offset:         3384
        .size:           4
        .value_kind:     hidden_block_count_z
      - .offset:         3388
        .size:           2
        .value_kind:     hidden_group_size_x
      - .offset:         3390
        .size:           2
        .value_kind:     hidden_group_size_y
      - .offset:         3392
        .size:           2
        .value_kind:     hidden_group_size_z
      - .offset:         3394
        .size:           2
        .value_kind:     hidden_remainder_x
      - .offset:         3396
        .size:           2
        .value_kind:     hidden_remainder_y
      - .offset:         3398
        .size:           2
        .value_kind:     hidden_remainder_z
      - .offset:         3416
        .size:           8
        .value_kind:     hidden_global_offset_x
      - .offset:         3424
        .size:           8
        .value_kind:     hidden_global_offset_y
      - .offset:         3432
        .size:           8
        .value_kind:     hidden_global_offset_z
      - .offset:         3440
        .size:           2
        .value_kind:     hidden_grid_dims
    .group_segment_fixed_size: 0
    .kernarg_segment_align: 8
    .kernarg_segment_size: 3632
    .language:       OpenCL C
    .language_version:
      - 2
      - 0
    .max_flat_workgroup_size: 512
    .name:           _ZN2at6native12_GLOBAL__N_125multi_tensor_apply_kernelINS1_18TensorListMetadataILi1EEENS1_14UnaryOpFunctorIN3c104HalfELi1ELi1ELi0EEEJNS0_3ExpIfEEEEEvT_T0_DpT1_
    .private_segment_fixed_size: 0
    .sgpr_count:     35
    .sgpr_spill_count: 0
    .symbol:         _ZN2at6native12_GLOBAL__N_125multi_tensor_apply_kernelINS1_18TensorListMetadataILi1EEENS1_14UnaryOpFunctorIN3c104HalfELi1ELi1ELi0EEEJNS0_3ExpIfEEEEEvT_T0_DpT1_.kd
    .uniform_work_group_size: 1
    .uses_dynamic_stack: false
    .vgpr_count:     25
    .vgpr_spill_count: 0
    .wavefront_size: 64
  - .agpr_count:     0
    .args:
      - .offset:         0
        .size:           3368
        .value_kind:     by_value
      - .offset:         3368
        .size:           1
        .value_kind:     by_value
      - .offset:         3369
        .size:           1
        .value_kind:     by_value
      - .offset:         3376
        .size:           4
        .value_kind:     hidden_block_count_x
      - .offset:         3380
        .size:           4
        .value_kind:     hidden_block_count_y
      - .offset:         3384
        .size:           4
        .value_kind:     hidden_block_count_z
      - .offset:         3388
        .size:           2
        .value_kind:     hidden_group_size_x
      - .offset:         3390
        .size:           2
        .value_kind:     hidden_group_size_y
      - .offset:         3392
        .size:           2
        .value_kind:     hidden_group_size_z
      - .offset:         3394
        .size:           2
        .value_kind:     hidden_remainder_x
      - .offset:         3396
        .size:           2
        .value_kind:     hidden_remainder_y
      - .offset:         3398
        .size:           2
        .value_kind:     hidden_remainder_z
      - .offset:         3416
        .size:           8
        .value_kind:     hidden_global_offset_x
      - .offset:         3424
        .size:           8
        .value_kind:     hidden_global_offset_y
      - .offset:         3432
        .size:           8
        .value_kind:     hidden_global_offset_z
      - .offset:         3440
        .size:           2
        .value_kind:     hidden_grid_dims
    .group_segment_fixed_size: 0
    .kernarg_segment_align: 8
    .kernarg_segment_size: 3632
    .language:       OpenCL C
    .language_version:
      - 2
      - 0
    .max_flat_workgroup_size: 512
    .name:           _ZN2at6native12_GLOBAL__N_125multi_tensor_apply_kernelINS1_18TensorListMetadataILi1EEENS1_14UnaryOpFunctorIN3c108BFloat16ELi1ELi1ELi0EEEJNS0_3ExpIfEEEEEvT_T0_DpT1_
    .private_segment_fixed_size: 0
    .sgpr_count:     35
    .sgpr_spill_count: 0
    .symbol:         _ZN2at6native12_GLOBAL__N_125multi_tensor_apply_kernelINS1_18TensorListMetadataILi1EEENS1_14UnaryOpFunctorIN3c108BFloat16ELi1ELi1ELi0EEEJNS0_3ExpIfEEEEEvT_T0_DpT1_.kd
    .uniform_work_group_size: 1
    .uses_dynamic_stack: false
    .vgpr_count:     25
    .vgpr_spill_count: 0
    .wavefront_size: 64
  - .agpr_count:     0
    .args:
      - .offset:         0
        .size:           3144
        .value_kind:     by_value
      - .offset:         3144
        .size:           1
        .value_kind:     by_value
      - .offset:         3145
        .size:           1
        .value_kind:     by_value
      - .offset:         3152
        .size:           4
        .value_kind:     hidden_block_count_x
      - .offset:         3156
        .size:           4
        .value_kind:     hidden_block_count_y
      - .offset:         3160
        .size:           4
        .value_kind:     hidden_block_count_z
      - .offset:         3164
        .size:           2
        .value_kind:     hidden_group_size_x
      - .offset:         3166
        .size:           2
        .value_kind:     hidden_group_size_y
      - .offset:         3168
        .size:           2
        .value_kind:     hidden_group_size_z
      - .offset:         3170
        .size:           2
        .value_kind:     hidden_remainder_x
      - .offset:         3172
        .size:           2
        .value_kind:     hidden_remainder_y
      - .offset:         3174
        .size:           2
        .value_kind:     hidden_remainder_z
      - .offset:         3192
        .size:           8
        .value_kind:     hidden_global_offset_x
      - .offset:         3200
        .size:           8
        .value_kind:     hidden_global_offset_y
      - .offset:         3208
        .size:           8
        .value_kind:     hidden_global_offset_z
      - .offset:         3216
        .size:           2
        .value_kind:     hidden_grid_dims
    .group_segment_fixed_size: 0
    .kernarg_segment_align: 8
    .kernarg_segment_size: 3408
    .language:       OpenCL C
    .language_version:
      - 2
      - 0
    .max_flat_workgroup_size: 512
    .name:           _ZN2at6native12_GLOBAL__N_125multi_tensor_apply_kernelINS1_18TensorListMetadataILi2EEENS1_14UnaryOpFunctorIdLi2ELi1ELi1EEEJNS0_5Expm1IdEEEEEvT_T0_DpT1_
    .private_segment_fixed_size: 0
    .sgpr_count:     73
    .sgpr_spill_count: 0
    .symbol:         _ZN2at6native12_GLOBAL__N_125multi_tensor_apply_kernelINS1_18TensorListMetadataILi2EEENS1_14UnaryOpFunctorIdLi2ELi1ELi1EEEJNS0_5Expm1IdEEEEEvT_T0_DpT1_.kd
    .uniform_work_group_size: 1
    .uses_dynamic_stack: false
    .vgpr_count:     60
    .vgpr_spill_count: 0
    .wavefront_size: 64
  - .agpr_count:     0
    .args:
      - .offset:         0
        .size:           3144
        .value_kind:     by_value
      - .offset:         3144
        .size:           1
        .value_kind:     by_value
      - .offset:         3145
        .size:           1
        .value_kind:     by_value
      - .offset:         3152
        .size:           4
        .value_kind:     hidden_block_count_x
      - .offset:         3156
        .size:           4
        .value_kind:     hidden_block_count_y
      - .offset:         3160
        .size:           4
        .value_kind:     hidden_block_count_z
      - .offset:         3164
        .size:           2
        .value_kind:     hidden_group_size_x
      - .offset:         3166
        .size:           2
        .value_kind:     hidden_group_size_y
      - .offset:         3168
        .size:           2
        .value_kind:     hidden_group_size_z
      - .offset:         3170
        .size:           2
        .value_kind:     hidden_remainder_x
      - .offset:         3172
        .size:           2
        .value_kind:     hidden_remainder_y
      - .offset:         3174
        .size:           2
        .value_kind:     hidden_remainder_z
      - .offset:         3192
        .size:           8
        .value_kind:     hidden_global_offset_x
      - .offset:         3200
        .size:           8
        .value_kind:     hidden_global_offset_y
      - .offset:         3208
        .size:           8
        .value_kind:     hidden_global_offset_z
      - .offset:         3216
        .size:           2
        .value_kind:     hidden_grid_dims
    .group_segment_fixed_size: 0
    .kernarg_segment_align: 8
    .kernarg_segment_size: 3408
    .language:       OpenCL C
    .language_version:
      - 2
      - 0
    .max_flat_workgroup_size: 512
    .name:           _ZN2at6native12_GLOBAL__N_125multi_tensor_apply_kernelINS1_18TensorListMetadataILi2EEENS1_14UnaryOpFunctorIfLi2ELi1ELi1EEEJNS0_5Expm1IfEEEEEvT_T0_DpT1_
    .private_segment_fixed_size: 0
    .sgpr_count:     42
    .sgpr_spill_count: 0
    .symbol:         _ZN2at6native12_GLOBAL__N_125multi_tensor_apply_kernelINS1_18TensorListMetadataILi2EEENS1_14UnaryOpFunctorIfLi2ELi1ELi1EEEJNS0_5Expm1IfEEEEEvT_T0_DpT1_.kd
    .uniform_work_group_size: 1
    .uses_dynamic_stack: false
    .vgpr_count:     36
    .vgpr_spill_count: 0
    .wavefront_size: 64
  - .agpr_count:     0
    .args:
      - .offset:         0
        .size:           3144
        .value_kind:     by_value
      - .offset:         3144
        .size:           1
        .value_kind:     by_value
      - .offset:         3145
        .size:           1
        .value_kind:     by_value
      - .offset:         3152
        .size:           4
        .value_kind:     hidden_block_count_x
      - .offset:         3156
        .size:           4
        .value_kind:     hidden_block_count_y
      - .offset:         3160
        .size:           4
        .value_kind:     hidden_block_count_z
      - .offset:         3164
        .size:           2
        .value_kind:     hidden_group_size_x
      - .offset:         3166
        .size:           2
        .value_kind:     hidden_group_size_y
      - .offset:         3168
        .size:           2
        .value_kind:     hidden_group_size_z
      - .offset:         3170
        .size:           2
        .value_kind:     hidden_remainder_x
      - .offset:         3172
        .size:           2
        .value_kind:     hidden_remainder_y
      - .offset:         3174
        .size:           2
        .value_kind:     hidden_remainder_z
      - .offset:         3192
        .size:           8
        .value_kind:     hidden_global_offset_x
      - .offset:         3200
        .size:           8
        .value_kind:     hidden_global_offset_y
      - .offset:         3208
        .size:           8
        .value_kind:     hidden_global_offset_z
      - .offset:         3216
        .size:           2
        .value_kind:     hidden_grid_dims
    .group_segment_fixed_size: 0
    .kernarg_segment_align: 8
    .kernarg_segment_size: 3408
    .language:       OpenCL C
    .language_version:
      - 2
      - 0
    .max_flat_workgroup_size: 512
    .name:           _ZN2at6native12_GLOBAL__N_125multi_tensor_apply_kernelINS1_18TensorListMetadataILi2EEENS1_14UnaryOpFunctorIN3c107complexIdEELi2ELi1ELi1EEEJNS0_5Expm1IS8_EEEEEvT_T0_DpT1_
    .private_segment_fixed_size: 0
    .sgpr_count:     100
    .sgpr_spill_count: 12
    .symbol:         _ZN2at6native12_GLOBAL__N_125multi_tensor_apply_kernelINS1_18TensorListMetadataILi2EEENS1_14UnaryOpFunctorIN3c107complexIdEELi2ELi1ELi1EEEJNS0_5Expm1IS8_EEEEEvT_T0_DpT1_.kd
    .uniform_work_group_size: 1
    .uses_dynamic_stack: false
    .vgpr_count:     165
    .vgpr_spill_count: 0
    .wavefront_size: 64
  - .agpr_count:     0
    .args:
      - .offset:         0
        .size:           3144
        .value_kind:     by_value
      - .offset:         3144
        .size:           1
        .value_kind:     by_value
      - .offset:         3145
        .size:           1
        .value_kind:     by_value
      - .offset:         3152
        .size:           4
        .value_kind:     hidden_block_count_x
      - .offset:         3156
        .size:           4
        .value_kind:     hidden_block_count_y
      - .offset:         3160
        .size:           4
        .value_kind:     hidden_block_count_z
      - .offset:         3164
        .size:           2
        .value_kind:     hidden_group_size_x
      - .offset:         3166
        .size:           2
        .value_kind:     hidden_group_size_y
      - .offset:         3168
        .size:           2
        .value_kind:     hidden_group_size_z
      - .offset:         3170
        .size:           2
        .value_kind:     hidden_remainder_x
      - .offset:         3172
        .size:           2
        .value_kind:     hidden_remainder_y
      - .offset:         3174
        .size:           2
        .value_kind:     hidden_remainder_z
      - .offset:         3192
        .size:           8
        .value_kind:     hidden_global_offset_x
      - .offset:         3200
        .size:           8
        .value_kind:     hidden_global_offset_y
      - .offset:         3208
        .size:           8
        .value_kind:     hidden_global_offset_z
      - .offset:         3216
        .size:           2
        .value_kind:     hidden_grid_dims
    .group_segment_fixed_size: 0
    .kernarg_segment_align: 8
    .kernarg_segment_size: 3408
    .language:       OpenCL C
    .language_version:
      - 2
      - 0
    .max_flat_workgroup_size: 512
    .name:           _ZN2at6native12_GLOBAL__N_125multi_tensor_apply_kernelINS1_18TensorListMetadataILi2EEENS1_14UnaryOpFunctorIN3c107complexIfEELi2ELi1ELi1EEEJNS0_5Expm1IS8_EEEEEvT_T0_DpT1_
    .private_segment_fixed_size: 0
    .sgpr_count:     59
    .sgpr_spill_count: 0
    .symbol:         _ZN2at6native12_GLOBAL__N_125multi_tensor_apply_kernelINS1_18TensorListMetadataILi2EEENS1_14UnaryOpFunctorIN3c107complexIfEELi2ELi1ELi1EEEJNS0_5Expm1IS8_EEEEEvT_T0_DpT1_.kd
    .uniform_work_group_size: 1
    .uses_dynamic_stack: false
    .vgpr_count:     88
    .vgpr_spill_count: 0
    .wavefront_size: 64
  - .agpr_count:     0
    .args:
      - .offset:         0
        .size:           3144
        .value_kind:     by_value
      - .offset:         3144
        .size:           1
        .value_kind:     by_value
      - .offset:         3145
        .size:           1
        .value_kind:     by_value
      - .offset:         3152
        .size:           4
        .value_kind:     hidden_block_count_x
      - .offset:         3156
        .size:           4
        .value_kind:     hidden_block_count_y
      - .offset:         3160
        .size:           4
        .value_kind:     hidden_block_count_z
      - .offset:         3164
        .size:           2
        .value_kind:     hidden_group_size_x
      - .offset:         3166
        .size:           2
        .value_kind:     hidden_group_size_y
      - .offset:         3168
        .size:           2
        .value_kind:     hidden_group_size_z
      - .offset:         3170
        .size:           2
        .value_kind:     hidden_remainder_x
      - .offset:         3172
        .size:           2
        .value_kind:     hidden_remainder_y
      - .offset:         3174
        .size:           2
        .value_kind:     hidden_remainder_z
      - .offset:         3192
        .size:           8
        .value_kind:     hidden_global_offset_x
      - .offset:         3200
        .size:           8
        .value_kind:     hidden_global_offset_y
      - .offset:         3208
        .size:           8
        .value_kind:     hidden_global_offset_z
      - .offset:         3216
        .size:           2
        .value_kind:     hidden_grid_dims
    .group_segment_fixed_size: 0
    .kernarg_segment_align: 8
    .kernarg_segment_size: 3408
    .language:       OpenCL C
    .language_version:
      - 2
      - 0
    .max_flat_workgroup_size: 512
    .name:           _ZN2at6native12_GLOBAL__N_125multi_tensor_apply_kernelINS1_18TensorListMetadataILi2EEENS1_14UnaryOpFunctorIN3c104HalfELi2ELi1ELi1EEEJNS0_5Expm1IfEEEEEvT_T0_DpT1_
    .private_segment_fixed_size: 0
    .sgpr_count:     42
    .sgpr_spill_count: 0
    .symbol:         _ZN2at6native12_GLOBAL__N_125multi_tensor_apply_kernelINS1_18TensorListMetadataILi2EEENS1_14UnaryOpFunctorIN3c104HalfELi2ELi1ELi1EEEJNS0_5Expm1IfEEEEEvT_T0_DpT1_.kd
    .uniform_work_group_size: 1
    .uses_dynamic_stack: false
    .vgpr_count:     38
    .vgpr_spill_count: 0
    .wavefront_size: 64
  - .agpr_count:     0
    .args:
      - .offset:         0
        .size:           3144
        .value_kind:     by_value
      - .offset:         3144
        .size:           1
        .value_kind:     by_value
      - .offset:         3145
        .size:           1
        .value_kind:     by_value
      - .offset:         3152
        .size:           4
        .value_kind:     hidden_block_count_x
      - .offset:         3156
        .size:           4
        .value_kind:     hidden_block_count_y
      - .offset:         3160
        .size:           4
        .value_kind:     hidden_block_count_z
      - .offset:         3164
        .size:           2
        .value_kind:     hidden_group_size_x
      - .offset:         3166
        .size:           2
        .value_kind:     hidden_group_size_y
      - .offset:         3168
        .size:           2
        .value_kind:     hidden_group_size_z
      - .offset:         3170
        .size:           2
        .value_kind:     hidden_remainder_x
      - .offset:         3172
        .size:           2
        .value_kind:     hidden_remainder_y
      - .offset:         3174
        .size:           2
        .value_kind:     hidden_remainder_z
      - .offset:         3192
        .size:           8
        .value_kind:     hidden_global_offset_x
      - .offset:         3200
        .size:           8
        .value_kind:     hidden_global_offset_y
      - .offset:         3208
        .size:           8
        .value_kind:     hidden_global_offset_z
      - .offset:         3216
        .size:           2
        .value_kind:     hidden_grid_dims
    .group_segment_fixed_size: 0
    .kernarg_segment_align: 8
    .kernarg_segment_size: 3408
    .language:       OpenCL C
    .language_version:
      - 2
      - 0
    .max_flat_workgroup_size: 512
    .name:           _ZN2at6native12_GLOBAL__N_125multi_tensor_apply_kernelINS1_18TensorListMetadataILi2EEENS1_14UnaryOpFunctorIN3c108BFloat16ELi2ELi1ELi1EEEJNS0_5Expm1IfEEEEEvT_T0_DpT1_
    .private_segment_fixed_size: 0
    .sgpr_count:     42
    .sgpr_spill_count: 0
    .symbol:         _ZN2at6native12_GLOBAL__N_125multi_tensor_apply_kernelINS1_18TensorListMetadataILi2EEENS1_14UnaryOpFunctorIN3c108BFloat16ELi2ELi1ELi1EEEJNS0_5Expm1IfEEEEEvT_T0_DpT1_.kd
    .uniform_work_group_size: 1
    .uses_dynamic_stack: false
    .vgpr_count:     38
    .vgpr_spill_count: 0
    .wavefront_size: 64
  - .agpr_count:     0
    .args:
      - .offset:         0
        .size:           3368
        .value_kind:     by_value
      - .offset:         3368
        .size:           1
        .value_kind:     by_value
      - .offset:         3369
        .size:           1
        .value_kind:     by_value
      - .offset:         3376
        .size:           4
        .value_kind:     hidden_block_count_x
      - .offset:         3380
        .size:           4
        .value_kind:     hidden_block_count_y
      - .offset:         3384
        .size:           4
        .value_kind:     hidden_block_count_z
      - .offset:         3388
        .size:           2
        .value_kind:     hidden_group_size_x
      - .offset:         3390
        .size:           2
        .value_kind:     hidden_group_size_y
      - .offset:         3392
        .size:           2
        .value_kind:     hidden_group_size_z
      - .offset:         3394
        .size:           2
        .value_kind:     hidden_remainder_x
      - .offset:         3396
        .size:           2
        .value_kind:     hidden_remainder_y
      - .offset:         3398
        .size:           2
        .value_kind:     hidden_remainder_z
      - .offset:         3416
        .size:           8
        .value_kind:     hidden_global_offset_x
      - .offset:         3424
        .size:           8
        .value_kind:     hidden_global_offset_y
      - .offset:         3432
        .size:           8
        .value_kind:     hidden_global_offset_z
      - .offset:         3440
        .size:           2
        .value_kind:     hidden_grid_dims
    .group_segment_fixed_size: 0
    .kernarg_segment_align: 8
    .kernarg_segment_size: 3632
    .language:       OpenCL C
    .language_version:
      - 2
      - 0
    .max_flat_workgroup_size: 512
    .name:           _ZN2at6native12_GLOBAL__N_125multi_tensor_apply_kernelINS1_18TensorListMetadataILi1EEENS1_14UnaryOpFunctorIdLi1ELi1ELi0EEEJNS0_5Expm1IdEEEEEvT_T0_DpT1_
    .private_segment_fixed_size: 0
    .sgpr_count:     59
    .sgpr_spill_count: 0
    .symbol:         _ZN2at6native12_GLOBAL__N_125multi_tensor_apply_kernelINS1_18TensorListMetadataILi1EEENS1_14UnaryOpFunctorIdLi1ELi1ELi0EEEJNS0_5Expm1IdEEEEEvT_T0_DpT1_.kd
    .uniform_work_group_size: 1
    .uses_dynamic_stack: false
    .vgpr_count:     52
    .vgpr_spill_count: 0
    .wavefront_size: 64
  - .agpr_count:     0
    .args:
      - .offset:         0
        .size:           3368
        .value_kind:     by_value
      - .offset:         3368
        .size:           1
        .value_kind:     by_value
      - .offset:         3369
        .size:           1
        .value_kind:     by_value
      - .offset:         3376
        .size:           4
        .value_kind:     hidden_block_count_x
      - .offset:         3380
        .size:           4
        .value_kind:     hidden_block_count_y
      - .offset:         3384
        .size:           4
        .value_kind:     hidden_block_count_z
      - .offset:         3388
        .size:           2
        .value_kind:     hidden_group_size_x
      - .offset:         3390
        .size:           2
        .value_kind:     hidden_group_size_y
      - .offset:         3392
        .size:           2
        .value_kind:     hidden_group_size_z
      - .offset:         3394
        .size:           2
        .value_kind:     hidden_remainder_x
      - .offset:         3396
        .size:           2
        .value_kind:     hidden_remainder_y
      - .offset:         3398
        .size:           2
        .value_kind:     hidden_remainder_z
      - .offset:         3416
        .size:           8
        .value_kind:     hidden_global_offset_x
      - .offset:         3424
        .size:           8
        .value_kind:     hidden_global_offset_y
      - .offset:         3432
        .size:           8
        .value_kind:     hidden_global_offset_z
      - .offset:         3440
        .size:           2
        .value_kind:     hidden_grid_dims
    .group_segment_fixed_size: 0
    .kernarg_segment_align: 8
    .kernarg_segment_size: 3632
    .language:       OpenCL C
    .language_version:
      - 2
      - 0
    .max_flat_workgroup_size: 512
    .name:           _ZN2at6native12_GLOBAL__N_125multi_tensor_apply_kernelINS1_18TensorListMetadataILi1EEENS1_14UnaryOpFunctorIfLi1ELi1ELi0EEEJNS0_5Expm1IfEEEEEvT_T0_DpT1_
    .private_segment_fixed_size: 0
    .sgpr_count:     35
    .sgpr_spill_count: 0
    .symbol:         _ZN2at6native12_GLOBAL__N_125multi_tensor_apply_kernelINS1_18TensorListMetadataILi1EEENS1_14UnaryOpFunctorIfLi1ELi1ELi0EEEJNS0_5Expm1IfEEEEEvT_T0_DpT1_.kd
    .uniform_work_group_size: 1
    .uses_dynamic_stack: false
    .vgpr_count:     30
    .vgpr_spill_count: 0
    .wavefront_size: 64
  - .agpr_count:     0
    .args:
      - .offset:         0
        .size:           3368
        .value_kind:     by_value
      - .offset:         3368
        .size:           1
        .value_kind:     by_value
      - .offset:         3369
        .size:           1
        .value_kind:     by_value
      - .offset:         3376
        .size:           4
        .value_kind:     hidden_block_count_x
      - .offset:         3380
        .size:           4
        .value_kind:     hidden_block_count_y
      - .offset:         3384
        .size:           4
        .value_kind:     hidden_block_count_z
      - .offset:         3388
        .size:           2
        .value_kind:     hidden_group_size_x
      - .offset:         3390
        .size:           2
        .value_kind:     hidden_group_size_y
      - .offset:         3392
        .size:           2
        .value_kind:     hidden_group_size_z
      - .offset:         3394
        .size:           2
        .value_kind:     hidden_remainder_x
      - .offset:         3396
        .size:           2
        .value_kind:     hidden_remainder_y
      - .offset:         3398
        .size:           2
        .value_kind:     hidden_remainder_z
      - .offset:         3416
        .size:           8
        .value_kind:     hidden_global_offset_x
      - .offset:         3424
        .size:           8
        .value_kind:     hidden_global_offset_y
      - .offset:         3432
        .size:           8
        .value_kind:     hidden_global_offset_z
      - .offset:         3440
        .size:           2
        .value_kind:     hidden_grid_dims
    .group_segment_fixed_size: 0
    .kernarg_segment_align: 8
    .kernarg_segment_size: 3632
    .language:       OpenCL C
    .language_version:
      - 2
      - 0
    .max_flat_workgroup_size: 512
    .name:           _ZN2at6native12_GLOBAL__N_125multi_tensor_apply_kernelINS1_18TensorListMetadataILi1EEENS1_14UnaryOpFunctorIN3c107complexIdEELi1ELi1ELi0EEEJNS0_5Expm1IS8_EEEEEvT_T0_DpT1_
    .private_segment_fixed_size: 0
    .sgpr_count:     100
    .sgpr_spill_count: 5
    .symbol:         _ZN2at6native12_GLOBAL__N_125multi_tensor_apply_kernelINS1_18TensorListMetadataILi1EEENS1_14UnaryOpFunctorIN3c107complexIdEELi1ELi1ELi0EEEJNS0_5Expm1IS8_EEEEEvT_T0_DpT1_.kd
    .uniform_work_group_size: 1
    .uses_dynamic_stack: false
    .vgpr_count:     161
    .vgpr_spill_count: 0
    .wavefront_size: 64
  - .agpr_count:     0
    .args:
      - .offset:         0
        .size:           3368
        .value_kind:     by_value
      - .offset:         3368
        .size:           1
        .value_kind:     by_value
      - .offset:         3369
        .size:           1
        .value_kind:     by_value
      - .offset:         3376
        .size:           4
        .value_kind:     hidden_block_count_x
      - .offset:         3380
        .size:           4
        .value_kind:     hidden_block_count_y
      - .offset:         3384
        .size:           4
        .value_kind:     hidden_block_count_z
      - .offset:         3388
        .size:           2
        .value_kind:     hidden_group_size_x
      - .offset:         3390
        .size:           2
        .value_kind:     hidden_group_size_y
      - .offset:         3392
        .size:           2
        .value_kind:     hidden_group_size_z
      - .offset:         3394
        .size:           2
        .value_kind:     hidden_remainder_x
      - .offset:         3396
        .size:           2
        .value_kind:     hidden_remainder_y
      - .offset:         3398
        .size:           2
        .value_kind:     hidden_remainder_z
      - .offset:         3416
        .size:           8
        .value_kind:     hidden_global_offset_x
      - .offset:         3424
        .size:           8
        .value_kind:     hidden_global_offset_y
      - .offset:         3432
        .size:           8
        .value_kind:     hidden_global_offset_z
      - .offset:         3440
        .size:           2
        .value_kind:     hidden_grid_dims
    .group_segment_fixed_size: 0
    .kernarg_segment_align: 8
    .kernarg_segment_size: 3632
    .language:       OpenCL C
    .language_version:
      - 2
      - 0
    .max_flat_workgroup_size: 512
    .name:           _ZN2at6native12_GLOBAL__N_125multi_tensor_apply_kernelINS1_18TensorListMetadataILi1EEENS1_14UnaryOpFunctorIN3c107complexIfEELi1ELi1ELi0EEEJNS0_5Expm1IS8_EEEEEvT_T0_DpT1_
    .private_segment_fixed_size: 0
    .sgpr_count:     57
    .sgpr_spill_count: 0
    .symbol:         _ZN2at6native12_GLOBAL__N_125multi_tensor_apply_kernelINS1_18TensorListMetadataILi1EEENS1_14UnaryOpFunctorIN3c107complexIfEELi1ELi1ELi0EEEJNS0_5Expm1IS8_EEEEEvT_T0_DpT1_.kd
    .uniform_work_group_size: 1
    .uses_dynamic_stack: false
    .vgpr_count:     84
    .vgpr_spill_count: 0
    .wavefront_size: 64
  - .agpr_count:     0
    .args:
      - .offset:         0
        .size:           3368
        .value_kind:     by_value
      - .offset:         3368
        .size:           1
        .value_kind:     by_value
      - .offset:         3369
        .size:           1
        .value_kind:     by_value
      - .offset:         3376
        .size:           4
        .value_kind:     hidden_block_count_x
      - .offset:         3380
        .size:           4
        .value_kind:     hidden_block_count_y
      - .offset:         3384
        .size:           4
        .value_kind:     hidden_block_count_z
      - .offset:         3388
        .size:           2
        .value_kind:     hidden_group_size_x
      - .offset:         3390
        .size:           2
        .value_kind:     hidden_group_size_y
      - .offset:         3392
        .size:           2
        .value_kind:     hidden_group_size_z
      - .offset:         3394
        .size:           2
        .value_kind:     hidden_remainder_x
      - .offset:         3396
        .size:           2
        .value_kind:     hidden_remainder_y
      - .offset:         3398
        .size:           2
        .value_kind:     hidden_remainder_z
      - .offset:         3416
        .size:           8
        .value_kind:     hidden_global_offset_x
      - .offset:         3424
        .size:           8
        .value_kind:     hidden_global_offset_y
      - .offset:         3432
        .size:           8
        .value_kind:     hidden_global_offset_z
      - .offset:         3440
        .size:           2
        .value_kind:     hidden_grid_dims
    .group_segment_fixed_size: 0
    .kernarg_segment_align: 8
    .kernarg_segment_size: 3632
    .language:       OpenCL C
    .language_version:
      - 2
      - 0
    .max_flat_workgroup_size: 512
    .name:           _ZN2at6native12_GLOBAL__N_125multi_tensor_apply_kernelINS1_18TensorListMetadataILi1EEENS1_14UnaryOpFunctorIN3c104HalfELi1ELi1ELi0EEEJNS0_5Expm1IfEEEEEvT_T0_DpT1_
    .private_segment_fixed_size: 0
    .sgpr_count:     35
    .sgpr_spill_count: 0
    .symbol:         _ZN2at6native12_GLOBAL__N_125multi_tensor_apply_kernelINS1_18TensorListMetadataILi1EEENS1_14UnaryOpFunctorIN3c104HalfELi1ELi1ELi0EEEJNS0_5Expm1IfEEEEEvT_T0_DpT1_.kd
    .uniform_work_group_size: 1
    .uses_dynamic_stack: false
    .vgpr_count:     34
    .vgpr_spill_count: 0
    .wavefront_size: 64
  - .agpr_count:     0
    .args:
      - .offset:         0
        .size:           3368
        .value_kind:     by_value
      - .offset:         3368
        .size:           1
        .value_kind:     by_value
      - .offset:         3369
        .size:           1
        .value_kind:     by_value
      - .offset:         3376
        .size:           4
        .value_kind:     hidden_block_count_x
      - .offset:         3380
        .size:           4
        .value_kind:     hidden_block_count_y
      - .offset:         3384
        .size:           4
        .value_kind:     hidden_block_count_z
      - .offset:         3388
        .size:           2
        .value_kind:     hidden_group_size_x
      - .offset:         3390
        .size:           2
        .value_kind:     hidden_group_size_y
      - .offset:         3392
        .size:           2
        .value_kind:     hidden_group_size_z
      - .offset:         3394
        .size:           2
        .value_kind:     hidden_remainder_x
      - .offset:         3396
        .size:           2
        .value_kind:     hidden_remainder_y
      - .offset:         3398
        .size:           2
        .value_kind:     hidden_remainder_z
      - .offset:         3416
        .size:           8
        .value_kind:     hidden_global_offset_x
      - .offset:         3424
        .size:           8
        .value_kind:     hidden_global_offset_y
      - .offset:         3432
        .size:           8
        .value_kind:     hidden_global_offset_z
      - .offset:         3440
        .size:           2
        .value_kind:     hidden_grid_dims
    .group_segment_fixed_size: 0
    .kernarg_segment_align: 8
    .kernarg_segment_size: 3632
    .language:       OpenCL C
    .language_version:
      - 2
      - 0
    .max_flat_workgroup_size: 512
    .name:           _ZN2at6native12_GLOBAL__N_125multi_tensor_apply_kernelINS1_18TensorListMetadataILi1EEENS1_14UnaryOpFunctorIN3c108BFloat16ELi1ELi1ELi0EEEJNS0_5Expm1IfEEEEEvT_T0_DpT1_
    .private_segment_fixed_size: 0
    .sgpr_count:     35
    .sgpr_spill_count: 0
    .symbol:         _ZN2at6native12_GLOBAL__N_125multi_tensor_apply_kernelINS1_18TensorListMetadataILi1EEENS1_14UnaryOpFunctorIN3c108BFloat16ELi1ELi1ELi0EEEJNS0_5Expm1IfEEEEEvT_T0_DpT1_.kd
    .uniform_work_group_size: 1
    .uses_dynamic_stack: false
    .vgpr_count:     32
    .vgpr_spill_count: 0
    .wavefront_size: 64
  - .agpr_count:     0
    .args:
      - .offset:         0
        .size:           3144
        .value_kind:     by_value
      - .offset:         3144
        .size:           1
        .value_kind:     by_value
      - .offset:         3145
        .size:           1
        .value_kind:     by_value
      - .offset:         3152
        .size:           4
        .value_kind:     hidden_block_count_x
      - .offset:         3156
        .size:           4
        .value_kind:     hidden_block_count_y
      - .offset:         3160
        .size:           4
        .value_kind:     hidden_block_count_z
      - .offset:         3164
        .size:           2
        .value_kind:     hidden_group_size_x
      - .offset:         3166
        .size:           2
        .value_kind:     hidden_group_size_y
      - .offset:         3168
        .size:           2
        .value_kind:     hidden_group_size_z
      - .offset:         3170
        .size:           2
        .value_kind:     hidden_remainder_x
      - .offset:         3172
        .size:           2
        .value_kind:     hidden_remainder_y
      - .offset:         3174
        .size:           2
        .value_kind:     hidden_remainder_z
      - .offset:         3192
        .size:           8
        .value_kind:     hidden_global_offset_x
      - .offset:         3200
        .size:           8
        .value_kind:     hidden_global_offset_y
      - .offset:         3208
        .size:           8
        .value_kind:     hidden_global_offset_z
      - .offset:         3216
        .size:           2
        .value_kind:     hidden_grid_dims
    .group_segment_fixed_size: 0
    .kernarg_segment_align: 8
    .kernarg_segment_size: 3408
    .language:       OpenCL C
    .language_version:
      - 2
      - 0
    .max_flat_workgroup_size: 512
    .name:           _ZN2at6native12_GLOBAL__N_125multi_tensor_apply_kernelINS1_18TensorListMetadataILi2EEENS1_14UnaryOpFunctorIdLi2ELi1ELi1EEEJNS0_4TanhIdEEEEEvT_T0_DpT1_
    .private_segment_fixed_size: 0
    .sgpr_count:     60
    .sgpr_spill_count: 0
    .symbol:         _ZN2at6native12_GLOBAL__N_125multi_tensor_apply_kernelINS1_18TensorListMetadataILi2EEENS1_14UnaryOpFunctorIdLi2ELi1ELi1EEEJNS0_4TanhIdEEEEEvT_T0_DpT1_.kd
    .uniform_work_group_size: 1
    .uses_dynamic_stack: false
    .vgpr_count:     75
    .vgpr_spill_count: 0
    .wavefront_size: 64
  - .agpr_count:     0
    .args:
      - .offset:         0
        .size:           3144
        .value_kind:     by_value
      - .offset:         3144
        .size:           1
        .value_kind:     by_value
      - .offset:         3145
        .size:           1
        .value_kind:     by_value
      - .offset:         3152
        .size:           4
        .value_kind:     hidden_block_count_x
      - .offset:         3156
        .size:           4
        .value_kind:     hidden_block_count_y
      - .offset:         3160
        .size:           4
        .value_kind:     hidden_block_count_z
      - .offset:         3164
        .size:           2
        .value_kind:     hidden_group_size_x
      - .offset:         3166
        .size:           2
        .value_kind:     hidden_group_size_y
      - .offset:         3168
        .size:           2
        .value_kind:     hidden_group_size_z
      - .offset:         3170
        .size:           2
        .value_kind:     hidden_remainder_x
      - .offset:         3172
        .size:           2
        .value_kind:     hidden_remainder_y
      - .offset:         3174
        .size:           2
        .value_kind:     hidden_remainder_z
      - .offset:         3192
        .size:           8
        .value_kind:     hidden_global_offset_x
      - .offset:         3200
        .size:           8
        .value_kind:     hidden_global_offset_y
      - .offset:         3208
        .size:           8
        .value_kind:     hidden_global_offset_z
      - .offset:         3216
        .size:           2
        .value_kind:     hidden_grid_dims
    .group_segment_fixed_size: 0
    .kernarg_segment_align: 8
    .kernarg_segment_size: 3408
    .language:       OpenCL C
    .language_version:
      - 2
      - 0
    .max_flat_workgroup_size: 512
    .name:           _ZN2at6native12_GLOBAL__N_125multi_tensor_apply_kernelINS1_18TensorListMetadataILi2EEENS1_14UnaryOpFunctorIfLi2ELi1ELi1EEEJNS0_4TanhIfEEEEEvT_T0_DpT1_
    .private_segment_fixed_size: 0
    .sgpr_count:     36
    .sgpr_spill_count: 0
    .symbol:         _ZN2at6native12_GLOBAL__N_125multi_tensor_apply_kernelINS1_18TensorListMetadataILi2EEENS1_14UnaryOpFunctorIfLi2ELi1ELi1EEEJNS0_4TanhIfEEEEEvT_T0_DpT1_.kd
    .uniform_work_group_size: 1
    .uses_dynamic_stack: false
    .vgpr_count:     38
    .vgpr_spill_count: 0
    .wavefront_size: 64
  - .agpr_count:     0
    .args:
      - .offset:         0
        .size:           3144
        .value_kind:     by_value
      - .offset:         3144
        .size:           1
        .value_kind:     by_value
      - .offset:         3145
        .size:           1
        .value_kind:     by_value
      - .offset:         3152
        .size:           4
        .value_kind:     hidden_block_count_x
      - .offset:         3156
        .size:           4
        .value_kind:     hidden_block_count_y
      - .offset:         3160
        .size:           4
        .value_kind:     hidden_block_count_z
      - .offset:         3164
        .size:           2
        .value_kind:     hidden_group_size_x
      - .offset:         3166
        .size:           2
        .value_kind:     hidden_group_size_y
      - .offset:         3168
        .size:           2
        .value_kind:     hidden_group_size_z
      - .offset:         3170
        .size:           2
        .value_kind:     hidden_remainder_x
      - .offset:         3172
        .size:           2
        .value_kind:     hidden_remainder_y
      - .offset:         3174
        .size:           2
        .value_kind:     hidden_remainder_z
      - .offset:         3192
        .size:           8
        .value_kind:     hidden_global_offset_x
      - .offset:         3200
        .size:           8
        .value_kind:     hidden_global_offset_y
      - .offset:         3208
        .size:           8
        .value_kind:     hidden_global_offset_z
      - .offset:         3216
        .size:           2
        .value_kind:     hidden_grid_dims
    .group_segment_fixed_size: 0
    .kernarg_segment_align: 8
    .kernarg_segment_size: 3408
    .language:       OpenCL C
    .language_version:
      - 2
      - 0
    .max_flat_workgroup_size: 512
    .name:           _ZN2at6native12_GLOBAL__N_125multi_tensor_apply_kernelINS1_18TensorListMetadataILi2EEENS1_14UnaryOpFunctorIN3c107complexIdEELi2ELi1ELi1EEEJNS0_4TanhIS8_EEEEEvT_T0_DpT1_
    .private_segment_fixed_size: 0
    .sgpr_count:     100
    .sgpr_spill_count: 4
    .symbol:         _ZN2at6native12_GLOBAL__N_125multi_tensor_apply_kernelINS1_18TensorListMetadataILi2EEENS1_14UnaryOpFunctorIN3c107complexIdEELi2ELi1ELi1EEEJNS0_4TanhIS8_EEEEEvT_T0_DpT1_.kd
    .uniform_work_group_size: 1
    .uses_dynamic_stack: false
    .vgpr_count:     115
    .vgpr_spill_count: 0
    .wavefront_size: 64
  - .agpr_count:     0
    .args:
      - .offset:         0
        .size:           3144
        .value_kind:     by_value
      - .offset:         3144
        .size:           1
        .value_kind:     by_value
      - .offset:         3145
        .size:           1
        .value_kind:     by_value
      - .offset:         3152
        .size:           4
        .value_kind:     hidden_block_count_x
      - .offset:         3156
        .size:           4
        .value_kind:     hidden_block_count_y
      - .offset:         3160
        .size:           4
        .value_kind:     hidden_block_count_z
      - .offset:         3164
        .size:           2
        .value_kind:     hidden_group_size_x
      - .offset:         3166
        .size:           2
        .value_kind:     hidden_group_size_y
      - .offset:         3168
        .size:           2
        .value_kind:     hidden_group_size_z
      - .offset:         3170
        .size:           2
        .value_kind:     hidden_remainder_x
      - .offset:         3172
        .size:           2
        .value_kind:     hidden_remainder_y
      - .offset:         3174
        .size:           2
        .value_kind:     hidden_remainder_z
      - .offset:         3192
        .size:           8
        .value_kind:     hidden_global_offset_x
      - .offset:         3200
        .size:           8
        .value_kind:     hidden_global_offset_y
      - .offset:         3208
        .size:           8
        .value_kind:     hidden_global_offset_z
      - .offset:         3216
        .size:           2
        .value_kind:     hidden_grid_dims
    .group_segment_fixed_size: 0
    .kernarg_segment_align: 8
    .kernarg_segment_size: 3408
    .language:       OpenCL C
    .language_version:
      - 2
      - 0
    .max_flat_workgroup_size: 512
    .name:           _ZN2at6native12_GLOBAL__N_125multi_tensor_apply_kernelINS1_18TensorListMetadataILi2EEENS1_14UnaryOpFunctorIN3c107complexIfEELi2ELi1ELi1EEEJNS0_4TanhIS8_EEEEEvT_T0_DpT1_
    .private_segment_fixed_size: 0
    .sgpr_count:     68
    .sgpr_spill_count: 0
    .symbol:         _ZN2at6native12_GLOBAL__N_125multi_tensor_apply_kernelINS1_18TensorListMetadataILi2EEENS1_14UnaryOpFunctorIN3c107complexIfEELi2ELi1ELi1EEEJNS0_4TanhIS8_EEEEEvT_T0_DpT1_.kd
    .uniform_work_group_size: 1
    .uses_dynamic_stack: false
    .vgpr_count:     65
    .vgpr_spill_count: 0
    .wavefront_size: 64
  - .agpr_count:     0
    .args:
      - .offset:         0
        .size:           3144
        .value_kind:     by_value
      - .offset:         3144
        .size:           1
        .value_kind:     by_value
      - .offset:         3145
        .size:           1
        .value_kind:     by_value
      - .offset:         3152
        .size:           4
        .value_kind:     hidden_block_count_x
      - .offset:         3156
        .size:           4
        .value_kind:     hidden_block_count_y
      - .offset:         3160
        .size:           4
        .value_kind:     hidden_block_count_z
      - .offset:         3164
        .size:           2
        .value_kind:     hidden_group_size_x
      - .offset:         3166
        .size:           2
        .value_kind:     hidden_group_size_y
      - .offset:         3168
        .size:           2
        .value_kind:     hidden_group_size_z
      - .offset:         3170
        .size:           2
        .value_kind:     hidden_remainder_x
      - .offset:         3172
        .size:           2
        .value_kind:     hidden_remainder_y
      - .offset:         3174
        .size:           2
        .value_kind:     hidden_remainder_z
      - .offset:         3192
        .size:           8
        .value_kind:     hidden_global_offset_x
      - .offset:         3200
        .size:           8
        .value_kind:     hidden_global_offset_y
      - .offset:         3208
        .size:           8
        .value_kind:     hidden_global_offset_z
      - .offset:         3216
        .size:           2
        .value_kind:     hidden_grid_dims
    .group_segment_fixed_size: 0
    .kernarg_segment_align: 8
    .kernarg_segment_size: 3408
    .language:       OpenCL C
    .language_version:
      - 2
      - 0
    .max_flat_workgroup_size: 512
    .name:           _ZN2at6native12_GLOBAL__N_125multi_tensor_apply_kernelINS1_18TensorListMetadataILi2EEENS1_14UnaryOpFunctorIN3c104HalfELi2ELi1ELi1EEEJNS0_4TanhIfEEEEEvT_T0_DpT1_
    .private_segment_fixed_size: 0
    .sgpr_count:     36
    .sgpr_spill_count: 0
    .symbol:         _ZN2at6native12_GLOBAL__N_125multi_tensor_apply_kernelINS1_18TensorListMetadataILi2EEENS1_14UnaryOpFunctorIN3c104HalfELi2ELi1ELi1EEEJNS0_4TanhIfEEEEEvT_T0_DpT1_.kd
    .uniform_work_group_size: 1
    .uses_dynamic_stack: false
    .vgpr_count:     38
    .vgpr_spill_count: 0
    .wavefront_size: 64
  - .agpr_count:     0
    .args:
      - .offset:         0
        .size:           3144
        .value_kind:     by_value
      - .offset:         3144
        .size:           1
        .value_kind:     by_value
      - .offset:         3145
        .size:           1
        .value_kind:     by_value
      - .offset:         3152
        .size:           4
        .value_kind:     hidden_block_count_x
      - .offset:         3156
        .size:           4
        .value_kind:     hidden_block_count_y
      - .offset:         3160
        .size:           4
        .value_kind:     hidden_block_count_z
      - .offset:         3164
        .size:           2
        .value_kind:     hidden_group_size_x
      - .offset:         3166
        .size:           2
        .value_kind:     hidden_group_size_y
      - .offset:         3168
        .size:           2
        .value_kind:     hidden_group_size_z
      - .offset:         3170
        .size:           2
        .value_kind:     hidden_remainder_x
      - .offset:         3172
        .size:           2
        .value_kind:     hidden_remainder_y
      - .offset:         3174
        .size:           2
        .value_kind:     hidden_remainder_z
      - .offset:         3192
        .size:           8
        .value_kind:     hidden_global_offset_x
      - .offset:         3200
        .size:           8
        .value_kind:     hidden_global_offset_y
      - .offset:         3208
        .size:           8
        .value_kind:     hidden_global_offset_z
      - .offset:         3216
        .size:           2
        .value_kind:     hidden_grid_dims
    .group_segment_fixed_size: 0
    .kernarg_segment_align: 8
    .kernarg_segment_size: 3408
    .language:       OpenCL C
    .language_version:
      - 2
      - 0
    .max_flat_workgroup_size: 512
    .name:           _ZN2at6native12_GLOBAL__N_125multi_tensor_apply_kernelINS1_18TensorListMetadataILi2EEENS1_14UnaryOpFunctorIN3c108BFloat16ELi2ELi1ELi1EEEJNS0_4TanhIfEEEEEvT_T0_DpT1_
    .private_segment_fixed_size: 0
    .sgpr_count:     32
    .sgpr_spill_count: 0
    .symbol:         _ZN2at6native12_GLOBAL__N_125multi_tensor_apply_kernelINS1_18TensorListMetadataILi2EEENS1_14UnaryOpFunctorIN3c108BFloat16ELi2ELi1ELi1EEEJNS0_4TanhIfEEEEEvT_T0_DpT1_.kd
    .uniform_work_group_size: 1
    .uses_dynamic_stack: false
    .vgpr_count:     39
    .vgpr_spill_count: 0
    .wavefront_size: 64
  - .agpr_count:     0
    .args:
      - .offset:         0
        .size:           3368
        .value_kind:     by_value
      - .offset:         3368
        .size:           1
        .value_kind:     by_value
      - .offset:         3369
        .size:           1
        .value_kind:     by_value
      - .offset:         3376
        .size:           4
        .value_kind:     hidden_block_count_x
      - .offset:         3380
        .size:           4
        .value_kind:     hidden_block_count_y
      - .offset:         3384
        .size:           4
        .value_kind:     hidden_block_count_z
      - .offset:         3388
        .size:           2
        .value_kind:     hidden_group_size_x
      - .offset:         3390
        .size:           2
        .value_kind:     hidden_group_size_y
      - .offset:         3392
        .size:           2
        .value_kind:     hidden_group_size_z
      - .offset:         3394
        .size:           2
        .value_kind:     hidden_remainder_x
      - .offset:         3396
        .size:           2
        .value_kind:     hidden_remainder_y
      - .offset:         3398
        .size:           2
        .value_kind:     hidden_remainder_z
      - .offset:         3416
        .size:           8
        .value_kind:     hidden_global_offset_x
      - .offset:         3424
        .size:           8
        .value_kind:     hidden_global_offset_y
      - .offset:         3432
        .size:           8
        .value_kind:     hidden_global_offset_z
      - .offset:         3440
        .size:           2
        .value_kind:     hidden_grid_dims
    .group_segment_fixed_size: 0
    .kernarg_segment_align: 8
    .kernarg_segment_size: 3632
    .language:       OpenCL C
    .language_version:
      - 2
      - 0
    .max_flat_workgroup_size: 512
    .name:           _ZN2at6native12_GLOBAL__N_125multi_tensor_apply_kernelINS1_18TensorListMetadataILi1EEENS1_14UnaryOpFunctorIdLi1ELi1ELi0EEEJNS0_4TanhIdEEEEEvT_T0_DpT1_
    .private_segment_fixed_size: 0
    .sgpr_count:     49
    .sgpr_spill_count: 0
    .symbol:         _ZN2at6native12_GLOBAL__N_125multi_tensor_apply_kernelINS1_18TensorListMetadataILi1EEENS1_14UnaryOpFunctorIdLi1ELi1ELi0EEEJNS0_4TanhIdEEEEEvT_T0_DpT1_.kd
    .uniform_work_group_size: 1
    .uses_dynamic_stack: false
    .vgpr_count:     63
    .vgpr_spill_count: 0
    .wavefront_size: 64
  - .agpr_count:     0
    .args:
      - .offset:         0
        .size:           3368
        .value_kind:     by_value
      - .offset:         3368
        .size:           1
        .value_kind:     by_value
      - .offset:         3369
        .size:           1
        .value_kind:     by_value
      - .offset:         3376
        .size:           4
        .value_kind:     hidden_block_count_x
      - .offset:         3380
        .size:           4
        .value_kind:     hidden_block_count_y
      - .offset:         3384
        .size:           4
        .value_kind:     hidden_block_count_z
      - .offset:         3388
        .size:           2
        .value_kind:     hidden_group_size_x
      - .offset:         3390
        .size:           2
        .value_kind:     hidden_group_size_y
      - .offset:         3392
        .size:           2
        .value_kind:     hidden_group_size_z
      - .offset:         3394
        .size:           2
        .value_kind:     hidden_remainder_x
      - .offset:         3396
        .size:           2
        .value_kind:     hidden_remainder_y
      - .offset:         3398
        .size:           2
        .value_kind:     hidden_remainder_z
      - .offset:         3416
        .size:           8
        .value_kind:     hidden_global_offset_x
      - .offset:         3424
        .size:           8
        .value_kind:     hidden_global_offset_y
      - .offset:         3432
        .size:           8
        .value_kind:     hidden_global_offset_z
      - .offset:         3440
        .size:           2
        .value_kind:     hidden_grid_dims
    .group_segment_fixed_size: 0
    .kernarg_segment_align: 8
    .kernarg_segment_size: 3632
    .language:       OpenCL C
    .language_version:
      - 2
      - 0
    .max_flat_workgroup_size: 512
    .name:           _ZN2at6native12_GLOBAL__N_125multi_tensor_apply_kernelINS1_18TensorListMetadataILi1EEENS1_14UnaryOpFunctorIfLi1ELi1ELi0EEEJNS0_4TanhIfEEEEEvT_T0_DpT1_
    .private_segment_fixed_size: 0
    .sgpr_count:     39
    .sgpr_spill_count: 0
    .symbol:         _ZN2at6native12_GLOBAL__N_125multi_tensor_apply_kernelINS1_18TensorListMetadataILi1EEENS1_14UnaryOpFunctorIfLi1ELi1ELi0EEEJNS0_4TanhIfEEEEEvT_T0_DpT1_.kd
    .uniform_work_group_size: 1
    .uses_dynamic_stack: false
    .vgpr_count:     26
    .vgpr_spill_count: 0
    .wavefront_size: 64
  - .agpr_count:     0
    .args:
      - .offset:         0
        .size:           3368
        .value_kind:     by_value
      - .offset:         3368
        .size:           1
        .value_kind:     by_value
      - .offset:         3369
        .size:           1
        .value_kind:     by_value
      - .offset:         3376
        .size:           4
        .value_kind:     hidden_block_count_x
      - .offset:         3380
        .size:           4
        .value_kind:     hidden_block_count_y
      - .offset:         3384
        .size:           4
        .value_kind:     hidden_block_count_z
      - .offset:         3388
        .size:           2
        .value_kind:     hidden_group_size_x
      - .offset:         3390
        .size:           2
        .value_kind:     hidden_group_size_y
      - .offset:         3392
        .size:           2
        .value_kind:     hidden_group_size_z
      - .offset:         3394
        .size:           2
        .value_kind:     hidden_remainder_x
      - .offset:         3396
        .size:           2
        .value_kind:     hidden_remainder_y
      - .offset:         3398
        .size:           2
        .value_kind:     hidden_remainder_z
      - .offset:         3416
        .size:           8
        .value_kind:     hidden_global_offset_x
      - .offset:         3424
        .size:           8
        .value_kind:     hidden_global_offset_y
      - .offset:         3432
        .size:           8
        .value_kind:     hidden_global_offset_z
      - .offset:         3440
        .size:           2
        .value_kind:     hidden_grid_dims
    .group_segment_fixed_size: 0
    .kernarg_segment_align: 8
    .kernarg_segment_size: 3632
    .language:       OpenCL C
    .language_version:
      - 2
      - 0
    .max_flat_workgroup_size: 512
    .name:           _ZN2at6native12_GLOBAL__N_125multi_tensor_apply_kernelINS1_18TensorListMetadataILi1EEENS1_14UnaryOpFunctorIN3c107complexIdEELi1ELi1ELi0EEEJNS0_4TanhIS8_EEEEEvT_T0_DpT1_
    .private_segment_fixed_size: 0
    .sgpr_count:     100
    .sgpr_spill_count: 4
    .symbol:         _ZN2at6native12_GLOBAL__N_125multi_tensor_apply_kernelINS1_18TensorListMetadataILi1EEENS1_14UnaryOpFunctorIN3c107complexIdEELi1ELi1ELi0EEEJNS0_4TanhIS8_EEEEEvT_T0_DpT1_.kd
    .uniform_work_group_size: 1
    .uses_dynamic_stack: false
    .vgpr_count:     113
    .vgpr_spill_count: 0
    .wavefront_size: 64
  - .agpr_count:     0
    .args:
      - .offset:         0
        .size:           3368
        .value_kind:     by_value
      - .offset:         3368
        .size:           1
        .value_kind:     by_value
      - .offset:         3369
        .size:           1
        .value_kind:     by_value
      - .offset:         3376
        .size:           4
        .value_kind:     hidden_block_count_x
      - .offset:         3380
        .size:           4
        .value_kind:     hidden_block_count_y
      - .offset:         3384
        .size:           4
        .value_kind:     hidden_block_count_z
      - .offset:         3388
        .size:           2
        .value_kind:     hidden_group_size_x
      - .offset:         3390
        .size:           2
        .value_kind:     hidden_group_size_y
      - .offset:         3392
        .size:           2
        .value_kind:     hidden_group_size_z
      - .offset:         3394
        .size:           2
        .value_kind:     hidden_remainder_x
      - .offset:         3396
        .size:           2
        .value_kind:     hidden_remainder_y
      - .offset:         3398
        .size:           2
        .value_kind:     hidden_remainder_z
      - .offset:         3416
        .size:           8
        .value_kind:     hidden_global_offset_x
      - .offset:         3424
        .size:           8
        .value_kind:     hidden_global_offset_y
      - .offset:         3432
        .size:           8
        .value_kind:     hidden_global_offset_z
      - .offset:         3440
        .size:           2
        .value_kind:     hidden_grid_dims
    .group_segment_fixed_size: 0
    .kernarg_segment_align: 8
    .kernarg_segment_size: 3632
    .language:       OpenCL C
    .language_version:
      - 2
      - 0
    .max_flat_workgroup_size: 512
    .name:           _ZN2at6native12_GLOBAL__N_125multi_tensor_apply_kernelINS1_18TensorListMetadataILi1EEENS1_14UnaryOpFunctorIN3c107complexIfEELi1ELi1ELi0EEEJNS0_4TanhIS8_EEEEEvT_T0_DpT1_
    .private_segment_fixed_size: 0
    .sgpr_count:     72
    .sgpr_spill_count: 0
    .symbol:         _ZN2at6native12_GLOBAL__N_125multi_tensor_apply_kernelINS1_18TensorListMetadataILi1EEENS1_14UnaryOpFunctorIN3c107complexIfEELi1ELi1ELi0EEEJNS0_4TanhIS8_EEEEEvT_T0_DpT1_.kd
    .uniform_work_group_size: 1
    .uses_dynamic_stack: false
    .vgpr_count:     54
    .vgpr_spill_count: 0
    .wavefront_size: 64
  - .agpr_count:     0
    .args:
      - .offset:         0
        .size:           3368
        .value_kind:     by_value
      - .offset:         3368
        .size:           1
        .value_kind:     by_value
      - .offset:         3369
        .size:           1
        .value_kind:     by_value
      - .offset:         3376
        .size:           4
        .value_kind:     hidden_block_count_x
      - .offset:         3380
        .size:           4
        .value_kind:     hidden_block_count_y
      - .offset:         3384
        .size:           4
        .value_kind:     hidden_block_count_z
      - .offset:         3388
        .size:           2
        .value_kind:     hidden_group_size_x
      - .offset:         3390
        .size:           2
        .value_kind:     hidden_group_size_y
      - .offset:         3392
        .size:           2
        .value_kind:     hidden_group_size_z
      - .offset:         3394
        .size:           2
        .value_kind:     hidden_remainder_x
      - .offset:         3396
        .size:           2
        .value_kind:     hidden_remainder_y
      - .offset:         3398
        .size:           2
        .value_kind:     hidden_remainder_z
      - .offset:         3416
        .size:           8
        .value_kind:     hidden_global_offset_x
      - .offset:         3424
        .size:           8
        .value_kind:     hidden_global_offset_y
      - .offset:         3432
        .size:           8
        .value_kind:     hidden_global_offset_z
      - .offset:         3440
        .size:           2
        .value_kind:     hidden_grid_dims
    .group_segment_fixed_size: 0
    .kernarg_segment_align: 8
    .kernarg_segment_size: 3632
    .language:       OpenCL C
    .language_version:
      - 2
      - 0
    .max_flat_workgroup_size: 512
    .name:           _ZN2at6native12_GLOBAL__N_125multi_tensor_apply_kernelINS1_18TensorListMetadataILi1EEENS1_14UnaryOpFunctorIN3c104HalfELi1ELi1ELi0EEEJNS0_4TanhIfEEEEEvT_T0_DpT1_
    .private_segment_fixed_size: 0
    .sgpr_count:     38
    .sgpr_spill_count: 0
    .symbol:         _ZN2at6native12_GLOBAL__N_125multi_tensor_apply_kernelINS1_18TensorListMetadataILi1EEENS1_14UnaryOpFunctorIN3c104HalfELi1ELi1ELi0EEEJNS0_4TanhIfEEEEEvT_T0_DpT1_.kd
    .uniform_work_group_size: 1
    .uses_dynamic_stack: false
    .vgpr_count:     26
    .vgpr_spill_count: 0
    .wavefront_size: 64
  - .agpr_count:     0
    .args:
      - .offset:         0
        .size:           3368
        .value_kind:     by_value
      - .offset:         3368
        .size:           1
        .value_kind:     by_value
      - .offset:         3369
        .size:           1
        .value_kind:     by_value
      - .offset:         3376
        .size:           4
        .value_kind:     hidden_block_count_x
      - .offset:         3380
        .size:           4
        .value_kind:     hidden_block_count_y
      - .offset:         3384
        .size:           4
        .value_kind:     hidden_block_count_z
      - .offset:         3388
        .size:           2
        .value_kind:     hidden_group_size_x
      - .offset:         3390
        .size:           2
        .value_kind:     hidden_group_size_y
      - .offset:         3392
        .size:           2
        .value_kind:     hidden_group_size_z
      - .offset:         3394
        .size:           2
        .value_kind:     hidden_remainder_x
      - .offset:         3396
        .size:           2
        .value_kind:     hidden_remainder_y
      - .offset:         3398
        .size:           2
        .value_kind:     hidden_remainder_z
      - .offset:         3416
        .size:           8
        .value_kind:     hidden_global_offset_x
      - .offset:         3424
        .size:           8
        .value_kind:     hidden_global_offset_y
      - .offset:         3432
        .size:           8
        .value_kind:     hidden_global_offset_z
      - .offset:         3440
        .size:           2
        .value_kind:     hidden_grid_dims
    .group_segment_fixed_size: 0
    .kernarg_segment_align: 8
    .kernarg_segment_size: 3632
    .language:       OpenCL C
    .language_version:
      - 2
      - 0
    .max_flat_workgroup_size: 512
    .name:           _ZN2at6native12_GLOBAL__N_125multi_tensor_apply_kernelINS1_18TensorListMetadataILi1EEENS1_14UnaryOpFunctorIN3c108BFloat16ELi1ELi1ELi0EEEJNS0_4TanhIfEEEEEvT_T0_DpT1_
    .private_segment_fixed_size: 0
    .sgpr_count:     39
    .sgpr_spill_count: 0
    .symbol:         _ZN2at6native12_GLOBAL__N_125multi_tensor_apply_kernelINS1_18TensorListMetadataILi1EEENS1_14UnaryOpFunctorIN3c108BFloat16ELi1ELi1ELi0EEEJNS0_4TanhIfEEEEEvT_T0_DpT1_.kd
    .uniform_work_group_size: 1
    .uses_dynamic_stack: false
    .vgpr_count:     27
    .vgpr_spill_count: 0
    .wavefront_size: 64
  - .agpr_count:     0
    .args:
      - .offset:         0
        .size:           3144
        .value_kind:     by_value
      - .offset:         3144
        .size:           1
        .value_kind:     by_value
      - .offset:         3145
        .size:           1
        .value_kind:     by_value
      - .offset:         3152
        .size:           4
        .value_kind:     hidden_block_count_x
      - .offset:         3156
        .size:           4
        .value_kind:     hidden_block_count_y
      - .offset:         3160
        .size:           4
        .value_kind:     hidden_block_count_z
      - .offset:         3164
        .size:           2
        .value_kind:     hidden_group_size_x
      - .offset:         3166
        .size:           2
        .value_kind:     hidden_group_size_y
      - .offset:         3168
        .size:           2
        .value_kind:     hidden_group_size_z
      - .offset:         3170
        .size:           2
        .value_kind:     hidden_remainder_x
      - .offset:         3172
        .size:           2
        .value_kind:     hidden_remainder_y
      - .offset:         3174
        .size:           2
        .value_kind:     hidden_remainder_z
      - .offset:         3192
        .size:           8
        .value_kind:     hidden_global_offset_x
      - .offset:         3200
        .size:           8
        .value_kind:     hidden_global_offset_y
      - .offset:         3208
        .size:           8
        .value_kind:     hidden_global_offset_z
      - .offset:         3216
        .size:           2
        .value_kind:     hidden_grid_dims
    .group_segment_fixed_size: 0
    .kernarg_segment_align: 8
    .kernarg_segment_size: 3408
    .language:       OpenCL C
    .language_version:
      - 2
      - 0
    .max_flat_workgroup_size: 512
    .name:           _ZN2at6native12_GLOBAL__N_125multi_tensor_apply_kernelINS1_18TensorListMetadataILi2EEENS1_14UnaryOpFunctorIdLi2ELi1ELi1EEEJNS0_3LogIdEEEEEvT_T0_DpT1_
    .private_segment_fixed_size: 0
    .sgpr_count:     48
    .sgpr_spill_count: 0
    .symbol:         _ZN2at6native12_GLOBAL__N_125multi_tensor_apply_kernelINS1_18TensorListMetadataILi2EEENS1_14UnaryOpFunctorIdLi2ELi1ELi1EEEJNS0_3LogIdEEEEEvT_T0_DpT1_.kd
    .uniform_work_group_size: 1
    .uses_dynamic_stack: false
    .vgpr_count:     70
    .vgpr_spill_count: 0
    .wavefront_size: 64
  - .agpr_count:     0
    .args:
      - .offset:         0
        .size:           3144
        .value_kind:     by_value
      - .offset:         3144
        .size:           1
        .value_kind:     by_value
      - .offset:         3145
        .size:           1
        .value_kind:     by_value
      - .offset:         3152
        .size:           4
        .value_kind:     hidden_block_count_x
      - .offset:         3156
        .size:           4
        .value_kind:     hidden_block_count_y
      - .offset:         3160
        .size:           4
        .value_kind:     hidden_block_count_z
      - .offset:         3164
        .size:           2
        .value_kind:     hidden_group_size_x
      - .offset:         3166
        .size:           2
        .value_kind:     hidden_group_size_y
      - .offset:         3168
        .size:           2
        .value_kind:     hidden_group_size_z
      - .offset:         3170
        .size:           2
        .value_kind:     hidden_remainder_x
      - .offset:         3172
        .size:           2
        .value_kind:     hidden_remainder_y
      - .offset:         3174
        .size:           2
        .value_kind:     hidden_remainder_z
      - .offset:         3192
        .size:           8
        .value_kind:     hidden_global_offset_x
      - .offset:         3200
        .size:           8
        .value_kind:     hidden_global_offset_y
      - .offset:         3208
        .size:           8
        .value_kind:     hidden_global_offset_z
      - .offset:         3216
        .size:           2
        .value_kind:     hidden_grid_dims
    .group_segment_fixed_size: 0
    .kernarg_segment_align: 8
    .kernarg_segment_size: 3408
    .language:       OpenCL C
    .language_version:
      - 2
      - 0
    .max_flat_workgroup_size: 512
    .name:           _ZN2at6native12_GLOBAL__N_125multi_tensor_apply_kernelINS1_18TensorListMetadataILi2EEENS1_14UnaryOpFunctorIfLi2ELi1ELi1EEEJNS0_3LogIfEEEEEvT_T0_DpT1_
    .private_segment_fixed_size: 0
    .sgpr_count:     31
    .sgpr_spill_count: 0
    .symbol:         _ZN2at6native12_GLOBAL__N_125multi_tensor_apply_kernelINS1_18TensorListMetadataILi2EEENS1_14UnaryOpFunctorIfLi2ELi1ELi1EEEJNS0_3LogIfEEEEEvT_T0_DpT1_.kd
    .uniform_work_group_size: 1
    .uses_dynamic_stack: false
    .vgpr_count:     33
    .vgpr_spill_count: 0
    .wavefront_size: 64
  - .agpr_count:     0
    .args:
      - .offset:         0
        .size:           3144
        .value_kind:     by_value
      - .offset:         3144
        .size:           1
        .value_kind:     by_value
      - .offset:         3145
        .size:           1
        .value_kind:     by_value
      - .offset:         3152
        .size:           4
        .value_kind:     hidden_block_count_x
      - .offset:         3156
        .size:           4
        .value_kind:     hidden_block_count_y
      - .offset:         3160
        .size:           4
        .value_kind:     hidden_block_count_z
      - .offset:         3164
        .size:           2
        .value_kind:     hidden_group_size_x
      - .offset:         3166
        .size:           2
        .value_kind:     hidden_group_size_y
      - .offset:         3168
        .size:           2
        .value_kind:     hidden_group_size_z
      - .offset:         3170
        .size:           2
        .value_kind:     hidden_remainder_x
      - .offset:         3172
        .size:           2
        .value_kind:     hidden_remainder_y
      - .offset:         3174
        .size:           2
        .value_kind:     hidden_remainder_z
      - .offset:         3192
        .size:           8
        .value_kind:     hidden_global_offset_x
      - .offset:         3200
        .size:           8
        .value_kind:     hidden_global_offset_y
      - .offset:         3208
        .size:           8
        .value_kind:     hidden_global_offset_z
      - .offset:         3216
        .size:           2
        .value_kind:     hidden_grid_dims
    .group_segment_fixed_size: 0
    .kernarg_segment_align: 8
    .kernarg_segment_size: 3408
    .language:       OpenCL C
    .language_version:
      - 2
      - 0
    .max_flat_workgroup_size: 512
    .name:           _ZN2at6native12_GLOBAL__N_125multi_tensor_apply_kernelINS1_18TensorListMetadataILi2EEENS1_14UnaryOpFunctorIN3c107complexIdEELi2ELi1ELi1EEEJNS0_3LogIS8_EEEEEvT_T0_DpT1_
    .private_segment_fixed_size: 0
    .sgpr_count:     82
    .sgpr_spill_count: 0
    .symbol:         _ZN2at6native12_GLOBAL__N_125multi_tensor_apply_kernelINS1_18TensorListMetadataILi2EEENS1_14UnaryOpFunctorIN3c107complexIdEELi2ELi1ELi1EEEJNS0_3LogIS8_EEEEEvT_T0_DpT1_.kd
    .uniform_work_group_size: 1
    .uses_dynamic_stack: false
    .vgpr_count:     122
    .vgpr_spill_count: 0
    .wavefront_size: 64
  - .agpr_count:     0
    .args:
      - .offset:         0
        .size:           3144
        .value_kind:     by_value
      - .offset:         3144
        .size:           1
        .value_kind:     by_value
      - .offset:         3145
        .size:           1
        .value_kind:     by_value
      - .offset:         3152
        .size:           4
        .value_kind:     hidden_block_count_x
      - .offset:         3156
        .size:           4
        .value_kind:     hidden_block_count_y
      - .offset:         3160
        .size:           4
        .value_kind:     hidden_block_count_z
      - .offset:         3164
        .size:           2
        .value_kind:     hidden_group_size_x
      - .offset:         3166
        .size:           2
        .value_kind:     hidden_group_size_y
      - .offset:         3168
        .size:           2
        .value_kind:     hidden_group_size_z
      - .offset:         3170
        .size:           2
        .value_kind:     hidden_remainder_x
      - .offset:         3172
        .size:           2
        .value_kind:     hidden_remainder_y
      - .offset:         3174
        .size:           2
        .value_kind:     hidden_remainder_z
      - .offset:         3192
        .size:           8
        .value_kind:     hidden_global_offset_x
      - .offset:         3200
        .size:           8
        .value_kind:     hidden_global_offset_y
      - .offset:         3208
        .size:           8
        .value_kind:     hidden_global_offset_z
      - .offset:         3216
        .size:           2
        .value_kind:     hidden_grid_dims
    .group_segment_fixed_size: 0
    .kernarg_segment_align: 8
    .kernarg_segment_size: 3408
    .language:       OpenCL C
    .language_version:
      - 2
      - 0
    .max_flat_workgroup_size: 512
    .name:           _ZN2at6native12_GLOBAL__N_125multi_tensor_apply_kernelINS1_18TensorListMetadataILi2EEENS1_14UnaryOpFunctorIN3c107complexIfEELi2ELi1ELi1EEEJNS0_3LogIS8_EEEEEvT_T0_DpT1_
    .private_segment_fixed_size: 0
    .sgpr_count:     66
    .sgpr_spill_count: 0
    .symbol:         _ZN2at6native12_GLOBAL__N_125multi_tensor_apply_kernelINS1_18TensorListMetadataILi2EEENS1_14UnaryOpFunctorIN3c107complexIfEELi2ELi1ELi1EEEJNS0_3LogIS8_EEEEEvT_T0_DpT1_.kd
    .uniform_work_group_size: 1
    .uses_dynamic_stack: false
    .vgpr_count:     58
    .vgpr_spill_count: 0
    .wavefront_size: 64
  - .agpr_count:     0
    .args:
      - .offset:         0
        .size:           3144
        .value_kind:     by_value
      - .offset:         3144
        .size:           1
        .value_kind:     by_value
      - .offset:         3145
        .size:           1
        .value_kind:     by_value
      - .offset:         3152
        .size:           4
        .value_kind:     hidden_block_count_x
      - .offset:         3156
        .size:           4
        .value_kind:     hidden_block_count_y
      - .offset:         3160
        .size:           4
        .value_kind:     hidden_block_count_z
      - .offset:         3164
        .size:           2
        .value_kind:     hidden_group_size_x
      - .offset:         3166
        .size:           2
        .value_kind:     hidden_group_size_y
      - .offset:         3168
        .size:           2
        .value_kind:     hidden_group_size_z
      - .offset:         3170
        .size:           2
        .value_kind:     hidden_remainder_x
      - .offset:         3172
        .size:           2
        .value_kind:     hidden_remainder_y
      - .offset:         3174
        .size:           2
        .value_kind:     hidden_remainder_z
      - .offset:         3192
        .size:           8
        .value_kind:     hidden_global_offset_x
      - .offset:         3200
        .size:           8
        .value_kind:     hidden_global_offset_y
      - .offset:         3208
        .size:           8
        .value_kind:     hidden_global_offset_z
      - .offset:         3216
        .size:           2
        .value_kind:     hidden_grid_dims
    .group_segment_fixed_size: 0
    .kernarg_segment_align: 8
    .kernarg_segment_size: 3408
    .language:       OpenCL C
    .language_version:
      - 2
      - 0
    .max_flat_workgroup_size: 512
    .name:           _ZN2at6native12_GLOBAL__N_125multi_tensor_apply_kernelINS1_18TensorListMetadataILi2EEENS1_14UnaryOpFunctorIN3c104HalfELi2ELi1ELi1EEEJNS0_3LogIfEEEEEvT_T0_DpT1_
    .private_segment_fixed_size: 0
    .sgpr_count:     36
    .sgpr_spill_count: 0
    .symbol:         _ZN2at6native12_GLOBAL__N_125multi_tensor_apply_kernelINS1_18TensorListMetadataILi2EEENS1_14UnaryOpFunctorIN3c104HalfELi2ELi1ELi1EEEJNS0_3LogIfEEEEEvT_T0_DpT1_.kd
    .uniform_work_group_size: 1
    .uses_dynamic_stack: false
    .vgpr_count:     30
    .vgpr_spill_count: 0
    .wavefront_size: 64
  - .agpr_count:     0
    .args:
      - .offset:         0
        .size:           3144
        .value_kind:     by_value
      - .offset:         3144
        .size:           1
        .value_kind:     by_value
      - .offset:         3145
        .size:           1
        .value_kind:     by_value
      - .offset:         3152
        .size:           4
        .value_kind:     hidden_block_count_x
      - .offset:         3156
        .size:           4
        .value_kind:     hidden_block_count_y
      - .offset:         3160
        .size:           4
        .value_kind:     hidden_block_count_z
      - .offset:         3164
        .size:           2
        .value_kind:     hidden_group_size_x
      - .offset:         3166
        .size:           2
        .value_kind:     hidden_group_size_y
      - .offset:         3168
        .size:           2
        .value_kind:     hidden_group_size_z
      - .offset:         3170
        .size:           2
        .value_kind:     hidden_remainder_x
      - .offset:         3172
        .size:           2
        .value_kind:     hidden_remainder_y
      - .offset:         3174
        .size:           2
        .value_kind:     hidden_remainder_z
      - .offset:         3192
        .size:           8
        .value_kind:     hidden_global_offset_x
      - .offset:         3200
        .size:           8
        .value_kind:     hidden_global_offset_y
      - .offset:         3208
        .size:           8
        .value_kind:     hidden_global_offset_z
      - .offset:         3216
        .size:           2
        .value_kind:     hidden_grid_dims
    .group_segment_fixed_size: 0
    .kernarg_segment_align: 8
    .kernarg_segment_size: 3408
    .language:       OpenCL C
    .language_version:
      - 2
      - 0
    .max_flat_workgroup_size: 512
    .name:           _ZN2at6native12_GLOBAL__N_125multi_tensor_apply_kernelINS1_18TensorListMetadataILi2EEENS1_14UnaryOpFunctorIN3c108BFloat16ELi2ELi1ELi1EEEJNS0_3LogIfEEEEEvT_T0_DpT1_
    .private_segment_fixed_size: 0
    .sgpr_count:     30
    .sgpr_spill_count: 0
    .symbol:         _ZN2at6native12_GLOBAL__N_125multi_tensor_apply_kernelINS1_18TensorListMetadataILi2EEENS1_14UnaryOpFunctorIN3c108BFloat16ELi2ELi1ELi1EEEJNS0_3LogIfEEEEEvT_T0_DpT1_.kd
    .uniform_work_group_size: 1
    .uses_dynamic_stack: false
    .vgpr_count:     33
    .vgpr_spill_count: 0
    .wavefront_size: 64
  - .agpr_count:     0
    .args:
      - .offset:         0
        .size:           3368
        .value_kind:     by_value
      - .offset:         3368
        .size:           1
        .value_kind:     by_value
      - .offset:         3369
        .size:           1
        .value_kind:     by_value
      - .offset:         3376
        .size:           4
        .value_kind:     hidden_block_count_x
      - .offset:         3380
        .size:           4
        .value_kind:     hidden_block_count_y
      - .offset:         3384
        .size:           4
        .value_kind:     hidden_block_count_z
      - .offset:         3388
        .size:           2
        .value_kind:     hidden_group_size_x
      - .offset:         3390
        .size:           2
        .value_kind:     hidden_group_size_y
      - .offset:         3392
        .size:           2
        .value_kind:     hidden_group_size_z
      - .offset:         3394
        .size:           2
        .value_kind:     hidden_remainder_x
      - .offset:         3396
        .size:           2
        .value_kind:     hidden_remainder_y
      - .offset:         3398
        .size:           2
        .value_kind:     hidden_remainder_z
      - .offset:         3416
        .size:           8
        .value_kind:     hidden_global_offset_x
      - .offset:         3424
        .size:           8
        .value_kind:     hidden_global_offset_y
      - .offset:         3432
        .size:           8
        .value_kind:     hidden_global_offset_z
      - .offset:         3440
        .size:           2
        .value_kind:     hidden_grid_dims
    .group_segment_fixed_size: 0
    .kernarg_segment_align: 8
    .kernarg_segment_size: 3632
    .language:       OpenCL C
    .language_version:
      - 2
      - 0
    .max_flat_workgroup_size: 512
    .name:           _ZN2at6native12_GLOBAL__N_125multi_tensor_apply_kernelINS1_18TensorListMetadataILi1EEENS1_14UnaryOpFunctorIdLi1ELi1ELi0EEEJNS0_3LogIdEEEEEvT_T0_DpT1_
    .private_segment_fixed_size: 0
    .sgpr_count:     43
    .sgpr_spill_count: 0
    .symbol:         _ZN2at6native12_GLOBAL__N_125multi_tensor_apply_kernelINS1_18TensorListMetadataILi1EEENS1_14UnaryOpFunctorIdLi1ELi1ELi0EEEJNS0_3LogIdEEEEEvT_T0_DpT1_.kd
    .uniform_work_group_size: 1
    .uses_dynamic_stack: false
    .vgpr_count:     58
    .vgpr_spill_count: 0
    .wavefront_size: 64
  - .agpr_count:     0
    .args:
      - .offset:         0
        .size:           3368
        .value_kind:     by_value
      - .offset:         3368
        .size:           1
        .value_kind:     by_value
      - .offset:         3369
        .size:           1
        .value_kind:     by_value
      - .offset:         3376
        .size:           4
        .value_kind:     hidden_block_count_x
      - .offset:         3380
        .size:           4
        .value_kind:     hidden_block_count_y
      - .offset:         3384
        .size:           4
        .value_kind:     hidden_block_count_z
      - .offset:         3388
        .size:           2
        .value_kind:     hidden_group_size_x
      - .offset:         3390
        .size:           2
        .value_kind:     hidden_group_size_y
      - .offset:         3392
        .size:           2
        .value_kind:     hidden_group_size_z
      - .offset:         3394
        .size:           2
        .value_kind:     hidden_remainder_x
      - .offset:         3396
        .size:           2
        .value_kind:     hidden_remainder_y
      - .offset:         3398
        .size:           2
        .value_kind:     hidden_remainder_z
      - .offset:         3416
        .size:           8
        .value_kind:     hidden_global_offset_x
      - .offset:         3424
        .size:           8
        .value_kind:     hidden_global_offset_y
      - .offset:         3432
        .size:           8
        .value_kind:     hidden_global_offset_z
      - .offset:         3440
        .size:           2
        .value_kind:     hidden_grid_dims
    .group_segment_fixed_size: 0
    .kernarg_segment_align: 8
    .kernarg_segment_size: 3632
    .language:       OpenCL C
    .language_version:
      - 2
      - 0
    .max_flat_workgroup_size: 512
    .name:           _ZN2at6native12_GLOBAL__N_125multi_tensor_apply_kernelINS1_18TensorListMetadataILi1EEENS1_14UnaryOpFunctorIfLi1ELi1ELi0EEEJNS0_3LogIfEEEEEvT_T0_DpT1_
    .private_segment_fixed_size: 0
    .sgpr_count:     35
    .sgpr_spill_count: 0
    .symbol:         _ZN2at6native12_GLOBAL__N_125multi_tensor_apply_kernelINS1_18TensorListMetadataILi1EEENS1_14UnaryOpFunctorIfLi1ELi1ELi0EEEJNS0_3LogIfEEEEEvT_T0_DpT1_.kd
    .uniform_work_group_size: 1
    .uses_dynamic_stack: false
    .vgpr_count:     24
    .vgpr_spill_count: 0
    .wavefront_size: 64
  - .agpr_count:     0
    .args:
      - .offset:         0
        .size:           3368
        .value_kind:     by_value
      - .offset:         3368
        .size:           1
        .value_kind:     by_value
      - .offset:         3369
        .size:           1
        .value_kind:     by_value
      - .offset:         3376
        .size:           4
        .value_kind:     hidden_block_count_x
      - .offset:         3380
        .size:           4
        .value_kind:     hidden_block_count_y
      - .offset:         3384
        .size:           4
        .value_kind:     hidden_block_count_z
      - .offset:         3388
        .size:           2
        .value_kind:     hidden_group_size_x
      - .offset:         3390
        .size:           2
        .value_kind:     hidden_group_size_y
      - .offset:         3392
        .size:           2
        .value_kind:     hidden_group_size_z
      - .offset:         3394
        .size:           2
        .value_kind:     hidden_remainder_x
      - .offset:         3396
        .size:           2
        .value_kind:     hidden_remainder_y
      - .offset:         3398
        .size:           2
        .value_kind:     hidden_remainder_z
      - .offset:         3416
        .size:           8
        .value_kind:     hidden_global_offset_x
      - .offset:         3424
        .size:           8
        .value_kind:     hidden_global_offset_y
      - .offset:         3432
        .size:           8
        .value_kind:     hidden_global_offset_z
      - .offset:         3440
        .size:           2
        .value_kind:     hidden_grid_dims
    .group_segment_fixed_size: 0
    .kernarg_segment_align: 8
    .kernarg_segment_size: 3632
    .language:       OpenCL C
    .language_version:
      - 2
      - 0
    .max_flat_workgroup_size: 512
    .name:           _ZN2at6native12_GLOBAL__N_125multi_tensor_apply_kernelINS1_18TensorListMetadataILi1EEENS1_14UnaryOpFunctorIN3c107complexIdEELi1ELi1ELi0EEEJNS0_3LogIS8_EEEEEvT_T0_DpT1_
    .private_segment_fixed_size: 0
    .sgpr_count:     82
    .sgpr_spill_count: 0
    .symbol:         _ZN2at6native12_GLOBAL__N_125multi_tensor_apply_kernelINS1_18TensorListMetadataILi1EEENS1_14UnaryOpFunctorIN3c107complexIdEELi1ELi1ELi0EEEJNS0_3LogIS8_EEEEEvT_T0_DpT1_.kd
    .uniform_work_group_size: 1
    .uses_dynamic_stack: false
    .vgpr_count:     122
    .vgpr_spill_count: 0
    .wavefront_size: 64
  - .agpr_count:     0
    .args:
      - .offset:         0
        .size:           3368
        .value_kind:     by_value
      - .offset:         3368
        .size:           1
        .value_kind:     by_value
      - .offset:         3369
        .size:           1
        .value_kind:     by_value
      - .offset:         3376
        .size:           4
        .value_kind:     hidden_block_count_x
      - .offset:         3380
        .size:           4
        .value_kind:     hidden_block_count_y
      - .offset:         3384
        .size:           4
        .value_kind:     hidden_block_count_z
      - .offset:         3388
        .size:           2
        .value_kind:     hidden_group_size_x
      - .offset:         3390
        .size:           2
        .value_kind:     hidden_group_size_y
      - .offset:         3392
        .size:           2
        .value_kind:     hidden_group_size_z
      - .offset:         3394
        .size:           2
        .value_kind:     hidden_remainder_x
      - .offset:         3396
        .size:           2
        .value_kind:     hidden_remainder_y
      - .offset:         3398
        .size:           2
        .value_kind:     hidden_remainder_z
      - .offset:         3416
        .size:           8
        .value_kind:     hidden_global_offset_x
      - .offset:         3424
        .size:           8
        .value_kind:     hidden_global_offset_y
      - .offset:         3432
        .size:           8
        .value_kind:     hidden_global_offset_z
      - .offset:         3440
        .size:           2
        .value_kind:     hidden_grid_dims
    .group_segment_fixed_size: 0
    .kernarg_segment_align: 8
    .kernarg_segment_size: 3632
    .language:       OpenCL C
    .language_version:
      - 2
      - 0
    .max_flat_workgroup_size: 512
    .name:           _ZN2at6native12_GLOBAL__N_125multi_tensor_apply_kernelINS1_18TensorListMetadataILi1EEENS1_14UnaryOpFunctorIN3c107complexIfEELi1ELi1ELi0EEEJNS0_3LogIS8_EEEEEvT_T0_DpT1_
    .private_segment_fixed_size: 0
    .sgpr_count:     66
    .sgpr_spill_count: 0
    .symbol:         _ZN2at6native12_GLOBAL__N_125multi_tensor_apply_kernelINS1_18TensorListMetadataILi1EEENS1_14UnaryOpFunctorIN3c107complexIfEELi1ELi1ELi0EEEJNS0_3LogIS8_EEEEEvT_T0_DpT1_.kd
    .uniform_work_group_size: 1
    .uses_dynamic_stack: false
    .vgpr_count:     58
    .vgpr_spill_count: 0
    .wavefront_size: 64
  - .agpr_count:     0
    .args:
      - .offset:         0
        .size:           3368
        .value_kind:     by_value
      - .offset:         3368
        .size:           1
        .value_kind:     by_value
      - .offset:         3369
        .size:           1
        .value_kind:     by_value
      - .offset:         3376
        .size:           4
        .value_kind:     hidden_block_count_x
      - .offset:         3380
        .size:           4
        .value_kind:     hidden_block_count_y
      - .offset:         3384
        .size:           4
        .value_kind:     hidden_block_count_z
      - .offset:         3388
        .size:           2
        .value_kind:     hidden_group_size_x
      - .offset:         3390
        .size:           2
        .value_kind:     hidden_group_size_y
      - .offset:         3392
        .size:           2
        .value_kind:     hidden_group_size_z
      - .offset:         3394
        .size:           2
        .value_kind:     hidden_remainder_x
      - .offset:         3396
        .size:           2
        .value_kind:     hidden_remainder_y
      - .offset:         3398
        .size:           2
        .value_kind:     hidden_remainder_z
      - .offset:         3416
        .size:           8
        .value_kind:     hidden_global_offset_x
      - .offset:         3424
        .size:           8
        .value_kind:     hidden_global_offset_y
      - .offset:         3432
        .size:           8
        .value_kind:     hidden_global_offset_z
      - .offset:         3440
        .size:           2
        .value_kind:     hidden_grid_dims
    .group_segment_fixed_size: 0
    .kernarg_segment_align: 8
    .kernarg_segment_size: 3632
    .language:       OpenCL C
    .language_version:
      - 2
      - 0
    .max_flat_workgroup_size: 512
    .name:           _ZN2at6native12_GLOBAL__N_125multi_tensor_apply_kernelINS1_18TensorListMetadataILi1EEENS1_14UnaryOpFunctorIN3c104HalfELi1ELi1ELi0EEEJNS0_3LogIfEEEEEvT_T0_DpT1_
    .private_segment_fixed_size: 0
    .sgpr_count:     33
    .sgpr_spill_count: 0
    .symbol:         _ZN2at6native12_GLOBAL__N_125multi_tensor_apply_kernelINS1_18TensorListMetadataILi1EEENS1_14UnaryOpFunctorIN3c104HalfELi1ELi1ELi0EEEJNS0_3LogIfEEEEEvT_T0_DpT1_.kd
    .uniform_work_group_size: 1
    .uses_dynamic_stack: false
    .vgpr_count:     22
    .vgpr_spill_count: 0
    .wavefront_size: 64
  - .agpr_count:     0
    .args:
      - .offset:         0
        .size:           3368
        .value_kind:     by_value
      - .offset:         3368
        .size:           1
        .value_kind:     by_value
      - .offset:         3369
        .size:           1
        .value_kind:     by_value
      - .offset:         3376
        .size:           4
        .value_kind:     hidden_block_count_x
      - .offset:         3380
        .size:           4
        .value_kind:     hidden_block_count_y
      - .offset:         3384
        .size:           4
        .value_kind:     hidden_block_count_z
      - .offset:         3388
        .size:           2
        .value_kind:     hidden_group_size_x
      - .offset:         3390
        .size:           2
        .value_kind:     hidden_group_size_y
      - .offset:         3392
        .size:           2
        .value_kind:     hidden_group_size_z
      - .offset:         3394
        .size:           2
        .value_kind:     hidden_remainder_x
      - .offset:         3396
        .size:           2
        .value_kind:     hidden_remainder_y
      - .offset:         3398
        .size:           2
        .value_kind:     hidden_remainder_z
      - .offset:         3416
        .size:           8
        .value_kind:     hidden_global_offset_x
      - .offset:         3424
        .size:           8
        .value_kind:     hidden_global_offset_y
      - .offset:         3432
        .size:           8
        .value_kind:     hidden_global_offset_z
      - .offset:         3440
        .size:           2
        .value_kind:     hidden_grid_dims
    .group_segment_fixed_size: 0
    .kernarg_segment_align: 8
    .kernarg_segment_size: 3632
    .language:       OpenCL C
    .language_version:
      - 2
      - 0
    .max_flat_workgroup_size: 512
    .name:           _ZN2at6native12_GLOBAL__N_125multi_tensor_apply_kernelINS1_18TensorListMetadataILi1EEENS1_14UnaryOpFunctorIN3c108BFloat16ELi1ELi1ELi0EEEJNS0_3LogIfEEEEEvT_T0_DpT1_
    .private_segment_fixed_size: 0
    .sgpr_count:     35
    .sgpr_spill_count: 0
    .symbol:         _ZN2at6native12_GLOBAL__N_125multi_tensor_apply_kernelINS1_18TensorListMetadataILi1EEENS1_14UnaryOpFunctorIN3c108BFloat16ELi1ELi1ELi0EEEJNS0_3LogIfEEEEEvT_T0_DpT1_.kd
    .uniform_work_group_size: 1
    .uses_dynamic_stack: false
    .vgpr_count:     26
    .vgpr_spill_count: 0
    .wavefront_size: 64
  - .agpr_count:     0
    .args:
      - .offset:         0
        .size:           3144
        .value_kind:     by_value
      - .offset:         3144
        .size:           1
        .value_kind:     by_value
      - .offset:         3145
        .size:           1
        .value_kind:     by_value
      - .offset:         3152
        .size:           4
        .value_kind:     hidden_block_count_x
      - .offset:         3156
        .size:           4
        .value_kind:     hidden_block_count_y
      - .offset:         3160
        .size:           4
        .value_kind:     hidden_block_count_z
      - .offset:         3164
        .size:           2
        .value_kind:     hidden_group_size_x
      - .offset:         3166
        .size:           2
        .value_kind:     hidden_group_size_y
      - .offset:         3168
        .size:           2
        .value_kind:     hidden_group_size_z
      - .offset:         3170
        .size:           2
        .value_kind:     hidden_remainder_x
      - .offset:         3172
        .size:           2
        .value_kind:     hidden_remainder_y
      - .offset:         3174
        .size:           2
        .value_kind:     hidden_remainder_z
      - .offset:         3192
        .size:           8
        .value_kind:     hidden_global_offset_x
      - .offset:         3200
        .size:           8
        .value_kind:     hidden_global_offset_y
      - .offset:         3208
        .size:           8
        .value_kind:     hidden_global_offset_z
      - .offset:         3216
        .size:           2
        .value_kind:     hidden_grid_dims
    .group_segment_fixed_size: 0
    .kernarg_segment_align: 8
    .kernarg_segment_size: 3408
    .language:       OpenCL C
    .language_version:
      - 2
      - 0
    .max_flat_workgroup_size: 512
    .name:           _ZN2at6native12_GLOBAL__N_125multi_tensor_apply_kernelINS1_18TensorListMetadataILi2EEENS1_14UnaryOpFunctorIdLi2ELi1ELi1EEEJNS0_5Log10IdEEEEEvT_T0_DpT1_
    .private_segment_fixed_size: 0
    .sgpr_count:     52
    .sgpr_spill_count: 0
    .symbol:         _ZN2at6native12_GLOBAL__N_125multi_tensor_apply_kernelINS1_18TensorListMetadataILi2EEENS1_14UnaryOpFunctorIdLi2ELi1ELi1EEEJNS0_5Log10IdEEEEEvT_T0_DpT1_.kd
    .uniform_work_group_size: 1
    .uses_dynamic_stack: false
    .vgpr_count:     70
    .vgpr_spill_count: 0
    .wavefront_size: 64
  - .agpr_count:     0
    .args:
      - .offset:         0
        .size:           3144
        .value_kind:     by_value
      - .offset:         3144
        .size:           1
        .value_kind:     by_value
      - .offset:         3145
        .size:           1
        .value_kind:     by_value
      - .offset:         3152
        .size:           4
        .value_kind:     hidden_block_count_x
      - .offset:         3156
        .size:           4
        .value_kind:     hidden_block_count_y
      - .offset:         3160
        .size:           4
        .value_kind:     hidden_block_count_z
      - .offset:         3164
        .size:           2
        .value_kind:     hidden_group_size_x
      - .offset:         3166
        .size:           2
        .value_kind:     hidden_group_size_y
      - .offset:         3168
        .size:           2
        .value_kind:     hidden_group_size_z
      - .offset:         3170
        .size:           2
        .value_kind:     hidden_remainder_x
      - .offset:         3172
        .size:           2
        .value_kind:     hidden_remainder_y
      - .offset:         3174
        .size:           2
        .value_kind:     hidden_remainder_z
      - .offset:         3192
        .size:           8
        .value_kind:     hidden_global_offset_x
      - .offset:         3200
        .size:           8
        .value_kind:     hidden_global_offset_y
      - .offset:         3208
        .size:           8
        .value_kind:     hidden_global_offset_z
      - .offset:         3216
        .size:           2
        .value_kind:     hidden_grid_dims
    .group_segment_fixed_size: 0
    .kernarg_segment_align: 8
    .kernarg_segment_size: 3408
    .language:       OpenCL C
    .language_version:
      - 2
      - 0
    .max_flat_workgroup_size: 512
    .name:           _ZN2at6native12_GLOBAL__N_125multi_tensor_apply_kernelINS1_18TensorListMetadataILi2EEENS1_14UnaryOpFunctorIfLi2ELi1ELi1EEEJNS0_5Log10IfEEEEEvT_T0_DpT1_
    .private_segment_fixed_size: 0
    .sgpr_count:     31
    .sgpr_spill_count: 0
    .symbol:         _ZN2at6native12_GLOBAL__N_125multi_tensor_apply_kernelINS1_18TensorListMetadataILi2EEENS1_14UnaryOpFunctorIfLi2ELi1ELi1EEEJNS0_5Log10IfEEEEEvT_T0_DpT1_.kd
    .uniform_work_group_size: 1
    .uses_dynamic_stack: false
    .vgpr_count:     32
    .vgpr_spill_count: 0
    .wavefront_size: 64
  - .agpr_count:     0
    .args:
      - .offset:         0
        .size:           3144
        .value_kind:     by_value
      - .offset:         3144
        .size:           1
        .value_kind:     by_value
      - .offset:         3145
        .size:           1
        .value_kind:     by_value
      - .offset:         3152
        .size:           4
        .value_kind:     hidden_block_count_x
      - .offset:         3156
        .size:           4
        .value_kind:     hidden_block_count_y
      - .offset:         3160
        .size:           4
        .value_kind:     hidden_block_count_z
      - .offset:         3164
        .size:           2
        .value_kind:     hidden_group_size_x
      - .offset:         3166
        .size:           2
        .value_kind:     hidden_group_size_y
      - .offset:         3168
        .size:           2
        .value_kind:     hidden_group_size_z
      - .offset:         3170
        .size:           2
        .value_kind:     hidden_remainder_x
      - .offset:         3172
        .size:           2
        .value_kind:     hidden_remainder_y
      - .offset:         3174
        .size:           2
        .value_kind:     hidden_remainder_z
      - .offset:         3192
        .size:           8
        .value_kind:     hidden_global_offset_x
      - .offset:         3200
        .size:           8
        .value_kind:     hidden_global_offset_y
      - .offset:         3208
        .size:           8
        .value_kind:     hidden_global_offset_z
      - .offset:         3216
        .size:           2
        .value_kind:     hidden_grid_dims
    .group_segment_fixed_size: 0
    .kernarg_segment_align: 8
    .kernarg_segment_size: 3408
    .language:       OpenCL C
    .language_version:
      - 2
      - 0
    .max_flat_workgroup_size: 512
    .name:           _ZN2at6native12_GLOBAL__N_125multi_tensor_apply_kernelINS1_18TensorListMetadataILi2EEENS1_14UnaryOpFunctorIN3c107complexIdEELi2ELi1ELi1EEEJNS0_5Log10IS8_EEEEEvT_T0_DpT1_
    .private_segment_fixed_size: 0
    .sgpr_count:     84
    .sgpr_spill_count: 0
    .symbol:         _ZN2at6native12_GLOBAL__N_125multi_tensor_apply_kernelINS1_18TensorListMetadataILi2EEENS1_14UnaryOpFunctorIN3c107complexIdEELi2ELi1ELi1EEEJNS0_5Log10IS8_EEEEEvT_T0_DpT1_.kd
    .uniform_work_group_size: 1
    .uses_dynamic_stack: false
    .vgpr_count:     122
    .vgpr_spill_count: 0
    .wavefront_size: 64
  - .agpr_count:     0
    .args:
      - .offset:         0
        .size:           3144
        .value_kind:     by_value
      - .offset:         3144
        .size:           1
        .value_kind:     by_value
      - .offset:         3145
        .size:           1
        .value_kind:     by_value
      - .offset:         3152
        .size:           4
        .value_kind:     hidden_block_count_x
      - .offset:         3156
        .size:           4
        .value_kind:     hidden_block_count_y
      - .offset:         3160
        .size:           4
        .value_kind:     hidden_block_count_z
      - .offset:         3164
        .size:           2
        .value_kind:     hidden_group_size_x
      - .offset:         3166
        .size:           2
        .value_kind:     hidden_group_size_y
      - .offset:         3168
        .size:           2
        .value_kind:     hidden_group_size_z
      - .offset:         3170
        .size:           2
        .value_kind:     hidden_remainder_x
      - .offset:         3172
        .size:           2
        .value_kind:     hidden_remainder_y
      - .offset:         3174
        .size:           2
        .value_kind:     hidden_remainder_z
      - .offset:         3192
        .size:           8
        .value_kind:     hidden_global_offset_x
      - .offset:         3200
        .size:           8
        .value_kind:     hidden_global_offset_y
      - .offset:         3208
        .size:           8
        .value_kind:     hidden_global_offset_z
      - .offset:         3216
        .size:           2
        .value_kind:     hidden_grid_dims
    .group_segment_fixed_size: 0
    .kernarg_segment_align: 8
    .kernarg_segment_size: 3408
    .language:       OpenCL C
    .language_version:
      - 2
      - 0
    .max_flat_workgroup_size: 512
    .name:           _ZN2at6native12_GLOBAL__N_125multi_tensor_apply_kernelINS1_18TensorListMetadataILi2EEENS1_14UnaryOpFunctorIN3c107complexIfEELi2ELi1ELi1EEEJNS0_5Log10IS8_EEEEEvT_T0_DpT1_
    .private_segment_fixed_size: 0
    .sgpr_count:     68
    .sgpr_spill_count: 0
    .symbol:         _ZN2at6native12_GLOBAL__N_125multi_tensor_apply_kernelINS1_18TensorListMetadataILi2EEENS1_14UnaryOpFunctorIN3c107complexIfEELi2ELi1ELi1EEEJNS0_5Log10IS8_EEEEEvT_T0_DpT1_.kd
    .uniform_work_group_size: 1
    .uses_dynamic_stack: false
    .vgpr_count:     58
    .vgpr_spill_count: 0
    .wavefront_size: 64
  - .agpr_count:     0
    .args:
      - .offset:         0
        .size:           3144
        .value_kind:     by_value
      - .offset:         3144
        .size:           1
        .value_kind:     by_value
      - .offset:         3145
        .size:           1
        .value_kind:     by_value
      - .offset:         3152
        .size:           4
        .value_kind:     hidden_block_count_x
      - .offset:         3156
        .size:           4
        .value_kind:     hidden_block_count_y
      - .offset:         3160
        .size:           4
        .value_kind:     hidden_block_count_z
      - .offset:         3164
        .size:           2
        .value_kind:     hidden_group_size_x
      - .offset:         3166
        .size:           2
        .value_kind:     hidden_group_size_y
      - .offset:         3168
        .size:           2
        .value_kind:     hidden_group_size_z
      - .offset:         3170
        .size:           2
        .value_kind:     hidden_remainder_x
      - .offset:         3172
        .size:           2
        .value_kind:     hidden_remainder_y
      - .offset:         3174
        .size:           2
        .value_kind:     hidden_remainder_z
      - .offset:         3192
        .size:           8
        .value_kind:     hidden_global_offset_x
      - .offset:         3200
        .size:           8
        .value_kind:     hidden_global_offset_y
      - .offset:         3208
        .size:           8
        .value_kind:     hidden_global_offset_z
      - .offset:         3216
        .size:           2
        .value_kind:     hidden_grid_dims
    .group_segment_fixed_size: 0
    .kernarg_segment_align: 8
    .kernarg_segment_size: 3408
    .language:       OpenCL C
    .language_version:
      - 2
      - 0
    .max_flat_workgroup_size: 512
    .name:           _ZN2at6native12_GLOBAL__N_125multi_tensor_apply_kernelINS1_18TensorListMetadataILi2EEENS1_14UnaryOpFunctorIN3c104HalfELi2ELi1ELi1EEEJNS0_5Log10IfEEEEEvT_T0_DpT1_
    .private_segment_fixed_size: 0
    .sgpr_count:     36
    .sgpr_spill_count: 0
    .symbol:         _ZN2at6native12_GLOBAL__N_125multi_tensor_apply_kernelINS1_18TensorListMetadataILi2EEENS1_14UnaryOpFunctorIN3c104HalfELi2ELi1ELi1EEEJNS0_5Log10IfEEEEEvT_T0_DpT1_.kd
    .uniform_work_group_size: 1
    .uses_dynamic_stack: false
    .vgpr_count:     30
    .vgpr_spill_count: 0
    .wavefront_size: 64
  - .agpr_count:     0
    .args:
      - .offset:         0
        .size:           3144
        .value_kind:     by_value
      - .offset:         3144
        .size:           1
        .value_kind:     by_value
      - .offset:         3145
        .size:           1
        .value_kind:     by_value
      - .offset:         3152
        .size:           4
        .value_kind:     hidden_block_count_x
      - .offset:         3156
        .size:           4
        .value_kind:     hidden_block_count_y
      - .offset:         3160
        .size:           4
        .value_kind:     hidden_block_count_z
      - .offset:         3164
        .size:           2
        .value_kind:     hidden_group_size_x
      - .offset:         3166
        .size:           2
        .value_kind:     hidden_group_size_y
      - .offset:         3168
        .size:           2
        .value_kind:     hidden_group_size_z
      - .offset:         3170
        .size:           2
        .value_kind:     hidden_remainder_x
      - .offset:         3172
        .size:           2
        .value_kind:     hidden_remainder_y
      - .offset:         3174
        .size:           2
        .value_kind:     hidden_remainder_z
      - .offset:         3192
        .size:           8
        .value_kind:     hidden_global_offset_x
      - .offset:         3200
        .size:           8
        .value_kind:     hidden_global_offset_y
      - .offset:         3208
        .size:           8
        .value_kind:     hidden_global_offset_z
      - .offset:         3216
        .size:           2
        .value_kind:     hidden_grid_dims
    .group_segment_fixed_size: 0
    .kernarg_segment_align: 8
    .kernarg_segment_size: 3408
    .language:       OpenCL C
    .language_version:
      - 2
      - 0
    .max_flat_workgroup_size: 512
    .name:           _ZN2at6native12_GLOBAL__N_125multi_tensor_apply_kernelINS1_18TensorListMetadataILi2EEENS1_14UnaryOpFunctorIN3c108BFloat16ELi2ELi1ELi1EEEJNS0_5Log10IfEEEEEvT_T0_DpT1_
    .private_segment_fixed_size: 0
    .sgpr_count:     30
    .sgpr_spill_count: 0
    .symbol:         _ZN2at6native12_GLOBAL__N_125multi_tensor_apply_kernelINS1_18TensorListMetadataILi2EEENS1_14UnaryOpFunctorIN3c108BFloat16ELi2ELi1ELi1EEEJNS0_5Log10IfEEEEEvT_T0_DpT1_.kd
    .uniform_work_group_size: 1
    .uses_dynamic_stack: false
    .vgpr_count:     32
    .vgpr_spill_count: 0
    .wavefront_size: 64
  - .agpr_count:     0
    .args:
      - .offset:         0
        .size:           3368
        .value_kind:     by_value
      - .offset:         3368
        .size:           1
        .value_kind:     by_value
      - .offset:         3369
        .size:           1
        .value_kind:     by_value
      - .offset:         3376
        .size:           4
        .value_kind:     hidden_block_count_x
      - .offset:         3380
        .size:           4
        .value_kind:     hidden_block_count_y
      - .offset:         3384
        .size:           4
        .value_kind:     hidden_block_count_z
      - .offset:         3388
        .size:           2
        .value_kind:     hidden_group_size_x
      - .offset:         3390
        .size:           2
        .value_kind:     hidden_group_size_y
      - .offset:         3392
        .size:           2
        .value_kind:     hidden_group_size_z
      - .offset:         3394
        .size:           2
        .value_kind:     hidden_remainder_x
      - .offset:         3396
        .size:           2
        .value_kind:     hidden_remainder_y
      - .offset:         3398
        .size:           2
        .value_kind:     hidden_remainder_z
      - .offset:         3416
        .size:           8
        .value_kind:     hidden_global_offset_x
      - .offset:         3424
        .size:           8
        .value_kind:     hidden_global_offset_y
      - .offset:         3432
        .size:           8
        .value_kind:     hidden_global_offset_z
      - .offset:         3440
        .size:           2
        .value_kind:     hidden_grid_dims
    .group_segment_fixed_size: 0
    .kernarg_segment_align: 8
    .kernarg_segment_size: 3632
    .language:       OpenCL C
    .language_version:
      - 2
      - 0
    .max_flat_workgroup_size: 512
    .name:           _ZN2at6native12_GLOBAL__N_125multi_tensor_apply_kernelINS1_18TensorListMetadataILi1EEENS1_14UnaryOpFunctorIdLi1ELi1ELi0EEEJNS0_5Log10IdEEEEEvT_T0_DpT1_
    .private_segment_fixed_size: 0
    .sgpr_count:     47
    .sgpr_spill_count: 0
    .symbol:         _ZN2at6native12_GLOBAL__N_125multi_tensor_apply_kernelINS1_18TensorListMetadataILi1EEENS1_14UnaryOpFunctorIdLi1ELi1ELi0EEEJNS0_5Log10IdEEEEEvT_T0_DpT1_.kd
    .uniform_work_group_size: 1
    .uses_dynamic_stack: false
    .vgpr_count:     58
    .vgpr_spill_count: 0
    .wavefront_size: 64
  - .agpr_count:     0
    .args:
      - .offset:         0
        .size:           3368
        .value_kind:     by_value
      - .offset:         3368
        .size:           1
        .value_kind:     by_value
      - .offset:         3369
        .size:           1
        .value_kind:     by_value
      - .offset:         3376
        .size:           4
        .value_kind:     hidden_block_count_x
      - .offset:         3380
        .size:           4
        .value_kind:     hidden_block_count_y
      - .offset:         3384
        .size:           4
        .value_kind:     hidden_block_count_z
      - .offset:         3388
        .size:           2
        .value_kind:     hidden_group_size_x
      - .offset:         3390
        .size:           2
        .value_kind:     hidden_group_size_y
      - .offset:         3392
        .size:           2
        .value_kind:     hidden_group_size_z
      - .offset:         3394
        .size:           2
        .value_kind:     hidden_remainder_x
      - .offset:         3396
        .size:           2
        .value_kind:     hidden_remainder_y
      - .offset:         3398
        .size:           2
        .value_kind:     hidden_remainder_z
      - .offset:         3416
        .size:           8
        .value_kind:     hidden_global_offset_x
      - .offset:         3424
        .size:           8
        .value_kind:     hidden_global_offset_y
      - .offset:         3432
        .size:           8
        .value_kind:     hidden_global_offset_z
      - .offset:         3440
        .size:           2
        .value_kind:     hidden_grid_dims
    .group_segment_fixed_size: 0
    .kernarg_segment_align: 8
    .kernarg_segment_size: 3632
    .language:       OpenCL C
    .language_version:
      - 2
      - 0
    .max_flat_workgroup_size: 512
    .name:           _ZN2at6native12_GLOBAL__N_125multi_tensor_apply_kernelINS1_18TensorListMetadataILi1EEENS1_14UnaryOpFunctorIfLi1ELi1ELi0EEEJNS0_5Log10IfEEEEEvT_T0_DpT1_
    .private_segment_fixed_size: 0
    .sgpr_count:     35
    .sgpr_spill_count: 0
    .symbol:         _ZN2at6native12_GLOBAL__N_125multi_tensor_apply_kernelINS1_18TensorListMetadataILi1EEENS1_14UnaryOpFunctorIfLi1ELi1ELi0EEEJNS0_5Log10IfEEEEEvT_T0_DpT1_.kd
    .uniform_work_group_size: 1
    .uses_dynamic_stack: false
    .vgpr_count:     24
    .vgpr_spill_count: 0
    .wavefront_size: 64
  - .agpr_count:     0
    .args:
      - .offset:         0
        .size:           3368
        .value_kind:     by_value
      - .offset:         3368
        .size:           1
        .value_kind:     by_value
      - .offset:         3369
        .size:           1
        .value_kind:     by_value
      - .offset:         3376
        .size:           4
        .value_kind:     hidden_block_count_x
      - .offset:         3380
        .size:           4
        .value_kind:     hidden_block_count_y
      - .offset:         3384
        .size:           4
        .value_kind:     hidden_block_count_z
      - .offset:         3388
        .size:           2
        .value_kind:     hidden_group_size_x
      - .offset:         3390
        .size:           2
        .value_kind:     hidden_group_size_y
      - .offset:         3392
        .size:           2
        .value_kind:     hidden_group_size_z
      - .offset:         3394
        .size:           2
        .value_kind:     hidden_remainder_x
      - .offset:         3396
        .size:           2
        .value_kind:     hidden_remainder_y
      - .offset:         3398
        .size:           2
        .value_kind:     hidden_remainder_z
      - .offset:         3416
        .size:           8
        .value_kind:     hidden_global_offset_x
      - .offset:         3424
        .size:           8
        .value_kind:     hidden_global_offset_y
      - .offset:         3432
        .size:           8
        .value_kind:     hidden_global_offset_z
      - .offset:         3440
        .size:           2
        .value_kind:     hidden_grid_dims
    .group_segment_fixed_size: 0
    .kernarg_segment_align: 8
    .kernarg_segment_size: 3632
    .language:       OpenCL C
    .language_version:
      - 2
      - 0
    .max_flat_workgroup_size: 512
    .name:           _ZN2at6native12_GLOBAL__N_125multi_tensor_apply_kernelINS1_18TensorListMetadataILi1EEENS1_14UnaryOpFunctorIN3c107complexIdEELi1ELi1ELi0EEEJNS0_5Log10IS8_EEEEEvT_T0_DpT1_
    .private_segment_fixed_size: 0
    .sgpr_count:     84
    .sgpr_spill_count: 0
    .symbol:         _ZN2at6native12_GLOBAL__N_125multi_tensor_apply_kernelINS1_18TensorListMetadataILi1EEENS1_14UnaryOpFunctorIN3c107complexIdEELi1ELi1ELi0EEEJNS0_5Log10IS8_EEEEEvT_T0_DpT1_.kd
    .uniform_work_group_size: 1
    .uses_dynamic_stack: false
    .vgpr_count:     122
    .vgpr_spill_count: 0
    .wavefront_size: 64
  - .agpr_count:     0
    .args:
      - .offset:         0
        .size:           3368
        .value_kind:     by_value
      - .offset:         3368
        .size:           1
        .value_kind:     by_value
      - .offset:         3369
        .size:           1
        .value_kind:     by_value
      - .offset:         3376
        .size:           4
        .value_kind:     hidden_block_count_x
      - .offset:         3380
        .size:           4
        .value_kind:     hidden_block_count_y
      - .offset:         3384
        .size:           4
        .value_kind:     hidden_block_count_z
      - .offset:         3388
        .size:           2
        .value_kind:     hidden_group_size_x
      - .offset:         3390
        .size:           2
        .value_kind:     hidden_group_size_y
      - .offset:         3392
        .size:           2
        .value_kind:     hidden_group_size_z
      - .offset:         3394
        .size:           2
        .value_kind:     hidden_remainder_x
      - .offset:         3396
        .size:           2
        .value_kind:     hidden_remainder_y
      - .offset:         3398
        .size:           2
        .value_kind:     hidden_remainder_z
      - .offset:         3416
        .size:           8
        .value_kind:     hidden_global_offset_x
      - .offset:         3424
        .size:           8
        .value_kind:     hidden_global_offset_y
      - .offset:         3432
        .size:           8
        .value_kind:     hidden_global_offset_z
      - .offset:         3440
        .size:           2
        .value_kind:     hidden_grid_dims
    .group_segment_fixed_size: 0
    .kernarg_segment_align: 8
    .kernarg_segment_size: 3632
    .language:       OpenCL C
    .language_version:
      - 2
      - 0
    .max_flat_workgroup_size: 512
    .name:           _ZN2at6native12_GLOBAL__N_125multi_tensor_apply_kernelINS1_18TensorListMetadataILi1EEENS1_14UnaryOpFunctorIN3c107complexIfEELi1ELi1ELi0EEEJNS0_5Log10IS8_EEEEEvT_T0_DpT1_
    .private_segment_fixed_size: 0
    .sgpr_count:     68
    .sgpr_spill_count: 0
    .symbol:         _ZN2at6native12_GLOBAL__N_125multi_tensor_apply_kernelINS1_18TensorListMetadataILi1EEENS1_14UnaryOpFunctorIN3c107complexIfEELi1ELi1ELi0EEEJNS0_5Log10IS8_EEEEEvT_T0_DpT1_.kd
    .uniform_work_group_size: 1
    .uses_dynamic_stack: false
    .vgpr_count:     58
    .vgpr_spill_count: 0
    .wavefront_size: 64
  - .agpr_count:     0
    .args:
      - .offset:         0
        .size:           3368
        .value_kind:     by_value
      - .offset:         3368
        .size:           1
        .value_kind:     by_value
      - .offset:         3369
        .size:           1
        .value_kind:     by_value
      - .offset:         3376
        .size:           4
        .value_kind:     hidden_block_count_x
      - .offset:         3380
        .size:           4
        .value_kind:     hidden_block_count_y
      - .offset:         3384
        .size:           4
        .value_kind:     hidden_block_count_z
      - .offset:         3388
        .size:           2
        .value_kind:     hidden_group_size_x
      - .offset:         3390
        .size:           2
        .value_kind:     hidden_group_size_y
      - .offset:         3392
        .size:           2
        .value_kind:     hidden_group_size_z
      - .offset:         3394
        .size:           2
        .value_kind:     hidden_remainder_x
      - .offset:         3396
        .size:           2
        .value_kind:     hidden_remainder_y
      - .offset:         3398
        .size:           2
        .value_kind:     hidden_remainder_z
      - .offset:         3416
        .size:           8
        .value_kind:     hidden_global_offset_x
      - .offset:         3424
        .size:           8
        .value_kind:     hidden_global_offset_y
      - .offset:         3432
        .size:           8
        .value_kind:     hidden_global_offset_z
      - .offset:         3440
        .size:           2
        .value_kind:     hidden_grid_dims
    .group_segment_fixed_size: 0
    .kernarg_segment_align: 8
    .kernarg_segment_size: 3632
    .language:       OpenCL C
    .language_version:
      - 2
      - 0
    .max_flat_workgroup_size: 512
    .name:           _ZN2at6native12_GLOBAL__N_125multi_tensor_apply_kernelINS1_18TensorListMetadataILi1EEENS1_14UnaryOpFunctorIN3c104HalfELi1ELi1ELi0EEEJNS0_5Log10IfEEEEEvT_T0_DpT1_
    .private_segment_fixed_size: 0
    .sgpr_count:     33
    .sgpr_spill_count: 0
    .symbol:         _ZN2at6native12_GLOBAL__N_125multi_tensor_apply_kernelINS1_18TensorListMetadataILi1EEENS1_14UnaryOpFunctorIN3c104HalfELi1ELi1ELi0EEEJNS0_5Log10IfEEEEEvT_T0_DpT1_.kd
    .uniform_work_group_size: 1
    .uses_dynamic_stack: false
    .vgpr_count:     22
    .vgpr_spill_count: 0
    .wavefront_size: 64
  - .agpr_count:     0
    .args:
      - .offset:         0
        .size:           3368
        .value_kind:     by_value
      - .offset:         3368
        .size:           1
        .value_kind:     by_value
      - .offset:         3369
        .size:           1
        .value_kind:     by_value
      - .offset:         3376
        .size:           4
        .value_kind:     hidden_block_count_x
      - .offset:         3380
        .size:           4
        .value_kind:     hidden_block_count_y
      - .offset:         3384
        .size:           4
        .value_kind:     hidden_block_count_z
      - .offset:         3388
        .size:           2
        .value_kind:     hidden_group_size_x
      - .offset:         3390
        .size:           2
        .value_kind:     hidden_group_size_y
      - .offset:         3392
        .size:           2
        .value_kind:     hidden_group_size_z
      - .offset:         3394
        .size:           2
        .value_kind:     hidden_remainder_x
      - .offset:         3396
        .size:           2
        .value_kind:     hidden_remainder_y
      - .offset:         3398
        .size:           2
        .value_kind:     hidden_remainder_z
      - .offset:         3416
        .size:           8
        .value_kind:     hidden_global_offset_x
      - .offset:         3424
        .size:           8
        .value_kind:     hidden_global_offset_y
      - .offset:         3432
        .size:           8
        .value_kind:     hidden_global_offset_z
      - .offset:         3440
        .size:           2
        .value_kind:     hidden_grid_dims
    .group_segment_fixed_size: 0
    .kernarg_segment_align: 8
    .kernarg_segment_size: 3632
    .language:       OpenCL C
    .language_version:
      - 2
      - 0
    .max_flat_workgroup_size: 512
    .name:           _ZN2at6native12_GLOBAL__N_125multi_tensor_apply_kernelINS1_18TensorListMetadataILi1EEENS1_14UnaryOpFunctorIN3c108BFloat16ELi1ELi1ELi0EEEJNS0_5Log10IfEEEEEvT_T0_DpT1_
    .private_segment_fixed_size: 0
    .sgpr_count:     35
    .sgpr_spill_count: 0
    .symbol:         _ZN2at6native12_GLOBAL__N_125multi_tensor_apply_kernelINS1_18TensorListMetadataILi1EEENS1_14UnaryOpFunctorIN3c108BFloat16ELi1ELi1ELi0EEEJNS0_5Log10IfEEEEEvT_T0_DpT1_.kd
    .uniform_work_group_size: 1
    .uses_dynamic_stack: false
    .vgpr_count:     26
    .vgpr_spill_count: 0
    .wavefront_size: 64
  - .agpr_count:     0
    .args:
      - .offset:         0
        .size:           3144
        .value_kind:     by_value
      - .offset:         3144
        .size:           1
        .value_kind:     by_value
      - .offset:         3145
        .size:           1
        .value_kind:     by_value
      - .offset:         3152
        .size:           4
        .value_kind:     hidden_block_count_x
      - .offset:         3156
        .size:           4
        .value_kind:     hidden_block_count_y
      - .offset:         3160
        .size:           4
        .value_kind:     hidden_block_count_z
      - .offset:         3164
        .size:           2
        .value_kind:     hidden_group_size_x
      - .offset:         3166
        .size:           2
        .value_kind:     hidden_group_size_y
      - .offset:         3168
        .size:           2
        .value_kind:     hidden_group_size_z
      - .offset:         3170
        .size:           2
        .value_kind:     hidden_remainder_x
      - .offset:         3172
        .size:           2
        .value_kind:     hidden_remainder_y
      - .offset:         3174
        .size:           2
        .value_kind:     hidden_remainder_z
      - .offset:         3192
        .size:           8
        .value_kind:     hidden_global_offset_x
      - .offset:         3200
        .size:           8
        .value_kind:     hidden_global_offset_y
      - .offset:         3208
        .size:           8
        .value_kind:     hidden_global_offset_z
      - .offset:         3216
        .size:           2
        .value_kind:     hidden_grid_dims
    .group_segment_fixed_size: 0
    .kernarg_segment_align: 8
    .kernarg_segment_size: 3408
    .language:       OpenCL C
    .language_version:
      - 2
      - 0
    .max_flat_workgroup_size: 512
    .name:           _ZN2at6native12_GLOBAL__N_125multi_tensor_apply_kernelINS1_18TensorListMetadataILi2EEENS1_14UnaryOpFunctorIdLi2ELi1ELi1EEEJNS0_4Log2IdEEEEEvT_T0_DpT1_
    .private_segment_fixed_size: 0
    .sgpr_count:     58
    .sgpr_spill_count: 0
    .symbol:         _ZN2at6native12_GLOBAL__N_125multi_tensor_apply_kernelINS1_18TensorListMetadataILi2EEENS1_14UnaryOpFunctorIdLi2ELi1ELi1EEEJNS0_4Log2IdEEEEEvT_T0_DpT1_.kd
    .uniform_work_group_size: 1
    .uses_dynamic_stack: false
    .vgpr_count:     64
    .vgpr_spill_count: 0
    .wavefront_size: 64
  - .agpr_count:     0
    .args:
      - .offset:         0
        .size:           3144
        .value_kind:     by_value
      - .offset:         3144
        .size:           1
        .value_kind:     by_value
      - .offset:         3145
        .size:           1
        .value_kind:     by_value
      - .offset:         3152
        .size:           4
        .value_kind:     hidden_block_count_x
      - .offset:         3156
        .size:           4
        .value_kind:     hidden_block_count_y
      - .offset:         3160
        .size:           4
        .value_kind:     hidden_block_count_z
      - .offset:         3164
        .size:           2
        .value_kind:     hidden_group_size_x
      - .offset:         3166
        .size:           2
        .value_kind:     hidden_group_size_y
      - .offset:         3168
        .size:           2
        .value_kind:     hidden_group_size_z
      - .offset:         3170
        .size:           2
        .value_kind:     hidden_remainder_x
      - .offset:         3172
        .size:           2
        .value_kind:     hidden_remainder_y
      - .offset:         3174
        .size:           2
        .value_kind:     hidden_remainder_z
      - .offset:         3192
        .size:           8
        .value_kind:     hidden_global_offset_x
      - .offset:         3200
        .size:           8
        .value_kind:     hidden_global_offset_y
      - .offset:         3208
        .size:           8
        .value_kind:     hidden_global_offset_z
      - .offset:         3216
        .size:           2
        .value_kind:     hidden_grid_dims
    .group_segment_fixed_size: 0
    .kernarg_segment_align: 8
    .kernarg_segment_size: 3408
    .language:       OpenCL C
    .language_version:
      - 2
      - 0
    .max_flat_workgroup_size: 512
    .name:           _ZN2at6native12_GLOBAL__N_125multi_tensor_apply_kernelINS1_18TensorListMetadataILi2EEENS1_14UnaryOpFunctorIfLi2ELi1ELi1EEEJNS0_4Log2IfEEEEEvT_T0_DpT1_
    .private_segment_fixed_size: 0
    .sgpr_count:     29
    .sgpr_spill_count: 0
    .symbol:         _ZN2at6native12_GLOBAL__N_125multi_tensor_apply_kernelINS1_18TensorListMetadataILi2EEENS1_14UnaryOpFunctorIfLi2ELi1ELi1EEEJNS0_4Log2IfEEEEEvT_T0_DpT1_.kd
    .uniform_work_group_size: 1
    .uses_dynamic_stack: false
    .vgpr_count:     33
    .vgpr_spill_count: 0
    .wavefront_size: 64
  - .agpr_count:     0
    .args:
      - .offset:         0
        .size:           3144
        .value_kind:     by_value
      - .offset:         3144
        .size:           1
        .value_kind:     by_value
      - .offset:         3145
        .size:           1
        .value_kind:     by_value
      - .offset:         3152
        .size:           4
        .value_kind:     hidden_block_count_x
      - .offset:         3156
        .size:           4
        .value_kind:     hidden_block_count_y
      - .offset:         3160
        .size:           4
        .value_kind:     hidden_block_count_z
      - .offset:         3164
        .size:           2
        .value_kind:     hidden_group_size_x
      - .offset:         3166
        .size:           2
        .value_kind:     hidden_group_size_y
      - .offset:         3168
        .size:           2
        .value_kind:     hidden_group_size_z
      - .offset:         3170
        .size:           2
        .value_kind:     hidden_remainder_x
      - .offset:         3172
        .size:           2
        .value_kind:     hidden_remainder_y
      - .offset:         3174
        .size:           2
        .value_kind:     hidden_remainder_z
      - .offset:         3192
        .size:           8
        .value_kind:     hidden_global_offset_x
      - .offset:         3200
        .size:           8
        .value_kind:     hidden_global_offset_y
      - .offset:         3208
        .size:           8
        .value_kind:     hidden_global_offset_z
      - .offset:         3216
        .size:           2
        .value_kind:     hidden_grid_dims
    .group_segment_fixed_size: 0
    .kernarg_segment_align: 8
    .kernarg_segment_size: 3408
    .language:       OpenCL C
    .language_version:
      - 2
      - 0
    .max_flat_workgroup_size: 512
    .name:           _ZN2at6native12_GLOBAL__N_125multi_tensor_apply_kernelINS1_18TensorListMetadataILi2EEENS1_14UnaryOpFunctorIN3c107complexIdEELi2ELi1ELi1EEEJNS0_4Log2IS8_EEEEEvT_T0_DpT1_
    .private_segment_fixed_size: 0
    .sgpr_count:     84
    .sgpr_spill_count: 0
    .symbol:         _ZN2at6native12_GLOBAL__N_125multi_tensor_apply_kernelINS1_18TensorListMetadataILi2EEENS1_14UnaryOpFunctorIN3c107complexIdEELi2ELi1ELi1EEEJNS0_4Log2IS8_EEEEEvT_T0_DpT1_.kd
    .uniform_work_group_size: 1
    .uses_dynamic_stack: false
    .vgpr_count:     122
    .vgpr_spill_count: 0
    .wavefront_size: 64
  - .agpr_count:     0
    .args:
      - .offset:         0
        .size:           3144
        .value_kind:     by_value
      - .offset:         3144
        .size:           1
        .value_kind:     by_value
      - .offset:         3145
        .size:           1
        .value_kind:     by_value
      - .offset:         3152
        .size:           4
        .value_kind:     hidden_block_count_x
      - .offset:         3156
        .size:           4
        .value_kind:     hidden_block_count_y
      - .offset:         3160
        .size:           4
        .value_kind:     hidden_block_count_z
      - .offset:         3164
        .size:           2
        .value_kind:     hidden_group_size_x
      - .offset:         3166
        .size:           2
        .value_kind:     hidden_group_size_y
      - .offset:         3168
        .size:           2
        .value_kind:     hidden_group_size_z
      - .offset:         3170
        .size:           2
        .value_kind:     hidden_remainder_x
      - .offset:         3172
        .size:           2
        .value_kind:     hidden_remainder_y
      - .offset:         3174
        .size:           2
        .value_kind:     hidden_remainder_z
      - .offset:         3192
        .size:           8
        .value_kind:     hidden_global_offset_x
      - .offset:         3200
        .size:           8
        .value_kind:     hidden_global_offset_y
      - .offset:         3208
        .size:           8
        .value_kind:     hidden_global_offset_z
      - .offset:         3216
        .size:           2
        .value_kind:     hidden_grid_dims
    .group_segment_fixed_size: 0
    .kernarg_segment_align: 8
    .kernarg_segment_size: 3408
    .language:       OpenCL C
    .language_version:
      - 2
      - 0
    .max_flat_workgroup_size: 512
    .name:           _ZN2at6native12_GLOBAL__N_125multi_tensor_apply_kernelINS1_18TensorListMetadataILi2EEENS1_14UnaryOpFunctorIN3c107complexIfEELi2ELi1ELi1EEEJNS0_4Log2IS8_EEEEEvT_T0_DpT1_
    .private_segment_fixed_size: 0
    .sgpr_count:     68
    .sgpr_spill_count: 0
    .symbol:         _ZN2at6native12_GLOBAL__N_125multi_tensor_apply_kernelINS1_18TensorListMetadataILi2EEENS1_14UnaryOpFunctorIN3c107complexIfEELi2ELi1ELi1EEEJNS0_4Log2IS8_EEEEEvT_T0_DpT1_.kd
    .uniform_work_group_size: 1
    .uses_dynamic_stack: false
    .vgpr_count:     60
    .vgpr_spill_count: 0
    .wavefront_size: 64
  - .agpr_count:     0
    .args:
      - .offset:         0
        .size:           3144
        .value_kind:     by_value
      - .offset:         3144
        .size:           1
        .value_kind:     by_value
      - .offset:         3145
        .size:           1
        .value_kind:     by_value
      - .offset:         3152
        .size:           4
        .value_kind:     hidden_block_count_x
      - .offset:         3156
        .size:           4
        .value_kind:     hidden_block_count_y
      - .offset:         3160
        .size:           4
        .value_kind:     hidden_block_count_z
      - .offset:         3164
        .size:           2
        .value_kind:     hidden_group_size_x
      - .offset:         3166
        .size:           2
        .value_kind:     hidden_group_size_y
      - .offset:         3168
        .size:           2
        .value_kind:     hidden_group_size_z
      - .offset:         3170
        .size:           2
        .value_kind:     hidden_remainder_x
      - .offset:         3172
        .size:           2
        .value_kind:     hidden_remainder_y
      - .offset:         3174
        .size:           2
        .value_kind:     hidden_remainder_z
      - .offset:         3192
        .size:           8
        .value_kind:     hidden_global_offset_x
      - .offset:         3200
        .size:           8
        .value_kind:     hidden_global_offset_y
      - .offset:         3208
        .size:           8
        .value_kind:     hidden_global_offset_z
      - .offset:         3216
        .size:           2
        .value_kind:     hidden_grid_dims
    .group_segment_fixed_size: 0
    .kernarg_segment_align: 8
    .kernarg_segment_size: 3408
    .language:       OpenCL C
    .language_version:
      - 2
      - 0
    .max_flat_workgroup_size: 512
    .name:           _ZN2at6native12_GLOBAL__N_125multi_tensor_apply_kernelINS1_18TensorListMetadataILi2EEENS1_14UnaryOpFunctorIN3c104HalfELi2ELi1ELi1EEEJNS0_4Log2IfEEEEEvT_T0_DpT1_
    .private_segment_fixed_size: 0
    .sgpr_count:     30
    .sgpr_spill_count: 0
    .symbol:         _ZN2at6native12_GLOBAL__N_125multi_tensor_apply_kernelINS1_18TensorListMetadataILi2EEENS1_14UnaryOpFunctorIN3c104HalfELi2ELi1ELi1EEEJNS0_4Log2IfEEEEEvT_T0_DpT1_.kd
    .uniform_work_group_size: 1
    .uses_dynamic_stack: false
    .vgpr_count:     30
    .vgpr_spill_count: 0
    .wavefront_size: 64
  - .agpr_count:     0
    .args:
      - .offset:         0
        .size:           3144
        .value_kind:     by_value
      - .offset:         3144
        .size:           1
        .value_kind:     by_value
      - .offset:         3145
        .size:           1
        .value_kind:     by_value
      - .offset:         3152
        .size:           4
        .value_kind:     hidden_block_count_x
      - .offset:         3156
        .size:           4
        .value_kind:     hidden_block_count_y
      - .offset:         3160
        .size:           4
        .value_kind:     hidden_block_count_z
      - .offset:         3164
        .size:           2
        .value_kind:     hidden_group_size_x
      - .offset:         3166
        .size:           2
        .value_kind:     hidden_group_size_y
      - .offset:         3168
        .size:           2
        .value_kind:     hidden_group_size_z
      - .offset:         3170
        .size:           2
        .value_kind:     hidden_remainder_x
      - .offset:         3172
        .size:           2
        .value_kind:     hidden_remainder_y
      - .offset:         3174
        .size:           2
        .value_kind:     hidden_remainder_z
      - .offset:         3192
        .size:           8
        .value_kind:     hidden_global_offset_x
      - .offset:         3200
        .size:           8
        .value_kind:     hidden_global_offset_y
      - .offset:         3208
        .size:           8
        .value_kind:     hidden_global_offset_z
      - .offset:         3216
        .size:           2
        .value_kind:     hidden_grid_dims
    .group_segment_fixed_size: 0
    .kernarg_segment_align: 8
    .kernarg_segment_size: 3408
    .language:       OpenCL C
    .language_version:
      - 2
      - 0
    .max_flat_workgroup_size: 512
    .name:           _ZN2at6native12_GLOBAL__N_125multi_tensor_apply_kernelINS1_18TensorListMetadataILi2EEENS1_14UnaryOpFunctorIN3c108BFloat16ELi2ELi1ELi1EEEJNS0_4Log2IfEEEEEvT_T0_DpT1_
    .private_segment_fixed_size: 0
    .sgpr_count:     28
    .sgpr_spill_count: 0
    .symbol:         _ZN2at6native12_GLOBAL__N_125multi_tensor_apply_kernelINS1_18TensorListMetadataILi2EEENS1_14UnaryOpFunctorIN3c108BFloat16ELi2ELi1ELi1EEEJNS0_4Log2IfEEEEEvT_T0_DpT1_.kd
    .uniform_work_group_size: 1
    .uses_dynamic_stack: false
    .vgpr_count:     32
    .vgpr_spill_count: 0
    .wavefront_size: 64
  - .agpr_count:     0
    .args:
      - .offset:         0
        .size:           3368
        .value_kind:     by_value
      - .offset:         3368
        .size:           1
        .value_kind:     by_value
      - .offset:         3369
        .size:           1
        .value_kind:     by_value
      - .offset:         3376
        .size:           4
        .value_kind:     hidden_block_count_x
      - .offset:         3380
        .size:           4
        .value_kind:     hidden_block_count_y
      - .offset:         3384
        .size:           4
        .value_kind:     hidden_block_count_z
      - .offset:         3388
        .size:           2
        .value_kind:     hidden_group_size_x
      - .offset:         3390
        .size:           2
        .value_kind:     hidden_group_size_y
      - .offset:         3392
        .size:           2
        .value_kind:     hidden_group_size_z
      - .offset:         3394
        .size:           2
        .value_kind:     hidden_remainder_x
      - .offset:         3396
        .size:           2
        .value_kind:     hidden_remainder_y
      - .offset:         3398
        .size:           2
        .value_kind:     hidden_remainder_z
      - .offset:         3416
        .size:           8
        .value_kind:     hidden_global_offset_x
      - .offset:         3424
        .size:           8
        .value_kind:     hidden_global_offset_y
      - .offset:         3432
        .size:           8
        .value_kind:     hidden_global_offset_z
      - .offset:         3440
        .size:           2
        .value_kind:     hidden_grid_dims
    .group_segment_fixed_size: 0
    .kernarg_segment_align: 8
    .kernarg_segment_size: 3632
    .language:       OpenCL C
    .language_version:
      - 2
      - 0
    .max_flat_workgroup_size: 512
    .name:           _ZN2at6native12_GLOBAL__N_125multi_tensor_apply_kernelINS1_18TensorListMetadataILi1EEENS1_14UnaryOpFunctorIdLi1ELi1ELi0EEEJNS0_4Log2IdEEEEEvT_T0_DpT1_
    .private_segment_fixed_size: 0
    .sgpr_count:     43
    .sgpr_spill_count: 0
    .symbol:         _ZN2at6native12_GLOBAL__N_125multi_tensor_apply_kernelINS1_18TensorListMetadataILi1EEENS1_14UnaryOpFunctorIdLi1ELi1ELi0EEEJNS0_4Log2IdEEEEEvT_T0_DpT1_.kd
    .uniform_work_group_size: 1
    .uses_dynamic_stack: false
    .vgpr_count:     52
    .vgpr_spill_count: 0
    .wavefront_size: 64
  - .agpr_count:     0
    .args:
      - .offset:         0
        .size:           3368
        .value_kind:     by_value
      - .offset:         3368
        .size:           1
        .value_kind:     by_value
      - .offset:         3369
        .size:           1
        .value_kind:     by_value
      - .offset:         3376
        .size:           4
        .value_kind:     hidden_block_count_x
      - .offset:         3380
        .size:           4
        .value_kind:     hidden_block_count_y
      - .offset:         3384
        .size:           4
        .value_kind:     hidden_block_count_z
      - .offset:         3388
        .size:           2
        .value_kind:     hidden_group_size_x
      - .offset:         3390
        .size:           2
        .value_kind:     hidden_group_size_y
      - .offset:         3392
        .size:           2
        .value_kind:     hidden_group_size_z
      - .offset:         3394
        .size:           2
        .value_kind:     hidden_remainder_x
      - .offset:         3396
        .size:           2
        .value_kind:     hidden_remainder_y
      - .offset:         3398
        .size:           2
        .value_kind:     hidden_remainder_z
      - .offset:         3416
        .size:           8
        .value_kind:     hidden_global_offset_x
      - .offset:         3424
        .size:           8
        .value_kind:     hidden_global_offset_y
      - .offset:         3432
        .size:           8
        .value_kind:     hidden_global_offset_z
      - .offset:         3440
        .size:           2
        .value_kind:     hidden_grid_dims
    .group_segment_fixed_size: 0
    .kernarg_segment_align: 8
    .kernarg_segment_size: 3632
    .language:       OpenCL C
    .language_version:
      - 2
      - 0
    .max_flat_workgroup_size: 512
    .name:           _ZN2at6native12_GLOBAL__N_125multi_tensor_apply_kernelINS1_18TensorListMetadataILi1EEENS1_14UnaryOpFunctorIfLi1ELi1ELi0EEEJNS0_4Log2IfEEEEEvT_T0_DpT1_
    .private_segment_fixed_size: 0
    .sgpr_count:     33
    .sgpr_spill_count: 0
    .symbol:         _ZN2at6native12_GLOBAL__N_125multi_tensor_apply_kernelINS1_18TensorListMetadataILi1EEENS1_14UnaryOpFunctorIfLi1ELi1ELi0EEEJNS0_4Log2IfEEEEEvT_T0_DpT1_.kd
    .uniform_work_group_size: 1
    .uses_dynamic_stack: false
    .vgpr_count:     24
    .vgpr_spill_count: 0
    .wavefront_size: 64
  - .agpr_count:     0
    .args:
      - .offset:         0
        .size:           3368
        .value_kind:     by_value
      - .offset:         3368
        .size:           1
        .value_kind:     by_value
      - .offset:         3369
        .size:           1
        .value_kind:     by_value
      - .offset:         3376
        .size:           4
        .value_kind:     hidden_block_count_x
      - .offset:         3380
        .size:           4
        .value_kind:     hidden_block_count_y
      - .offset:         3384
        .size:           4
        .value_kind:     hidden_block_count_z
      - .offset:         3388
        .size:           2
        .value_kind:     hidden_group_size_x
      - .offset:         3390
        .size:           2
        .value_kind:     hidden_group_size_y
      - .offset:         3392
        .size:           2
        .value_kind:     hidden_group_size_z
      - .offset:         3394
        .size:           2
        .value_kind:     hidden_remainder_x
      - .offset:         3396
        .size:           2
        .value_kind:     hidden_remainder_y
      - .offset:         3398
        .size:           2
        .value_kind:     hidden_remainder_z
      - .offset:         3416
        .size:           8
        .value_kind:     hidden_global_offset_x
      - .offset:         3424
        .size:           8
        .value_kind:     hidden_global_offset_y
      - .offset:         3432
        .size:           8
        .value_kind:     hidden_global_offset_z
      - .offset:         3440
        .size:           2
        .value_kind:     hidden_grid_dims
    .group_segment_fixed_size: 0
    .kernarg_segment_align: 8
    .kernarg_segment_size: 3632
    .language:       OpenCL C
    .language_version:
      - 2
      - 0
    .max_flat_workgroup_size: 512
    .name:           _ZN2at6native12_GLOBAL__N_125multi_tensor_apply_kernelINS1_18TensorListMetadataILi1EEENS1_14UnaryOpFunctorIN3c107complexIdEELi1ELi1ELi0EEEJNS0_4Log2IS8_EEEEEvT_T0_DpT1_
    .private_segment_fixed_size: 0
    .sgpr_count:     84
    .sgpr_spill_count: 0
    .symbol:         _ZN2at6native12_GLOBAL__N_125multi_tensor_apply_kernelINS1_18TensorListMetadataILi1EEENS1_14UnaryOpFunctorIN3c107complexIdEELi1ELi1ELi0EEEJNS0_4Log2IS8_EEEEEvT_T0_DpT1_.kd
    .uniform_work_group_size: 1
    .uses_dynamic_stack: false
    .vgpr_count:     122
    .vgpr_spill_count: 0
    .wavefront_size: 64
  - .agpr_count:     0
    .args:
      - .offset:         0
        .size:           3368
        .value_kind:     by_value
      - .offset:         3368
        .size:           1
        .value_kind:     by_value
      - .offset:         3369
        .size:           1
        .value_kind:     by_value
      - .offset:         3376
        .size:           4
        .value_kind:     hidden_block_count_x
      - .offset:         3380
        .size:           4
        .value_kind:     hidden_block_count_y
      - .offset:         3384
        .size:           4
        .value_kind:     hidden_block_count_z
      - .offset:         3388
        .size:           2
        .value_kind:     hidden_group_size_x
      - .offset:         3390
        .size:           2
        .value_kind:     hidden_group_size_y
      - .offset:         3392
        .size:           2
        .value_kind:     hidden_group_size_z
      - .offset:         3394
        .size:           2
        .value_kind:     hidden_remainder_x
      - .offset:         3396
        .size:           2
        .value_kind:     hidden_remainder_y
      - .offset:         3398
        .size:           2
        .value_kind:     hidden_remainder_z
      - .offset:         3416
        .size:           8
        .value_kind:     hidden_global_offset_x
      - .offset:         3424
        .size:           8
        .value_kind:     hidden_global_offset_y
      - .offset:         3432
        .size:           8
        .value_kind:     hidden_global_offset_z
      - .offset:         3440
        .size:           2
        .value_kind:     hidden_grid_dims
    .group_segment_fixed_size: 0
    .kernarg_segment_align: 8
    .kernarg_segment_size: 3632
    .language:       OpenCL C
    .language_version:
      - 2
      - 0
    .max_flat_workgroup_size: 512
    .name:           _ZN2at6native12_GLOBAL__N_125multi_tensor_apply_kernelINS1_18TensorListMetadataILi1EEENS1_14UnaryOpFunctorIN3c107complexIfEELi1ELi1ELi0EEEJNS0_4Log2IS8_EEEEEvT_T0_DpT1_
    .private_segment_fixed_size: 0
    .sgpr_count:     68
    .sgpr_spill_count: 0
    .symbol:         _ZN2at6native12_GLOBAL__N_125multi_tensor_apply_kernelINS1_18TensorListMetadataILi1EEENS1_14UnaryOpFunctorIN3c107complexIfEELi1ELi1ELi0EEEJNS0_4Log2IS8_EEEEEvT_T0_DpT1_.kd
    .uniform_work_group_size: 1
    .uses_dynamic_stack: false
    .vgpr_count:     60
    .vgpr_spill_count: 0
    .wavefront_size: 64
  - .agpr_count:     0
    .args:
      - .offset:         0
        .size:           3368
        .value_kind:     by_value
      - .offset:         3368
        .size:           1
        .value_kind:     by_value
      - .offset:         3369
        .size:           1
        .value_kind:     by_value
      - .offset:         3376
        .size:           4
        .value_kind:     hidden_block_count_x
      - .offset:         3380
        .size:           4
        .value_kind:     hidden_block_count_y
      - .offset:         3384
        .size:           4
        .value_kind:     hidden_block_count_z
      - .offset:         3388
        .size:           2
        .value_kind:     hidden_group_size_x
      - .offset:         3390
        .size:           2
        .value_kind:     hidden_group_size_y
      - .offset:         3392
        .size:           2
        .value_kind:     hidden_group_size_z
      - .offset:         3394
        .size:           2
        .value_kind:     hidden_remainder_x
      - .offset:         3396
        .size:           2
        .value_kind:     hidden_remainder_y
      - .offset:         3398
        .size:           2
        .value_kind:     hidden_remainder_z
      - .offset:         3416
        .size:           8
        .value_kind:     hidden_global_offset_x
      - .offset:         3424
        .size:           8
        .value_kind:     hidden_global_offset_y
      - .offset:         3432
        .size:           8
        .value_kind:     hidden_global_offset_z
      - .offset:         3440
        .size:           2
        .value_kind:     hidden_grid_dims
    .group_segment_fixed_size: 0
    .kernarg_segment_align: 8
    .kernarg_segment_size: 3632
    .language:       OpenCL C
    .language_version:
      - 2
      - 0
    .max_flat_workgroup_size: 512
    .name:           _ZN2at6native12_GLOBAL__N_125multi_tensor_apply_kernelINS1_18TensorListMetadataILi1EEENS1_14UnaryOpFunctorIN3c104HalfELi1ELi1ELi0EEEJNS0_4Log2IfEEEEEvT_T0_DpT1_
    .private_segment_fixed_size: 0
    .sgpr_count:     31
    .sgpr_spill_count: 0
    .symbol:         _ZN2at6native12_GLOBAL__N_125multi_tensor_apply_kernelINS1_18TensorListMetadataILi1EEENS1_14UnaryOpFunctorIN3c104HalfELi1ELi1ELi0EEEJNS0_4Log2IfEEEEEvT_T0_DpT1_.kd
    .uniform_work_group_size: 1
    .uses_dynamic_stack: false
    .vgpr_count:     22
    .vgpr_spill_count: 0
    .wavefront_size: 64
  - .agpr_count:     0
    .args:
      - .offset:         0
        .size:           3368
        .value_kind:     by_value
      - .offset:         3368
        .size:           1
        .value_kind:     by_value
      - .offset:         3369
        .size:           1
        .value_kind:     by_value
      - .offset:         3376
        .size:           4
        .value_kind:     hidden_block_count_x
      - .offset:         3380
        .size:           4
        .value_kind:     hidden_block_count_y
      - .offset:         3384
        .size:           4
        .value_kind:     hidden_block_count_z
      - .offset:         3388
        .size:           2
        .value_kind:     hidden_group_size_x
      - .offset:         3390
        .size:           2
        .value_kind:     hidden_group_size_y
      - .offset:         3392
        .size:           2
        .value_kind:     hidden_group_size_z
      - .offset:         3394
        .size:           2
        .value_kind:     hidden_remainder_x
      - .offset:         3396
        .size:           2
        .value_kind:     hidden_remainder_y
      - .offset:         3398
        .size:           2
        .value_kind:     hidden_remainder_z
      - .offset:         3416
        .size:           8
        .value_kind:     hidden_global_offset_x
      - .offset:         3424
        .size:           8
        .value_kind:     hidden_global_offset_y
      - .offset:         3432
        .size:           8
        .value_kind:     hidden_global_offset_z
      - .offset:         3440
        .size:           2
        .value_kind:     hidden_grid_dims
    .group_segment_fixed_size: 0
    .kernarg_segment_align: 8
    .kernarg_segment_size: 3632
    .language:       OpenCL C
    .language_version:
      - 2
      - 0
    .max_flat_workgroup_size: 512
    .name:           _ZN2at6native12_GLOBAL__N_125multi_tensor_apply_kernelINS1_18TensorListMetadataILi1EEENS1_14UnaryOpFunctorIN3c108BFloat16ELi1ELi1ELi0EEEJNS0_4Log2IfEEEEEvT_T0_DpT1_
    .private_segment_fixed_size: 0
    .sgpr_count:     33
    .sgpr_spill_count: 0
    .symbol:         _ZN2at6native12_GLOBAL__N_125multi_tensor_apply_kernelINS1_18TensorListMetadataILi1EEENS1_14UnaryOpFunctorIN3c108BFloat16ELi1ELi1ELi0EEEJNS0_4Log2IfEEEEEvT_T0_DpT1_.kd
    .uniform_work_group_size: 1
    .uses_dynamic_stack: false
    .vgpr_count:     26
    .vgpr_spill_count: 0
    .wavefront_size: 64
  - .agpr_count:     0
    .args:
      - .offset:         0
        .size:           3144
        .value_kind:     by_value
      - .offset:         3144
        .size:           1
        .value_kind:     by_value
      - .offset:         3145
        .size:           1
        .value_kind:     by_value
      - .offset:         3152
        .size:           4
        .value_kind:     hidden_block_count_x
      - .offset:         3156
        .size:           4
        .value_kind:     hidden_block_count_y
      - .offset:         3160
        .size:           4
        .value_kind:     hidden_block_count_z
      - .offset:         3164
        .size:           2
        .value_kind:     hidden_group_size_x
      - .offset:         3166
        .size:           2
        .value_kind:     hidden_group_size_y
      - .offset:         3168
        .size:           2
        .value_kind:     hidden_group_size_z
      - .offset:         3170
        .size:           2
        .value_kind:     hidden_remainder_x
      - .offset:         3172
        .size:           2
        .value_kind:     hidden_remainder_y
      - .offset:         3174
        .size:           2
        .value_kind:     hidden_remainder_z
      - .offset:         3192
        .size:           8
        .value_kind:     hidden_global_offset_x
      - .offset:         3200
        .size:           8
        .value_kind:     hidden_global_offset_y
      - .offset:         3208
        .size:           8
        .value_kind:     hidden_global_offset_z
      - .offset:         3216
        .size:           2
        .value_kind:     hidden_grid_dims
    .group_segment_fixed_size: 0
    .kernarg_segment_align: 8
    .kernarg_segment_size: 3408
    .language:       OpenCL C
    .language_version:
      - 2
      - 0
    .max_flat_workgroup_size: 512
    .name:           _ZN2at6native12_GLOBAL__N_125multi_tensor_apply_kernelINS1_18TensorListMetadataILi2EEENS1_14UnaryOpFunctorIdLi2ELi1ELi1EEEJNS0_5Log1pIdEEEEEvT_T0_DpT1_
    .private_segment_fixed_size: 0
    .sgpr_count:     49
    .sgpr_spill_count: 0
    .symbol:         _ZN2at6native12_GLOBAL__N_125multi_tensor_apply_kernelINS1_18TensorListMetadataILi2EEENS1_14UnaryOpFunctorIdLi2ELi1ELi1EEEJNS0_5Log1pIdEEEEEvT_T0_DpT1_.kd
    .uniform_work_group_size: 1
    .uses_dynamic_stack: false
    .vgpr_count:     74
    .vgpr_spill_count: 0
    .wavefront_size: 64
  - .agpr_count:     0
    .args:
      - .offset:         0
        .size:           3144
        .value_kind:     by_value
      - .offset:         3144
        .size:           1
        .value_kind:     by_value
      - .offset:         3145
        .size:           1
        .value_kind:     by_value
      - .offset:         3152
        .size:           4
        .value_kind:     hidden_block_count_x
      - .offset:         3156
        .size:           4
        .value_kind:     hidden_block_count_y
      - .offset:         3160
        .size:           4
        .value_kind:     hidden_block_count_z
      - .offset:         3164
        .size:           2
        .value_kind:     hidden_group_size_x
      - .offset:         3166
        .size:           2
        .value_kind:     hidden_group_size_y
      - .offset:         3168
        .size:           2
        .value_kind:     hidden_group_size_z
      - .offset:         3170
        .size:           2
        .value_kind:     hidden_remainder_x
      - .offset:         3172
        .size:           2
        .value_kind:     hidden_remainder_y
      - .offset:         3174
        .size:           2
        .value_kind:     hidden_remainder_z
      - .offset:         3192
        .size:           8
        .value_kind:     hidden_global_offset_x
      - .offset:         3200
        .size:           8
        .value_kind:     hidden_global_offset_y
      - .offset:         3208
        .size:           8
        .value_kind:     hidden_global_offset_z
      - .offset:         3216
        .size:           2
        .value_kind:     hidden_grid_dims
    .group_segment_fixed_size: 0
    .kernarg_segment_align: 8
    .kernarg_segment_size: 3408
    .language:       OpenCL C
    .language_version:
      - 2
      - 0
    .max_flat_workgroup_size: 512
    .name:           _ZN2at6native12_GLOBAL__N_125multi_tensor_apply_kernelINS1_18TensorListMetadataILi2EEENS1_14UnaryOpFunctorIfLi2ELi1ELi1EEEJNS0_5Log1pIfEEEEEvT_T0_DpT1_
    .private_segment_fixed_size: 0
    .sgpr_count:     35
    .sgpr_spill_count: 0
    .symbol:         _ZN2at6native12_GLOBAL__N_125multi_tensor_apply_kernelINS1_18TensorListMetadataILi2EEENS1_14UnaryOpFunctorIfLi2ELi1ELi1EEEJNS0_5Log1pIfEEEEEvT_T0_DpT1_.kd
    .uniform_work_group_size: 1
    .uses_dynamic_stack: false
    .vgpr_count:     60
    .vgpr_spill_count: 0
    .wavefront_size: 64
  - .agpr_count:     0
    .args:
      - .offset:         0
        .size:           3144
        .value_kind:     by_value
      - .offset:         3144
        .size:           1
        .value_kind:     by_value
      - .offset:         3145
        .size:           1
        .value_kind:     by_value
      - .offset:         3152
        .size:           4
        .value_kind:     hidden_block_count_x
      - .offset:         3156
        .size:           4
        .value_kind:     hidden_block_count_y
      - .offset:         3160
        .size:           4
        .value_kind:     hidden_block_count_z
      - .offset:         3164
        .size:           2
        .value_kind:     hidden_group_size_x
      - .offset:         3166
        .size:           2
        .value_kind:     hidden_group_size_y
      - .offset:         3168
        .size:           2
        .value_kind:     hidden_group_size_z
      - .offset:         3170
        .size:           2
        .value_kind:     hidden_remainder_x
      - .offset:         3172
        .size:           2
        .value_kind:     hidden_remainder_y
      - .offset:         3174
        .size:           2
        .value_kind:     hidden_remainder_z
      - .offset:         3192
        .size:           8
        .value_kind:     hidden_global_offset_x
      - .offset:         3200
        .size:           8
        .value_kind:     hidden_global_offset_y
      - .offset:         3208
        .size:           8
        .value_kind:     hidden_global_offset_z
      - .offset:         3216
        .size:           2
        .value_kind:     hidden_grid_dims
    .group_segment_fixed_size: 0
    .kernarg_segment_align: 8
    .kernarg_segment_size: 3408
    .language:       OpenCL C
    .language_version:
      - 2
      - 0
    .max_flat_workgroup_size: 512
    .name:           _ZN2at6native12_GLOBAL__N_125multi_tensor_apply_kernelINS1_18TensorListMetadataILi2EEENS1_14UnaryOpFunctorIN3c107complexIdEELi2ELi1ELi1EEEJNS0_5Log1pIS8_EEEEEvT_T0_DpT1_
    .private_segment_fixed_size: 0
    .sgpr_count:     100
    .sgpr_spill_count: 8
    .symbol:         _ZN2at6native12_GLOBAL__N_125multi_tensor_apply_kernelINS1_18TensorListMetadataILi2EEENS1_14UnaryOpFunctorIN3c107complexIdEELi2ELi1ELi1EEEJNS0_5Log1pIS8_EEEEEvT_T0_DpT1_.kd
    .uniform_work_group_size: 1
    .uses_dynamic_stack: false
    .vgpr_count:     139
    .vgpr_spill_count: 0
    .wavefront_size: 64
  - .agpr_count:     0
    .args:
      - .offset:         0
        .size:           3144
        .value_kind:     by_value
      - .offset:         3144
        .size:           1
        .value_kind:     by_value
      - .offset:         3145
        .size:           1
        .value_kind:     by_value
      - .offset:         3152
        .size:           4
        .value_kind:     hidden_block_count_x
      - .offset:         3156
        .size:           4
        .value_kind:     hidden_block_count_y
      - .offset:         3160
        .size:           4
        .value_kind:     hidden_block_count_z
      - .offset:         3164
        .size:           2
        .value_kind:     hidden_group_size_x
      - .offset:         3166
        .size:           2
        .value_kind:     hidden_group_size_y
      - .offset:         3168
        .size:           2
        .value_kind:     hidden_group_size_z
      - .offset:         3170
        .size:           2
        .value_kind:     hidden_remainder_x
      - .offset:         3172
        .size:           2
        .value_kind:     hidden_remainder_y
      - .offset:         3174
        .size:           2
        .value_kind:     hidden_remainder_z
      - .offset:         3192
        .size:           8
        .value_kind:     hidden_global_offset_x
      - .offset:         3200
        .size:           8
        .value_kind:     hidden_global_offset_y
      - .offset:         3208
        .size:           8
        .value_kind:     hidden_global_offset_z
      - .offset:         3216
        .size:           2
        .value_kind:     hidden_grid_dims
    .group_segment_fixed_size: 0
    .kernarg_segment_align: 8
    .kernarg_segment_size: 3408
    .language:       OpenCL C
    .language_version:
      - 2
      - 0
    .max_flat_workgroup_size: 512
    .name:           _ZN2at6native12_GLOBAL__N_125multi_tensor_apply_kernelINS1_18TensorListMetadataILi2EEENS1_14UnaryOpFunctorIN3c107complexIfEELi2ELi1ELi1EEEJNS0_5Log1pIS8_EEEEEvT_T0_DpT1_
    .private_segment_fixed_size: 0
    .sgpr_count:     46
    .sgpr_spill_count: 0
    .symbol:         _ZN2at6native12_GLOBAL__N_125multi_tensor_apply_kernelINS1_18TensorListMetadataILi2EEENS1_14UnaryOpFunctorIN3c107complexIfEELi2ELi1ELi1EEEJNS0_5Log1pIS8_EEEEEvT_T0_DpT1_.kd
    .uniform_work_group_size: 1
    .uses_dynamic_stack: false
    .vgpr_count:     70
    .vgpr_spill_count: 0
    .wavefront_size: 64
  - .agpr_count:     0
    .args:
      - .offset:         0
        .size:           3144
        .value_kind:     by_value
      - .offset:         3144
        .size:           1
        .value_kind:     by_value
      - .offset:         3145
        .size:           1
        .value_kind:     by_value
      - .offset:         3152
        .size:           4
        .value_kind:     hidden_block_count_x
      - .offset:         3156
        .size:           4
        .value_kind:     hidden_block_count_y
      - .offset:         3160
        .size:           4
        .value_kind:     hidden_block_count_z
      - .offset:         3164
        .size:           2
        .value_kind:     hidden_group_size_x
      - .offset:         3166
        .size:           2
        .value_kind:     hidden_group_size_y
      - .offset:         3168
        .size:           2
        .value_kind:     hidden_group_size_z
      - .offset:         3170
        .size:           2
        .value_kind:     hidden_remainder_x
      - .offset:         3172
        .size:           2
        .value_kind:     hidden_remainder_y
      - .offset:         3174
        .size:           2
        .value_kind:     hidden_remainder_z
      - .offset:         3192
        .size:           8
        .value_kind:     hidden_global_offset_x
      - .offset:         3200
        .size:           8
        .value_kind:     hidden_global_offset_y
      - .offset:         3208
        .size:           8
        .value_kind:     hidden_global_offset_z
      - .offset:         3216
        .size:           2
        .value_kind:     hidden_grid_dims
    .group_segment_fixed_size: 0
    .kernarg_segment_align: 8
    .kernarg_segment_size: 3408
    .language:       OpenCL C
    .language_version:
      - 2
      - 0
    .max_flat_workgroup_size: 512
    .name:           _ZN2at6native12_GLOBAL__N_125multi_tensor_apply_kernelINS1_18TensorListMetadataILi2EEENS1_14UnaryOpFunctorIN3c104HalfELi2ELi1ELi1EEEJNS0_5Log1pIfEEEEEvT_T0_DpT1_
    .private_segment_fixed_size: 0
    .sgpr_count:     39
    .sgpr_spill_count: 0
    .symbol:         _ZN2at6native12_GLOBAL__N_125multi_tensor_apply_kernelINS1_18TensorListMetadataILi2EEENS1_14UnaryOpFunctorIN3c104HalfELi2ELi1ELi1EEEJNS0_5Log1pIfEEEEEvT_T0_DpT1_.kd
    .uniform_work_group_size: 1
    .uses_dynamic_stack: false
    .vgpr_count:     60
    .vgpr_spill_count: 0
    .wavefront_size: 64
  - .agpr_count:     0
    .args:
      - .offset:         0
        .size:           3144
        .value_kind:     by_value
      - .offset:         3144
        .size:           1
        .value_kind:     by_value
      - .offset:         3145
        .size:           1
        .value_kind:     by_value
      - .offset:         3152
        .size:           4
        .value_kind:     hidden_block_count_x
      - .offset:         3156
        .size:           4
        .value_kind:     hidden_block_count_y
      - .offset:         3160
        .size:           4
        .value_kind:     hidden_block_count_z
      - .offset:         3164
        .size:           2
        .value_kind:     hidden_group_size_x
      - .offset:         3166
        .size:           2
        .value_kind:     hidden_group_size_y
      - .offset:         3168
        .size:           2
        .value_kind:     hidden_group_size_z
      - .offset:         3170
        .size:           2
        .value_kind:     hidden_remainder_x
      - .offset:         3172
        .size:           2
        .value_kind:     hidden_remainder_y
      - .offset:         3174
        .size:           2
        .value_kind:     hidden_remainder_z
      - .offset:         3192
        .size:           8
        .value_kind:     hidden_global_offset_x
      - .offset:         3200
        .size:           8
        .value_kind:     hidden_global_offset_y
      - .offset:         3208
        .size:           8
        .value_kind:     hidden_global_offset_z
      - .offset:         3216
        .size:           2
        .value_kind:     hidden_grid_dims
    .group_segment_fixed_size: 0
    .kernarg_segment_align: 8
    .kernarg_segment_size: 3408
    .language:       OpenCL C
    .language_version:
      - 2
      - 0
    .max_flat_workgroup_size: 512
    .name:           _ZN2at6native12_GLOBAL__N_125multi_tensor_apply_kernelINS1_18TensorListMetadataILi2EEENS1_14UnaryOpFunctorIN3c108BFloat16ELi2ELi1ELi1EEEJNS0_5Log1pIfEEEEEvT_T0_DpT1_
    .private_segment_fixed_size: 0
    .sgpr_count:     36
    .sgpr_spill_count: 0
    .symbol:         _ZN2at6native12_GLOBAL__N_125multi_tensor_apply_kernelINS1_18TensorListMetadataILi2EEENS1_14UnaryOpFunctorIN3c108BFloat16ELi2ELi1ELi1EEEJNS0_5Log1pIfEEEEEvT_T0_DpT1_.kd
    .uniform_work_group_size: 1
    .uses_dynamic_stack: false
    .vgpr_count:     60
    .vgpr_spill_count: 0
    .wavefront_size: 64
  - .agpr_count:     0
    .args:
      - .offset:         0
        .size:           3368
        .value_kind:     by_value
      - .offset:         3368
        .size:           1
        .value_kind:     by_value
      - .offset:         3369
        .size:           1
        .value_kind:     by_value
      - .offset:         3376
        .size:           4
        .value_kind:     hidden_block_count_x
      - .offset:         3380
        .size:           4
        .value_kind:     hidden_block_count_y
      - .offset:         3384
        .size:           4
        .value_kind:     hidden_block_count_z
      - .offset:         3388
        .size:           2
        .value_kind:     hidden_group_size_x
      - .offset:         3390
        .size:           2
        .value_kind:     hidden_group_size_y
      - .offset:         3392
        .size:           2
        .value_kind:     hidden_group_size_z
      - .offset:         3394
        .size:           2
        .value_kind:     hidden_remainder_x
      - .offset:         3396
        .size:           2
        .value_kind:     hidden_remainder_y
      - .offset:         3398
        .size:           2
        .value_kind:     hidden_remainder_z
      - .offset:         3416
        .size:           8
        .value_kind:     hidden_global_offset_x
      - .offset:         3424
        .size:           8
        .value_kind:     hidden_global_offset_y
      - .offset:         3432
        .size:           8
        .value_kind:     hidden_global_offset_z
      - .offset:         3440
        .size:           2
        .value_kind:     hidden_grid_dims
    .group_segment_fixed_size: 0
    .kernarg_segment_align: 8
    .kernarg_segment_size: 3632
    .language:       OpenCL C
    .language_version:
      - 2
      - 0
    .max_flat_workgroup_size: 512
    .name:           _ZN2at6native12_GLOBAL__N_125multi_tensor_apply_kernelINS1_18TensorListMetadataILi1EEENS1_14UnaryOpFunctorIdLi1ELi1ELi0EEEJNS0_5Log1pIdEEEEEvT_T0_DpT1_
    .private_segment_fixed_size: 0
    .sgpr_count:     44
    .sgpr_spill_count: 0
    .symbol:         _ZN2at6native12_GLOBAL__N_125multi_tensor_apply_kernelINS1_18TensorListMetadataILi1EEENS1_14UnaryOpFunctorIdLi1ELi1ELi0EEEJNS0_5Log1pIdEEEEEvT_T0_DpT1_.kd
    .uniform_work_group_size: 1
    .uses_dynamic_stack: false
    .vgpr_count:     62
    .vgpr_spill_count: 0
    .wavefront_size: 64
  - .agpr_count:     0
    .args:
      - .offset:         0
        .size:           3368
        .value_kind:     by_value
      - .offset:         3368
        .size:           1
        .value_kind:     by_value
      - .offset:         3369
        .size:           1
        .value_kind:     by_value
      - .offset:         3376
        .size:           4
        .value_kind:     hidden_block_count_x
      - .offset:         3380
        .size:           4
        .value_kind:     hidden_block_count_y
      - .offset:         3384
        .size:           4
        .value_kind:     hidden_block_count_z
      - .offset:         3388
        .size:           2
        .value_kind:     hidden_group_size_x
      - .offset:         3390
        .size:           2
        .value_kind:     hidden_group_size_y
      - .offset:         3392
        .size:           2
        .value_kind:     hidden_group_size_z
      - .offset:         3394
        .size:           2
        .value_kind:     hidden_remainder_x
      - .offset:         3396
        .size:           2
        .value_kind:     hidden_remainder_y
      - .offset:         3398
        .size:           2
        .value_kind:     hidden_remainder_z
      - .offset:         3416
        .size:           8
        .value_kind:     hidden_global_offset_x
      - .offset:         3424
        .size:           8
        .value_kind:     hidden_global_offset_y
      - .offset:         3432
        .size:           8
        .value_kind:     hidden_global_offset_z
      - .offset:         3440
        .size:           2
        .value_kind:     hidden_grid_dims
    .group_segment_fixed_size: 0
    .kernarg_segment_align: 8
    .kernarg_segment_size: 3632
    .language:       OpenCL C
    .language_version:
      - 2
      - 0
    .max_flat_workgroup_size: 512
    .name:           _ZN2at6native12_GLOBAL__N_125multi_tensor_apply_kernelINS1_18TensorListMetadataILi1EEENS1_14UnaryOpFunctorIfLi1ELi1ELi0EEEJNS0_5Log1pIfEEEEEvT_T0_DpT1_
    .private_segment_fixed_size: 0
    .sgpr_count:     38
    .sgpr_spill_count: 0
    .symbol:         _ZN2at6native12_GLOBAL__N_125multi_tensor_apply_kernelINS1_18TensorListMetadataILi1EEENS1_14UnaryOpFunctorIfLi1ELi1ELi0EEEJNS0_5Log1pIfEEEEEvT_T0_DpT1_.kd
    .uniform_work_group_size: 1
    .uses_dynamic_stack: false
    .vgpr_count:     50
    .vgpr_spill_count: 0
    .wavefront_size: 64
  - .agpr_count:     0
    .args:
      - .offset:         0
        .size:           3368
        .value_kind:     by_value
      - .offset:         3368
        .size:           1
        .value_kind:     by_value
      - .offset:         3369
        .size:           1
        .value_kind:     by_value
      - .offset:         3376
        .size:           4
        .value_kind:     hidden_block_count_x
      - .offset:         3380
        .size:           4
        .value_kind:     hidden_block_count_y
      - .offset:         3384
        .size:           4
        .value_kind:     hidden_block_count_z
      - .offset:         3388
        .size:           2
        .value_kind:     hidden_group_size_x
      - .offset:         3390
        .size:           2
        .value_kind:     hidden_group_size_y
      - .offset:         3392
        .size:           2
        .value_kind:     hidden_group_size_z
      - .offset:         3394
        .size:           2
        .value_kind:     hidden_remainder_x
      - .offset:         3396
        .size:           2
        .value_kind:     hidden_remainder_y
      - .offset:         3398
        .size:           2
        .value_kind:     hidden_remainder_z
      - .offset:         3416
        .size:           8
        .value_kind:     hidden_global_offset_x
      - .offset:         3424
        .size:           8
        .value_kind:     hidden_global_offset_y
      - .offset:         3432
        .size:           8
        .value_kind:     hidden_global_offset_z
      - .offset:         3440
        .size:           2
        .value_kind:     hidden_grid_dims
    .group_segment_fixed_size: 0
    .kernarg_segment_align: 8
    .kernarg_segment_size: 3632
    .language:       OpenCL C
    .language_version:
      - 2
      - 0
    .max_flat_workgroup_size: 512
    .name:           _ZN2at6native12_GLOBAL__N_125multi_tensor_apply_kernelINS1_18TensorListMetadataILi1EEENS1_14UnaryOpFunctorIN3c107complexIdEELi1ELi1ELi0EEEJNS0_5Log1pIS8_EEEEEvT_T0_DpT1_
    .private_segment_fixed_size: 0
    .sgpr_count:     99
    .sgpr_spill_count: 0
    .symbol:         _ZN2at6native12_GLOBAL__N_125multi_tensor_apply_kernelINS1_18TensorListMetadataILi1EEENS1_14UnaryOpFunctorIN3c107complexIdEELi1ELi1ELi0EEEJNS0_5Log1pIS8_EEEEEvT_T0_DpT1_.kd
    .uniform_work_group_size: 1
    .uses_dynamic_stack: false
    .vgpr_count:     134
    .vgpr_spill_count: 0
    .wavefront_size: 64
  - .agpr_count:     0
    .args:
      - .offset:         0
        .size:           3368
        .value_kind:     by_value
      - .offset:         3368
        .size:           1
        .value_kind:     by_value
      - .offset:         3369
        .size:           1
        .value_kind:     by_value
      - .offset:         3376
        .size:           4
        .value_kind:     hidden_block_count_x
      - .offset:         3380
        .size:           4
        .value_kind:     hidden_block_count_y
      - .offset:         3384
        .size:           4
        .value_kind:     hidden_block_count_z
      - .offset:         3388
        .size:           2
        .value_kind:     hidden_group_size_x
      - .offset:         3390
        .size:           2
        .value_kind:     hidden_group_size_y
      - .offset:         3392
        .size:           2
        .value_kind:     hidden_group_size_z
      - .offset:         3394
        .size:           2
        .value_kind:     hidden_remainder_x
      - .offset:         3396
        .size:           2
        .value_kind:     hidden_remainder_y
      - .offset:         3398
        .size:           2
        .value_kind:     hidden_remainder_z
      - .offset:         3416
        .size:           8
        .value_kind:     hidden_global_offset_x
      - .offset:         3424
        .size:           8
        .value_kind:     hidden_global_offset_y
      - .offset:         3432
        .size:           8
        .value_kind:     hidden_global_offset_z
      - .offset:         3440
        .size:           2
        .value_kind:     hidden_grid_dims
    .group_segment_fixed_size: 0
    .kernarg_segment_align: 8
    .kernarg_segment_size: 3632
    .language:       OpenCL C
    .language_version:
      - 2
      - 0
    .max_flat_workgroup_size: 512
    .name:           _ZN2at6native12_GLOBAL__N_125multi_tensor_apply_kernelINS1_18TensorListMetadataILi1EEENS1_14UnaryOpFunctorIN3c107complexIfEELi1ELi1ELi0EEEJNS0_5Log1pIS8_EEEEEvT_T0_DpT1_
    .private_segment_fixed_size: 0
    .sgpr_count:     44
    .sgpr_spill_count: 0
    .symbol:         _ZN2at6native12_GLOBAL__N_125multi_tensor_apply_kernelINS1_18TensorListMetadataILi1EEENS1_14UnaryOpFunctorIN3c107complexIfEELi1ELi1ELi0EEEJNS0_5Log1pIS8_EEEEEvT_T0_DpT1_.kd
    .uniform_work_group_size: 1
    .uses_dynamic_stack: false
    .vgpr_count:     66
    .vgpr_spill_count: 0
    .wavefront_size: 64
  - .agpr_count:     0
    .args:
      - .offset:         0
        .size:           3368
        .value_kind:     by_value
      - .offset:         3368
        .size:           1
        .value_kind:     by_value
      - .offset:         3369
        .size:           1
        .value_kind:     by_value
      - .offset:         3376
        .size:           4
        .value_kind:     hidden_block_count_x
      - .offset:         3380
        .size:           4
        .value_kind:     hidden_block_count_y
      - .offset:         3384
        .size:           4
        .value_kind:     hidden_block_count_z
      - .offset:         3388
        .size:           2
        .value_kind:     hidden_group_size_x
      - .offset:         3390
        .size:           2
        .value_kind:     hidden_group_size_y
      - .offset:         3392
        .size:           2
        .value_kind:     hidden_group_size_z
      - .offset:         3394
        .size:           2
        .value_kind:     hidden_remainder_x
      - .offset:         3396
        .size:           2
        .value_kind:     hidden_remainder_y
      - .offset:         3398
        .size:           2
        .value_kind:     hidden_remainder_z
      - .offset:         3416
        .size:           8
        .value_kind:     hidden_global_offset_x
      - .offset:         3424
        .size:           8
        .value_kind:     hidden_global_offset_y
      - .offset:         3432
        .size:           8
        .value_kind:     hidden_global_offset_z
      - .offset:         3440
        .size:           2
        .value_kind:     hidden_grid_dims
    .group_segment_fixed_size: 0
    .kernarg_segment_align: 8
    .kernarg_segment_size: 3632
    .language:       OpenCL C
    .language_version:
      - 2
      - 0
    .max_flat_workgroup_size: 512
    .name:           _ZN2at6native12_GLOBAL__N_125multi_tensor_apply_kernelINS1_18TensorListMetadataILi1EEENS1_14UnaryOpFunctorIN3c104HalfELi1ELi1ELi0EEEJNS0_5Log1pIfEEEEEvT_T0_DpT1_
    .private_segment_fixed_size: 0
    .sgpr_count:     36
    .sgpr_spill_count: 0
    .symbol:         _ZN2at6native12_GLOBAL__N_125multi_tensor_apply_kernelINS1_18TensorListMetadataILi1EEENS1_14UnaryOpFunctorIN3c104HalfELi1ELi1ELi0EEEJNS0_5Log1pIfEEEEEvT_T0_DpT1_.kd
    .uniform_work_group_size: 1
    .uses_dynamic_stack: false
    .vgpr_count:     54
    .vgpr_spill_count: 0
    .wavefront_size: 64
  - .agpr_count:     0
    .args:
      - .offset:         0
        .size:           3368
        .value_kind:     by_value
      - .offset:         3368
        .size:           1
        .value_kind:     by_value
      - .offset:         3369
        .size:           1
        .value_kind:     by_value
      - .offset:         3376
        .size:           4
        .value_kind:     hidden_block_count_x
      - .offset:         3380
        .size:           4
        .value_kind:     hidden_block_count_y
      - .offset:         3384
        .size:           4
        .value_kind:     hidden_block_count_z
      - .offset:         3388
        .size:           2
        .value_kind:     hidden_group_size_x
      - .offset:         3390
        .size:           2
        .value_kind:     hidden_group_size_y
      - .offset:         3392
        .size:           2
        .value_kind:     hidden_group_size_z
      - .offset:         3394
        .size:           2
        .value_kind:     hidden_remainder_x
      - .offset:         3396
        .size:           2
        .value_kind:     hidden_remainder_y
      - .offset:         3398
        .size:           2
        .value_kind:     hidden_remainder_z
      - .offset:         3416
        .size:           8
        .value_kind:     hidden_global_offset_x
      - .offset:         3424
        .size:           8
        .value_kind:     hidden_global_offset_y
      - .offset:         3432
        .size:           8
        .value_kind:     hidden_global_offset_z
      - .offset:         3440
        .size:           2
        .value_kind:     hidden_grid_dims
    .group_segment_fixed_size: 0
    .kernarg_segment_align: 8
    .kernarg_segment_size: 3632
    .language:       OpenCL C
    .language_version:
      - 2
      - 0
    .max_flat_workgroup_size: 512
    .name:           _ZN2at6native12_GLOBAL__N_125multi_tensor_apply_kernelINS1_18TensorListMetadataILi1EEENS1_14UnaryOpFunctorIN3c108BFloat16ELi1ELi1ELi0EEEJNS0_5Log1pIfEEEEEvT_T0_DpT1_
    .private_segment_fixed_size: 0
    .sgpr_count:     38
    .sgpr_spill_count: 0
    .symbol:         _ZN2at6native12_GLOBAL__N_125multi_tensor_apply_kernelINS1_18TensorListMetadataILi1EEENS1_14UnaryOpFunctorIN3c108BFloat16ELi1ELi1ELi0EEEJNS0_5Log1pIfEEEEEvT_T0_DpT1_.kd
    .uniform_work_group_size: 1
    .uses_dynamic_stack: false
    .vgpr_count:     51
    .vgpr_spill_count: 0
    .wavefront_size: 64
  - .agpr_count:     0
    .args:
      - .offset:         0
        .size:           3144
        .value_kind:     by_value
      - .offset:         3144
        .size:           1
        .value_kind:     by_value
      - .offset:         3145
        .size:           1
        .value_kind:     by_value
      - .offset:         3152
        .size:           4
        .value_kind:     hidden_block_count_x
      - .offset:         3156
        .size:           4
        .value_kind:     hidden_block_count_y
      - .offset:         3160
        .size:           4
        .value_kind:     hidden_block_count_z
      - .offset:         3164
        .size:           2
        .value_kind:     hidden_group_size_x
      - .offset:         3166
        .size:           2
        .value_kind:     hidden_group_size_y
      - .offset:         3168
        .size:           2
        .value_kind:     hidden_group_size_z
      - .offset:         3170
        .size:           2
        .value_kind:     hidden_remainder_x
      - .offset:         3172
        .size:           2
        .value_kind:     hidden_remainder_y
      - .offset:         3174
        .size:           2
        .value_kind:     hidden_remainder_z
      - .offset:         3192
        .size:           8
        .value_kind:     hidden_global_offset_x
      - .offset:         3200
        .size:           8
        .value_kind:     hidden_global_offset_y
      - .offset:         3208
        .size:           8
        .value_kind:     hidden_global_offset_z
      - .offset:         3216
        .size:           2
        .value_kind:     hidden_grid_dims
    .group_segment_fixed_size: 0
    .kernarg_segment_align: 8
    .kernarg_segment_size: 3408
    .language:       OpenCL C
    .language_version:
      - 2
      - 0
    .max_flat_workgroup_size: 512
    .name:           _ZN2at6native12_GLOBAL__N_125multi_tensor_apply_kernelINS1_18TensorListMetadataILi2EEENS1_14UnaryOpFunctorIdLi2ELi1ELi1EEEJNS0_3CosIdEEEEEvT_T0_DpT1_
    .private_segment_fixed_size: 0
    .sgpr_count:     78
    .sgpr_spill_count: 0
    .symbol:         _ZN2at6native12_GLOBAL__N_125multi_tensor_apply_kernelINS1_18TensorListMetadataILi2EEENS1_14UnaryOpFunctorIdLi2ELi1ELi1EEEJNS0_3CosIdEEEEEvT_T0_DpT1_.kd
    .uniform_work_group_size: 1
    .uses_dynamic_stack: false
    .vgpr_count:     92
    .vgpr_spill_count: 0
    .wavefront_size: 64
  - .agpr_count:     0
    .args:
      - .offset:         0
        .size:           3144
        .value_kind:     by_value
      - .offset:         3144
        .size:           1
        .value_kind:     by_value
      - .offset:         3145
        .size:           1
        .value_kind:     by_value
      - .offset:         3152
        .size:           4
        .value_kind:     hidden_block_count_x
      - .offset:         3156
        .size:           4
        .value_kind:     hidden_block_count_y
      - .offset:         3160
        .size:           4
        .value_kind:     hidden_block_count_z
      - .offset:         3164
        .size:           2
        .value_kind:     hidden_group_size_x
      - .offset:         3166
        .size:           2
        .value_kind:     hidden_group_size_y
      - .offset:         3168
        .size:           2
        .value_kind:     hidden_group_size_z
      - .offset:         3170
        .size:           2
        .value_kind:     hidden_remainder_x
      - .offset:         3172
        .size:           2
        .value_kind:     hidden_remainder_y
      - .offset:         3174
        .size:           2
        .value_kind:     hidden_remainder_z
      - .offset:         3192
        .size:           8
        .value_kind:     hidden_global_offset_x
      - .offset:         3200
        .size:           8
        .value_kind:     hidden_global_offset_y
      - .offset:         3208
        .size:           8
        .value_kind:     hidden_global_offset_z
      - .offset:         3216
        .size:           2
        .value_kind:     hidden_grid_dims
    .group_segment_fixed_size: 0
    .kernarg_segment_align: 8
    .kernarg_segment_size: 3408
    .language:       OpenCL C
    .language_version:
      - 2
      - 0
    .max_flat_workgroup_size: 512
    .name:           _ZN2at6native12_GLOBAL__N_125multi_tensor_apply_kernelINS1_18TensorListMetadataILi2EEENS1_14UnaryOpFunctorIfLi2ELi1ELi1EEEJNS0_3CosIfEEEEEvT_T0_DpT1_
    .private_segment_fixed_size: 0
    .sgpr_count:     48
    .sgpr_spill_count: 0
    .symbol:         _ZN2at6native12_GLOBAL__N_125multi_tensor_apply_kernelINS1_18TensorListMetadataILi2EEENS1_14UnaryOpFunctorIfLi2ELi1ELi1EEEJNS0_3CosIfEEEEEvT_T0_DpT1_.kd
    .uniform_work_group_size: 1
    .uses_dynamic_stack: false
    .vgpr_count:     56
    .vgpr_spill_count: 0
    .wavefront_size: 64
  - .agpr_count:     0
    .args:
      - .offset:         0
        .size:           3144
        .value_kind:     by_value
      - .offset:         3144
        .size:           1
        .value_kind:     by_value
      - .offset:         3145
        .size:           1
        .value_kind:     by_value
      - .offset:         3152
        .size:           4
        .value_kind:     hidden_block_count_x
      - .offset:         3156
        .size:           4
        .value_kind:     hidden_block_count_y
      - .offset:         3160
        .size:           4
        .value_kind:     hidden_block_count_z
      - .offset:         3164
        .size:           2
        .value_kind:     hidden_group_size_x
      - .offset:         3166
        .size:           2
        .value_kind:     hidden_group_size_y
      - .offset:         3168
        .size:           2
        .value_kind:     hidden_group_size_z
      - .offset:         3170
        .size:           2
        .value_kind:     hidden_remainder_x
      - .offset:         3172
        .size:           2
        .value_kind:     hidden_remainder_y
      - .offset:         3174
        .size:           2
        .value_kind:     hidden_remainder_z
      - .offset:         3192
        .size:           8
        .value_kind:     hidden_global_offset_x
      - .offset:         3200
        .size:           8
        .value_kind:     hidden_global_offset_y
      - .offset:         3208
        .size:           8
        .value_kind:     hidden_global_offset_z
      - .offset:         3216
        .size:           2
        .value_kind:     hidden_grid_dims
    .group_segment_fixed_size: 0
    .kernarg_segment_align: 8
    .kernarg_segment_size: 3408
    .language:       OpenCL C
    .language_version:
      - 2
      - 0
    .max_flat_workgroup_size: 512
    .name:           _ZN2at6native12_GLOBAL__N_125multi_tensor_apply_kernelINS1_18TensorListMetadataILi2EEENS1_14UnaryOpFunctorIN3c107complexIdEELi2ELi1ELi1EEEJNS0_3CosIS8_EEEEEvT_T0_DpT1_
    .private_segment_fixed_size: 8
    .sgpr_count:     71
    .sgpr_spill_count: 0
    .symbol:         _ZN2at6native12_GLOBAL__N_125multi_tensor_apply_kernelINS1_18TensorListMetadataILi2EEENS1_14UnaryOpFunctorIN3c107complexIdEELi2ELi1ELi1EEEJNS0_3CosIS8_EEEEEvT_T0_DpT1_.kd
    .uniform_work_group_size: 1
    .uses_dynamic_stack: false
    .vgpr_count:     72
    .vgpr_spill_count: 0
    .wavefront_size: 64
  - .agpr_count:     0
    .args:
      - .offset:         0
        .size:           3144
        .value_kind:     by_value
      - .offset:         3144
        .size:           1
        .value_kind:     by_value
      - .offset:         3145
        .size:           1
        .value_kind:     by_value
      - .offset:         3152
        .size:           4
        .value_kind:     hidden_block_count_x
      - .offset:         3156
        .size:           4
        .value_kind:     hidden_block_count_y
      - .offset:         3160
        .size:           4
        .value_kind:     hidden_block_count_z
      - .offset:         3164
        .size:           2
        .value_kind:     hidden_group_size_x
      - .offset:         3166
        .size:           2
        .value_kind:     hidden_group_size_y
      - .offset:         3168
        .size:           2
        .value_kind:     hidden_group_size_z
      - .offset:         3170
        .size:           2
        .value_kind:     hidden_remainder_x
      - .offset:         3172
        .size:           2
        .value_kind:     hidden_remainder_y
      - .offset:         3174
        .size:           2
        .value_kind:     hidden_remainder_z
      - .offset:         3192
        .size:           8
        .value_kind:     hidden_global_offset_x
      - .offset:         3200
        .size:           8
        .value_kind:     hidden_global_offset_y
      - .offset:         3208
        .size:           8
        .value_kind:     hidden_global_offset_z
      - .offset:         3216
        .size:           2
        .value_kind:     hidden_grid_dims
    .group_segment_fixed_size: 0
    .kernarg_segment_align: 8
    .kernarg_segment_size: 3408
    .language:       OpenCL C
    .language_version:
      - 2
      - 0
    .max_flat_workgroup_size: 512
    .name:           _ZN2at6native12_GLOBAL__N_125multi_tensor_apply_kernelINS1_18TensorListMetadataILi2EEENS1_14UnaryOpFunctorIN3c107complexIfEELi2ELi1ELi1EEEJNS0_3CosIS8_EEEEEvT_T0_DpT1_
    .private_segment_fixed_size: 0
    .sgpr_count:     60
    .sgpr_spill_count: 0
    .symbol:         _ZN2at6native12_GLOBAL__N_125multi_tensor_apply_kernelINS1_18TensorListMetadataILi2EEENS1_14UnaryOpFunctorIN3c107complexIfEELi2ELi1ELi1EEEJNS0_3CosIS8_EEEEEvT_T0_DpT1_.kd
    .uniform_work_group_size: 1
    .uses_dynamic_stack: false
    .vgpr_count:     47
    .vgpr_spill_count: 0
    .wavefront_size: 64
  - .agpr_count:     0
    .args:
      - .offset:         0
        .size:           3144
        .value_kind:     by_value
      - .offset:         3144
        .size:           1
        .value_kind:     by_value
      - .offset:         3145
        .size:           1
        .value_kind:     by_value
      - .offset:         3152
        .size:           4
        .value_kind:     hidden_block_count_x
      - .offset:         3156
        .size:           4
        .value_kind:     hidden_block_count_y
      - .offset:         3160
        .size:           4
        .value_kind:     hidden_block_count_z
      - .offset:         3164
        .size:           2
        .value_kind:     hidden_group_size_x
      - .offset:         3166
        .size:           2
        .value_kind:     hidden_group_size_y
      - .offset:         3168
        .size:           2
        .value_kind:     hidden_group_size_z
      - .offset:         3170
        .size:           2
        .value_kind:     hidden_remainder_x
      - .offset:         3172
        .size:           2
        .value_kind:     hidden_remainder_y
      - .offset:         3174
        .size:           2
        .value_kind:     hidden_remainder_z
      - .offset:         3192
        .size:           8
        .value_kind:     hidden_global_offset_x
      - .offset:         3200
        .size:           8
        .value_kind:     hidden_global_offset_y
      - .offset:         3208
        .size:           8
        .value_kind:     hidden_global_offset_z
      - .offset:         3216
        .size:           2
        .value_kind:     hidden_grid_dims
    .group_segment_fixed_size: 0
    .kernarg_segment_align: 8
    .kernarg_segment_size: 3408
    .language:       OpenCL C
    .language_version:
      - 2
      - 0
    .max_flat_workgroup_size: 512
    .name:           _ZN2at6native12_GLOBAL__N_125multi_tensor_apply_kernelINS1_18TensorListMetadataILi2EEENS1_14UnaryOpFunctorIN3c104HalfELi2ELi1ELi1EEEJNS0_3CosIfEEEEEvT_T0_DpT1_
    .private_segment_fixed_size: 0
    .sgpr_count:     46
    .sgpr_spill_count: 0
    .symbol:         _ZN2at6native12_GLOBAL__N_125multi_tensor_apply_kernelINS1_18TensorListMetadataILi2EEENS1_14UnaryOpFunctorIN3c104HalfELi2ELi1ELi1EEEJNS0_3CosIfEEEEEvT_T0_DpT1_.kd
    .uniform_work_group_size: 1
    .uses_dynamic_stack: false
    .vgpr_count:     56
    .vgpr_spill_count: 0
    .wavefront_size: 64
  - .agpr_count:     0
    .args:
      - .offset:         0
        .size:           3144
        .value_kind:     by_value
      - .offset:         3144
        .size:           1
        .value_kind:     by_value
      - .offset:         3145
        .size:           1
        .value_kind:     by_value
      - .offset:         3152
        .size:           4
        .value_kind:     hidden_block_count_x
      - .offset:         3156
        .size:           4
        .value_kind:     hidden_block_count_y
      - .offset:         3160
        .size:           4
        .value_kind:     hidden_block_count_z
      - .offset:         3164
        .size:           2
        .value_kind:     hidden_group_size_x
      - .offset:         3166
        .size:           2
        .value_kind:     hidden_group_size_y
      - .offset:         3168
        .size:           2
        .value_kind:     hidden_group_size_z
      - .offset:         3170
        .size:           2
        .value_kind:     hidden_remainder_x
      - .offset:         3172
        .size:           2
        .value_kind:     hidden_remainder_y
      - .offset:         3174
        .size:           2
        .value_kind:     hidden_remainder_z
      - .offset:         3192
        .size:           8
        .value_kind:     hidden_global_offset_x
      - .offset:         3200
        .size:           8
        .value_kind:     hidden_global_offset_y
      - .offset:         3208
        .size:           8
        .value_kind:     hidden_global_offset_z
      - .offset:         3216
        .size:           2
        .value_kind:     hidden_grid_dims
    .group_segment_fixed_size: 0
    .kernarg_segment_align: 8
    .kernarg_segment_size: 3408
    .language:       OpenCL C
    .language_version:
      - 2
      - 0
    .max_flat_workgroup_size: 512
    .name:           _ZN2at6native12_GLOBAL__N_125multi_tensor_apply_kernelINS1_18TensorListMetadataILi2EEENS1_14UnaryOpFunctorIN3c108BFloat16ELi2ELi1ELi1EEEJNS0_3CosIfEEEEEvT_T0_DpT1_
    .private_segment_fixed_size: 0
    .sgpr_count:     46
    .sgpr_spill_count: 0
    .symbol:         _ZN2at6native12_GLOBAL__N_125multi_tensor_apply_kernelINS1_18TensorListMetadataILi2EEENS1_14UnaryOpFunctorIN3c108BFloat16ELi2ELi1ELi1EEEJNS0_3CosIfEEEEEvT_T0_DpT1_.kd
    .uniform_work_group_size: 1
    .uses_dynamic_stack: false
    .vgpr_count:     57
    .vgpr_spill_count: 0
    .wavefront_size: 64
  - .agpr_count:     0
    .args:
      - .offset:         0
        .size:           3368
        .value_kind:     by_value
      - .offset:         3368
        .size:           1
        .value_kind:     by_value
      - .offset:         3369
        .size:           1
        .value_kind:     by_value
      - .offset:         3376
        .size:           4
        .value_kind:     hidden_block_count_x
      - .offset:         3380
        .size:           4
        .value_kind:     hidden_block_count_y
      - .offset:         3384
        .size:           4
        .value_kind:     hidden_block_count_z
      - .offset:         3388
        .size:           2
        .value_kind:     hidden_group_size_x
      - .offset:         3390
        .size:           2
        .value_kind:     hidden_group_size_y
      - .offset:         3392
        .size:           2
        .value_kind:     hidden_group_size_z
      - .offset:         3394
        .size:           2
        .value_kind:     hidden_remainder_x
      - .offset:         3396
        .size:           2
        .value_kind:     hidden_remainder_y
      - .offset:         3398
        .size:           2
        .value_kind:     hidden_remainder_z
      - .offset:         3416
        .size:           8
        .value_kind:     hidden_global_offset_x
      - .offset:         3424
        .size:           8
        .value_kind:     hidden_global_offset_y
      - .offset:         3432
        .size:           8
        .value_kind:     hidden_global_offset_z
      - .offset:         3440
        .size:           2
        .value_kind:     hidden_grid_dims
    .group_segment_fixed_size: 0
    .kernarg_segment_align: 8
    .kernarg_segment_size: 3632
    .language:       OpenCL C
    .language_version:
      - 2
      - 0
    .max_flat_workgroup_size: 512
    .name:           _ZN2at6native12_GLOBAL__N_125multi_tensor_apply_kernelINS1_18TensorListMetadataILi1EEENS1_14UnaryOpFunctorIdLi1ELi1ELi0EEEJNS0_3CosIdEEEEEvT_T0_DpT1_
    .private_segment_fixed_size: 0
    .sgpr_count:     65
    .sgpr_spill_count: 0
    .symbol:         _ZN2at6native12_GLOBAL__N_125multi_tensor_apply_kernelINS1_18TensorListMetadataILi1EEENS1_14UnaryOpFunctorIdLi1ELi1ELi0EEEJNS0_3CosIdEEEEEvT_T0_DpT1_.kd
    .uniform_work_group_size: 1
    .uses_dynamic_stack: false
    .vgpr_count:     80
    .vgpr_spill_count: 0
    .wavefront_size: 64
  - .agpr_count:     0
    .args:
      - .offset:         0
        .size:           3368
        .value_kind:     by_value
      - .offset:         3368
        .size:           1
        .value_kind:     by_value
      - .offset:         3369
        .size:           1
        .value_kind:     by_value
      - .offset:         3376
        .size:           4
        .value_kind:     hidden_block_count_x
      - .offset:         3380
        .size:           4
        .value_kind:     hidden_block_count_y
      - .offset:         3384
        .size:           4
        .value_kind:     hidden_block_count_z
      - .offset:         3388
        .size:           2
        .value_kind:     hidden_group_size_x
      - .offset:         3390
        .size:           2
        .value_kind:     hidden_group_size_y
      - .offset:         3392
        .size:           2
        .value_kind:     hidden_group_size_z
      - .offset:         3394
        .size:           2
        .value_kind:     hidden_remainder_x
      - .offset:         3396
        .size:           2
        .value_kind:     hidden_remainder_y
      - .offset:         3398
        .size:           2
        .value_kind:     hidden_remainder_z
      - .offset:         3416
        .size:           8
        .value_kind:     hidden_global_offset_x
      - .offset:         3424
        .size:           8
        .value_kind:     hidden_global_offset_y
      - .offset:         3432
        .size:           8
        .value_kind:     hidden_global_offset_z
      - .offset:         3440
        .size:           2
        .value_kind:     hidden_grid_dims
    .group_segment_fixed_size: 0
    .kernarg_segment_align: 8
    .kernarg_segment_size: 3632
    .language:       OpenCL C
    .language_version:
      - 2
      - 0
    .max_flat_workgroup_size: 512
    .name:           _ZN2at6native12_GLOBAL__N_125multi_tensor_apply_kernelINS1_18TensorListMetadataILi1EEENS1_14UnaryOpFunctorIfLi1ELi1ELi0EEEJNS0_3CosIfEEEEEvT_T0_DpT1_
    .private_segment_fixed_size: 0
    .sgpr_count:     52
    .sgpr_spill_count: 0
    .symbol:         _ZN2at6native12_GLOBAL__N_125multi_tensor_apply_kernelINS1_18TensorListMetadataILi1EEENS1_14UnaryOpFunctorIfLi1ELi1ELi0EEEJNS0_3CosIfEEEEEvT_T0_DpT1_.kd
    .uniform_work_group_size: 1
    .uses_dynamic_stack: false
    .vgpr_count:     44
    .vgpr_spill_count: 0
    .wavefront_size: 64
  - .agpr_count:     0
    .args:
      - .offset:         0
        .size:           3368
        .value_kind:     by_value
      - .offset:         3368
        .size:           1
        .value_kind:     by_value
      - .offset:         3369
        .size:           1
        .value_kind:     by_value
      - .offset:         3376
        .size:           4
        .value_kind:     hidden_block_count_x
      - .offset:         3380
        .size:           4
        .value_kind:     hidden_block_count_y
      - .offset:         3384
        .size:           4
        .value_kind:     hidden_block_count_z
      - .offset:         3388
        .size:           2
        .value_kind:     hidden_group_size_x
      - .offset:         3390
        .size:           2
        .value_kind:     hidden_group_size_y
      - .offset:         3392
        .size:           2
        .value_kind:     hidden_group_size_z
      - .offset:         3394
        .size:           2
        .value_kind:     hidden_remainder_x
      - .offset:         3396
        .size:           2
        .value_kind:     hidden_remainder_y
      - .offset:         3398
        .size:           2
        .value_kind:     hidden_remainder_z
      - .offset:         3416
        .size:           8
        .value_kind:     hidden_global_offset_x
      - .offset:         3424
        .size:           8
        .value_kind:     hidden_global_offset_y
      - .offset:         3432
        .size:           8
        .value_kind:     hidden_global_offset_z
      - .offset:         3440
        .size:           2
        .value_kind:     hidden_grid_dims
    .group_segment_fixed_size: 0
    .kernarg_segment_align: 8
    .kernarg_segment_size: 3632
    .language:       OpenCL C
    .language_version:
      - 2
      - 0
    .max_flat_workgroup_size: 512
    .name:           _ZN2at6native12_GLOBAL__N_125multi_tensor_apply_kernelINS1_18TensorListMetadataILi1EEENS1_14UnaryOpFunctorIN3c107complexIdEELi1ELi1ELi0EEEJNS0_3CosIS8_EEEEEvT_T0_DpT1_
    .private_segment_fixed_size: 8
    .sgpr_count:     69
    .sgpr_spill_count: 0
    .symbol:         _ZN2at6native12_GLOBAL__N_125multi_tensor_apply_kernelINS1_18TensorListMetadataILi1EEENS1_14UnaryOpFunctorIN3c107complexIdEELi1ELi1ELi0EEEJNS0_3CosIS8_EEEEEvT_T0_DpT1_.kd
    .uniform_work_group_size: 1
    .uses_dynamic_stack: false
    .vgpr_count:     66
    .vgpr_spill_count: 0
    .wavefront_size: 64
  - .agpr_count:     0
    .args:
      - .offset:         0
        .size:           3368
        .value_kind:     by_value
      - .offset:         3368
        .size:           1
        .value_kind:     by_value
      - .offset:         3369
        .size:           1
        .value_kind:     by_value
      - .offset:         3376
        .size:           4
        .value_kind:     hidden_block_count_x
      - .offset:         3380
        .size:           4
        .value_kind:     hidden_block_count_y
      - .offset:         3384
        .size:           4
        .value_kind:     hidden_block_count_z
      - .offset:         3388
        .size:           2
        .value_kind:     hidden_group_size_x
      - .offset:         3390
        .size:           2
        .value_kind:     hidden_group_size_y
      - .offset:         3392
        .size:           2
        .value_kind:     hidden_group_size_z
      - .offset:         3394
        .size:           2
        .value_kind:     hidden_remainder_x
      - .offset:         3396
        .size:           2
        .value_kind:     hidden_remainder_y
      - .offset:         3398
        .size:           2
        .value_kind:     hidden_remainder_z
      - .offset:         3416
        .size:           8
        .value_kind:     hidden_global_offset_x
      - .offset:         3424
        .size:           8
        .value_kind:     hidden_global_offset_y
      - .offset:         3432
        .size:           8
        .value_kind:     hidden_global_offset_z
      - .offset:         3440
        .size:           2
        .value_kind:     hidden_grid_dims
    .group_segment_fixed_size: 0
    .kernarg_segment_align: 8
    .kernarg_segment_size: 3632
    .language:       OpenCL C
    .language_version:
      - 2
      - 0
    .max_flat_workgroup_size: 512
    .name:           _ZN2at6native12_GLOBAL__N_125multi_tensor_apply_kernelINS1_18TensorListMetadataILi1EEENS1_14UnaryOpFunctorIN3c107complexIfEELi1ELi1ELi0EEEJNS0_3CosIS8_EEEEEvT_T0_DpT1_
    .private_segment_fixed_size: 0
    .sgpr_count:     59
    .sgpr_spill_count: 0
    .symbol:         _ZN2at6native12_GLOBAL__N_125multi_tensor_apply_kernelINS1_18TensorListMetadataILi1EEENS1_14UnaryOpFunctorIN3c107complexIfEELi1ELi1ELi0EEEJNS0_3CosIS8_EEEEEvT_T0_DpT1_.kd
    .uniform_work_group_size: 1
    .uses_dynamic_stack: false
    .vgpr_count:     43
    .vgpr_spill_count: 0
    .wavefront_size: 64
  - .agpr_count:     0
    .args:
      - .offset:         0
        .size:           3368
        .value_kind:     by_value
      - .offset:         3368
        .size:           1
        .value_kind:     by_value
      - .offset:         3369
        .size:           1
        .value_kind:     by_value
      - .offset:         3376
        .size:           4
        .value_kind:     hidden_block_count_x
      - .offset:         3380
        .size:           4
        .value_kind:     hidden_block_count_y
      - .offset:         3384
        .size:           4
        .value_kind:     hidden_block_count_z
      - .offset:         3388
        .size:           2
        .value_kind:     hidden_group_size_x
      - .offset:         3390
        .size:           2
        .value_kind:     hidden_group_size_y
      - .offset:         3392
        .size:           2
        .value_kind:     hidden_group_size_z
      - .offset:         3394
        .size:           2
        .value_kind:     hidden_remainder_x
      - .offset:         3396
        .size:           2
        .value_kind:     hidden_remainder_y
      - .offset:         3398
        .size:           2
        .value_kind:     hidden_remainder_z
      - .offset:         3416
        .size:           8
        .value_kind:     hidden_global_offset_x
      - .offset:         3424
        .size:           8
        .value_kind:     hidden_global_offset_y
      - .offset:         3432
        .size:           8
        .value_kind:     hidden_global_offset_z
      - .offset:         3440
        .size:           2
        .value_kind:     hidden_grid_dims
    .group_segment_fixed_size: 0
    .kernarg_segment_align: 8
    .kernarg_segment_size: 3632
    .language:       OpenCL C
    .language_version:
      - 2
      - 0
    .max_flat_workgroup_size: 512
    .name:           _ZN2at6native12_GLOBAL__N_125multi_tensor_apply_kernelINS1_18TensorListMetadataILi1EEENS1_14UnaryOpFunctorIN3c104HalfELi1ELi1ELi0EEEJNS0_3CosIfEEEEEvT_T0_DpT1_
    .private_segment_fixed_size: 0
    .sgpr_count:     49
    .sgpr_spill_count: 0
    .symbol:         _ZN2at6native12_GLOBAL__N_125multi_tensor_apply_kernelINS1_18TensorListMetadataILi1EEENS1_14UnaryOpFunctorIN3c104HalfELi1ELi1ELi0EEEJNS0_3CosIfEEEEEvT_T0_DpT1_.kd
    .uniform_work_group_size: 1
    .uses_dynamic_stack: false
    .vgpr_count:     44
    .vgpr_spill_count: 0
    .wavefront_size: 64
  - .agpr_count:     0
    .args:
      - .offset:         0
        .size:           3368
        .value_kind:     by_value
      - .offset:         3368
        .size:           1
        .value_kind:     by_value
      - .offset:         3369
        .size:           1
        .value_kind:     by_value
      - .offset:         3376
        .size:           4
        .value_kind:     hidden_block_count_x
      - .offset:         3380
        .size:           4
        .value_kind:     hidden_block_count_y
      - .offset:         3384
        .size:           4
        .value_kind:     hidden_block_count_z
      - .offset:         3388
        .size:           2
        .value_kind:     hidden_group_size_x
      - .offset:         3390
        .size:           2
        .value_kind:     hidden_group_size_y
      - .offset:         3392
        .size:           2
        .value_kind:     hidden_group_size_z
      - .offset:         3394
        .size:           2
        .value_kind:     hidden_remainder_x
      - .offset:         3396
        .size:           2
        .value_kind:     hidden_remainder_y
      - .offset:         3398
        .size:           2
        .value_kind:     hidden_remainder_z
      - .offset:         3416
        .size:           8
        .value_kind:     hidden_global_offset_x
      - .offset:         3424
        .size:           8
        .value_kind:     hidden_global_offset_y
      - .offset:         3432
        .size:           8
        .value_kind:     hidden_global_offset_z
      - .offset:         3440
        .size:           2
        .value_kind:     hidden_grid_dims
    .group_segment_fixed_size: 0
    .kernarg_segment_align: 8
    .kernarg_segment_size: 3632
    .language:       OpenCL C
    .language_version:
      - 2
      - 0
    .max_flat_workgroup_size: 512
    .name:           _ZN2at6native12_GLOBAL__N_125multi_tensor_apply_kernelINS1_18TensorListMetadataILi1EEENS1_14UnaryOpFunctorIN3c108BFloat16ELi1ELi1ELi0EEEJNS0_3CosIfEEEEEvT_T0_DpT1_
    .private_segment_fixed_size: 0
    .sgpr_count:     52
    .sgpr_spill_count: 0
    .symbol:         _ZN2at6native12_GLOBAL__N_125multi_tensor_apply_kernelINS1_18TensorListMetadataILi1EEENS1_14UnaryOpFunctorIN3c108BFloat16ELi1ELi1ELi0EEEJNS0_3CosIfEEEEEvT_T0_DpT1_.kd
    .uniform_work_group_size: 1
    .uses_dynamic_stack: false
    .vgpr_count:     45
    .vgpr_spill_count: 0
    .wavefront_size: 64
  - .agpr_count:     0
    .args:
      - .offset:         0
        .size:           3144
        .value_kind:     by_value
      - .offset:         3144
        .size:           1
        .value_kind:     by_value
      - .offset:         3145
        .size:           1
        .value_kind:     by_value
      - .offset:         3152
        .size:           4
        .value_kind:     hidden_block_count_x
      - .offset:         3156
        .size:           4
        .value_kind:     hidden_block_count_y
      - .offset:         3160
        .size:           4
        .value_kind:     hidden_block_count_z
      - .offset:         3164
        .size:           2
        .value_kind:     hidden_group_size_x
      - .offset:         3166
        .size:           2
        .value_kind:     hidden_group_size_y
      - .offset:         3168
        .size:           2
        .value_kind:     hidden_group_size_z
      - .offset:         3170
        .size:           2
        .value_kind:     hidden_remainder_x
      - .offset:         3172
        .size:           2
        .value_kind:     hidden_remainder_y
      - .offset:         3174
        .size:           2
        .value_kind:     hidden_remainder_z
      - .offset:         3192
        .size:           8
        .value_kind:     hidden_global_offset_x
      - .offset:         3200
        .size:           8
        .value_kind:     hidden_global_offset_y
      - .offset:         3208
        .size:           8
        .value_kind:     hidden_global_offset_z
      - .offset:         3216
        .size:           2
        .value_kind:     hidden_grid_dims
    .group_segment_fixed_size: 0
    .kernarg_segment_align: 8
    .kernarg_segment_size: 3408
    .language:       OpenCL C
    .language_version:
      - 2
      - 0
    .max_flat_workgroup_size: 512
    .name:           _ZN2at6native12_GLOBAL__N_125multi_tensor_apply_kernelINS1_18TensorListMetadataILi2EEENS1_14UnaryOpFunctorIdLi2ELi1ELi1EEEJNS0_4SqrtIdEEEEEvT_T0_DpT1_
    .private_segment_fixed_size: 0
    .sgpr_count:     34
    .sgpr_spill_count: 0
    .symbol:         _ZN2at6native12_GLOBAL__N_125multi_tensor_apply_kernelINS1_18TensorListMetadataILi2EEENS1_14UnaryOpFunctorIdLi2ELi1ELi1EEEJNS0_4SqrtIdEEEEEvT_T0_DpT1_.kd
    .uniform_work_group_size: 1
    .uses_dynamic_stack: false
    .vgpr_count:     46
    .vgpr_spill_count: 0
    .wavefront_size: 64
  - .agpr_count:     0
    .args:
      - .offset:         0
        .size:           3144
        .value_kind:     by_value
      - .offset:         3144
        .size:           1
        .value_kind:     by_value
      - .offset:         3145
        .size:           1
        .value_kind:     by_value
      - .offset:         3152
        .size:           4
        .value_kind:     hidden_block_count_x
      - .offset:         3156
        .size:           4
        .value_kind:     hidden_block_count_y
      - .offset:         3160
        .size:           4
        .value_kind:     hidden_block_count_z
      - .offset:         3164
        .size:           2
        .value_kind:     hidden_group_size_x
      - .offset:         3166
        .size:           2
        .value_kind:     hidden_group_size_y
      - .offset:         3168
        .size:           2
        .value_kind:     hidden_group_size_z
      - .offset:         3170
        .size:           2
        .value_kind:     hidden_remainder_x
      - .offset:         3172
        .size:           2
        .value_kind:     hidden_remainder_y
      - .offset:         3174
        .size:           2
        .value_kind:     hidden_remainder_z
      - .offset:         3192
        .size:           8
        .value_kind:     hidden_global_offset_x
      - .offset:         3200
        .size:           8
        .value_kind:     hidden_global_offset_y
      - .offset:         3208
        .size:           8
        .value_kind:     hidden_global_offset_z
      - .offset:         3216
        .size:           2
        .value_kind:     hidden_grid_dims
    .group_segment_fixed_size: 0
    .kernarg_segment_align: 8
    .kernarg_segment_size: 3408
    .language:       OpenCL C
    .language_version:
      - 2
      - 0
    .max_flat_workgroup_size: 512
    .name:           _ZN2at6native12_GLOBAL__N_125multi_tensor_apply_kernelINS1_18TensorListMetadataILi2EEENS1_14UnaryOpFunctorIfLi2ELi1ELi1EEEJNS0_4SqrtIfEEEEEvT_T0_DpT1_
    .private_segment_fixed_size: 0
    .sgpr_count:     38
    .sgpr_spill_count: 0
    .symbol:         _ZN2at6native12_GLOBAL__N_125multi_tensor_apply_kernelINS1_18TensorListMetadataILi2EEENS1_14UnaryOpFunctorIfLi2ELi1ELi1EEEJNS0_4SqrtIfEEEEEvT_T0_DpT1_.kd
    .uniform_work_group_size: 1
    .uses_dynamic_stack: false
    .vgpr_count:     36
    .vgpr_spill_count: 0
    .wavefront_size: 64
  - .agpr_count:     0
    .args:
      - .offset:         0
        .size:           3144
        .value_kind:     by_value
      - .offset:         3144
        .size:           1
        .value_kind:     by_value
      - .offset:         3145
        .size:           1
        .value_kind:     by_value
      - .offset:         3152
        .size:           4
        .value_kind:     hidden_block_count_x
      - .offset:         3156
        .size:           4
        .value_kind:     hidden_block_count_y
      - .offset:         3160
        .size:           4
        .value_kind:     hidden_block_count_z
      - .offset:         3164
        .size:           2
        .value_kind:     hidden_group_size_x
      - .offset:         3166
        .size:           2
        .value_kind:     hidden_group_size_y
      - .offset:         3168
        .size:           2
        .value_kind:     hidden_group_size_z
      - .offset:         3170
        .size:           2
        .value_kind:     hidden_remainder_x
      - .offset:         3172
        .size:           2
        .value_kind:     hidden_remainder_y
      - .offset:         3174
        .size:           2
        .value_kind:     hidden_remainder_z
      - .offset:         3192
        .size:           8
        .value_kind:     hidden_global_offset_x
      - .offset:         3200
        .size:           8
        .value_kind:     hidden_global_offset_y
      - .offset:         3208
        .size:           8
        .value_kind:     hidden_global_offset_z
      - .offset:         3216
        .size:           2
        .value_kind:     hidden_grid_dims
    .group_segment_fixed_size: 0
    .kernarg_segment_align: 8
    .kernarg_segment_size: 3408
    .language:       OpenCL C
    .language_version:
      - 2
      - 0
    .max_flat_workgroup_size: 512
    .name:           _ZN2at6native12_GLOBAL__N_125multi_tensor_apply_kernelINS1_18TensorListMetadataILi2EEENS1_14UnaryOpFunctorIN3c107complexIdEELi2ELi1ELi1EEEJNS0_4SqrtIS8_EEEEEvT_T0_DpT1_
    .private_segment_fixed_size: 0
    .sgpr_count:     60
    .sgpr_spill_count: 0
    .symbol:         _ZN2at6native12_GLOBAL__N_125multi_tensor_apply_kernelINS1_18TensorListMetadataILi2EEENS1_14UnaryOpFunctorIN3c107complexIdEELi2ELi1ELi1EEEJNS0_4SqrtIS8_EEEEEvT_T0_DpT1_.kd
    .uniform_work_group_size: 1
    .uses_dynamic_stack: false
    .vgpr_count:     50
    .vgpr_spill_count: 0
    .wavefront_size: 64
  - .agpr_count:     0
    .args:
      - .offset:         0
        .size:           3144
        .value_kind:     by_value
      - .offset:         3144
        .size:           1
        .value_kind:     by_value
      - .offset:         3145
        .size:           1
        .value_kind:     by_value
      - .offset:         3152
        .size:           4
        .value_kind:     hidden_block_count_x
      - .offset:         3156
        .size:           4
        .value_kind:     hidden_block_count_y
      - .offset:         3160
        .size:           4
        .value_kind:     hidden_block_count_z
      - .offset:         3164
        .size:           2
        .value_kind:     hidden_group_size_x
      - .offset:         3166
        .size:           2
        .value_kind:     hidden_group_size_y
      - .offset:         3168
        .size:           2
        .value_kind:     hidden_group_size_z
      - .offset:         3170
        .size:           2
        .value_kind:     hidden_remainder_x
      - .offset:         3172
        .size:           2
        .value_kind:     hidden_remainder_y
      - .offset:         3174
        .size:           2
        .value_kind:     hidden_remainder_z
      - .offset:         3192
        .size:           8
        .value_kind:     hidden_global_offset_x
      - .offset:         3200
        .size:           8
        .value_kind:     hidden_global_offset_y
      - .offset:         3208
        .size:           8
        .value_kind:     hidden_global_offset_z
      - .offset:         3216
        .size:           2
        .value_kind:     hidden_grid_dims
    .group_segment_fixed_size: 0
    .kernarg_segment_align: 8
    .kernarg_segment_size: 3408
    .language:       OpenCL C
    .language_version:
      - 2
      - 0
    .max_flat_workgroup_size: 512
    .name:           _ZN2at6native12_GLOBAL__N_125multi_tensor_apply_kernelINS1_18TensorListMetadataILi2EEENS1_14UnaryOpFunctorIN3c107complexIfEELi2ELi1ELi1EEEJNS0_4SqrtIS8_EEEEEvT_T0_DpT1_
    .private_segment_fixed_size: 0
    .sgpr_count:     52
    .sgpr_spill_count: 0
    .symbol:         _ZN2at6native12_GLOBAL__N_125multi_tensor_apply_kernelINS1_18TensorListMetadataILi2EEENS1_14UnaryOpFunctorIN3c107complexIfEELi2ELi1ELi1EEEJNS0_4SqrtIS8_EEEEEvT_T0_DpT1_.kd
    .uniform_work_group_size: 1
    .uses_dynamic_stack: false
    .vgpr_count:     36
    .vgpr_spill_count: 0
    .wavefront_size: 64
  - .agpr_count:     0
    .args:
      - .offset:         0
        .size:           3144
        .value_kind:     by_value
      - .offset:         3144
        .size:           1
        .value_kind:     by_value
      - .offset:         3145
        .size:           1
        .value_kind:     by_value
      - .offset:         3152
        .size:           4
        .value_kind:     hidden_block_count_x
      - .offset:         3156
        .size:           4
        .value_kind:     hidden_block_count_y
      - .offset:         3160
        .size:           4
        .value_kind:     hidden_block_count_z
      - .offset:         3164
        .size:           2
        .value_kind:     hidden_group_size_x
      - .offset:         3166
        .size:           2
        .value_kind:     hidden_group_size_y
      - .offset:         3168
        .size:           2
        .value_kind:     hidden_group_size_z
      - .offset:         3170
        .size:           2
        .value_kind:     hidden_remainder_x
      - .offset:         3172
        .size:           2
        .value_kind:     hidden_remainder_y
      - .offset:         3174
        .size:           2
        .value_kind:     hidden_remainder_z
      - .offset:         3192
        .size:           8
        .value_kind:     hidden_global_offset_x
      - .offset:         3200
        .size:           8
        .value_kind:     hidden_global_offset_y
      - .offset:         3208
        .size:           8
        .value_kind:     hidden_global_offset_z
      - .offset:         3216
        .size:           2
        .value_kind:     hidden_grid_dims
    .group_segment_fixed_size: 0
    .kernarg_segment_align: 8
    .kernarg_segment_size: 3408
    .language:       OpenCL C
    .language_version:
      - 2
      - 0
    .max_flat_workgroup_size: 512
    .name:           _ZN2at6native12_GLOBAL__N_125multi_tensor_apply_kernelINS1_18TensorListMetadataILi2EEENS1_14UnaryOpFunctorIN3c104HalfELi2ELi1ELi1EEEJNS0_4SqrtIfEEEEEvT_T0_DpT1_
    .private_segment_fixed_size: 0
    .sgpr_count:     36
    .sgpr_spill_count: 0
    .symbol:         _ZN2at6native12_GLOBAL__N_125multi_tensor_apply_kernelINS1_18TensorListMetadataILi2EEENS1_14UnaryOpFunctorIN3c104HalfELi2ELi1ELi1EEEJNS0_4SqrtIfEEEEEvT_T0_DpT1_.kd
    .uniform_work_group_size: 1
    .uses_dynamic_stack: false
    .vgpr_count:     32
    .vgpr_spill_count: 0
    .wavefront_size: 64
  - .agpr_count:     0
    .args:
      - .offset:         0
        .size:           3144
        .value_kind:     by_value
      - .offset:         3144
        .size:           1
        .value_kind:     by_value
      - .offset:         3145
        .size:           1
        .value_kind:     by_value
      - .offset:         3152
        .size:           4
        .value_kind:     hidden_block_count_x
      - .offset:         3156
        .size:           4
        .value_kind:     hidden_block_count_y
      - .offset:         3160
        .size:           4
        .value_kind:     hidden_block_count_z
      - .offset:         3164
        .size:           2
        .value_kind:     hidden_group_size_x
      - .offset:         3166
        .size:           2
        .value_kind:     hidden_group_size_y
      - .offset:         3168
        .size:           2
        .value_kind:     hidden_group_size_z
      - .offset:         3170
        .size:           2
        .value_kind:     hidden_remainder_x
      - .offset:         3172
        .size:           2
        .value_kind:     hidden_remainder_y
      - .offset:         3174
        .size:           2
        .value_kind:     hidden_remainder_z
      - .offset:         3192
        .size:           8
        .value_kind:     hidden_global_offset_x
      - .offset:         3200
        .size:           8
        .value_kind:     hidden_global_offset_y
      - .offset:         3208
        .size:           8
        .value_kind:     hidden_global_offset_z
      - .offset:         3216
        .size:           2
        .value_kind:     hidden_grid_dims
    .group_segment_fixed_size: 0
    .kernarg_segment_align: 8
    .kernarg_segment_size: 3408
    .language:       OpenCL C
    .language_version:
      - 2
      - 0
    .max_flat_workgroup_size: 512
    .name:           _ZN2at6native12_GLOBAL__N_125multi_tensor_apply_kernelINS1_18TensorListMetadataILi2EEENS1_14UnaryOpFunctorIN3c108BFloat16ELi2ELi1ELi1EEEJNS0_4SqrtIfEEEEEvT_T0_DpT1_
    .private_segment_fixed_size: 0
    .sgpr_count:     36
    .sgpr_spill_count: 0
    .symbol:         _ZN2at6native12_GLOBAL__N_125multi_tensor_apply_kernelINS1_18TensorListMetadataILi2EEENS1_14UnaryOpFunctorIN3c108BFloat16ELi2ELi1ELi1EEEJNS0_4SqrtIfEEEEEvT_T0_DpT1_.kd
    .uniform_work_group_size: 1
    .uses_dynamic_stack: false
    .vgpr_count:     36
    .vgpr_spill_count: 0
    .wavefront_size: 64
  - .agpr_count:     0
    .args:
      - .offset:         0
        .size:           3368
        .value_kind:     by_value
      - .offset:         3368
        .size:           1
        .value_kind:     by_value
      - .offset:         3369
        .size:           1
        .value_kind:     by_value
      - .offset:         3376
        .size:           4
        .value_kind:     hidden_block_count_x
      - .offset:         3380
        .size:           4
        .value_kind:     hidden_block_count_y
      - .offset:         3384
        .size:           4
        .value_kind:     hidden_block_count_z
      - .offset:         3388
        .size:           2
        .value_kind:     hidden_group_size_x
      - .offset:         3390
        .size:           2
        .value_kind:     hidden_group_size_y
      - .offset:         3392
        .size:           2
        .value_kind:     hidden_group_size_z
      - .offset:         3394
        .size:           2
        .value_kind:     hidden_remainder_x
      - .offset:         3396
        .size:           2
        .value_kind:     hidden_remainder_y
      - .offset:         3398
        .size:           2
        .value_kind:     hidden_remainder_z
      - .offset:         3416
        .size:           8
        .value_kind:     hidden_global_offset_x
      - .offset:         3424
        .size:           8
        .value_kind:     hidden_global_offset_y
      - .offset:         3432
        .size:           8
        .value_kind:     hidden_global_offset_z
      - .offset:         3440
        .size:           2
        .value_kind:     hidden_grid_dims
    .group_segment_fixed_size: 0
    .kernarg_segment_align: 8
    .kernarg_segment_size: 3632
    .language:       OpenCL C
    .language_version:
      - 2
      - 0
    .max_flat_workgroup_size: 512
    .name:           _ZN2at6native12_GLOBAL__N_125multi_tensor_apply_kernelINS1_18TensorListMetadataILi1EEENS1_14UnaryOpFunctorIdLi1ELi1ELi0EEEJNS0_4SqrtIdEEEEEvT_T0_DpT1_
    .private_segment_fixed_size: 0
    .sgpr_count:     35
    .sgpr_spill_count: 0
    .symbol:         _ZN2at6native12_GLOBAL__N_125multi_tensor_apply_kernelINS1_18TensorListMetadataILi1EEENS1_14UnaryOpFunctorIdLi1ELi1ELi0EEEJNS0_4SqrtIdEEEEEvT_T0_DpT1_.kd
    .uniform_work_group_size: 1
    .uses_dynamic_stack: false
    .vgpr_count:     44
    .vgpr_spill_count: 0
    .wavefront_size: 64
  - .agpr_count:     0
    .args:
      - .offset:         0
        .size:           3368
        .value_kind:     by_value
      - .offset:         3368
        .size:           1
        .value_kind:     by_value
      - .offset:         3369
        .size:           1
        .value_kind:     by_value
      - .offset:         3376
        .size:           4
        .value_kind:     hidden_block_count_x
      - .offset:         3380
        .size:           4
        .value_kind:     hidden_block_count_y
      - .offset:         3384
        .size:           4
        .value_kind:     hidden_block_count_z
      - .offset:         3388
        .size:           2
        .value_kind:     hidden_group_size_x
      - .offset:         3390
        .size:           2
        .value_kind:     hidden_group_size_y
      - .offset:         3392
        .size:           2
        .value_kind:     hidden_group_size_z
      - .offset:         3394
        .size:           2
        .value_kind:     hidden_remainder_x
      - .offset:         3396
        .size:           2
        .value_kind:     hidden_remainder_y
      - .offset:         3398
        .size:           2
        .value_kind:     hidden_remainder_z
      - .offset:         3416
        .size:           8
        .value_kind:     hidden_global_offset_x
      - .offset:         3424
        .size:           8
        .value_kind:     hidden_global_offset_y
      - .offset:         3432
        .size:           8
        .value_kind:     hidden_global_offset_z
      - .offset:         3440
        .size:           2
        .value_kind:     hidden_grid_dims
    .group_segment_fixed_size: 0
    .kernarg_segment_align: 8
    .kernarg_segment_size: 3632
    .language:       OpenCL C
    .language_version:
      - 2
      - 0
    .max_flat_workgroup_size: 512
    .name:           _ZN2at6native12_GLOBAL__N_125multi_tensor_apply_kernelINS1_18TensorListMetadataILi1EEENS1_14UnaryOpFunctorIfLi1ELi1ELi0EEEJNS0_4SqrtIfEEEEEvT_T0_DpT1_
    .private_segment_fixed_size: 0
    .sgpr_count:     33
    .sgpr_spill_count: 0
    .symbol:         _ZN2at6native12_GLOBAL__N_125multi_tensor_apply_kernelINS1_18TensorListMetadataILi1EEENS1_14UnaryOpFunctorIfLi1ELi1ELi0EEEJNS0_4SqrtIfEEEEEvT_T0_DpT1_.kd
    .uniform_work_group_size: 1
    .uses_dynamic_stack: false
    .vgpr_count:     31
    .vgpr_spill_count: 0
    .wavefront_size: 64
  - .agpr_count:     0
    .args:
      - .offset:         0
        .size:           3368
        .value_kind:     by_value
      - .offset:         3368
        .size:           1
        .value_kind:     by_value
      - .offset:         3369
        .size:           1
        .value_kind:     by_value
      - .offset:         3376
        .size:           4
        .value_kind:     hidden_block_count_x
      - .offset:         3380
        .size:           4
        .value_kind:     hidden_block_count_y
      - .offset:         3384
        .size:           4
        .value_kind:     hidden_block_count_z
      - .offset:         3388
        .size:           2
        .value_kind:     hidden_group_size_x
      - .offset:         3390
        .size:           2
        .value_kind:     hidden_group_size_y
      - .offset:         3392
        .size:           2
        .value_kind:     hidden_group_size_z
      - .offset:         3394
        .size:           2
        .value_kind:     hidden_remainder_x
      - .offset:         3396
        .size:           2
        .value_kind:     hidden_remainder_y
      - .offset:         3398
        .size:           2
        .value_kind:     hidden_remainder_z
      - .offset:         3416
        .size:           8
        .value_kind:     hidden_global_offset_x
      - .offset:         3424
        .size:           8
        .value_kind:     hidden_global_offset_y
      - .offset:         3432
        .size:           8
        .value_kind:     hidden_global_offset_z
      - .offset:         3440
        .size:           2
        .value_kind:     hidden_grid_dims
    .group_segment_fixed_size: 0
    .kernarg_segment_align: 8
    .kernarg_segment_size: 3632
    .language:       OpenCL C
    .language_version:
      - 2
      - 0
    .max_flat_workgroup_size: 512
    .name:           _ZN2at6native12_GLOBAL__N_125multi_tensor_apply_kernelINS1_18TensorListMetadataILi1EEENS1_14UnaryOpFunctorIN3c107complexIdEELi1ELi1ELi0EEEJNS0_4SqrtIS8_EEEEEvT_T0_DpT1_
    .private_segment_fixed_size: 0
    .sgpr_count:     58
    .sgpr_spill_count: 0
    .symbol:         _ZN2at6native12_GLOBAL__N_125multi_tensor_apply_kernelINS1_18TensorListMetadataILi1EEENS1_14UnaryOpFunctorIN3c107complexIdEELi1ELi1ELi0EEEJNS0_4SqrtIS8_EEEEEvT_T0_DpT1_.kd
    .uniform_work_group_size: 1
    .uses_dynamic_stack: false
    .vgpr_count:     46
    .vgpr_spill_count: 0
    .wavefront_size: 64
  - .agpr_count:     0
    .args:
      - .offset:         0
        .size:           3368
        .value_kind:     by_value
      - .offset:         3368
        .size:           1
        .value_kind:     by_value
      - .offset:         3369
        .size:           1
        .value_kind:     by_value
      - .offset:         3376
        .size:           4
        .value_kind:     hidden_block_count_x
      - .offset:         3380
        .size:           4
        .value_kind:     hidden_block_count_y
      - .offset:         3384
        .size:           4
        .value_kind:     hidden_block_count_z
      - .offset:         3388
        .size:           2
        .value_kind:     hidden_group_size_x
      - .offset:         3390
        .size:           2
        .value_kind:     hidden_group_size_y
      - .offset:         3392
        .size:           2
        .value_kind:     hidden_group_size_z
      - .offset:         3394
        .size:           2
        .value_kind:     hidden_remainder_x
      - .offset:         3396
        .size:           2
        .value_kind:     hidden_remainder_y
      - .offset:         3398
        .size:           2
        .value_kind:     hidden_remainder_z
      - .offset:         3416
        .size:           8
        .value_kind:     hidden_global_offset_x
      - .offset:         3424
        .size:           8
        .value_kind:     hidden_global_offset_y
      - .offset:         3432
        .size:           8
        .value_kind:     hidden_global_offset_z
      - .offset:         3440
        .size:           2
        .value_kind:     hidden_grid_dims
    .group_segment_fixed_size: 0
    .kernarg_segment_align: 8
    .kernarg_segment_size: 3632
    .language:       OpenCL C
    .language_version:
      - 2
      - 0
    .max_flat_workgroup_size: 512
    .name:           _ZN2at6native12_GLOBAL__N_125multi_tensor_apply_kernelINS1_18TensorListMetadataILi1EEENS1_14UnaryOpFunctorIN3c107complexIfEELi1ELi1ELi0EEEJNS0_4SqrtIS8_EEEEEvT_T0_DpT1_
    .private_segment_fixed_size: 0
    .sgpr_count:     51
    .sgpr_spill_count: 0
    .symbol:         _ZN2at6native12_GLOBAL__N_125multi_tensor_apply_kernelINS1_18TensorListMetadataILi1EEENS1_14UnaryOpFunctorIN3c107complexIfEELi1ELi1ELi0EEEJNS0_4SqrtIS8_EEEEEvT_T0_DpT1_.kd
    .uniform_work_group_size: 1
    .uses_dynamic_stack: false
    .vgpr_count:     30
    .vgpr_spill_count: 0
    .wavefront_size: 64
  - .agpr_count:     0
    .args:
      - .offset:         0
        .size:           3368
        .value_kind:     by_value
      - .offset:         3368
        .size:           1
        .value_kind:     by_value
      - .offset:         3369
        .size:           1
        .value_kind:     by_value
      - .offset:         3376
        .size:           4
        .value_kind:     hidden_block_count_x
      - .offset:         3380
        .size:           4
        .value_kind:     hidden_block_count_y
      - .offset:         3384
        .size:           4
        .value_kind:     hidden_block_count_z
      - .offset:         3388
        .size:           2
        .value_kind:     hidden_group_size_x
      - .offset:         3390
        .size:           2
        .value_kind:     hidden_group_size_y
      - .offset:         3392
        .size:           2
        .value_kind:     hidden_group_size_z
      - .offset:         3394
        .size:           2
        .value_kind:     hidden_remainder_x
      - .offset:         3396
        .size:           2
        .value_kind:     hidden_remainder_y
      - .offset:         3398
        .size:           2
        .value_kind:     hidden_remainder_z
      - .offset:         3416
        .size:           8
        .value_kind:     hidden_global_offset_x
      - .offset:         3424
        .size:           8
        .value_kind:     hidden_global_offset_y
      - .offset:         3432
        .size:           8
        .value_kind:     hidden_global_offset_z
      - .offset:         3440
        .size:           2
        .value_kind:     hidden_grid_dims
    .group_segment_fixed_size: 0
    .kernarg_segment_align: 8
    .kernarg_segment_size: 3632
    .language:       OpenCL C
    .language_version:
      - 2
      - 0
    .max_flat_workgroup_size: 512
    .name:           _ZN2at6native12_GLOBAL__N_125multi_tensor_apply_kernelINS1_18TensorListMetadataILi1EEENS1_14UnaryOpFunctorIN3c104HalfELi1ELi1ELi0EEEJNS0_4SqrtIfEEEEEvT_T0_DpT1_
    .private_segment_fixed_size: 0
    .sgpr_count:     32
    .sgpr_spill_count: 0
    .symbol:         _ZN2at6native12_GLOBAL__N_125multi_tensor_apply_kernelINS1_18TensorListMetadataILi1EEENS1_14UnaryOpFunctorIN3c104HalfELi1ELi1ELi0EEEJNS0_4SqrtIfEEEEEvT_T0_DpT1_.kd
    .uniform_work_group_size: 1
    .uses_dynamic_stack: false
    .vgpr_count:     23
    .vgpr_spill_count: 0
    .wavefront_size: 64
  - .agpr_count:     0
    .args:
      - .offset:         0
        .size:           3368
        .value_kind:     by_value
      - .offset:         3368
        .size:           1
        .value_kind:     by_value
      - .offset:         3369
        .size:           1
        .value_kind:     by_value
      - .offset:         3376
        .size:           4
        .value_kind:     hidden_block_count_x
      - .offset:         3380
        .size:           4
        .value_kind:     hidden_block_count_y
      - .offset:         3384
        .size:           4
        .value_kind:     hidden_block_count_z
      - .offset:         3388
        .size:           2
        .value_kind:     hidden_group_size_x
      - .offset:         3390
        .size:           2
        .value_kind:     hidden_group_size_y
      - .offset:         3392
        .size:           2
        .value_kind:     hidden_group_size_z
      - .offset:         3394
        .size:           2
        .value_kind:     hidden_remainder_x
      - .offset:         3396
        .size:           2
        .value_kind:     hidden_remainder_y
      - .offset:         3398
        .size:           2
        .value_kind:     hidden_remainder_z
      - .offset:         3416
        .size:           8
        .value_kind:     hidden_global_offset_x
      - .offset:         3424
        .size:           8
        .value_kind:     hidden_global_offset_y
      - .offset:         3432
        .size:           8
        .value_kind:     hidden_global_offset_z
      - .offset:         3440
        .size:           2
        .value_kind:     hidden_grid_dims
    .group_segment_fixed_size: 0
    .kernarg_segment_align: 8
    .kernarg_segment_size: 3632
    .language:       OpenCL C
    .language_version:
      - 2
      - 0
    .max_flat_workgroup_size: 512
    .name:           _ZN2at6native12_GLOBAL__N_125multi_tensor_apply_kernelINS1_18TensorListMetadataILi1EEENS1_14UnaryOpFunctorIN3c108BFloat16ELi1ELi1ELi0EEEJNS0_4SqrtIfEEEEEvT_T0_DpT1_
    .private_segment_fixed_size: 0
    .sgpr_count:     33
    .sgpr_spill_count: 0
    .symbol:         _ZN2at6native12_GLOBAL__N_125multi_tensor_apply_kernelINS1_18TensorListMetadataILi1EEENS1_14UnaryOpFunctorIN3c108BFloat16ELi1ELi1ELi0EEEJNS0_4SqrtIfEEEEEvT_T0_DpT1_.kd
    .uniform_work_group_size: 1
    .uses_dynamic_stack: false
    .vgpr_count:     31
    .vgpr_spill_count: 0
    .wavefront_size: 64
  - .agpr_count:     0
    .args:
      - .offset:         0
        .size:           3144
        .value_kind:     by_value
      - .offset:         3144
        .size:           1
        .value_kind:     by_value
      - .offset:         3145
        .size:           1
        .value_kind:     by_value
      - .offset:         3152
        .size:           4
        .value_kind:     hidden_block_count_x
      - .offset:         3156
        .size:           4
        .value_kind:     hidden_block_count_y
      - .offset:         3160
        .size:           4
        .value_kind:     hidden_block_count_z
      - .offset:         3164
        .size:           2
        .value_kind:     hidden_group_size_x
      - .offset:         3166
        .size:           2
        .value_kind:     hidden_group_size_y
      - .offset:         3168
        .size:           2
        .value_kind:     hidden_group_size_z
      - .offset:         3170
        .size:           2
        .value_kind:     hidden_remainder_x
      - .offset:         3172
        .size:           2
        .value_kind:     hidden_remainder_y
      - .offset:         3174
        .size:           2
        .value_kind:     hidden_remainder_z
      - .offset:         3192
        .size:           8
        .value_kind:     hidden_global_offset_x
      - .offset:         3200
        .size:           8
        .value_kind:     hidden_global_offset_y
      - .offset:         3208
        .size:           8
        .value_kind:     hidden_global_offset_z
      - .offset:         3216
        .size:           2
        .value_kind:     hidden_grid_dims
    .group_segment_fixed_size: 0
    .kernarg_segment_align: 8
    .kernarg_segment_size: 3408
    .language:       OpenCL C
    .language_version:
      - 2
      - 0
    .max_flat_workgroup_size: 512
    .name:           _ZN2at6native12_GLOBAL__N_125multi_tensor_apply_kernelINS1_18TensorListMetadataILi2EEENS1_14UnaryOpFunctorIdLi2ELi1ELi1EEEJNS0_3ErfIdEEEEEvT_T0_DpT1_
    .private_segment_fixed_size: 0
    .sgpr_count:     91
    .sgpr_spill_count: 0
    .symbol:         _ZN2at6native12_GLOBAL__N_125multi_tensor_apply_kernelINS1_18TensorListMetadataILi2EEENS1_14UnaryOpFunctorIdLi2ELi1ELi1EEEJNS0_3ErfIdEEEEEvT_T0_DpT1_.kd
    .uniform_work_group_size: 1
    .uses_dynamic_stack: false
    .vgpr_count:     92
    .vgpr_spill_count: 0
    .wavefront_size: 64
  - .agpr_count:     0
    .args:
      - .offset:         0
        .size:           3144
        .value_kind:     by_value
      - .offset:         3144
        .size:           1
        .value_kind:     by_value
      - .offset:         3145
        .size:           1
        .value_kind:     by_value
      - .offset:         3152
        .size:           4
        .value_kind:     hidden_block_count_x
      - .offset:         3156
        .size:           4
        .value_kind:     hidden_block_count_y
      - .offset:         3160
        .size:           4
        .value_kind:     hidden_block_count_z
      - .offset:         3164
        .size:           2
        .value_kind:     hidden_group_size_x
      - .offset:         3166
        .size:           2
        .value_kind:     hidden_group_size_y
      - .offset:         3168
        .size:           2
        .value_kind:     hidden_group_size_z
      - .offset:         3170
        .size:           2
        .value_kind:     hidden_remainder_x
      - .offset:         3172
        .size:           2
        .value_kind:     hidden_remainder_y
      - .offset:         3174
        .size:           2
        .value_kind:     hidden_remainder_z
      - .offset:         3192
        .size:           8
        .value_kind:     hidden_global_offset_x
      - .offset:         3200
        .size:           8
        .value_kind:     hidden_global_offset_y
      - .offset:         3208
        .size:           8
        .value_kind:     hidden_global_offset_z
      - .offset:         3216
        .size:           2
        .value_kind:     hidden_grid_dims
    .group_segment_fixed_size: 0
    .kernarg_segment_align: 8
    .kernarg_segment_size: 3408
    .language:       OpenCL C
    .language_version:
      - 2
      - 0
    .max_flat_workgroup_size: 512
    .name:           _ZN2at6native12_GLOBAL__N_125multi_tensor_apply_kernelINS1_18TensorListMetadataILi2EEENS1_14UnaryOpFunctorIfLi2ELi1ELi1EEEJNS0_3ErfIfEEEEEvT_T0_DpT1_
    .private_segment_fixed_size: 0
    .sgpr_count:     42
    .sgpr_spill_count: 0
    .symbol:         _ZN2at6native12_GLOBAL__N_125multi_tensor_apply_kernelINS1_18TensorListMetadataILi2EEENS1_14UnaryOpFunctorIfLi2ELi1ELi1EEEJNS0_3ErfIfEEEEEvT_T0_DpT1_.kd
    .uniform_work_group_size: 1
    .uses_dynamic_stack: false
    .vgpr_count:     40
    .vgpr_spill_count: 0
    .wavefront_size: 64
  - .agpr_count:     0
    .args:
      - .offset:         0
        .size:           3144
        .value_kind:     by_value
      - .offset:         3144
        .size:           1
        .value_kind:     by_value
      - .offset:         3145
        .size:           1
        .value_kind:     by_value
      - .offset:         3152
        .size:           4
        .value_kind:     hidden_block_count_x
      - .offset:         3156
        .size:           4
        .value_kind:     hidden_block_count_y
      - .offset:         3160
        .size:           4
        .value_kind:     hidden_block_count_z
      - .offset:         3164
        .size:           2
        .value_kind:     hidden_group_size_x
      - .offset:         3166
        .size:           2
        .value_kind:     hidden_group_size_y
      - .offset:         3168
        .size:           2
        .value_kind:     hidden_group_size_z
      - .offset:         3170
        .size:           2
        .value_kind:     hidden_remainder_x
      - .offset:         3172
        .size:           2
        .value_kind:     hidden_remainder_y
      - .offset:         3174
        .size:           2
        .value_kind:     hidden_remainder_z
      - .offset:         3192
        .size:           8
        .value_kind:     hidden_global_offset_x
      - .offset:         3200
        .size:           8
        .value_kind:     hidden_global_offset_y
      - .offset:         3208
        .size:           8
        .value_kind:     hidden_global_offset_z
      - .offset:         3216
        .size:           2
        .value_kind:     hidden_grid_dims
    .group_segment_fixed_size: 0
    .kernarg_segment_align: 8
    .kernarg_segment_size: 3408
    .language:       OpenCL C
    .language_version:
      - 2
      - 0
    .max_flat_workgroup_size: 512
    .name:           _ZN2at6native12_GLOBAL__N_125multi_tensor_apply_kernelINS1_18TensorListMetadataILi2EEENS1_14UnaryOpFunctorIN3c104HalfELi2ELi1ELi1EEEJNS0_3ErfIfEEEEEvT_T0_DpT1_
    .private_segment_fixed_size: 0
    .sgpr_count:     42
    .sgpr_spill_count: 0
    .symbol:         _ZN2at6native12_GLOBAL__N_125multi_tensor_apply_kernelINS1_18TensorListMetadataILi2EEENS1_14UnaryOpFunctorIN3c104HalfELi2ELi1ELi1EEEJNS0_3ErfIfEEEEEvT_T0_DpT1_.kd
    .uniform_work_group_size: 1
    .uses_dynamic_stack: false
    .vgpr_count:     40
    .vgpr_spill_count: 0
    .wavefront_size: 64
  - .agpr_count:     0
    .args:
      - .offset:         0
        .size:           3144
        .value_kind:     by_value
      - .offset:         3144
        .size:           1
        .value_kind:     by_value
      - .offset:         3145
        .size:           1
        .value_kind:     by_value
      - .offset:         3152
        .size:           4
        .value_kind:     hidden_block_count_x
      - .offset:         3156
        .size:           4
        .value_kind:     hidden_block_count_y
      - .offset:         3160
        .size:           4
        .value_kind:     hidden_block_count_z
      - .offset:         3164
        .size:           2
        .value_kind:     hidden_group_size_x
      - .offset:         3166
        .size:           2
        .value_kind:     hidden_group_size_y
      - .offset:         3168
        .size:           2
        .value_kind:     hidden_group_size_z
      - .offset:         3170
        .size:           2
        .value_kind:     hidden_remainder_x
      - .offset:         3172
        .size:           2
        .value_kind:     hidden_remainder_y
      - .offset:         3174
        .size:           2
        .value_kind:     hidden_remainder_z
      - .offset:         3192
        .size:           8
        .value_kind:     hidden_global_offset_x
      - .offset:         3200
        .size:           8
        .value_kind:     hidden_global_offset_y
      - .offset:         3208
        .size:           8
        .value_kind:     hidden_global_offset_z
      - .offset:         3216
        .size:           2
        .value_kind:     hidden_grid_dims
    .group_segment_fixed_size: 0
    .kernarg_segment_align: 8
    .kernarg_segment_size: 3408
    .language:       OpenCL C
    .language_version:
      - 2
      - 0
    .max_flat_workgroup_size: 512
    .name:           _ZN2at6native12_GLOBAL__N_125multi_tensor_apply_kernelINS1_18TensorListMetadataILi2EEENS1_14UnaryOpFunctorIN3c108BFloat16ELi2ELi1ELi1EEEJNS0_3ErfIfEEEEEvT_T0_DpT1_
    .private_segment_fixed_size: 0
    .sgpr_count:     40
    .sgpr_spill_count: 0
    .symbol:         _ZN2at6native12_GLOBAL__N_125multi_tensor_apply_kernelINS1_18TensorListMetadataILi2EEENS1_14UnaryOpFunctorIN3c108BFloat16ELi2ELi1ELi1EEEJNS0_3ErfIfEEEEEvT_T0_DpT1_.kd
    .uniform_work_group_size: 1
    .uses_dynamic_stack: false
    .vgpr_count:     41
    .vgpr_spill_count: 0
    .wavefront_size: 64
  - .agpr_count:     0
    .args:
      - .offset:         0
        .size:           3368
        .value_kind:     by_value
      - .offset:         3368
        .size:           1
        .value_kind:     by_value
      - .offset:         3369
        .size:           1
        .value_kind:     by_value
      - .offset:         3376
        .size:           4
        .value_kind:     hidden_block_count_x
      - .offset:         3380
        .size:           4
        .value_kind:     hidden_block_count_y
      - .offset:         3384
        .size:           4
        .value_kind:     hidden_block_count_z
      - .offset:         3388
        .size:           2
        .value_kind:     hidden_group_size_x
      - .offset:         3390
        .size:           2
        .value_kind:     hidden_group_size_y
      - .offset:         3392
        .size:           2
        .value_kind:     hidden_group_size_z
      - .offset:         3394
        .size:           2
        .value_kind:     hidden_remainder_x
      - .offset:         3396
        .size:           2
        .value_kind:     hidden_remainder_y
      - .offset:         3398
        .size:           2
        .value_kind:     hidden_remainder_z
      - .offset:         3416
        .size:           8
        .value_kind:     hidden_global_offset_x
      - .offset:         3424
        .size:           8
        .value_kind:     hidden_global_offset_y
      - .offset:         3432
        .size:           8
        .value_kind:     hidden_global_offset_z
      - .offset:         3440
        .size:           2
        .value_kind:     hidden_grid_dims
    .group_segment_fixed_size: 0
    .kernarg_segment_align: 8
    .kernarg_segment_size: 3632
    .language:       OpenCL C
    .language_version:
      - 2
      - 0
    .max_flat_workgroup_size: 512
    .name:           _ZN2at6native12_GLOBAL__N_125multi_tensor_apply_kernelINS1_18TensorListMetadataILi1EEENS1_14UnaryOpFunctorIdLi1ELi1ELi0EEEJNS0_3ErfIdEEEEEvT_T0_DpT1_
    .private_segment_fixed_size: 0
    .sgpr_count:     95
    .sgpr_spill_count: 0
    .symbol:         _ZN2at6native12_GLOBAL__N_125multi_tensor_apply_kernelINS1_18TensorListMetadataILi1EEENS1_14UnaryOpFunctorIdLi1ELi1ELi0EEEJNS0_3ErfIdEEEEEvT_T0_DpT1_.kd
    .uniform_work_group_size: 1
    .uses_dynamic_stack: false
    .vgpr_count:     80
    .vgpr_spill_count: 0
    .wavefront_size: 64
  - .agpr_count:     0
    .args:
      - .offset:         0
        .size:           3368
        .value_kind:     by_value
      - .offset:         3368
        .size:           1
        .value_kind:     by_value
      - .offset:         3369
        .size:           1
        .value_kind:     by_value
      - .offset:         3376
        .size:           4
        .value_kind:     hidden_block_count_x
      - .offset:         3380
        .size:           4
        .value_kind:     hidden_block_count_y
      - .offset:         3384
        .size:           4
        .value_kind:     hidden_block_count_z
      - .offset:         3388
        .size:           2
        .value_kind:     hidden_group_size_x
      - .offset:         3390
        .size:           2
        .value_kind:     hidden_group_size_y
      - .offset:         3392
        .size:           2
        .value_kind:     hidden_group_size_z
      - .offset:         3394
        .size:           2
        .value_kind:     hidden_remainder_x
      - .offset:         3396
        .size:           2
        .value_kind:     hidden_remainder_y
      - .offset:         3398
        .size:           2
        .value_kind:     hidden_remainder_z
      - .offset:         3416
        .size:           8
        .value_kind:     hidden_global_offset_x
      - .offset:         3424
        .size:           8
        .value_kind:     hidden_global_offset_y
      - .offset:         3432
        .size:           8
        .value_kind:     hidden_global_offset_z
      - .offset:         3440
        .size:           2
        .value_kind:     hidden_grid_dims
    .group_segment_fixed_size: 0
    .kernarg_segment_align: 8
    .kernarg_segment_size: 3632
    .language:       OpenCL C
    .language_version:
      - 2
      - 0
    .max_flat_workgroup_size: 512
    .name:           _ZN2at6native12_GLOBAL__N_125multi_tensor_apply_kernelINS1_18TensorListMetadataILi1EEENS1_14UnaryOpFunctorIfLi1ELi1ELi0EEEJNS0_3ErfIfEEEEEvT_T0_DpT1_
    .private_segment_fixed_size: 0
    .sgpr_count:     44
    .sgpr_spill_count: 0
    .symbol:         _ZN2at6native12_GLOBAL__N_125multi_tensor_apply_kernelINS1_18TensorListMetadataILi1EEENS1_14UnaryOpFunctorIfLi1ELi1ELi0EEEJNS0_3ErfIfEEEEEvT_T0_DpT1_.kd
    .uniform_work_group_size: 1
    .uses_dynamic_stack: false
    .vgpr_count:     28
    .vgpr_spill_count: 0
    .wavefront_size: 64
  - .agpr_count:     0
    .args:
      - .offset:         0
        .size:           3368
        .value_kind:     by_value
      - .offset:         3368
        .size:           1
        .value_kind:     by_value
      - .offset:         3369
        .size:           1
        .value_kind:     by_value
      - .offset:         3376
        .size:           4
        .value_kind:     hidden_block_count_x
      - .offset:         3380
        .size:           4
        .value_kind:     hidden_block_count_y
      - .offset:         3384
        .size:           4
        .value_kind:     hidden_block_count_z
      - .offset:         3388
        .size:           2
        .value_kind:     hidden_group_size_x
      - .offset:         3390
        .size:           2
        .value_kind:     hidden_group_size_y
      - .offset:         3392
        .size:           2
        .value_kind:     hidden_group_size_z
      - .offset:         3394
        .size:           2
        .value_kind:     hidden_remainder_x
      - .offset:         3396
        .size:           2
        .value_kind:     hidden_remainder_y
      - .offset:         3398
        .size:           2
        .value_kind:     hidden_remainder_z
      - .offset:         3416
        .size:           8
        .value_kind:     hidden_global_offset_x
      - .offset:         3424
        .size:           8
        .value_kind:     hidden_global_offset_y
      - .offset:         3432
        .size:           8
        .value_kind:     hidden_global_offset_z
      - .offset:         3440
        .size:           2
        .value_kind:     hidden_grid_dims
    .group_segment_fixed_size: 0
    .kernarg_segment_align: 8
    .kernarg_segment_size: 3632
    .language:       OpenCL C
    .language_version:
      - 2
      - 0
    .max_flat_workgroup_size: 512
    .name:           _ZN2at6native12_GLOBAL__N_125multi_tensor_apply_kernelINS1_18TensorListMetadataILi1EEENS1_14UnaryOpFunctorIN3c104HalfELi1ELi1ELi0EEEJNS0_3ErfIfEEEEEvT_T0_DpT1_
    .private_segment_fixed_size: 0
    .sgpr_count:     43
    .sgpr_spill_count: 0
    .symbol:         _ZN2at6native12_GLOBAL__N_125multi_tensor_apply_kernelINS1_18TensorListMetadataILi1EEENS1_14UnaryOpFunctorIN3c104HalfELi1ELi1ELi0EEEJNS0_3ErfIfEEEEEvT_T0_DpT1_.kd
    .uniform_work_group_size: 1
    .uses_dynamic_stack: false
    .vgpr_count:     28
    .vgpr_spill_count: 0
    .wavefront_size: 64
  - .agpr_count:     0
    .args:
      - .offset:         0
        .size:           3368
        .value_kind:     by_value
      - .offset:         3368
        .size:           1
        .value_kind:     by_value
      - .offset:         3369
        .size:           1
        .value_kind:     by_value
      - .offset:         3376
        .size:           4
        .value_kind:     hidden_block_count_x
      - .offset:         3380
        .size:           4
        .value_kind:     hidden_block_count_y
      - .offset:         3384
        .size:           4
        .value_kind:     hidden_block_count_z
      - .offset:         3388
        .size:           2
        .value_kind:     hidden_group_size_x
      - .offset:         3390
        .size:           2
        .value_kind:     hidden_group_size_y
      - .offset:         3392
        .size:           2
        .value_kind:     hidden_group_size_z
      - .offset:         3394
        .size:           2
        .value_kind:     hidden_remainder_x
      - .offset:         3396
        .size:           2
        .value_kind:     hidden_remainder_y
      - .offset:         3398
        .size:           2
        .value_kind:     hidden_remainder_z
      - .offset:         3416
        .size:           8
        .value_kind:     hidden_global_offset_x
      - .offset:         3424
        .size:           8
        .value_kind:     hidden_global_offset_y
      - .offset:         3432
        .size:           8
        .value_kind:     hidden_global_offset_z
      - .offset:         3440
        .size:           2
        .value_kind:     hidden_grid_dims
    .group_segment_fixed_size: 0
    .kernarg_segment_align: 8
    .kernarg_segment_size: 3632
    .language:       OpenCL C
    .language_version:
      - 2
      - 0
    .max_flat_workgroup_size: 512
    .name:           _ZN2at6native12_GLOBAL__N_125multi_tensor_apply_kernelINS1_18TensorListMetadataILi1EEENS1_14UnaryOpFunctorIN3c108BFloat16ELi1ELi1ELi0EEEJNS0_3ErfIfEEEEEvT_T0_DpT1_
    .private_segment_fixed_size: 0
    .sgpr_count:     44
    .sgpr_spill_count: 0
    .symbol:         _ZN2at6native12_GLOBAL__N_125multi_tensor_apply_kernelINS1_18TensorListMetadataILi1EEENS1_14UnaryOpFunctorIN3c108BFloat16ELi1ELi1ELi0EEEJNS0_3ErfIfEEEEEvT_T0_DpT1_.kd
    .uniform_work_group_size: 1
    .uses_dynamic_stack: false
    .vgpr_count:     29
    .vgpr_spill_count: 0
    .wavefront_size: 64
  - .agpr_count:     0
    .args:
      - .offset:         0
        .size:           3144
        .value_kind:     by_value
      - .offset:         3144
        .size:           1
        .value_kind:     by_value
      - .offset:         3152
        .size:           8
        .value_kind:     by_value
      - .offset:         3160
        .size:           4
        .value_kind:     hidden_block_count_x
      - .offset:         3164
        .size:           4
        .value_kind:     hidden_block_count_y
      - .offset:         3168
        .size:           4
        .value_kind:     hidden_block_count_z
      - .offset:         3172
        .size:           2
        .value_kind:     hidden_group_size_x
      - .offset:         3174
        .size:           2
        .value_kind:     hidden_group_size_y
      - .offset:         3176
        .size:           2
        .value_kind:     hidden_group_size_z
      - .offset:         3178
        .size:           2
        .value_kind:     hidden_remainder_x
      - .offset:         3180
        .size:           2
        .value_kind:     hidden_remainder_y
      - .offset:         3182
        .size:           2
        .value_kind:     hidden_remainder_z
      - .offset:         3200
        .size:           8
        .value_kind:     hidden_global_offset_x
      - .offset:         3208
        .size:           8
        .value_kind:     hidden_global_offset_y
      - .offset:         3216
        .size:           8
        .value_kind:     hidden_global_offset_z
      - .offset:         3224
        .size:           2
        .value_kind:     hidden_grid_dims
    .group_segment_fixed_size: 0
    .kernarg_segment_align: 8
    .kernarg_segment_size: 3416
    .language:       OpenCL C
    .language_version:
      - 2
      - 0
    .max_flat_workgroup_size: 512
    .name:           _ZN2at6native12_GLOBAL__N_125multi_tensor_apply_kernelINS1_18TensorListMetadataILi2EEENS1_14UnaryOpFunctorIdLi2ELi1ELi1EEEJNS0_7SigmoidIdEEEEEvT_T0_DpT1_
    .private_segment_fixed_size: 0
    .sgpr_count:     73
    .sgpr_spill_count: 0
    .symbol:         _ZN2at6native12_GLOBAL__N_125multi_tensor_apply_kernelINS1_18TensorListMetadataILi2EEENS1_14UnaryOpFunctorIdLi2ELi1ELi1EEEJNS0_7SigmoidIdEEEEEvT_T0_DpT1_.kd
    .uniform_work_group_size: 1
    .uses_dynamic_stack: false
    .vgpr_count:     58
    .vgpr_spill_count: 0
    .wavefront_size: 64
  - .agpr_count:     0
    .args:
      - .offset:         0
        .size:           3144
        .value_kind:     by_value
      - .offset:         3144
        .size:           1
        .value_kind:     by_value
      - .offset:         3148
        .size:           4
        .value_kind:     by_value
      - .offset:         3152
        .size:           4
        .value_kind:     hidden_block_count_x
      - .offset:         3156
        .size:           4
        .value_kind:     hidden_block_count_y
      - .offset:         3160
        .size:           4
        .value_kind:     hidden_block_count_z
      - .offset:         3164
        .size:           2
        .value_kind:     hidden_group_size_x
      - .offset:         3166
        .size:           2
        .value_kind:     hidden_group_size_y
      - .offset:         3168
        .size:           2
        .value_kind:     hidden_group_size_z
      - .offset:         3170
        .size:           2
        .value_kind:     hidden_remainder_x
      - .offset:         3172
        .size:           2
        .value_kind:     hidden_remainder_y
      - .offset:         3174
        .size:           2
        .value_kind:     hidden_remainder_z
      - .offset:         3192
        .size:           8
        .value_kind:     hidden_global_offset_x
      - .offset:         3200
        .size:           8
        .value_kind:     hidden_global_offset_y
      - .offset:         3208
        .size:           8
        .value_kind:     hidden_global_offset_z
      - .offset:         3216
        .size:           2
        .value_kind:     hidden_grid_dims
    .group_segment_fixed_size: 0
    .kernarg_segment_align: 8
    .kernarg_segment_size: 3408
    .language:       OpenCL C
    .language_version:
      - 2
      - 0
    .max_flat_workgroup_size: 512
    .name:           _ZN2at6native12_GLOBAL__N_125multi_tensor_apply_kernelINS1_18TensorListMetadataILi2EEENS1_14UnaryOpFunctorIfLi2ELi1ELi1EEEJNS0_7SigmoidIfEEEEEvT_T0_DpT1_
    .private_segment_fixed_size: 0
    .sgpr_count:     33
    .sgpr_spill_count: 0
    .symbol:         _ZN2at6native12_GLOBAL__N_125multi_tensor_apply_kernelINS1_18TensorListMetadataILi2EEENS1_14UnaryOpFunctorIfLi2ELi1ELi1EEEJNS0_7SigmoidIfEEEEEvT_T0_DpT1_.kd
    .uniform_work_group_size: 1
    .uses_dynamic_stack: false
    .vgpr_count:     36
    .vgpr_spill_count: 0
    .wavefront_size: 64
  - .agpr_count:     0
    .args:
      - .offset:         0
        .size:           3144
        .value_kind:     by_value
      - .offset:         3144
        .size:           1
        .value_kind:     by_value
      - .offset:         3152
        .size:           16
        .value_kind:     by_value
      - .offset:         3168
        .size:           4
        .value_kind:     hidden_block_count_x
      - .offset:         3172
        .size:           4
        .value_kind:     hidden_block_count_y
      - .offset:         3176
        .size:           4
        .value_kind:     hidden_block_count_z
      - .offset:         3180
        .size:           2
        .value_kind:     hidden_group_size_x
      - .offset:         3182
        .size:           2
        .value_kind:     hidden_group_size_y
      - .offset:         3184
        .size:           2
        .value_kind:     hidden_group_size_z
      - .offset:         3186
        .size:           2
        .value_kind:     hidden_remainder_x
      - .offset:         3188
        .size:           2
        .value_kind:     hidden_remainder_y
      - .offset:         3190
        .size:           2
        .value_kind:     hidden_remainder_z
      - .offset:         3208
        .size:           8
        .value_kind:     hidden_global_offset_x
      - .offset:         3216
        .size:           8
        .value_kind:     hidden_global_offset_y
      - .offset:         3224
        .size:           8
        .value_kind:     hidden_global_offset_z
      - .offset:         3232
        .size:           2
        .value_kind:     hidden_grid_dims
    .group_segment_fixed_size: 0
    .kernarg_segment_align: 16
    .kernarg_segment_size: 3424
    .language:       OpenCL C
    .language_version:
      - 2
      - 0
    .max_flat_workgroup_size: 512
    .name:           _ZN2at6native12_GLOBAL__N_125multi_tensor_apply_kernelINS1_18TensorListMetadataILi2EEENS1_14UnaryOpFunctorIN3c107complexIdEELi2ELi1ELi1EEEJNS0_7SigmoidIS8_EEEEEvT_T0_DpT1_
    .private_segment_fixed_size: 0
    .sgpr_count:     100
    .sgpr_spill_count: 6
    .symbol:         _ZN2at6native12_GLOBAL__N_125multi_tensor_apply_kernelINS1_18TensorListMetadataILi2EEENS1_14UnaryOpFunctorIN3c107complexIdEELi2ELi1ELi1EEEJNS0_7SigmoidIS8_EEEEEvT_T0_DpT1_.kd
    .uniform_work_group_size: 1
    .uses_dynamic_stack: false
    .vgpr_count:     87
    .vgpr_spill_count: 0
    .wavefront_size: 64
  - .agpr_count:     0
    .args:
      - .offset:         0
        .size:           3144
        .value_kind:     by_value
      - .offset:         3144
        .size:           1
        .value_kind:     by_value
      - .offset:         3152
        .size:           8
        .value_kind:     by_value
      - .offset:         3160
        .size:           4
        .value_kind:     hidden_block_count_x
      - .offset:         3164
        .size:           4
        .value_kind:     hidden_block_count_y
      - .offset:         3168
        .size:           4
        .value_kind:     hidden_block_count_z
      - .offset:         3172
        .size:           2
        .value_kind:     hidden_group_size_x
      - .offset:         3174
        .size:           2
        .value_kind:     hidden_group_size_y
      - .offset:         3176
        .size:           2
        .value_kind:     hidden_group_size_z
      - .offset:         3178
        .size:           2
        .value_kind:     hidden_remainder_x
      - .offset:         3180
        .size:           2
        .value_kind:     hidden_remainder_y
      - .offset:         3182
        .size:           2
        .value_kind:     hidden_remainder_z
      - .offset:         3200
        .size:           8
        .value_kind:     hidden_global_offset_x
      - .offset:         3208
        .size:           8
        .value_kind:     hidden_global_offset_y
      - .offset:         3216
        .size:           8
        .value_kind:     hidden_global_offset_z
      - .offset:         3224
        .size:           2
        .value_kind:     hidden_grid_dims
    .group_segment_fixed_size: 0
    .kernarg_segment_align: 8
    .kernarg_segment_size: 3416
    .language:       OpenCL C
    .language_version:
      - 2
      - 0
    .max_flat_workgroup_size: 512
    .name:           _ZN2at6native12_GLOBAL__N_125multi_tensor_apply_kernelINS1_18TensorListMetadataILi2EEENS1_14UnaryOpFunctorIN3c107complexIfEELi2ELi1ELi1EEEJNS0_7SigmoidIS8_EEEEEvT_T0_DpT1_
    .private_segment_fixed_size: 0
    .sgpr_count:     74
    .sgpr_spill_count: 0
    .symbol:         _ZN2at6native12_GLOBAL__N_125multi_tensor_apply_kernelINS1_18TensorListMetadataILi2EEENS1_14UnaryOpFunctorIN3c107complexIfEELi2ELi1ELi1EEEJNS0_7SigmoidIS8_EEEEEvT_T0_DpT1_.kd
    .uniform_work_group_size: 1
    .uses_dynamic_stack: false
    .vgpr_count:     54
    .vgpr_spill_count: 0
    .wavefront_size: 64
  - .agpr_count:     0
    .args:
      - .offset:         0
        .size:           3144
        .value_kind:     by_value
      - .offset:         3144
        .size:           1
        .value_kind:     by_value
      - .offset:         3148
        .size:           4
        .value_kind:     by_value
      - .offset:         3152
        .size:           4
        .value_kind:     hidden_block_count_x
      - .offset:         3156
        .size:           4
        .value_kind:     hidden_block_count_y
      - .offset:         3160
        .size:           4
        .value_kind:     hidden_block_count_z
      - .offset:         3164
        .size:           2
        .value_kind:     hidden_group_size_x
      - .offset:         3166
        .size:           2
        .value_kind:     hidden_group_size_y
      - .offset:         3168
        .size:           2
        .value_kind:     hidden_group_size_z
      - .offset:         3170
        .size:           2
        .value_kind:     hidden_remainder_x
      - .offset:         3172
        .size:           2
        .value_kind:     hidden_remainder_y
      - .offset:         3174
        .size:           2
        .value_kind:     hidden_remainder_z
      - .offset:         3192
        .size:           8
        .value_kind:     hidden_global_offset_x
      - .offset:         3200
        .size:           8
        .value_kind:     hidden_global_offset_y
      - .offset:         3208
        .size:           8
        .value_kind:     hidden_global_offset_z
      - .offset:         3216
        .size:           2
        .value_kind:     hidden_grid_dims
    .group_segment_fixed_size: 0
    .kernarg_segment_align: 8
    .kernarg_segment_size: 3408
    .language:       OpenCL C
    .language_version:
      - 2
      - 0
    .max_flat_workgroup_size: 512
    .name:           _ZN2at6native12_GLOBAL__N_125multi_tensor_apply_kernelINS1_18TensorListMetadataILi2EEENS1_14UnaryOpFunctorIN3c104HalfELi2ELi1ELi1EEEJNS0_7SigmoidIfEEEEEvT_T0_DpT1_
    .private_segment_fixed_size: 0
    .sgpr_count:     39
    .sgpr_spill_count: 0
    .symbol:         _ZN2at6native12_GLOBAL__N_125multi_tensor_apply_kernelINS1_18TensorListMetadataILi2EEENS1_14UnaryOpFunctorIN3c104HalfELi2ELi1ELi1EEEJNS0_7SigmoidIfEEEEEvT_T0_DpT1_.kd
    .uniform_work_group_size: 1
    .uses_dynamic_stack: false
    .vgpr_count:     36
    .vgpr_spill_count: 0
    .wavefront_size: 64
  - .agpr_count:     0
    .args:
      - .offset:         0
        .size:           3144
        .value_kind:     by_value
      - .offset:         3144
        .size:           1
        .value_kind:     by_value
      - .offset:         3148
        .size:           4
        .value_kind:     by_value
      - .offset:         3152
        .size:           4
        .value_kind:     hidden_block_count_x
      - .offset:         3156
        .size:           4
        .value_kind:     hidden_block_count_y
      - .offset:         3160
        .size:           4
        .value_kind:     hidden_block_count_z
      - .offset:         3164
        .size:           2
        .value_kind:     hidden_group_size_x
      - .offset:         3166
        .size:           2
        .value_kind:     hidden_group_size_y
      - .offset:         3168
        .size:           2
        .value_kind:     hidden_group_size_z
      - .offset:         3170
        .size:           2
        .value_kind:     hidden_remainder_x
      - .offset:         3172
        .size:           2
        .value_kind:     hidden_remainder_y
      - .offset:         3174
        .size:           2
        .value_kind:     hidden_remainder_z
      - .offset:         3192
        .size:           8
        .value_kind:     hidden_global_offset_x
      - .offset:         3200
        .size:           8
        .value_kind:     hidden_global_offset_y
      - .offset:         3208
        .size:           8
        .value_kind:     hidden_global_offset_z
      - .offset:         3216
        .size:           2
        .value_kind:     hidden_grid_dims
    .group_segment_fixed_size: 0
    .kernarg_segment_align: 8
    .kernarg_segment_size: 3408
    .language:       OpenCL C
    .language_version:
      - 2
      - 0
    .max_flat_workgroup_size: 512
    .name:           _ZN2at6native12_GLOBAL__N_125multi_tensor_apply_kernelINS1_18TensorListMetadataILi2EEENS1_14UnaryOpFunctorIN3c108BFloat16ELi2ELi1ELi1EEEJNS0_7SigmoidIfEEEEEvT_T0_DpT1_
    .private_segment_fixed_size: 0
    .sgpr_count:     33
    .sgpr_spill_count: 0
    .symbol:         _ZN2at6native12_GLOBAL__N_125multi_tensor_apply_kernelINS1_18TensorListMetadataILi2EEENS1_14UnaryOpFunctorIN3c108BFloat16ELi2ELi1ELi1EEEJNS0_7SigmoidIfEEEEEvT_T0_DpT1_.kd
    .uniform_work_group_size: 1
    .uses_dynamic_stack: false
    .vgpr_count:     37
    .vgpr_spill_count: 0
    .wavefront_size: 64
  - .agpr_count:     0
    .args:
      - .offset:         0
        .size:           3368
        .value_kind:     by_value
      - .offset:         3368
        .size:           1
        .value_kind:     by_value
      - .offset:         3376
        .size:           8
        .value_kind:     by_value
      - .offset:         3384
        .size:           4
        .value_kind:     hidden_block_count_x
      - .offset:         3388
        .size:           4
        .value_kind:     hidden_block_count_y
      - .offset:         3392
        .size:           4
        .value_kind:     hidden_block_count_z
      - .offset:         3396
        .size:           2
        .value_kind:     hidden_group_size_x
      - .offset:         3398
        .size:           2
        .value_kind:     hidden_group_size_y
      - .offset:         3400
        .size:           2
        .value_kind:     hidden_group_size_z
      - .offset:         3402
        .size:           2
        .value_kind:     hidden_remainder_x
      - .offset:         3404
        .size:           2
        .value_kind:     hidden_remainder_y
      - .offset:         3406
        .size:           2
        .value_kind:     hidden_remainder_z
      - .offset:         3424
        .size:           8
        .value_kind:     hidden_global_offset_x
      - .offset:         3432
        .size:           8
        .value_kind:     hidden_global_offset_y
      - .offset:         3440
        .size:           8
        .value_kind:     hidden_global_offset_z
      - .offset:         3448
        .size:           2
        .value_kind:     hidden_grid_dims
    .group_segment_fixed_size: 0
    .kernarg_segment_align: 8
    .kernarg_segment_size: 3640
    .language:       OpenCL C
    .language_version:
      - 2
      - 0
    .max_flat_workgroup_size: 512
    .name:           _ZN2at6native12_GLOBAL__N_125multi_tensor_apply_kernelINS1_18TensorListMetadataILi1EEENS1_14UnaryOpFunctorIdLi1ELi1ELi0EEEJNS0_7SigmoidIdEEEEEvT_T0_DpT1_
    .private_segment_fixed_size: 0
    .sgpr_count:     49
    .sgpr_spill_count: 0
    .symbol:         _ZN2at6native12_GLOBAL__N_125multi_tensor_apply_kernelINS1_18TensorListMetadataILi1EEENS1_14UnaryOpFunctorIdLi1ELi1ELi0EEEJNS0_7SigmoidIdEEEEEvT_T0_DpT1_.kd
    .uniform_work_group_size: 1
    .uses_dynamic_stack: false
    .vgpr_count:     46
    .vgpr_spill_count: 0
    .wavefront_size: 64
  - .agpr_count:     0
    .args:
      - .offset:         0
        .size:           3368
        .value_kind:     by_value
      - .offset:         3368
        .size:           1
        .value_kind:     by_value
      - .offset:         3372
        .size:           4
        .value_kind:     by_value
      - .offset:         3376
        .size:           4
        .value_kind:     hidden_block_count_x
      - .offset:         3380
        .size:           4
        .value_kind:     hidden_block_count_y
      - .offset:         3384
        .size:           4
        .value_kind:     hidden_block_count_z
      - .offset:         3388
        .size:           2
        .value_kind:     hidden_group_size_x
      - .offset:         3390
        .size:           2
        .value_kind:     hidden_group_size_y
      - .offset:         3392
        .size:           2
        .value_kind:     hidden_group_size_z
      - .offset:         3394
        .size:           2
        .value_kind:     hidden_remainder_x
      - .offset:         3396
        .size:           2
        .value_kind:     hidden_remainder_y
      - .offset:         3398
        .size:           2
        .value_kind:     hidden_remainder_z
      - .offset:         3416
        .size:           8
        .value_kind:     hidden_global_offset_x
      - .offset:         3424
        .size:           8
        .value_kind:     hidden_global_offset_y
      - .offset:         3432
        .size:           8
        .value_kind:     hidden_global_offset_z
      - .offset:         3440
        .size:           2
        .value_kind:     hidden_grid_dims
    .group_segment_fixed_size: 0
    .kernarg_segment_align: 8
    .kernarg_segment_size: 3632
    .language:       OpenCL C
    .language_version:
      - 2
      - 0
    .max_flat_workgroup_size: 512
    .name:           _ZN2at6native12_GLOBAL__N_125multi_tensor_apply_kernelINS1_18TensorListMetadataILi1EEENS1_14UnaryOpFunctorIfLi1ELi1ELi0EEEJNS0_7SigmoidIfEEEEEvT_T0_DpT1_
    .private_segment_fixed_size: 0
    .sgpr_count:     38
    .sgpr_spill_count: 0
    .symbol:         _ZN2at6native12_GLOBAL__N_125multi_tensor_apply_kernelINS1_18TensorListMetadataILi1EEENS1_14UnaryOpFunctorIfLi1ELi1ELi0EEEJNS0_7SigmoidIfEEEEEvT_T0_DpT1_.kd
    .uniform_work_group_size: 1
    .uses_dynamic_stack: false
    .vgpr_count:     31
    .vgpr_spill_count: 0
    .wavefront_size: 64
  - .agpr_count:     0
    .args:
      - .offset:         0
        .size:           3368
        .value_kind:     by_value
      - .offset:         3368
        .size:           1
        .value_kind:     by_value
      - .offset:         3376
        .size:           16
        .value_kind:     by_value
      - .offset:         3392
        .size:           4
        .value_kind:     hidden_block_count_x
      - .offset:         3396
        .size:           4
        .value_kind:     hidden_block_count_y
      - .offset:         3400
        .size:           4
        .value_kind:     hidden_block_count_z
      - .offset:         3404
        .size:           2
        .value_kind:     hidden_group_size_x
      - .offset:         3406
        .size:           2
        .value_kind:     hidden_group_size_y
      - .offset:         3408
        .size:           2
        .value_kind:     hidden_group_size_z
      - .offset:         3410
        .size:           2
        .value_kind:     hidden_remainder_x
      - .offset:         3412
        .size:           2
        .value_kind:     hidden_remainder_y
      - .offset:         3414
        .size:           2
        .value_kind:     hidden_remainder_z
      - .offset:         3432
        .size:           8
        .value_kind:     hidden_global_offset_x
      - .offset:         3440
        .size:           8
        .value_kind:     hidden_global_offset_y
      - .offset:         3448
        .size:           8
        .value_kind:     hidden_global_offset_z
      - .offset:         3456
        .size:           2
        .value_kind:     hidden_grid_dims
    .group_segment_fixed_size: 0
    .kernarg_segment_align: 16
    .kernarg_segment_size: 3648
    .language:       OpenCL C
    .language_version:
      - 2
      - 0
    .max_flat_workgroup_size: 512
    .name:           _ZN2at6native12_GLOBAL__N_125multi_tensor_apply_kernelINS1_18TensorListMetadataILi1EEENS1_14UnaryOpFunctorIN3c107complexIdEELi1ELi1ELi0EEEJNS0_7SigmoidIS8_EEEEEvT_T0_DpT1_
    .private_segment_fixed_size: 0
    .sgpr_count:     100
    .sgpr_spill_count: 6
    .symbol:         _ZN2at6native12_GLOBAL__N_125multi_tensor_apply_kernelINS1_18TensorListMetadataILi1EEENS1_14UnaryOpFunctorIN3c107complexIdEELi1ELi1ELi0EEEJNS0_7SigmoidIS8_EEEEEvT_T0_DpT1_.kd
    .uniform_work_group_size: 1
    .uses_dynamic_stack: false
    .vgpr_count:     83
    .vgpr_spill_count: 0
    .wavefront_size: 64
  - .agpr_count:     0
    .args:
      - .offset:         0
        .size:           3368
        .value_kind:     by_value
      - .offset:         3368
        .size:           1
        .value_kind:     by_value
      - .offset:         3376
        .size:           8
        .value_kind:     by_value
      - .offset:         3384
        .size:           4
        .value_kind:     hidden_block_count_x
      - .offset:         3388
        .size:           4
        .value_kind:     hidden_block_count_y
      - .offset:         3392
        .size:           4
        .value_kind:     hidden_block_count_z
      - .offset:         3396
        .size:           2
        .value_kind:     hidden_group_size_x
      - .offset:         3398
        .size:           2
        .value_kind:     hidden_group_size_y
      - .offset:         3400
        .size:           2
        .value_kind:     hidden_group_size_z
      - .offset:         3402
        .size:           2
        .value_kind:     hidden_remainder_x
      - .offset:         3404
        .size:           2
        .value_kind:     hidden_remainder_y
      - .offset:         3406
        .size:           2
        .value_kind:     hidden_remainder_z
      - .offset:         3424
        .size:           8
        .value_kind:     hidden_global_offset_x
      - .offset:         3432
        .size:           8
        .value_kind:     hidden_global_offset_y
      - .offset:         3440
        .size:           8
        .value_kind:     hidden_global_offset_z
      - .offset:         3448
        .size:           2
        .value_kind:     hidden_grid_dims
    .group_segment_fixed_size: 0
    .kernarg_segment_align: 8
    .kernarg_segment_size: 3640
    .language:       OpenCL C
    .language_version:
      - 2
      - 0
    .max_flat_workgroup_size: 512
    .name:           _ZN2at6native12_GLOBAL__N_125multi_tensor_apply_kernelINS1_18TensorListMetadataILi1EEENS1_14UnaryOpFunctorIN3c107complexIfEELi1ELi1ELi0EEEJNS0_7SigmoidIS8_EEEEEvT_T0_DpT1_
    .private_segment_fixed_size: 0
    .sgpr_count:     72
    .sgpr_spill_count: 0
    .symbol:         _ZN2at6native12_GLOBAL__N_125multi_tensor_apply_kernelINS1_18TensorListMetadataILi1EEENS1_14UnaryOpFunctorIN3c107complexIfEELi1ELi1ELi0EEEJNS0_7SigmoidIS8_EEEEEvT_T0_DpT1_.kd
    .uniform_work_group_size: 1
    .uses_dynamic_stack: false
    .vgpr_count:     50
    .vgpr_spill_count: 0
    .wavefront_size: 64
  - .agpr_count:     0
    .args:
      - .offset:         0
        .size:           3368
        .value_kind:     by_value
      - .offset:         3368
        .size:           1
        .value_kind:     by_value
      - .offset:         3372
        .size:           4
        .value_kind:     by_value
      - .offset:         3376
        .size:           4
        .value_kind:     hidden_block_count_x
      - .offset:         3380
        .size:           4
        .value_kind:     hidden_block_count_y
      - .offset:         3384
        .size:           4
        .value_kind:     hidden_block_count_z
      - .offset:         3388
        .size:           2
        .value_kind:     hidden_group_size_x
      - .offset:         3390
        .size:           2
        .value_kind:     hidden_group_size_y
      - .offset:         3392
        .size:           2
        .value_kind:     hidden_group_size_z
      - .offset:         3394
        .size:           2
        .value_kind:     hidden_remainder_x
      - .offset:         3396
        .size:           2
        .value_kind:     hidden_remainder_y
      - .offset:         3398
        .size:           2
        .value_kind:     hidden_remainder_z
      - .offset:         3416
        .size:           8
        .value_kind:     hidden_global_offset_x
      - .offset:         3424
        .size:           8
        .value_kind:     hidden_global_offset_y
      - .offset:         3432
        .size:           8
        .value_kind:     hidden_global_offset_z
      - .offset:         3440
        .size:           2
        .value_kind:     hidden_grid_dims
    .group_segment_fixed_size: 0
    .kernarg_segment_align: 8
    .kernarg_segment_size: 3632
    .language:       OpenCL C
    .language_version:
      - 2
      - 0
    .max_flat_workgroup_size: 512
    .name:           _ZN2at6native12_GLOBAL__N_125multi_tensor_apply_kernelINS1_18TensorListMetadataILi1EEENS1_14UnaryOpFunctorIN3c104HalfELi1ELi1ELi0EEEJNS0_7SigmoidIfEEEEEvT_T0_DpT1_
    .private_segment_fixed_size: 0
    .sgpr_count:     38
    .sgpr_spill_count: 0
    .symbol:         _ZN2at6native12_GLOBAL__N_125multi_tensor_apply_kernelINS1_18TensorListMetadataILi1EEENS1_14UnaryOpFunctorIN3c104HalfELi1ELi1ELi0EEEJNS0_7SigmoidIfEEEEEvT_T0_DpT1_.kd
    .uniform_work_group_size: 1
    .uses_dynamic_stack: false
    .vgpr_count:     31
    .vgpr_spill_count: 0
    .wavefront_size: 64
  - .agpr_count:     0
    .args:
      - .offset:         0
        .size:           3368
        .value_kind:     by_value
      - .offset:         3368
        .size:           1
        .value_kind:     by_value
      - .offset:         3372
        .size:           4
        .value_kind:     by_value
      - .offset:         3376
        .size:           4
        .value_kind:     hidden_block_count_x
      - .offset:         3380
        .size:           4
        .value_kind:     hidden_block_count_y
      - .offset:         3384
        .size:           4
        .value_kind:     hidden_block_count_z
      - .offset:         3388
        .size:           2
        .value_kind:     hidden_group_size_x
      - .offset:         3390
        .size:           2
        .value_kind:     hidden_group_size_y
      - .offset:         3392
        .size:           2
        .value_kind:     hidden_group_size_z
      - .offset:         3394
        .size:           2
        .value_kind:     hidden_remainder_x
      - .offset:         3396
        .size:           2
        .value_kind:     hidden_remainder_y
      - .offset:         3398
        .size:           2
        .value_kind:     hidden_remainder_z
      - .offset:         3416
        .size:           8
        .value_kind:     hidden_global_offset_x
      - .offset:         3424
        .size:           8
        .value_kind:     hidden_global_offset_y
      - .offset:         3432
        .size:           8
        .value_kind:     hidden_global_offset_z
      - .offset:         3440
        .size:           2
        .value_kind:     hidden_grid_dims
    .group_segment_fixed_size: 0
    .kernarg_segment_align: 8
    .kernarg_segment_size: 3632
    .language:       OpenCL C
    .language_version:
      - 2
      - 0
    .max_flat_workgroup_size: 512
    .name:           _ZN2at6native12_GLOBAL__N_125multi_tensor_apply_kernelINS1_18TensorListMetadataILi1EEENS1_14UnaryOpFunctorIN3c108BFloat16ELi1ELi1ELi0EEEJNS0_7SigmoidIfEEEEEvT_T0_DpT1_
    .private_segment_fixed_size: 0
    .sgpr_count:     38
    .sgpr_spill_count: 0
    .symbol:         _ZN2at6native12_GLOBAL__N_125multi_tensor_apply_kernelINS1_18TensorListMetadataILi1EEENS1_14UnaryOpFunctorIN3c108BFloat16ELi1ELi1ELi0EEEJNS0_7SigmoidIfEEEEEvT_T0_DpT1_.kd
    .uniform_work_group_size: 1
    .uses_dynamic_stack: false
    .vgpr_count:     27
    .vgpr_spill_count: 0
    .wavefront_size: 64
  - .agpr_count:     0
    .args:
      - .offset:         0
        .size:           3144
        .value_kind:     by_value
      - .offset:         3144
        .size:           1
        .value_kind:     by_value
      - .offset:         3145
        .size:           1
        .value_kind:     by_value
      - .offset:         3152
        .size:           4
        .value_kind:     hidden_block_count_x
      - .offset:         3156
        .size:           4
        .value_kind:     hidden_block_count_y
      - .offset:         3160
        .size:           4
        .value_kind:     hidden_block_count_z
      - .offset:         3164
        .size:           2
        .value_kind:     hidden_group_size_x
      - .offset:         3166
        .size:           2
        .value_kind:     hidden_group_size_y
      - .offset:         3168
        .size:           2
        .value_kind:     hidden_group_size_z
      - .offset:         3170
        .size:           2
        .value_kind:     hidden_remainder_x
      - .offset:         3172
        .size:           2
        .value_kind:     hidden_remainder_y
      - .offset:         3174
        .size:           2
        .value_kind:     hidden_remainder_z
      - .offset:         3192
        .size:           8
        .value_kind:     hidden_global_offset_x
      - .offset:         3200
        .size:           8
        .value_kind:     hidden_global_offset_y
      - .offset:         3208
        .size:           8
        .value_kind:     hidden_global_offset_z
      - .offset:         3216
        .size:           2
        .value_kind:     hidden_grid_dims
    .group_segment_fixed_size: 0
    .kernarg_segment_align: 8
    .kernarg_segment_size: 3408
    .language:       OpenCL C
    .language_version:
      - 2
      - 0
    .max_flat_workgroup_size: 512
    .name:           _ZN2at6native12_GLOBAL__N_125multi_tensor_apply_kernelINS1_18TensorListMetadataILi2EEENS1_14UnaryOpFunctorIdLi2ELi1ELi1EEEJNS0_5RoundIdEEEEEvT_T0_DpT1_
    .private_segment_fixed_size: 0
    .sgpr_count:     30
    .sgpr_spill_count: 0
    .symbol:         _ZN2at6native12_GLOBAL__N_125multi_tensor_apply_kernelINS1_18TensorListMetadataILi2EEENS1_14UnaryOpFunctorIdLi2ELi1ELi1EEEJNS0_5RoundIdEEEEEvT_T0_DpT1_.kd
    .uniform_work_group_size: 1
    .uses_dynamic_stack: false
    .vgpr_count:     34
    .vgpr_spill_count: 0
    .wavefront_size: 64
  - .agpr_count:     0
    .args:
      - .offset:         0
        .size:           3144
        .value_kind:     by_value
      - .offset:         3144
        .size:           1
        .value_kind:     by_value
      - .offset:         3145
        .size:           1
        .value_kind:     by_value
      - .offset:         3152
        .size:           4
        .value_kind:     hidden_block_count_x
      - .offset:         3156
        .size:           4
        .value_kind:     hidden_block_count_y
      - .offset:         3160
        .size:           4
        .value_kind:     hidden_block_count_z
      - .offset:         3164
        .size:           2
        .value_kind:     hidden_group_size_x
      - .offset:         3166
        .size:           2
        .value_kind:     hidden_group_size_y
      - .offset:         3168
        .size:           2
        .value_kind:     hidden_group_size_z
      - .offset:         3170
        .size:           2
        .value_kind:     hidden_remainder_x
      - .offset:         3172
        .size:           2
        .value_kind:     hidden_remainder_y
      - .offset:         3174
        .size:           2
        .value_kind:     hidden_remainder_z
      - .offset:         3192
        .size:           8
        .value_kind:     hidden_global_offset_x
      - .offset:         3200
        .size:           8
        .value_kind:     hidden_global_offset_y
      - .offset:         3208
        .size:           8
        .value_kind:     hidden_global_offset_z
      - .offset:         3216
        .size:           2
        .value_kind:     hidden_grid_dims
    .group_segment_fixed_size: 0
    .kernarg_segment_align: 8
    .kernarg_segment_size: 3408
    .language:       OpenCL C
    .language_version:
      - 2
      - 0
    .max_flat_workgroup_size: 512
    .name:           _ZN2at6native12_GLOBAL__N_125multi_tensor_apply_kernelINS1_18TensorListMetadataILi2EEENS1_14UnaryOpFunctorIfLi2ELi1ELi1EEEJNS0_5RoundIfEEEEEvT_T0_DpT1_
    .private_segment_fixed_size: 0
    .sgpr_count:     26
    .sgpr_spill_count: 0
    .symbol:         _ZN2at6native12_GLOBAL__N_125multi_tensor_apply_kernelINS1_18TensorListMetadataILi2EEENS1_14UnaryOpFunctorIfLi2ELi1ELi1EEEJNS0_5RoundIfEEEEEvT_T0_DpT1_.kd
    .uniform_work_group_size: 1
    .uses_dynamic_stack: false
    .vgpr_count:     30
    .vgpr_spill_count: 0
    .wavefront_size: 64
  - .agpr_count:     0
    .args:
      - .offset:         0
        .size:           3144
        .value_kind:     by_value
      - .offset:         3144
        .size:           1
        .value_kind:     by_value
      - .offset:         3145
        .size:           1
        .value_kind:     by_value
      - .offset:         3152
        .size:           4
        .value_kind:     hidden_block_count_x
      - .offset:         3156
        .size:           4
        .value_kind:     hidden_block_count_y
      - .offset:         3160
        .size:           4
        .value_kind:     hidden_block_count_z
      - .offset:         3164
        .size:           2
        .value_kind:     hidden_group_size_x
      - .offset:         3166
        .size:           2
        .value_kind:     hidden_group_size_y
      - .offset:         3168
        .size:           2
        .value_kind:     hidden_group_size_z
      - .offset:         3170
        .size:           2
        .value_kind:     hidden_remainder_x
      - .offset:         3172
        .size:           2
        .value_kind:     hidden_remainder_y
      - .offset:         3174
        .size:           2
        .value_kind:     hidden_remainder_z
      - .offset:         3192
        .size:           8
        .value_kind:     hidden_global_offset_x
      - .offset:         3200
        .size:           8
        .value_kind:     hidden_global_offset_y
      - .offset:         3208
        .size:           8
        .value_kind:     hidden_global_offset_z
      - .offset:         3216
        .size:           2
        .value_kind:     hidden_grid_dims
    .group_segment_fixed_size: 0
    .kernarg_segment_align: 8
    .kernarg_segment_size: 3408
    .language:       OpenCL C
    .language_version:
      - 2
      - 0
    .max_flat_workgroup_size: 512
    .name:           _ZN2at6native12_GLOBAL__N_125multi_tensor_apply_kernelINS1_18TensorListMetadataILi2EEENS1_14UnaryOpFunctorIN3c104HalfELi2ELi1ELi1EEEJNS0_5RoundIfEEEEEvT_T0_DpT1_
    .private_segment_fixed_size: 0
    .sgpr_count:     30
    .sgpr_spill_count: 0
    .symbol:         _ZN2at6native12_GLOBAL__N_125multi_tensor_apply_kernelINS1_18TensorListMetadataILi2EEENS1_14UnaryOpFunctorIN3c104HalfELi2ELi1ELi1EEEJNS0_5RoundIfEEEEEvT_T0_DpT1_.kd
    .uniform_work_group_size: 1
    .uses_dynamic_stack: false
    .vgpr_count:     30
    .vgpr_spill_count: 0
    .wavefront_size: 64
  - .agpr_count:     0
    .args:
      - .offset:         0
        .size:           3144
        .value_kind:     by_value
      - .offset:         3144
        .size:           1
        .value_kind:     by_value
      - .offset:         3145
        .size:           1
        .value_kind:     by_value
      - .offset:         3152
        .size:           4
        .value_kind:     hidden_block_count_x
      - .offset:         3156
        .size:           4
        .value_kind:     hidden_block_count_y
      - .offset:         3160
        .size:           4
        .value_kind:     hidden_block_count_z
      - .offset:         3164
        .size:           2
        .value_kind:     hidden_group_size_x
      - .offset:         3166
        .size:           2
        .value_kind:     hidden_group_size_y
      - .offset:         3168
        .size:           2
        .value_kind:     hidden_group_size_z
      - .offset:         3170
        .size:           2
        .value_kind:     hidden_remainder_x
      - .offset:         3172
        .size:           2
        .value_kind:     hidden_remainder_y
      - .offset:         3174
        .size:           2
        .value_kind:     hidden_remainder_z
      - .offset:         3192
        .size:           8
        .value_kind:     hidden_global_offset_x
      - .offset:         3200
        .size:           8
        .value_kind:     hidden_global_offset_y
      - .offset:         3208
        .size:           8
        .value_kind:     hidden_global_offset_z
      - .offset:         3216
        .size:           2
        .value_kind:     hidden_grid_dims
    .group_segment_fixed_size: 0
    .kernarg_segment_align: 8
    .kernarg_segment_size: 3408
    .language:       OpenCL C
    .language_version:
      - 2
      - 0
    .max_flat_workgroup_size: 512
    .name:           _ZN2at6native12_GLOBAL__N_125multi_tensor_apply_kernelINS1_18TensorListMetadataILi2EEENS1_14UnaryOpFunctorIN3c108BFloat16ELi2ELi1ELi1EEEJNS0_5RoundIfEEEEEvT_T0_DpT1_
    .private_segment_fixed_size: 0
    .sgpr_count:     27
    .sgpr_spill_count: 0
    .symbol:         _ZN2at6native12_GLOBAL__N_125multi_tensor_apply_kernelINS1_18TensorListMetadataILi2EEENS1_14UnaryOpFunctorIN3c108BFloat16ELi2ELi1ELi1EEEJNS0_5RoundIfEEEEEvT_T0_DpT1_.kd
    .uniform_work_group_size: 1
    .uses_dynamic_stack: false
    .vgpr_count:     30
    .vgpr_spill_count: 0
    .wavefront_size: 64
  - .agpr_count:     0
    .args:
      - .offset:         0
        .size:           3368
        .value_kind:     by_value
      - .offset:         3368
        .size:           1
        .value_kind:     by_value
      - .offset:         3369
        .size:           1
        .value_kind:     by_value
      - .offset:         3376
        .size:           4
        .value_kind:     hidden_block_count_x
      - .offset:         3380
        .size:           4
        .value_kind:     hidden_block_count_y
      - .offset:         3384
        .size:           4
        .value_kind:     hidden_block_count_z
      - .offset:         3388
        .size:           2
        .value_kind:     hidden_group_size_x
      - .offset:         3390
        .size:           2
        .value_kind:     hidden_group_size_y
      - .offset:         3392
        .size:           2
        .value_kind:     hidden_group_size_z
      - .offset:         3394
        .size:           2
        .value_kind:     hidden_remainder_x
      - .offset:         3396
        .size:           2
        .value_kind:     hidden_remainder_y
      - .offset:         3398
        .size:           2
        .value_kind:     hidden_remainder_z
      - .offset:         3416
        .size:           8
        .value_kind:     hidden_global_offset_x
      - .offset:         3424
        .size:           8
        .value_kind:     hidden_global_offset_y
      - .offset:         3432
        .size:           8
        .value_kind:     hidden_global_offset_z
      - .offset:         3440
        .size:           2
        .value_kind:     hidden_grid_dims
    .group_segment_fixed_size: 0
    .kernarg_segment_align: 8
    .kernarg_segment_size: 3632
    .language:       OpenCL C
    .language_version:
      - 2
      - 0
    .max_flat_workgroup_size: 512
    .name:           _ZN2at6native12_GLOBAL__N_125multi_tensor_apply_kernelINS1_18TensorListMetadataILi1EEENS1_14UnaryOpFunctorIdLi1ELi1ELi0EEEJNS0_5RoundIdEEEEEvT_T0_DpT1_
    .private_segment_fixed_size: 0
    .sgpr_count:     32
    .sgpr_spill_count: 0
    .symbol:         _ZN2at6native12_GLOBAL__N_125multi_tensor_apply_kernelINS1_18TensorListMetadataILi1EEENS1_14UnaryOpFunctorIdLi1ELi1ELi0EEEJNS0_5RoundIdEEEEEvT_T0_DpT1_.kd
    .uniform_work_group_size: 1
    .uses_dynamic_stack: false
    .vgpr_count:     26
    .vgpr_spill_count: 0
    .wavefront_size: 64
  - .agpr_count:     0
    .args:
      - .offset:         0
        .size:           3368
        .value_kind:     by_value
      - .offset:         3368
        .size:           1
        .value_kind:     by_value
      - .offset:         3369
        .size:           1
        .value_kind:     by_value
      - .offset:         3376
        .size:           4
        .value_kind:     hidden_block_count_x
      - .offset:         3380
        .size:           4
        .value_kind:     hidden_block_count_y
      - .offset:         3384
        .size:           4
        .value_kind:     hidden_block_count_z
      - .offset:         3388
        .size:           2
        .value_kind:     hidden_group_size_x
      - .offset:         3390
        .size:           2
        .value_kind:     hidden_group_size_y
      - .offset:         3392
        .size:           2
        .value_kind:     hidden_group_size_z
      - .offset:         3394
        .size:           2
        .value_kind:     hidden_remainder_x
      - .offset:         3396
        .size:           2
        .value_kind:     hidden_remainder_y
      - .offset:         3398
        .size:           2
        .value_kind:     hidden_remainder_z
      - .offset:         3416
        .size:           8
        .value_kind:     hidden_global_offset_x
      - .offset:         3424
        .size:           8
        .value_kind:     hidden_global_offset_y
      - .offset:         3432
        .size:           8
        .value_kind:     hidden_global_offset_z
      - .offset:         3440
        .size:           2
        .value_kind:     hidden_grid_dims
    .group_segment_fixed_size: 0
    .kernarg_segment_align: 8
    .kernarg_segment_size: 3632
    .language:       OpenCL C
    .language_version:
      - 2
      - 0
    .max_flat_workgroup_size: 512
    .name:           _ZN2at6native12_GLOBAL__N_125multi_tensor_apply_kernelINS1_18TensorListMetadataILi1EEENS1_14UnaryOpFunctorIfLi1ELi1ELi0EEEJNS0_5RoundIfEEEEEvT_T0_DpT1_
    .private_segment_fixed_size: 0
    .sgpr_count:     32
    .sgpr_spill_count: 0
    .symbol:         _ZN2at6native12_GLOBAL__N_125multi_tensor_apply_kernelINS1_18TensorListMetadataILi1EEENS1_14UnaryOpFunctorIfLi1ELi1ELi0EEEJNS0_5RoundIfEEEEEvT_T0_DpT1_.kd
    .uniform_work_group_size: 1
    .uses_dynamic_stack: false
    .vgpr_count:     22
    .vgpr_spill_count: 0
    .wavefront_size: 64
  - .agpr_count:     0
    .args:
      - .offset:         0
        .size:           3368
        .value_kind:     by_value
      - .offset:         3368
        .size:           1
        .value_kind:     by_value
      - .offset:         3369
        .size:           1
        .value_kind:     by_value
      - .offset:         3376
        .size:           4
        .value_kind:     hidden_block_count_x
      - .offset:         3380
        .size:           4
        .value_kind:     hidden_block_count_y
      - .offset:         3384
        .size:           4
        .value_kind:     hidden_block_count_z
      - .offset:         3388
        .size:           2
        .value_kind:     hidden_group_size_x
      - .offset:         3390
        .size:           2
        .value_kind:     hidden_group_size_y
      - .offset:         3392
        .size:           2
        .value_kind:     hidden_group_size_z
      - .offset:         3394
        .size:           2
        .value_kind:     hidden_remainder_x
      - .offset:         3396
        .size:           2
        .value_kind:     hidden_remainder_y
      - .offset:         3398
        .size:           2
        .value_kind:     hidden_remainder_z
      - .offset:         3416
        .size:           8
        .value_kind:     hidden_global_offset_x
      - .offset:         3424
        .size:           8
        .value_kind:     hidden_global_offset_y
      - .offset:         3432
        .size:           8
        .value_kind:     hidden_global_offset_z
      - .offset:         3440
        .size:           2
        .value_kind:     hidden_grid_dims
    .group_segment_fixed_size: 0
    .kernarg_segment_align: 8
    .kernarg_segment_size: 3632
    .language:       OpenCL C
    .language_version:
      - 2
      - 0
    .max_flat_workgroup_size: 512
    .name:           _ZN2at6native12_GLOBAL__N_125multi_tensor_apply_kernelINS1_18TensorListMetadataILi1EEENS1_14UnaryOpFunctorIN3c104HalfELi1ELi1ELi0EEEJNS0_5RoundIfEEEEEvT_T0_DpT1_
    .private_segment_fixed_size: 0
    .sgpr_count:     31
    .sgpr_spill_count: 0
    .symbol:         _ZN2at6native12_GLOBAL__N_125multi_tensor_apply_kernelINS1_18TensorListMetadataILi1EEENS1_14UnaryOpFunctorIN3c104HalfELi1ELi1ELi0EEEJNS0_5RoundIfEEEEEvT_T0_DpT1_.kd
    .uniform_work_group_size: 1
    .uses_dynamic_stack: false
    .vgpr_count:     22
    .vgpr_spill_count: 0
    .wavefront_size: 64
  - .agpr_count:     0
    .args:
      - .offset:         0
        .size:           3368
        .value_kind:     by_value
      - .offset:         3368
        .size:           1
        .value_kind:     by_value
      - .offset:         3369
        .size:           1
        .value_kind:     by_value
      - .offset:         3376
        .size:           4
        .value_kind:     hidden_block_count_x
      - .offset:         3380
        .size:           4
        .value_kind:     hidden_block_count_y
      - .offset:         3384
        .size:           4
        .value_kind:     hidden_block_count_z
      - .offset:         3388
        .size:           2
        .value_kind:     hidden_group_size_x
      - .offset:         3390
        .size:           2
        .value_kind:     hidden_group_size_y
      - .offset:         3392
        .size:           2
        .value_kind:     hidden_group_size_z
      - .offset:         3394
        .size:           2
        .value_kind:     hidden_remainder_x
      - .offset:         3396
        .size:           2
        .value_kind:     hidden_remainder_y
      - .offset:         3398
        .size:           2
        .value_kind:     hidden_remainder_z
      - .offset:         3416
        .size:           8
        .value_kind:     hidden_global_offset_x
      - .offset:         3424
        .size:           8
        .value_kind:     hidden_global_offset_y
      - .offset:         3432
        .size:           8
        .value_kind:     hidden_global_offset_z
      - .offset:         3440
        .size:           2
        .value_kind:     hidden_grid_dims
    .group_segment_fixed_size: 0
    .kernarg_segment_align: 8
    .kernarg_segment_size: 3632
    .language:       OpenCL C
    .language_version:
      - 2
      - 0
    .max_flat_workgroup_size: 512
    .name:           _ZN2at6native12_GLOBAL__N_125multi_tensor_apply_kernelINS1_18TensorListMetadataILi1EEENS1_14UnaryOpFunctorIN3c108BFloat16ELi1ELi1ELi0EEEJNS0_5RoundIfEEEEEvT_T0_DpT1_
    .private_segment_fixed_size: 0
    .sgpr_count:     32
    .sgpr_spill_count: 0
    .symbol:         _ZN2at6native12_GLOBAL__N_125multi_tensor_apply_kernelINS1_18TensorListMetadataILi1EEENS1_14UnaryOpFunctorIN3c108BFloat16ELi1ELi1ELi0EEEJNS0_5RoundIfEEEEEvT_T0_DpT1_.kd
    .uniform_work_group_size: 1
    .uses_dynamic_stack: false
    .vgpr_count:     24
    .vgpr_spill_count: 0
    .wavefront_size: 64
  - .agpr_count:     0
    .args:
      - .offset:         0
        .size:           3144
        .value_kind:     by_value
      - .offset:         3144
        .size:           1
        .value_kind:     by_value
      - .offset:         3145
        .size:           1
        .value_kind:     by_value
      - .offset:         3152
        .size:           4
        .value_kind:     hidden_block_count_x
      - .offset:         3156
        .size:           4
        .value_kind:     hidden_block_count_y
      - .offset:         3160
        .size:           4
        .value_kind:     hidden_block_count_z
      - .offset:         3164
        .size:           2
        .value_kind:     hidden_group_size_x
      - .offset:         3166
        .size:           2
        .value_kind:     hidden_group_size_y
      - .offset:         3168
        .size:           2
        .value_kind:     hidden_group_size_z
      - .offset:         3170
        .size:           2
        .value_kind:     hidden_remainder_x
      - .offset:         3172
        .size:           2
        .value_kind:     hidden_remainder_y
      - .offset:         3174
        .size:           2
        .value_kind:     hidden_remainder_z
      - .offset:         3192
        .size:           8
        .value_kind:     hidden_global_offset_x
      - .offset:         3200
        .size:           8
        .value_kind:     hidden_global_offset_y
      - .offset:         3208
        .size:           8
        .value_kind:     hidden_global_offset_z
      - .offset:         3216
        .size:           2
        .value_kind:     hidden_grid_dims
    .group_segment_fixed_size: 0
    .kernarg_segment_align: 8
    .kernarg_segment_size: 3408
    .language:       OpenCL C
    .language_version:
      - 2
      - 0
    .max_flat_workgroup_size: 512
    .name:           _ZN2at6native12_GLOBAL__N_125multi_tensor_apply_kernelINS1_18TensorListMetadataILi2EEENS1_14UnaryOpFunctorIdLi2ELi1ELi1EEEJNS0_5TruncIdEEEEEvT_T0_DpT1_
    .private_segment_fixed_size: 0
    .sgpr_count:     30
    .sgpr_spill_count: 0
    .symbol:         _ZN2at6native12_GLOBAL__N_125multi_tensor_apply_kernelINS1_18TensorListMetadataILi2EEENS1_14UnaryOpFunctorIdLi2ELi1ELi1EEEJNS0_5TruncIdEEEEEvT_T0_DpT1_.kd
    .uniform_work_group_size: 1
    .uses_dynamic_stack: false
    .vgpr_count:     36
    .vgpr_spill_count: 0
    .wavefront_size: 64
  - .agpr_count:     0
    .args:
      - .offset:         0
        .size:           3144
        .value_kind:     by_value
      - .offset:         3144
        .size:           1
        .value_kind:     by_value
      - .offset:         3145
        .size:           1
        .value_kind:     by_value
      - .offset:         3152
        .size:           4
        .value_kind:     hidden_block_count_x
      - .offset:         3156
        .size:           4
        .value_kind:     hidden_block_count_y
      - .offset:         3160
        .size:           4
        .value_kind:     hidden_block_count_z
      - .offset:         3164
        .size:           2
        .value_kind:     hidden_group_size_x
      - .offset:         3166
        .size:           2
        .value_kind:     hidden_group_size_y
      - .offset:         3168
        .size:           2
        .value_kind:     hidden_group_size_z
      - .offset:         3170
        .size:           2
        .value_kind:     hidden_remainder_x
      - .offset:         3172
        .size:           2
        .value_kind:     hidden_remainder_y
      - .offset:         3174
        .size:           2
        .value_kind:     hidden_remainder_z
      - .offset:         3192
        .size:           8
        .value_kind:     hidden_global_offset_x
      - .offset:         3200
        .size:           8
        .value_kind:     hidden_global_offset_y
      - .offset:         3208
        .size:           8
        .value_kind:     hidden_global_offset_z
      - .offset:         3216
        .size:           2
        .value_kind:     hidden_grid_dims
    .group_segment_fixed_size: 0
    .kernarg_segment_align: 8
    .kernarg_segment_size: 3408
    .language:       OpenCL C
    .language_version:
      - 2
      - 0
    .max_flat_workgroup_size: 512
    .name:           _ZN2at6native12_GLOBAL__N_125multi_tensor_apply_kernelINS1_18TensorListMetadataILi2EEENS1_14UnaryOpFunctorIfLi2ELi1ELi1EEEJNS0_5TruncIfEEEEEvT_T0_DpT1_
    .private_segment_fixed_size: 0
    .sgpr_count:     26
    .sgpr_spill_count: 0
    .symbol:         _ZN2at6native12_GLOBAL__N_125multi_tensor_apply_kernelINS1_18TensorListMetadataILi2EEENS1_14UnaryOpFunctorIfLi2ELi1ELi1EEEJNS0_5TruncIfEEEEEvT_T0_DpT1_.kd
    .uniform_work_group_size: 1
    .uses_dynamic_stack: false
    .vgpr_count:     30
    .vgpr_spill_count: 0
    .wavefront_size: 64
  - .agpr_count:     0
    .args:
      - .offset:         0
        .size:           3144
        .value_kind:     by_value
      - .offset:         3144
        .size:           1
        .value_kind:     by_value
      - .offset:         3145
        .size:           1
        .value_kind:     by_value
      - .offset:         3152
        .size:           4
        .value_kind:     hidden_block_count_x
      - .offset:         3156
        .size:           4
        .value_kind:     hidden_block_count_y
      - .offset:         3160
        .size:           4
        .value_kind:     hidden_block_count_z
      - .offset:         3164
        .size:           2
        .value_kind:     hidden_group_size_x
      - .offset:         3166
        .size:           2
        .value_kind:     hidden_group_size_y
      - .offset:         3168
        .size:           2
        .value_kind:     hidden_group_size_z
      - .offset:         3170
        .size:           2
        .value_kind:     hidden_remainder_x
      - .offset:         3172
        .size:           2
        .value_kind:     hidden_remainder_y
      - .offset:         3174
        .size:           2
        .value_kind:     hidden_remainder_z
      - .offset:         3192
        .size:           8
        .value_kind:     hidden_global_offset_x
      - .offset:         3200
        .size:           8
        .value_kind:     hidden_global_offset_y
      - .offset:         3208
        .size:           8
        .value_kind:     hidden_global_offset_z
      - .offset:         3216
        .size:           2
        .value_kind:     hidden_grid_dims
    .group_segment_fixed_size: 0
    .kernarg_segment_align: 8
    .kernarg_segment_size: 3408
    .language:       OpenCL C
    .language_version:
      - 2
      - 0
    .max_flat_workgroup_size: 512
    .name:           _ZN2at6native12_GLOBAL__N_125multi_tensor_apply_kernelINS1_18TensorListMetadataILi2EEENS1_14UnaryOpFunctorIN3c104HalfELi2ELi1ELi1EEEJNS0_5TruncIfEEEEEvT_T0_DpT1_
    .private_segment_fixed_size: 0
    .sgpr_count:     26
    .sgpr_spill_count: 0
    .symbol:         _ZN2at6native12_GLOBAL__N_125multi_tensor_apply_kernelINS1_18TensorListMetadataILi2EEENS1_14UnaryOpFunctorIN3c104HalfELi2ELi1ELi1EEEJNS0_5TruncIfEEEEEvT_T0_DpT1_.kd
    .uniform_work_group_size: 1
    .uses_dynamic_stack: false
    .vgpr_count:     30
    .vgpr_spill_count: 0
    .wavefront_size: 64
  - .agpr_count:     0
    .args:
      - .offset:         0
        .size:           3144
        .value_kind:     by_value
      - .offset:         3144
        .size:           1
        .value_kind:     by_value
      - .offset:         3145
        .size:           1
        .value_kind:     by_value
      - .offset:         3152
        .size:           4
        .value_kind:     hidden_block_count_x
      - .offset:         3156
        .size:           4
        .value_kind:     hidden_block_count_y
      - .offset:         3160
        .size:           4
        .value_kind:     hidden_block_count_z
      - .offset:         3164
        .size:           2
        .value_kind:     hidden_group_size_x
      - .offset:         3166
        .size:           2
        .value_kind:     hidden_group_size_y
      - .offset:         3168
        .size:           2
        .value_kind:     hidden_group_size_z
      - .offset:         3170
        .size:           2
        .value_kind:     hidden_remainder_x
      - .offset:         3172
        .size:           2
        .value_kind:     hidden_remainder_y
      - .offset:         3174
        .size:           2
        .value_kind:     hidden_remainder_z
      - .offset:         3192
        .size:           8
        .value_kind:     hidden_global_offset_x
      - .offset:         3200
        .size:           8
        .value_kind:     hidden_global_offset_y
      - .offset:         3208
        .size:           8
        .value_kind:     hidden_global_offset_z
      - .offset:         3216
        .size:           2
        .value_kind:     hidden_grid_dims
    .group_segment_fixed_size: 0
    .kernarg_segment_align: 8
    .kernarg_segment_size: 3408
    .language:       OpenCL C
    .language_version:
      - 2
      - 0
    .max_flat_workgroup_size: 512
    .name:           _ZN2at6native12_GLOBAL__N_125multi_tensor_apply_kernelINS1_18TensorListMetadataILi2EEENS1_14UnaryOpFunctorIN3c108BFloat16ELi2ELi1ELi1EEEJNS0_5TruncIfEEEEEvT_T0_DpT1_
    .private_segment_fixed_size: 0
    .sgpr_count:     27
    .sgpr_spill_count: 0
    .symbol:         _ZN2at6native12_GLOBAL__N_125multi_tensor_apply_kernelINS1_18TensorListMetadataILi2EEENS1_14UnaryOpFunctorIN3c108BFloat16ELi2ELi1ELi1EEEJNS0_5TruncIfEEEEEvT_T0_DpT1_.kd
    .uniform_work_group_size: 1
    .uses_dynamic_stack: false
    .vgpr_count:     30
    .vgpr_spill_count: 0
    .wavefront_size: 64
  - .agpr_count:     0
    .args:
      - .offset:         0
        .size:           3368
        .value_kind:     by_value
      - .offset:         3368
        .size:           1
        .value_kind:     by_value
      - .offset:         3369
        .size:           1
        .value_kind:     by_value
      - .offset:         3376
        .size:           4
        .value_kind:     hidden_block_count_x
      - .offset:         3380
        .size:           4
        .value_kind:     hidden_block_count_y
      - .offset:         3384
        .size:           4
        .value_kind:     hidden_block_count_z
      - .offset:         3388
        .size:           2
        .value_kind:     hidden_group_size_x
      - .offset:         3390
        .size:           2
        .value_kind:     hidden_group_size_y
      - .offset:         3392
        .size:           2
        .value_kind:     hidden_group_size_z
      - .offset:         3394
        .size:           2
        .value_kind:     hidden_remainder_x
      - .offset:         3396
        .size:           2
        .value_kind:     hidden_remainder_y
      - .offset:         3398
        .size:           2
        .value_kind:     hidden_remainder_z
      - .offset:         3416
        .size:           8
        .value_kind:     hidden_global_offset_x
      - .offset:         3424
        .size:           8
        .value_kind:     hidden_global_offset_y
      - .offset:         3432
        .size:           8
        .value_kind:     hidden_global_offset_z
      - .offset:         3440
        .size:           2
        .value_kind:     hidden_grid_dims
    .group_segment_fixed_size: 0
    .kernarg_segment_align: 8
    .kernarg_segment_size: 3632
    .language:       OpenCL C
    .language_version:
      - 2
      - 0
    .max_flat_workgroup_size: 512
    .name:           _ZN2at6native12_GLOBAL__N_125multi_tensor_apply_kernelINS1_18TensorListMetadataILi1EEENS1_14UnaryOpFunctorIdLi1ELi1ELi0EEEJNS0_5TruncIdEEEEEvT_T0_DpT1_
    .private_segment_fixed_size: 0
    .sgpr_count:     32
    .sgpr_spill_count: 0
    .symbol:         _ZN2at6native12_GLOBAL__N_125multi_tensor_apply_kernelINS1_18TensorListMetadataILi1EEENS1_14UnaryOpFunctorIdLi1ELi1ELi0EEEJNS0_5TruncIdEEEEEvT_T0_DpT1_.kd
    .uniform_work_group_size: 1
    .uses_dynamic_stack: false
    .vgpr_count:     24
    .vgpr_spill_count: 0
    .wavefront_size: 64
  - .agpr_count:     0
    .args:
      - .offset:         0
        .size:           3368
        .value_kind:     by_value
      - .offset:         3368
        .size:           1
        .value_kind:     by_value
      - .offset:         3369
        .size:           1
        .value_kind:     by_value
      - .offset:         3376
        .size:           4
        .value_kind:     hidden_block_count_x
      - .offset:         3380
        .size:           4
        .value_kind:     hidden_block_count_y
      - .offset:         3384
        .size:           4
        .value_kind:     hidden_block_count_z
      - .offset:         3388
        .size:           2
        .value_kind:     hidden_group_size_x
      - .offset:         3390
        .size:           2
        .value_kind:     hidden_group_size_y
      - .offset:         3392
        .size:           2
        .value_kind:     hidden_group_size_z
      - .offset:         3394
        .size:           2
        .value_kind:     hidden_remainder_x
      - .offset:         3396
        .size:           2
        .value_kind:     hidden_remainder_y
      - .offset:         3398
        .size:           2
        .value_kind:     hidden_remainder_z
      - .offset:         3416
        .size:           8
        .value_kind:     hidden_global_offset_x
      - .offset:         3424
        .size:           8
        .value_kind:     hidden_global_offset_y
      - .offset:         3432
        .size:           8
        .value_kind:     hidden_global_offset_z
      - .offset:         3440
        .size:           2
        .value_kind:     hidden_grid_dims
    .group_segment_fixed_size: 0
    .kernarg_segment_align: 8
    .kernarg_segment_size: 3632
    .language:       OpenCL C
    .language_version:
      - 2
      - 0
    .max_flat_workgroup_size: 512
    .name:           _ZN2at6native12_GLOBAL__N_125multi_tensor_apply_kernelINS1_18TensorListMetadataILi1EEENS1_14UnaryOpFunctorIfLi1ELi1ELi0EEEJNS0_5TruncIfEEEEEvT_T0_DpT1_
    .private_segment_fixed_size: 0
    .sgpr_count:     32
    .sgpr_spill_count: 0
    .symbol:         _ZN2at6native12_GLOBAL__N_125multi_tensor_apply_kernelINS1_18TensorListMetadataILi1EEENS1_14UnaryOpFunctorIfLi1ELi1ELi0EEEJNS0_5TruncIfEEEEEvT_T0_DpT1_.kd
    .uniform_work_group_size: 1
    .uses_dynamic_stack: false
    .vgpr_count:     22
    .vgpr_spill_count: 0
    .wavefront_size: 64
  - .agpr_count:     0
    .args:
      - .offset:         0
        .size:           3368
        .value_kind:     by_value
      - .offset:         3368
        .size:           1
        .value_kind:     by_value
      - .offset:         3369
        .size:           1
        .value_kind:     by_value
      - .offset:         3376
        .size:           4
        .value_kind:     hidden_block_count_x
      - .offset:         3380
        .size:           4
        .value_kind:     hidden_block_count_y
      - .offset:         3384
        .size:           4
        .value_kind:     hidden_block_count_z
      - .offset:         3388
        .size:           2
        .value_kind:     hidden_group_size_x
      - .offset:         3390
        .size:           2
        .value_kind:     hidden_group_size_y
      - .offset:         3392
        .size:           2
        .value_kind:     hidden_group_size_z
      - .offset:         3394
        .size:           2
        .value_kind:     hidden_remainder_x
      - .offset:         3396
        .size:           2
        .value_kind:     hidden_remainder_y
      - .offset:         3398
        .size:           2
        .value_kind:     hidden_remainder_z
      - .offset:         3416
        .size:           8
        .value_kind:     hidden_global_offset_x
      - .offset:         3424
        .size:           8
        .value_kind:     hidden_global_offset_y
      - .offset:         3432
        .size:           8
        .value_kind:     hidden_global_offset_z
      - .offset:         3440
        .size:           2
        .value_kind:     hidden_grid_dims
    .group_segment_fixed_size: 0
    .kernarg_segment_align: 8
    .kernarg_segment_size: 3632
    .language:       OpenCL C
    .language_version:
      - 2
      - 0
    .max_flat_workgroup_size: 512
    .name:           _ZN2at6native12_GLOBAL__N_125multi_tensor_apply_kernelINS1_18TensorListMetadataILi1EEENS1_14UnaryOpFunctorIN3c104HalfELi1ELi1ELi0EEEJNS0_5TruncIfEEEEEvT_T0_DpT1_
    .private_segment_fixed_size: 0
    .sgpr_count:     31
    .sgpr_spill_count: 0
    .symbol:         _ZN2at6native12_GLOBAL__N_125multi_tensor_apply_kernelINS1_18TensorListMetadataILi1EEENS1_14UnaryOpFunctorIN3c104HalfELi1ELi1ELi0EEEJNS0_5TruncIfEEEEEvT_T0_DpT1_.kd
    .uniform_work_group_size: 1
    .uses_dynamic_stack: false
    .vgpr_count:     22
    .vgpr_spill_count: 0
    .wavefront_size: 64
  - .agpr_count:     0
    .args:
      - .offset:         0
        .size:           3368
        .value_kind:     by_value
      - .offset:         3368
        .size:           1
        .value_kind:     by_value
      - .offset:         3369
        .size:           1
        .value_kind:     by_value
      - .offset:         3376
        .size:           4
        .value_kind:     hidden_block_count_x
      - .offset:         3380
        .size:           4
        .value_kind:     hidden_block_count_y
      - .offset:         3384
        .size:           4
        .value_kind:     hidden_block_count_z
      - .offset:         3388
        .size:           2
        .value_kind:     hidden_group_size_x
      - .offset:         3390
        .size:           2
        .value_kind:     hidden_group_size_y
      - .offset:         3392
        .size:           2
        .value_kind:     hidden_group_size_z
      - .offset:         3394
        .size:           2
        .value_kind:     hidden_remainder_x
      - .offset:         3396
        .size:           2
        .value_kind:     hidden_remainder_y
      - .offset:         3398
        .size:           2
        .value_kind:     hidden_remainder_z
      - .offset:         3416
        .size:           8
        .value_kind:     hidden_global_offset_x
      - .offset:         3424
        .size:           8
        .value_kind:     hidden_global_offset_y
      - .offset:         3432
        .size:           8
        .value_kind:     hidden_global_offset_z
      - .offset:         3440
        .size:           2
        .value_kind:     hidden_grid_dims
    .group_segment_fixed_size: 0
    .kernarg_segment_align: 8
    .kernarg_segment_size: 3632
    .language:       OpenCL C
    .language_version:
      - 2
      - 0
    .max_flat_workgroup_size: 512
    .name:           _ZN2at6native12_GLOBAL__N_125multi_tensor_apply_kernelINS1_18TensorListMetadataILi1EEENS1_14UnaryOpFunctorIN3c108BFloat16ELi1ELi1ELi0EEEJNS0_5TruncIfEEEEEvT_T0_DpT1_
    .private_segment_fixed_size: 0
    .sgpr_count:     32
    .sgpr_spill_count: 0
    .symbol:         _ZN2at6native12_GLOBAL__N_125multi_tensor_apply_kernelINS1_18TensorListMetadataILi1EEENS1_14UnaryOpFunctorIN3c108BFloat16ELi1ELi1ELi0EEEJNS0_5TruncIfEEEEEvT_T0_DpT1_.kd
    .uniform_work_group_size: 1
    .uses_dynamic_stack: false
    .vgpr_count:     24
    .vgpr_spill_count: 0
    .wavefront_size: 64
  - .agpr_count:     0
    .args:
      - .offset:         0
        .size:           3144
        .value_kind:     by_value
      - .offset:         3144
        .size:           1
        .value_kind:     by_value
      - .offset:         3152
        .size:           8
        .value_kind:     by_value
      - .offset:         3160
        .size:           4
        .value_kind:     hidden_block_count_x
      - .offset:         3164
        .size:           4
        .value_kind:     hidden_block_count_y
      - .offset:         3168
        .size:           4
        .value_kind:     hidden_block_count_z
      - .offset:         3172
        .size:           2
        .value_kind:     hidden_group_size_x
      - .offset:         3174
        .size:           2
        .value_kind:     hidden_group_size_y
      - .offset:         3176
        .size:           2
        .value_kind:     hidden_group_size_z
      - .offset:         3178
        .size:           2
        .value_kind:     hidden_remainder_x
      - .offset:         3180
        .size:           2
        .value_kind:     hidden_remainder_y
      - .offset:         3182
        .size:           2
        .value_kind:     hidden_remainder_z
      - .offset:         3200
        .size:           8
        .value_kind:     hidden_global_offset_x
      - .offset:         3208
        .size:           8
        .value_kind:     hidden_global_offset_y
      - .offset:         3216
        .size:           8
        .value_kind:     hidden_global_offset_z
      - .offset:         3224
        .size:           2
        .value_kind:     hidden_grid_dims
    .group_segment_fixed_size: 0
    .kernarg_segment_align: 8
    .kernarg_segment_size: 3416
    .language:       OpenCL C
    .language_version:
      - 2
      - 0
    .max_flat_workgroup_size: 512
    .name:           _ZN2at6native12_GLOBAL__N_125multi_tensor_apply_kernelINS1_18TensorListMetadataILi2EEENS1_14UnaryOpFunctorIdLi2ELi1ELi1EEEJNS0_10ReciprocalIdEEEEEvT_T0_DpT1_
    .private_segment_fixed_size: 0
    .sgpr_count:     34
    .sgpr_spill_count: 0
    .symbol:         _ZN2at6native12_GLOBAL__N_125multi_tensor_apply_kernelINS1_18TensorListMetadataILi2EEENS1_14UnaryOpFunctorIdLi2ELi1ELi1EEEJNS0_10ReciprocalIdEEEEEvT_T0_DpT1_.kd
    .uniform_work_group_size: 1
    .uses_dynamic_stack: false
    .vgpr_count:     48
    .vgpr_spill_count: 0
    .wavefront_size: 64
  - .agpr_count:     0
    .args:
      - .offset:         0
        .size:           3144
        .value_kind:     by_value
      - .offset:         3144
        .size:           1
        .value_kind:     by_value
      - .offset:         3148
        .size:           4
        .value_kind:     by_value
      - .offset:         3152
        .size:           4
        .value_kind:     hidden_block_count_x
      - .offset:         3156
        .size:           4
        .value_kind:     hidden_block_count_y
      - .offset:         3160
        .size:           4
        .value_kind:     hidden_block_count_z
      - .offset:         3164
        .size:           2
        .value_kind:     hidden_group_size_x
      - .offset:         3166
        .size:           2
        .value_kind:     hidden_group_size_y
      - .offset:         3168
        .size:           2
        .value_kind:     hidden_group_size_z
      - .offset:         3170
        .size:           2
        .value_kind:     hidden_remainder_x
      - .offset:         3172
        .size:           2
        .value_kind:     hidden_remainder_y
      - .offset:         3174
        .size:           2
        .value_kind:     hidden_remainder_z
      - .offset:         3192
        .size:           8
        .value_kind:     hidden_global_offset_x
      - .offset:         3200
        .size:           8
        .value_kind:     hidden_global_offset_y
      - .offset:         3208
        .size:           8
        .value_kind:     hidden_global_offset_z
      - .offset:         3216
        .size:           2
        .value_kind:     hidden_grid_dims
    .group_segment_fixed_size: 0
    .kernarg_segment_align: 8
    .kernarg_segment_size: 3408
    .language:       OpenCL C
    .language_version:
      - 2
      - 0
    .max_flat_workgroup_size: 512
    .name:           _ZN2at6native12_GLOBAL__N_125multi_tensor_apply_kernelINS1_18TensorListMetadataILi2EEENS1_14UnaryOpFunctorIfLi2ELi1ELi1EEEJNS0_10ReciprocalIfEEEEEvT_T0_DpT1_
    .private_segment_fixed_size: 0
    .sgpr_count:     30
    .sgpr_spill_count: 0
    .symbol:         _ZN2at6native12_GLOBAL__N_125multi_tensor_apply_kernelINS1_18TensorListMetadataILi2EEENS1_14UnaryOpFunctorIfLi2ELi1ELi1EEEJNS0_10ReciprocalIfEEEEEvT_T0_DpT1_.kd
    .uniform_work_group_size: 1
    .uses_dynamic_stack: false
    .vgpr_count:     35
    .vgpr_spill_count: 0
    .wavefront_size: 64
  - .agpr_count:     0
    .args:
      - .offset:         0
        .size:           3144
        .value_kind:     by_value
      - .offset:         3144
        .size:           1
        .value_kind:     by_value
      - .offset:         3152
        .size:           16
        .value_kind:     by_value
      - .offset:         3168
        .size:           4
        .value_kind:     hidden_block_count_x
      - .offset:         3172
        .size:           4
        .value_kind:     hidden_block_count_y
      - .offset:         3176
        .size:           4
        .value_kind:     hidden_block_count_z
      - .offset:         3180
        .size:           2
        .value_kind:     hidden_group_size_x
      - .offset:         3182
        .size:           2
        .value_kind:     hidden_group_size_y
      - .offset:         3184
        .size:           2
        .value_kind:     hidden_group_size_z
      - .offset:         3186
        .size:           2
        .value_kind:     hidden_remainder_x
      - .offset:         3188
        .size:           2
        .value_kind:     hidden_remainder_y
      - .offset:         3190
        .size:           2
        .value_kind:     hidden_remainder_z
      - .offset:         3208
        .size:           8
        .value_kind:     hidden_global_offset_x
      - .offset:         3216
        .size:           8
        .value_kind:     hidden_global_offset_y
      - .offset:         3224
        .size:           8
        .value_kind:     hidden_global_offset_z
      - .offset:         3232
        .size:           2
        .value_kind:     hidden_grid_dims
    .group_segment_fixed_size: 0
    .kernarg_segment_align: 16
    .kernarg_segment_size: 3424
    .language:       OpenCL C
    .language_version:
      - 2
      - 0
    .max_flat_workgroup_size: 512
    .name:           _ZN2at6native12_GLOBAL__N_125multi_tensor_apply_kernelINS1_18TensorListMetadataILi2EEENS1_14UnaryOpFunctorIN3c107complexIdEELi2ELi1ELi1EEEJNS0_10ReciprocalIS8_EEEEEvT_T0_DpT1_
    .private_segment_fixed_size: 0
    .sgpr_count:     42
    .sgpr_spill_count: 0
    .symbol:         _ZN2at6native12_GLOBAL__N_125multi_tensor_apply_kernelINS1_18TensorListMetadataILi2EEENS1_14UnaryOpFunctorIN3c107complexIdEELi2ELi1ELi1EEEJNS0_10ReciprocalIS8_EEEEEvT_T0_DpT1_.kd
    .uniform_work_group_size: 1
    .uses_dynamic_stack: false
    .vgpr_count:     46
    .vgpr_spill_count: 0
    .wavefront_size: 64
  - .agpr_count:     0
    .args:
      - .offset:         0
        .size:           3144
        .value_kind:     by_value
      - .offset:         3144
        .size:           1
        .value_kind:     by_value
      - .offset:         3152
        .size:           8
        .value_kind:     by_value
      - .offset:         3160
        .size:           4
        .value_kind:     hidden_block_count_x
      - .offset:         3164
        .size:           4
        .value_kind:     hidden_block_count_y
      - .offset:         3168
        .size:           4
        .value_kind:     hidden_block_count_z
      - .offset:         3172
        .size:           2
        .value_kind:     hidden_group_size_x
      - .offset:         3174
        .size:           2
        .value_kind:     hidden_group_size_y
      - .offset:         3176
        .size:           2
        .value_kind:     hidden_group_size_z
      - .offset:         3178
        .size:           2
        .value_kind:     hidden_remainder_x
      - .offset:         3180
        .size:           2
        .value_kind:     hidden_remainder_y
      - .offset:         3182
        .size:           2
        .value_kind:     hidden_remainder_z
      - .offset:         3200
        .size:           8
        .value_kind:     hidden_global_offset_x
      - .offset:         3208
        .size:           8
        .value_kind:     hidden_global_offset_y
      - .offset:         3216
        .size:           8
        .value_kind:     hidden_global_offset_z
      - .offset:         3224
        .size:           2
        .value_kind:     hidden_grid_dims
    .group_segment_fixed_size: 0
    .kernarg_segment_align: 8
    .kernarg_segment_size: 3416
    .language:       OpenCL C
    .language_version:
      - 2
      - 0
    .max_flat_workgroup_size: 512
    .name:           _ZN2at6native12_GLOBAL__N_125multi_tensor_apply_kernelINS1_18TensorListMetadataILi2EEENS1_14UnaryOpFunctorIN3c107complexIfEELi2ELi1ELi1EEEJNS0_10ReciprocalIS8_EEEEEvT_T0_DpT1_
    .private_segment_fixed_size: 0
    .sgpr_count:     40
    .sgpr_spill_count: 0
    .symbol:         _ZN2at6native12_GLOBAL__N_125multi_tensor_apply_kernelINS1_18TensorListMetadataILi2EEENS1_14UnaryOpFunctorIN3c107complexIfEELi2ELi1ELi1EEEJNS0_10ReciprocalIS8_EEEEEvT_T0_DpT1_.kd
    .uniform_work_group_size: 1
    .uses_dynamic_stack: false
    .vgpr_count:     38
    .vgpr_spill_count: 0
    .wavefront_size: 64
  - .agpr_count:     0
    .args:
      - .offset:         0
        .size:           3144
        .value_kind:     by_value
      - .offset:         3144
        .size:           1
        .value_kind:     by_value
      - .offset:         3148
        .size:           4
        .value_kind:     by_value
      - .offset:         3152
        .size:           4
        .value_kind:     hidden_block_count_x
      - .offset:         3156
        .size:           4
        .value_kind:     hidden_block_count_y
      - .offset:         3160
        .size:           4
        .value_kind:     hidden_block_count_z
      - .offset:         3164
        .size:           2
        .value_kind:     hidden_group_size_x
      - .offset:         3166
        .size:           2
        .value_kind:     hidden_group_size_y
      - .offset:         3168
        .size:           2
        .value_kind:     hidden_group_size_z
      - .offset:         3170
        .size:           2
        .value_kind:     hidden_remainder_x
      - .offset:         3172
        .size:           2
        .value_kind:     hidden_remainder_y
      - .offset:         3174
        .size:           2
        .value_kind:     hidden_remainder_z
      - .offset:         3192
        .size:           8
        .value_kind:     hidden_global_offset_x
      - .offset:         3200
        .size:           8
        .value_kind:     hidden_global_offset_y
      - .offset:         3208
        .size:           8
        .value_kind:     hidden_global_offset_z
      - .offset:         3216
        .size:           2
        .value_kind:     hidden_grid_dims
    .group_segment_fixed_size: 0
    .kernarg_segment_align: 8
    .kernarg_segment_size: 3408
    .language:       OpenCL C
    .language_version:
      - 2
      - 0
    .max_flat_workgroup_size: 512
    .name:           _ZN2at6native12_GLOBAL__N_125multi_tensor_apply_kernelINS1_18TensorListMetadataILi2EEENS1_14UnaryOpFunctorIN3c104HalfELi2ELi1ELi1EEEJNS0_10ReciprocalIfEEEEEvT_T0_DpT1_
    .private_segment_fixed_size: 0
    .sgpr_count:     36
    .sgpr_spill_count: 0
    .symbol:         _ZN2at6native12_GLOBAL__N_125multi_tensor_apply_kernelINS1_18TensorListMetadataILi2EEENS1_14UnaryOpFunctorIN3c104HalfELi2ELi1ELi1EEEJNS0_10ReciprocalIfEEEEEvT_T0_DpT1_.kd
    .uniform_work_group_size: 1
    .uses_dynamic_stack: false
    .vgpr_count:     33
    .vgpr_spill_count: 0
    .wavefront_size: 64
  - .agpr_count:     0
    .args:
      - .offset:         0
        .size:           3144
        .value_kind:     by_value
      - .offset:         3144
        .size:           1
        .value_kind:     by_value
      - .offset:         3148
        .size:           4
        .value_kind:     by_value
      - .offset:         3152
        .size:           4
        .value_kind:     hidden_block_count_x
      - .offset:         3156
        .size:           4
        .value_kind:     hidden_block_count_y
      - .offset:         3160
        .size:           4
        .value_kind:     hidden_block_count_z
      - .offset:         3164
        .size:           2
        .value_kind:     hidden_group_size_x
      - .offset:         3166
        .size:           2
        .value_kind:     hidden_group_size_y
      - .offset:         3168
        .size:           2
        .value_kind:     hidden_group_size_z
      - .offset:         3170
        .size:           2
        .value_kind:     hidden_remainder_x
      - .offset:         3172
        .size:           2
        .value_kind:     hidden_remainder_y
      - .offset:         3174
        .size:           2
        .value_kind:     hidden_remainder_z
      - .offset:         3192
        .size:           8
        .value_kind:     hidden_global_offset_x
      - .offset:         3200
        .size:           8
        .value_kind:     hidden_global_offset_y
      - .offset:         3208
        .size:           8
        .value_kind:     hidden_global_offset_z
      - .offset:         3216
        .size:           2
        .value_kind:     hidden_grid_dims
    .group_segment_fixed_size: 0
    .kernarg_segment_align: 8
    .kernarg_segment_size: 3408
    .language:       OpenCL C
    .language_version:
      - 2
      - 0
    .max_flat_workgroup_size: 512
    .name:           _ZN2at6native12_GLOBAL__N_125multi_tensor_apply_kernelINS1_18TensorListMetadataILi2EEENS1_14UnaryOpFunctorIN3c108BFloat16ELi2ELi1ELi1EEEJNS0_10ReciprocalIfEEEEEvT_T0_DpT1_
    .private_segment_fixed_size: 0
    .sgpr_count:     30
    .sgpr_spill_count: 0
    .symbol:         _ZN2at6native12_GLOBAL__N_125multi_tensor_apply_kernelINS1_18TensorListMetadataILi2EEENS1_14UnaryOpFunctorIN3c108BFloat16ELi2ELi1ELi1EEEJNS0_10ReciprocalIfEEEEEvT_T0_DpT1_.kd
    .uniform_work_group_size: 1
    .uses_dynamic_stack: false
    .vgpr_count:     36
    .vgpr_spill_count: 0
    .wavefront_size: 64
  - .agpr_count:     0
    .args:
      - .offset:         0
        .size:           3368
        .value_kind:     by_value
      - .offset:         3368
        .size:           1
        .value_kind:     by_value
      - .offset:         3376
        .size:           8
        .value_kind:     by_value
      - .offset:         3384
        .size:           4
        .value_kind:     hidden_block_count_x
      - .offset:         3388
        .size:           4
        .value_kind:     hidden_block_count_y
      - .offset:         3392
        .size:           4
        .value_kind:     hidden_block_count_z
      - .offset:         3396
        .size:           2
        .value_kind:     hidden_group_size_x
      - .offset:         3398
        .size:           2
        .value_kind:     hidden_group_size_y
      - .offset:         3400
        .size:           2
        .value_kind:     hidden_group_size_z
      - .offset:         3402
        .size:           2
        .value_kind:     hidden_remainder_x
      - .offset:         3404
        .size:           2
        .value_kind:     hidden_remainder_y
      - .offset:         3406
        .size:           2
        .value_kind:     hidden_remainder_z
      - .offset:         3424
        .size:           8
        .value_kind:     hidden_global_offset_x
      - .offset:         3432
        .size:           8
        .value_kind:     hidden_global_offset_y
      - .offset:         3440
        .size:           8
        .value_kind:     hidden_global_offset_z
      - .offset:         3448
        .size:           2
        .value_kind:     hidden_grid_dims
    .group_segment_fixed_size: 0
    .kernarg_segment_align: 8
    .kernarg_segment_size: 3640
    .language:       OpenCL C
    .language_version:
      - 2
      - 0
    .max_flat_workgroup_size: 512
    .name:           _ZN2at6native12_GLOBAL__N_125multi_tensor_apply_kernelINS1_18TensorListMetadataILi1EEENS1_14UnaryOpFunctorIdLi1ELi1ELi0EEEJNS0_10ReciprocalIdEEEEEvT_T0_DpT1_
    .private_segment_fixed_size: 0
    .sgpr_count:     35
    .sgpr_spill_count: 0
    .symbol:         _ZN2at6native12_GLOBAL__N_125multi_tensor_apply_kernelINS1_18TensorListMetadataILi1EEENS1_14UnaryOpFunctorIdLi1ELi1ELi0EEEJNS0_10ReciprocalIdEEEEEvT_T0_DpT1_.kd
    .uniform_work_group_size: 1
    .uses_dynamic_stack: false
    .vgpr_count:     46
    .vgpr_spill_count: 0
    .wavefront_size: 64
  - .agpr_count:     0
    .args:
      - .offset:         0
        .size:           3368
        .value_kind:     by_value
      - .offset:         3368
        .size:           1
        .value_kind:     by_value
      - .offset:         3372
        .size:           4
        .value_kind:     by_value
      - .offset:         3376
        .size:           4
        .value_kind:     hidden_block_count_x
      - .offset:         3380
        .size:           4
        .value_kind:     hidden_block_count_y
      - .offset:         3384
        .size:           4
        .value_kind:     hidden_block_count_z
      - .offset:         3388
        .size:           2
        .value_kind:     hidden_group_size_x
      - .offset:         3390
        .size:           2
        .value_kind:     hidden_group_size_y
      - .offset:         3392
        .size:           2
        .value_kind:     hidden_group_size_z
      - .offset:         3394
        .size:           2
        .value_kind:     hidden_remainder_x
      - .offset:         3396
        .size:           2
        .value_kind:     hidden_remainder_y
      - .offset:         3398
        .size:           2
        .value_kind:     hidden_remainder_z
      - .offset:         3416
        .size:           8
        .value_kind:     hidden_global_offset_x
      - .offset:         3424
        .size:           8
        .value_kind:     hidden_global_offset_y
      - .offset:         3432
        .size:           8
        .value_kind:     hidden_global_offset_z
      - .offset:         3440
        .size:           2
        .value_kind:     hidden_grid_dims
    .group_segment_fixed_size: 0
    .kernarg_segment_align: 8
    .kernarg_segment_size: 3632
    .language:       OpenCL C
    .language_version:
      - 2
      - 0
    .max_flat_workgroup_size: 512
    .name:           _ZN2at6native12_GLOBAL__N_125multi_tensor_apply_kernelINS1_18TensorListMetadataILi1EEENS1_14UnaryOpFunctorIfLi1ELi1ELi0EEEJNS0_10ReciprocalIfEEEEEvT_T0_DpT1_
    .private_segment_fixed_size: 0
    .sgpr_count:     33
    .sgpr_spill_count: 0
    .symbol:         _ZN2at6native12_GLOBAL__N_125multi_tensor_apply_kernelINS1_18TensorListMetadataILi1EEENS1_14UnaryOpFunctorIfLi1ELi1ELi0EEEJNS0_10ReciprocalIfEEEEEvT_T0_DpT1_.kd
    .uniform_work_group_size: 1
    .uses_dynamic_stack: false
    .vgpr_count:     30
    .vgpr_spill_count: 0
    .wavefront_size: 64
  - .agpr_count:     0
    .args:
      - .offset:         0
        .size:           3368
        .value_kind:     by_value
      - .offset:         3368
        .size:           1
        .value_kind:     by_value
      - .offset:         3376
        .size:           16
        .value_kind:     by_value
      - .offset:         3392
        .size:           4
        .value_kind:     hidden_block_count_x
      - .offset:         3396
        .size:           4
        .value_kind:     hidden_block_count_y
      - .offset:         3400
        .size:           4
        .value_kind:     hidden_block_count_z
      - .offset:         3404
        .size:           2
        .value_kind:     hidden_group_size_x
      - .offset:         3406
        .size:           2
        .value_kind:     hidden_group_size_y
      - .offset:         3408
        .size:           2
        .value_kind:     hidden_group_size_z
      - .offset:         3410
        .size:           2
        .value_kind:     hidden_remainder_x
      - .offset:         3412
        .size:           2
        .value_kind:     hidden_remainder_y
      - .offset:         3414
        .size:           2
        .value_kind:     hidden_remainder_z
      - .offset:         3432
        .size:           8
        .value_kind:     hidden_global_offset_x
      - .offset:         3440
        .size:           8
        .value_kind:     hidden_global_offset_y
      - .offset:         3448
        .size:           8
        .value_kind:     hidden_global_offset_z
      - .offset:         3456
        .size:           2
        .value_kind:     hidden_grid_dims
    .group_segment_fixed_size: 0
    .kernarg_segment_align: 16
    .kernarg_segment_size: 3648
    .language:       OpenCL C
    .language_version:
      - 2
      - 0
    .max_flat_workgroup_size: 512
    .name:           _ZN2at6native12_GLOBAL__N_125multi_tensor_apply_kernelINS1_18TensorListMetadataILi1EEENS1_14UnaryOpFunctorIN3c107complexIdEELi1ELi1ELi0EEEJNS0_10ReciprocalIS8_EEEEEvT_T0_DpT1_
    .private_segment_fixed_size: 0
    .sgpr_count:     40
    .sgpr_spill_count: 0
    .symbol:         _ZN2at6native12_GLOBAL__N_125multi_tensor_apply_kernelINS1_18TensorListMetadataILi1EEENS1_14UnaryOpFunctorIN3c107complexIdEELi1ELi1ELi0EEEJNS0_10ReciprocalIS8_EEEEEvT_T0_DpT1_.kd
    .uniform_work_group_size: 1
    .uses_dynamic_stack: false
    .vgpr_count:     42
    .vgpr_spill_count: 0
    .wavefront_size: 64
  - .agpr_count:     0
    .args:
      - .offset:         0
        .size:           3368
        .value_kind:     by_value
      - .offset:         3368
        .size:           1
        .value_kind:     by_value
      - .offset:         3376
        .size:           8
        .value_kind:     by_value
      - .offset:         3384
        .size:           4
        .value_kind:     hidden_block_count_x
      - .offset:         3388
        .size:           4
        .value_kind:     hidden_block_count_y
      - .offset:         3392
        .size:           4
        .value_kind:     hidden_block_count_z
      - .offset:         3396
        .size:           2
        .value_kind:     hidden_group_size_x
      - .offset:         3398
        .size:           2
        .value_kind:     hidden_group_size_y
      - .offset:         3400
        .size:           2
        .value_kind:     hidden_group_size_z
      - .offset:         3402
        .size:           2
        .value_kind:     hidden_remainder_x
      - .offset:         3404
        .size:           2
        .value_kind:     hidden_remainder_y
      - .offset:         3406
        .size:           2
        .value_kind:     hidden_remainder_z
      - .offset:         3424
        .size:           8
        .value_kind:     hidden_global_offset_x
      - .offset:         3432
        .size:           8
        .value_kind:     hidden_global_offset_y
      - .offset:         3440
        .size:           8
        .value_kind:     hidden_global_offset_z
      - .offset:         3448
        .size:           2
        .value_kind:     hidden_grid_dims
    .group_segment_fixed_size: 0
    .kernarg_segment_align: 8
    .kernarg_segment_size: 3640
    .language:       OpenCL C
    .language_version:
      - 2
      - 0
    .max_flat_workgroup_size: 512
    .name:           _ZN2at6native12_GLOBAL__N_125multi_tensor_apply_kernelINS1_18TensorListMetadataILi1EEENS1_14UnaryOpFunctorIN3c107complexIfEELi1ELi1ELi0EEEJNS0_10ReciprocalIS8_EEEEEvT_T0_DpT1_
    .private_segment_fixed_size: 0
    .sgpr_count:     42
    .sgpr_spill_count: 0
    .symbol:         _ZN2at6native12_GLOBAL__N_125multi_tensor_apply_kernelINS1_18TensorListMetadataILi1EEENS1_14UnaryOpFunctorIN3c107complexIfEELi1ELi1ELi0EEEJNS0_10ReciprocalIS8_EEEEEvT_T0_DpT1_.kd
    .uniform_work_group_size: 1
    .uses_dynamic_stack: false
    .vgpr_count:     26
    .vgpr_spill_count: 0
    .wavefront_size: 64
  - .agpr_count:     0
    .args:
      - .offset:         0
        .size:           3368
        .value_kind:     by_value
      - .offset:         3368
        .size:           1
        .value_kind:     by_value
      - .offset:         3372
        .size:           4
        .value_kind:     by_value
      - .offset:         3376
        .size:           4
        .value_kind:     hidden_block_count_x
      - .offset:         3380
        .size:           4
        .value_kind:     hidden_block_count_y
      - .offset:         3384
        .size:           4
        .value_kind:     hidden_block_count_z
      - .offset:         3388
        .size:           2
        .value_kind:     hidden_group_size_x
      - .offset:         3390
        .size:           2
        .value_kind:     hidden_group_size_y
      - .offset:         3392
        .size:           2
        .value_kind:     hidden_group_size_z
      - .offset:         3394
        .size:           2
        .value_kind:     hidden_remainder_x
      - .offset:         3396
        .size:           2
        .value_kind:     hidden_remainder_y
      - .offset:         3398
        .size:           2
        .value_kind:     hidden_remainder_z
      - .offset:         3416
        .size:           8
        .value_kind:     hidden_global_offset_x
      - .offset:         3424
        .size:           8
        .value_kind:     hidden_global_offset_y
      - .offset:         3432
        .size:           8
        .value_kind:     hidden_global_offset_z
      - .offset:         3440
        .size:           2
        .value_kind:     hidden_grid_dims
    .group_segment_fixed_size: 0
    .kernarg_segment_align: 8
    .kernarg_segment_size: 3632
    .language:       OpenCL C
    .language_version:
      - 2
      - 0
    .max_flat_workgroup_size: 512
    .name:           _ZN2at6native12_GLOBAL__N_125multi_tensor_apply_kernelINS1_18TensorListMetadataILi1EEENS1_14UnaryOpFunctorIN3c104HalfELi1ELi1ELi0EEEJNS0_10ReciprocalIfEEEEEvT_T0_DpT1_
    .private_segment_fixed_size: 0
    .sgpr_count:     32
    .sgpr_spill_count: 0
    .symbol:         _ZN2at6native12_GLOBAL__N_125multi_tensor_apply_kernelINS1_18TensorListMetadataILi1EEENS1_14UnaryOpFunctorIN3c104HalfELi1ELi1ELi0EEEJNS0_10ReciprocalIfEEEEEvT_T0_DpT1_.kd
    .uniform_work_group_size: 1
    .uses_dynamic_stack: false
    .vgpr_count:     30
    .vgpr_spill_count: 0
    .wavefront_size: 64
  - .agpr_count:     0
    .args:
      - .offset:         0
        .size:           3368
        .value_kind:     by_value
      - .offset:         3368
        .size:           1
        .value_kind:     by_value
      - .offset:         3372
        .size:           4
        .value_kind:     by_value
      - .offset:         3376
        .size:           4
        .value_kind:     hidden_block_count_x
      - .offset:         3380
        .size:           4
        .value_kind:     hidden_block_count_y
      - .offset:         3384
        .size:           4
        .value_kind:     hidden_block_count_z
      - .offset:         3388
        .size:           2
        .value_kind:     hidden_group_size_x
      - .offset:         3390
        .size:           2
        .value_kind:     hidden_group_size_y
      - .offset:         3392
        .size:           2
        .value_kind:     hidden_group_size_z
      - .offset:         3394
        .size:           2
        .value_kind:     hidden_remainder_x
      - .offset:         3396
        .size:           2
        .value_kind:     hidden_remainder_y
      - .offset:         3398
        .size:           2
        .value_kind:     hidden_remainder_z
      - .offset:         3416
        .size:           8
        .value_kind:     hidden_global_offset_x
      - .offset:         3424
        .size:           8
        .value_kind:     hidden_global_offset_y
      - .offset:         3432
        .size:           8
        .value_kind:     hidden_global_offset_z
      - .offset:         3440
        .size:           2
        .value_kind:     hidden_grid_dims
    .group_segment_fixed_size: 0
    .kernarg_segment_align: 8
    .kernarg_segment_size: 3632
    .language:       OpenCL C
    .language_version:
      - 2
      - 0
    .max_flat_workgroup_size: 512
    .name:           _ZN2at6native12_GLOBAL__N_125multi_tensor_apply_kernelINS1_18TensorListMetadataILi1EEENS1_14UnaryOpFunctorIN3c108BFloat16ELi1ELi1ELi0EEEJNS0_10ReciprocalIfEEEEEvT_T0_DpT1_
    .private_segment_fixed_size: 0
    .sgpr_count:     34
    .sgpr_spill_count: 0
    .symbol:         _ZN2at6native12_GLOBAL__N_125multi_tensor_apply_kernelINS1_18TensorListMetadataILi1EEENS1_14UnaryOpFunctorIN3c108BFloat16ELi1ELi1ELi0EEEJNS0_10ReciprocalIfEEEEEvT_T0_DpT1_.kd
    .uniform_work_group_size: 1
    .uses_dynamic_stack: false
    .vgpr_count:     31
    .vgpr_spill_count: 0
    .wavefront_size: 64
  - .agpr_count:     0
    .args:
      - .offset:         0
        .size:           3144
        .value_kind:     by_value
      - .offset:         3144
        .size:           1
        .value_kind:     by_value
      - .offset:         3145
        .size:           1
        .value_kind:     by_value
      - .offset:         3152
        .size:           4
        .value_kind:     hidden_block_count_x
      - .offset:         3156
        .size:           4
        .value_kind:     hidden_block_count_y
      - .offset:         3160
        .size:           4
        .value_kind:     hidden_block_count_z
      - .offset:         3164
        .size:           2
        .value_kind:     hidden_group_size_x
      - .offset:         3166
        .size:           2
        .value_kind:     hidden_group_size_y
      - .offset:         3168
        .size:           2
        .value_kind:     hidden_group_size_z
      - .offset:         3170
        .size:           2
        .value_kind:     hidden_remainder_x
      - .offset:         3172
        .size:           2
        .value_kind:     hidden_remainder_y
      - .offset:         3174
        .size:           2
        .value_kind:     hidden_remainder_z
      - .offset:         3192
        .size:           8
        .value_kind:     hidden_global_offset_x
      - .offset:         3200
        .size:           8
        .value_kind:     hidden_global_offset_y
      - .offset:         3208
        .size:           8
        .value_kind:     hidden_global_offset_z
      - .offset:         3216
        .size:           2
        .value_kind:     hidden_grid_dims
    .group_segment_fixed_size: 0
    .kernarg_segment_align: 8
    .kernarg_segment_size: 3408
    .language:       OpenCL C
    .language_version:
      - 2
      - 0
    .max_flat_workgroup_size: 512
    .name:           _ZN2at6native12_GLOBAL__N_125multi_tensor_apply_kernelINS1_18TensorListMetadataILi2EEENS1_14UnaryOpFunctorIdLi2ELi1ELi1EEEJNS0_4SignIdEEEEEvT_T0_DpT1_
    .private_segment_fixed_size: 0
    .sgpr_count:     32
    .sgpr_spill_count: 0
    .symbol:         _ZN2at6native12_GLOBAL__N_125multi_tensor_apply_kernelINS1_18TensorListMetadataILi2EEENS1_14UnaryOpFunctorIdLi2ELi1ELi1EEEJNS0_4SignIdEEEEEvT_T0_DpT1_.kd
    .uniform_work_group_size: 1
    .uses_dynamic_stack: false
    .vgpr_count:     34
    .vgpr_spill_count: 0
    .wavefront_size: 64
  - .agpr_count:     0
    .args:
      - .offset:         0
        .size:           3144
        .value_kind:     by_value
      - .offset:         3144
        .size:           1
        .value_kind:     by_value
      - .offset:         3145
        .size:           1
        .value_kind:     by_value
      - .offset:         3152
        .size:           4
        .value_kind:     hidden_block_count_x
      - .offset:         3156
        .size:           4
        .value_kind:     hidden_block_count_y
      - .offset:         3160
        .size:           4
        .value_kind:     hidden_block_count_z
      - .offset:         3164
        .size:           2
        .value_kind:     hidden_group_size_x
      - .offset:         3166
        .size:           2
        .value_kind:     hidden_group_size_y
      - .offset:         3168
        .size:           2
        .value_kind:     hidden_group_size_z
      - .offset:         3170
        .size:           2
        .value_kind:     hidden_remainder_x
      - .offset:         3172
        .size:           2
        .value_kind:     hidden_remainder_y
      - .offset:         3174
        .size:           2
        .value_kind:     hidden_remainder_z
      - .offset:         3192
        .size:           8
        .value_kind:     hidden_global_offset_x
      - .offset:         3200
        .size:           8
        .value_kind:     hidden_global_offset_y
      - .offset:         3208
        .size:           8
        .value_kind:     hidden_global_offset_z
      - .offset:         3216
        .size:           2
        .value_kind:     hidden_grid_dims
    .group_segment_fixed_size: 0
    .kernarg_segment_align: 8
    .kernarg_segment_size: 3408
    .language:       OpenCL C
    .language_version:
      - 2
      - 0
    .max_flat_workgroup_size: 512
    .name:           _ZN2at6native12_GLOBAL__N_125multi_tensor_apply_kernelINS1_18TensorListMetadataILi2EEENS1_14UnaryOpFunctorIfLi2ELi1ELi1EEEJNS0_4SignIfEEEEEvT_T0_DpT1_
    .private_segment_fixed_size: 0
    .sgpr_count:     26
    .sgpr_spill_count: 0
    .symbol:         _ZN2at6native12_GLOBAL__N_125multi_tensor_apply_kernelINS1_18TensorListMetadataILi2EEENS1_14UnaryOpFunctorIfLi2ELi1ELi1EEEJNS0_4SignIfEEEEEvT_T0_DpT1_.kd
    .uniform_work_group_size: 1
    .uses_dynamic_stack: false
    .vgpr_count:     30
    .vgpr_spill_count: 0
    .wavefront_size: 64
  - .agpr_count:     0
    .args:
      - .offset:         0
        .size:           3144
        .value_kind:     by_value
      - .offset:         3144
        .size:           1
        .value_kind:     by_value
      - .offset:         3145
        .size:           1
        .value_kind:     by_value
      - .offset:         3152
        .size:           4
        .value_kind:     hidden_block_count_x
      - .offset:         3156
        .size:           4
        .value_kind:     hidden_block_count_y
      - .offset:         3160
        .size:           4
        .value_kind:     hidden_block_count_z
      - .offset:         3164
        .size:           2
        .value_kind:     hidden_group_size_x
      - .offset:         3166
        .size:           2
        .value_kind:     hidden_group_size_y
      - .offset:         3168
        .size:           2
        .value_kind:     hidden_group_size_z
      - .offset:         3170
        .size:           2
        .value_kind:     hidden_remainder_x
      - .offset:         3172
        .size:           2
        .value_kind:     hidden_remainder_y
      - .offset:         3174
        .size:           2
        .value_kind:     hidden_remainder_z
      - .offset:         3192
        .size:           8
        .value_kind:     hidden_global_offset_x
      - .offset:         3200
        .size:           8
        .value_kind:     hidden_global_offset_y
      - .offset:         3208
        .size:           8
        .value_kind:     hidden_global_offset_z
      - .offset:         3216
        .size:           2
        .value_kind:     hidden_grid_dims
    .group_segment_fixed_size: 0
    .kernarg_segment_align: 8
    .kernarg_segment_size: 3408
    .language:       OpenCL C
    .language_version:
      - 2
      - 0
    .max_flat_workgroup_size: 512
    .name:           _ZN2at6native12_GLOBAL__N_125multi_tensor_apply_kernelINS1_18TensorListMetadataILi2EEENS1_14UnaryOpFunctorIN3c104HalfELi2ELi1ELi1EEEJNS0_4SignIfEEEEEvT_T0_DpT1_
    .private_segment_fixed_size: 0
    .sgpr_count:     34
    .sgpr_spill_count: 0
    .symbol:         _ZN2at6native12_GLOBAL__N_125multi_tensor_apply_kernelINS1_18TensorListMetadataILi2EEENS1_14UnaryOpFunctorIN3c104HalfELi2ELi1ELi1EEEJNS0_4SignIfEEEEEvT_T0_DpT1_.kd
    .uniform_work_group_size: 1
    .uses_dynamic_stack: false
    .vgpr_count:     30
    .vgpr_spill_count: 0
    .wavefront_size: 64
  - .agpr_count:     0
    .args:
      - .offset:         0
        .size:           3144
        .value_kind:     by_value
      - .offset:         3144
        .size:           1
        .value_kind:     by_value
      - .offset:         3145
        .size:           1
        .value_kind:     by_value
      - .offset:         3152
        .size:           4
        .value_kind:     hidden_block_count_x
      - .offset:         3156
        .size:           4
        .value_kind:     hidden_block_count_y
      - .offset:         3160
        .size:           4
        .value_kind:     hidden_block_count_z
      - .offset:         3164
        .size:           2
        .value_kind:     hidden_group_size_x
      - .offset:         3166
        .size:           2
        .value_kind:     hidden_group_size_y
      - .offset:         3168
        .size:           2
        .value_kind:     hidden_group_size_z
      - .offset:         3170
        .size:           2
        .value_kind:     hidden_remainder_x
      - .offset:         3172
        .size:           2
        .value_kind:     hidden_remainder_y
      - .offset:         3174
        .size:           2
        .value_kind:     hidden_remainder_z
      - .offset:         3192
        .size:           8
        .value_kind:     hidden_global_offset_x
      - .offset:         3200
        .size:           8
        .value_kind:     hidden_global_offset_y
      - .offset:         3208
        .size:           8
        .value_kind:     hidden_global_offset_z
      - .offset:         3216
        .size:           2
        .value_kind:     hidden_grid_dims
    .group_segment_fixed_size: 0
    .kernarg_segment_align: 8
    .kernarg_segment_size: 3408
    .language:       OpenCL C
    .language_version:
      - 2
      - 0
    .max_flat_workgroup_size: 512
    .name:           _ZN2at6native12_GLOBAL__N_125multi_tensor_apply_kernelINS1_18TensorListMetadataILi2EEENS1_14UnaryOpFunctorIN3c108BFloat16ELi2ELi1ELi1EEEJNS0_4SignIfEEEEEvT_T0_DpT1_
    .private_segment_fixed_size: 0
    .sgpr_count:     28
    .sgpr_spill_count: 0
    .symbol:         _ZN2at6native12_GLOBAL__N_125multi_tensor_apply_kernelINS1_18TensorListMetadataILi2EEENS1_14UnaryOpFunctorIN3c108BFloat16ELi2ELi1ELi1EEEJNS0_4SignIfEEEEEvT_T0_DpT1_.kd
    .uniform_work_group_size: 1
    .uses_dynamic_stack: false
    .vgpr_count:     30
    .vgpr_spill_count: 0
    .wavefront_size: 64
  - .agpr_count:     0
    .args:
      - .offset:         0
        .size:           3368
        .value_kind:     by_value
      - .offset:         3368
        .size:           1
        .value_kind:     by_value
      - .offset:         3369
        .size:           1
        .value_kind:     by_value
      - .offset:         3376
        .size:           4
        .value_kind:     hidden_block_count_x
      - .offset:         3380
        .size:           4
        .value_kind:     hidden_block_count_y
      - .offset:         3384
        .size:           4
        .value_kind:     hidden_block_count_z
      - .offset:         3388
        .size:           2
        .value_kind:     hidden_group_size_x
      - .offset:         3390
        .size:           2
        .value_kind:     hidden_group_size_y
      - .offset:         3392
        .size:           2
        .value_kind:     hidden_group_size_z
      - .offset:         3394
        .size:           2
        .value_kind:     hidden_remainder_x
      - .offset:         3396
        .size:           2
        .value_kind:     hidden_remainder_y
      - .offset:         3398
        .size:           2
        .value_kind:     hidden_remainder_z
      - .offset:         3416
        .size:           8
        .value_kind:     hidden_global_offset_x
      - .offset:         3424
        .size:           8
        .value_kind:     hidden_global_offset_y
      - .offset:         3432
        .size:           8
        .value_kind:     hidden_global_offset_z
      - .offset:         3440
        .size:           2
        .value_kind:     hidden_grid_dims
    .group_segment_fixed_size: 0
    .kernarg_segment_align: 8
    .kernarg_segment_size: 3632
    .language:       OpenCL C
    .language_version:
      - 2
      - 0
    .max_flat_workgroup_size: 512
    .name:           _ZN2at6native12_GLOBAL__N_125multi_tensor_apply_kernelINS1_18TensorListMetadataILi1EEENS1_14UnaryOpFunctorIdLi1ELi1ELi0EEEJNS0_4SignIdEEEEEvT_T0_DpT1_
    .private_segment_fixed_size: 0
    .sgpr_count:     32
    .sgpr_spill_count: 0
    .symbol:         _ZN2at6native12_GLOBAL__N_125multi_tensor_apply_kernelINS1_18TensorListMetadataILi1EEENS1_14UnaryOpFunctorIdLi1ELi1ELi0EEEJNS0_4SignIdEEEEEvT_T0_DpT1_.kd
    .uniform_work_group_size: 1
    .uses_dynamic_stack: false
    .vgpr_count:     24
    .vgpr_spill_count: 0
    .wavefront_size: 64
  - .agpr_count:     0
    .args:
      - .offset:         0
        .size:           3368
        .value_kind:     by_value
      - .offset:         3368
        .size:           1
        .value_kind:     by_value
      - .offset:         3369
        .size:           1
        .value_kind:     by_value
      - .offset:         3376
        .size:           4
        .value_kind:     hidden_block_count_x
      - .offset:         3380
        .size:           4
        .value_kind:     hidden_block_count_y
      - .offset:         3384
        .size:           4
        .value_kind:     hidden_block_count_z
      - .offset:         3388
        .size:           2
        .value_kind:     hidden_group_size_x
      - .offset:         3390
        .size:           2
        .value_kind:     hidden_group_size_y
      - .offset:         3392
        .size:           2
        .value_kind:     hidden_group_size_z
      - .offset:         3394
        .size:           2
        .value_kind:     hidden_remainder_x
      - .offset:         3396
        .size:           2
        .value_kind:     hidden_remainder_y
      - .offset:         3398
        .size:           2
        .value_kind:     hidden_remainder_z
      - .offset:         3416
        .size:           8
        .value_kind:     hidden_global_offset_x
      - .offset:         3424
        .size:           8
        .value_kind:     hidden_global_offset_y
      - .offset:         3432
        .size:           8
        .value_kind:     hidden_global_offset_z
      - .offset:         3440
        .size:           2
        .value_kind:     hidden_grid_dims
    .group_segment_fixed_size: 0
    .kernarg_segment_align: 8
    .kernarg_segment_size: 3632
    .language:       OpenCL C
    .language_version:
      - 2
      - 0
    .max_flat_workgroup_size: 512
    .name:           _ZN2at6native12_GLOBAL__N_125multi_tensor_apply_kernelINS1_18TensorListMetadataILi1EEENS1_14UnaryOpFunctorIfLi1ELi1ELi0EEEJNS0_4SignIfEEEEEvT_T0_DpT1_
    .private_segment_fixed_size: 0
    .sgpr_count:     32
    .sgpr_spill_count: 0
    .symbol:         _ZN2at6native12_GLOBAL__N_125multi_tensor_apply_kernelINS1_18TensorListMetadataILi1EEENS1_14UnaryOpFunctorIfLi1ELi1ELi0EEEJNS0_4SignIfEEEEEvT_T0_DpT1_.kd
    .uniform_work_group_size: 1
    .uses_dynamic_stack: false
    .vgpr_count:     22
    .vgpr_spill_count: 0
    .wavefront_size: 64
  - .agpr_count:     0
    .args:
      - .offset:         0
        .size:           3368
        .value_kind:     by_value
      - .offset:         3368
        .size:           1
        .value_kind:     by_value
      - .offset:         3369
        .size:           1
        .value_kind:     by_value
      - .offset:         3376
        .size:           4
        .value_kind:     hidden_block_count_x
      - .offset:         3380
        .size:           4
        .value_kind:     hidden_block_count_y
      - .offset:         3384
        .size:           4
        .value_kind:     hidden_block_count_z
      - .offset:         3388
        .size:           2
        .value_kind:     hidden_group_size_x
      - .offset:         3390
        .size:           2
        .value_kind:     hidden_group_size_y
      - .offset:         3392
        .size:           2
        .value_kind:     hidden_group_size_z
      - .offset:         3394
        .size:           2
        .value_kind:     hidden_remainder_x
      - .offset:         3396
        .size:           2
        .value_kind:     hidden_remainder_y
      - .offset:         3398
        .size:           2
        .value_kind:     hidden_remainder_z
      - .offset:         3416
        .size:           8
        .value_kind:     hidden_global_offset_x
      - .offset:         3424
        .size:           8
        .value_kind:     hidden_global_offset_y
      - .offset:         3432
        .size:           8
        .value_kind:     hidden_global_offset_z
      - .offset:         3440
        .size:           2
        .value_kind:     hidden_grid_dims
    .group_segment_fixed_size: 0
    .kernarg_segment_align: 8
    .kernarg_segment_size: 3632
    .language:       OpenCL C
    .language_version:
      - 2
      - 0
    .max_flat_workgroup_size: 512
    .name:           _ZN2at6native12_GLOBAL__N_125multi_tensor_apply_kernelINS1_18TensorListMetadataILi1EEENS1_14UnaryOpFunctorIN3c104HalfELi1ELi1ELi0EEEJNS0_4SignIfEEEEEvT_T0_DpT1_
    .private_segment_fixed_size: 0
    .sgpr_count:     31
    .sgpr_spill_count: 0
    .symbol:         _ZN2at6native12_GLOBAL__N_125multi_tensor_apply_kernelINS1_18TensorListMetadataILi1EEENS1_14UnaryOpFunctorIN3c104HalfELi1ELi1ELi0EEEJNS0_4SignIfEEEEEvT_T0_DpT1_.kd
    .uniform_work_group_size: 1
    .uses_dynamic_stack: false
    .vgpr_count:     22
    .vgpr_spill_count: 0
    .wavefront_size: 64
  - .agpr_count:     0
    .args:
      - .offset:         0
        .size:           3368
        .value_kind:     by_value
      - .offset:         3368
        .size:           1
        .value_kind:     by_value
      - .offset:         3369
        .size:           1
        .value_kind:     by_value
      - .offset:         3376
        .size:           4
        .value_kind:     hidden_block_count_x
      - .offset:         3380
        .size:           4
        .value_kind:     hidden_block_count_y
      - .offset:         3384
        .size:           4
        .value_kind:     hidden_block_count_z
      - .offset:         3388
        .size:           2
        .value_kind:     hidden_group_size_x
      - .offset:         3390
        .size:           2
        .value_kind:     hidden_group_size_y
      - .offset:         3392
        .size:           2
        .value_kind:     hidden_group_size_z
      - .offset:         3394
        .size:           2
        .value_kind:     hidden_remainder_x
      - .offset:         3396
        .size:           2
        .value_kind:     hidden_remainder_y
      - .offset:         3398
        .size:           2
        .value_kind:     hidden_remainder_z
      - .offset:         3416
        .size:           8
        .value_kind:     hidden_global_offset_x
      - .offset:         3424
        .size:           8
        .value_kind:     hidden_global_offset_y
      - .offset:         3432
        .size:           8
        .value_kind:     hidden_global_offset_z
      - .offset:         3440
        .size:           2
        .value_kind:     hidden_grid_dims
    .group_segment_fixed_size: 0
    .kernarg_segment_align: 8
    .kernarg_segment_size: 3632
    .language:       OpenCL C
    .language_version:
      - 2
      - 0
    .max_flat_workgroup_size: 512
    .name:           _ZN2at6native12_GLOBAL__N_125multi_tensor_apply_kernelINS1_18TensorListMetadataILi1EEENS1_14UnaryOpFunctorIN3c108BFloat16ELi1ELi1ELi0EEEJNS0_4SignIfEEEEEvT_T0_DpT1_
    .private_segment_fixed_size: 0
    .sgpr_count:     32
    .sgpr_spill_count: 0
    .symbol:         _ZN2at6native12_GLOBAL__N_125multi_tensor_apply_kernelINS1_18TensorListMetadataILi1EEENS1_14UnaryOpFunctorIN3c108BFloat16ELi1ELi1ELi0EEEJNS0_4SignIfEEEEEvT_T0_DpT1_.kd
    .uniform_work_group_size: 1
    .uses_dynamic_stack: false
    .vgpr_count:     22
    .vgpr_spill_count: 0
    .wavefront_size: 64
  - .agpr_count:     0
    .args:
      - .offset:         0
        .size:           3144
        .value_kind:     by_value
      - .offset:         3144
        .size:           1
        .value_kind:     by_value
      - .offset:         3145
        .size:           1
        .value_kind:     by_value
      - .offset:         3152
        .size:           4
        .value_kind:     hidden_block_count_x
      - .offset:         3156
        .size:           4
        .value_kind:     hidden_block_count_y
      - .offset:         3160
        .size:           4
        .value_kind:     hidden_block_count_z
      - .offset:         3164
        .size:           2
        .value_kind:     hidden_group_size_x
      - .offset:         3166
        .size:           2
        .value_kind:     hidden_group_size_y
      - .offset:         3168
        .size:           2
        .value_kind:     hidden_group_size_z
      - .offset:         3170
        .size:           2
        .value_kind:     hidden_remainder_x
      - .offset:         3172
        .size:           2
        .value_kind:     hidden_remainder_y
      - .offset:         3174
        .size:           2
        .value_kind:     hidden_remainder_z
      - .offset:         3192
        .size:           8
        .value_kind:     hidden_global_offset_x
      - .offset:         3200
        .size:           8
        .value_kind:     hidden_global_offset_y
      - .offset:         3208
        .size:           8
        .value_kind:     hidden_global_offset_z
      - .offset:         3216
        .size:           2
        .value_kind:     hidden_grid_dims
    .group_segment_fixed_size: 0
    .kernarg_segment_align: 8
    .kernarg_segment_size: 3408
    .language:       OpenCL C
    .language_version:
      - 2
      - 0
    .max_flat_workgroup_size: 512
    .name:           _ZN2at6native12_GLOBAL__N_125multi_tensor_apply_kernelINS1_18TensorListMetadataILi2EEENS1_14UnaryOpFunctorIdLi2ELi1ELi1EEEJNS0_5RsqrtIdEEEEEvT_T0_DpT1_
    .private_segment_fixed_size: 0
    .sgpr_count:     34
    .sgpr_spill_count: 0
    .symbol:         _ZN2at6native12_GLOBAL__N_125multi_tensor_apply_kernelINS1_18TensorListMetadataILi2EEENS1_14UnaryOpFunctorIdLi2ELi1ELi1EEEJNS0_5RsqrtIdEEEEEvT_T0_DpT1_.kd
    .uniform_work_group_size: 1
    .uses_dynamic_stack: false
    .vgpr_count:     36
    .vgpr_spill_count: 0
    .wavefront_size: 64
  - .agpr_count:     0
    .args:
      - .offset:         0
        .size:           3144
        .value_kind:     by_value
      - .offset:         3144
        .size:           1
        .value_kind:     by_value
      - .offset:         3145
        .size:           1
        .value_kind:     by_value
      - .offset:         3152
        .size:           4
        .value_kind:     hidden_block_count_x
      - .offset:         3156
        .size:           4
        .value_kind:     hidden_block_count_y
      - .offset:         3160
        .size:           4
        .value_kind:     hidden_block_count_z
      - .offset:         3164
        .size:           2
        .value_kind:     hidden_group_size_x
      - .offset:         3166
        .size:           2
        .value_kind:     hidden_group_size_y
      - .offset:         3168
        .size:           2
        .value_kind:     hidden_group_size_z
      - .offset:         3170
        .size:           2
        .value_kind:     hidden_remainder_x
      - .offset:         3172
        .size:           2
        .value_kind:     hidden_remainder_y
      - .offset:         3174
        .size:           2
        .value_kind:     hidden_remainder_z
      - .offset:         3192
        .size:           8
        .value_kind:     hidden_global_offset_x
      - .offset:         3200
        .size:           8
        .value_kind:     hidden_global_offset_y
      - .offset:         3208
        .size:           8
        .value_kind:     hidden_global_offset_z
      - .offset:         3216
        .size:           2
        .value_kind:     hidden_grid_dims
    .group_segment_fixed_size: 0
    .kernarg_segment_align: 8
    .kernarg_segment_size: 3408
    .language:       OpenCL C
    .language_version:
      - 2
      - 0
    .max_flat_workgroup_size: 512
    .name:           _ZN2at6native12_GLOBAL__N_125multi_tensor_apply_kernelINS1_18TensorListMetadataILi2EEENS1_14UnaryOpFunctorIfLi2ELi1ELi1EEEJNS0_5RsqrtIfEEEEEvT_T0_DpT1_
    .private_segment_fixed_size: 0
    .sgpr_count:     30
    .sgpr_spill_count: 0
    .symbol:         _ZN2at6native12_GLOBAL__N_125multi_tensor_apply_kernelINS1_18TensorListMetadataILi2EEENS1_14UnaryOpFunctorIfLi2ELi1ELi1EEEJNS0_5RsqrtIfEEEEEvT_T0_DpT1_.kd
    .uniform_work_group_size: 1
    .uses_dynamic_stack: false
    .vgpr_count:     30
    .vgpr_spill_count: 0
    .wavefront_size: 64
  - .agpr_count:     0
    .args:
      - .offset:         0
        .size:           3144
        .value_kind:     by_value
      - .offset:         3144
        .size:           1
        .value_kind:     by_value
      - .offset:         3145
        .size:           1
        .value_kind:     by_value
      - .offset:         3152
        .size:           4
        .value_kind:     hidden_block_count_x
      - .offset:         3156
        .size:           4
        .value_kind:     hidden_block_count_y
      - .offset:         3160
        .size:           4
        .value_kind:     hidden_block_count_z
      - .offset:         3164
        .size:           2
        .value_kind:     hidden_group_size_x
      - .offset:         3166
        .size:           2
        .value_kind:     hidden_group_size_y
      - .offset:         3168
        .size:           2
        .value_kind:     hidden_group_size_z
      - .offset:         3170
        .size:           2
        .value_kind:     hidden_remainder_x
      - .offset:         3172
        .size:           2
        .value_kind:     hidden_remainder_y
      - .offset:         3174
        .size:           2
        .value_kind:     hidden_remainder_z
      - .offset:         3192
        .size:           8
        .value_kind:     hidden_global_offset_x
      - .offset:         3200
        .size:           8
        .value_kind:     hidden_global_offset_y
      - .offset:         3208
        .size:           8
        .value_kind:     hidden_global_offset_z
      - .offset:         3216
        .size:           2
        .value_kind:     hidden_grid_dims
    .group_segment_fixed_size: 0
    .kernarg_segment_align: 8
    .kernarg_segment_size: 3408
    .language:       OpenCL C
    .language_version:
      - 2
      - 0
    .max_flat_workgroup_size: 512
    .name:           _ZN2at6native12_GLOBAL__N_125multi_tensor_apply_kernelINS1_18TensorListMetadataILi2EEENS1_14UnaryOpFunctorIN3c107complexIdEELi2ELi1ELi1EEEJNS0_5RsqrtIS8_EEEEEvT_T0_DpT1_
    .private_segment_fixed_size: 0
    .sgpr_count:     60
    .sgpr_spill_count: 0
    .symbol:         _ZN2at6native12_GLOBAL__N_125multi_tensor_apply_kernelINS1_18TensorListMetadataILi2EEENS1_14UnaryOpFunctorIN3c107complexIdEELi2ELi1ELi1EEEJNS0_5RsqrtIS8_EEEEEvT_T0_DpT1_.kd
    .uniform_work_group_size: 1
    .uses_dynamic_stack: false
    .vgpr_count:     48
    .vgpr_spill_count: 0
    .wavefront_size: 64
  - .agpr_count:     0
    .args:
      - .offset:         0
        .size:           3144
        .value_kind:     by_value
      - .offset:         3144
        .size:           1
        .value_kind:     by_value
      - .offset:         3145
        .size:           1
        .value_kind:     by_value
      - .offset:         3152
        .size:           4
        .value_kind:     hidden_block_count_x
      - .offset:         3156
        .size:           4
        .value_kind:     hidden_block_count_y
      - .offset:         3160
        .size:           4
        .value_kind:     hidden_block_count_z
      - .offset:         3164
        .size:           2
        .value_kind:     hidden_group_size_x
      - .offset:         3166
        .size:           2
        .value_kind:     hidden_group_size_y
      - .offset:         3168
        .size:           2
        .value_kind:     hidden_group_size_z
      - .offset:         3170
        .size:           2
        .value_kind:     hidden_remainder_x
      - .offset:         3172
        .size:           2
        .value_kind:     hidden_remainder_y
      - .offset:         3174
        .size:           2
        .value_kind:     hidden_remainder_z
      - .offset:         3192
        .size:           8
        .value_kind:     hidden_global_offset_x
      - .offset:         3200
        .size:           8
        .value_kind:     hidden_global_offset_y
      - .offset:         3208
        .size:           8
        .value_kind:     hidden_global_offset_z
      - .offset:         3216
        .size:           2
        .value_kind:     hidden_grid_dims
    .group_segment_fixed_size: 0
    .kernarg_segment_align: 8
    .kernarg_segment_size: 3408
    .language:       OpenCL C
    .language_version:
      - 2
      - 0
    .max_flat_workgroup_size: 512
    .name:           _ZN2at6native12_GLOBAL__N_125multi_tensor_apply_kernelINS1_18TensorListMetadataILi2EEENS1_14UnaryOpFunctorIN3c107complexIfEELi2ELi1ELi1EEEJNS0_5RsqrtIS8_EEEEEvT_T0_DpT1_
    .private_segment_fixed_size: 0
    .sgpr_count:     53
    .sgpr_spill_count: 0
    .symbol:         _ZN2at6native12_GLOBAL__N_125multi_tensor_apply_kernelINS1_18TensorListMetadataILi2EEENS1_14UnaryOpFunctorIN3c107complexIfEELi2ELi1ELi1EEEJNS0_5RsqrtIS8_EEEEEvT_T0_DpT1_.kd
    .uniform_work_group_size: 1
    .uses_dynamic_stack: false
    .vgpr_count:     39
    .vgpr_spill_count: 0
    .wavefront_size: 64
  - .agpr_count:     0
    .args:
      - .offset:         0
        .size:           3144
        .value_kind:     by_value
      - .offset:         3144
        .size:           1
        .value_kind:     by_value
      - .offset:         3145
        .size:           1
        .value_kind:     by_value
      - .offset:         3152
        .size:           4
        .value_kind:     hidden_block_count_x
      - .offset:         3156
        .size:           4
        .value_kind:     hidden_block_count_y
      - .offset:         3160
        .size:           4
        .value_kind:     hidden_block_count_z
      - .offset:         3164
        .size:           2
        .value_kind:     hidden_group_size_x
      - .offset:         3166
        .size:           2
        .value_kind:     hidden_group_size_y
      - .offset:         3168
        .size:           2
        .value_kind:     hidden_group_size_z
      - .offset:         3170
        .size:           2
        .value_kind:     hidden_remainder_x
      - .offset:         3172
        .size:           2
        .value_kind:     hidden_remainder_y
      - .offset:         3174
        .size:           2
        .value_kind:     hidden_remainder_z
      - .offset:         3192
        .size:           8
        .value_kind:     hidden_global_offset_x
      - .offset:         3200
        .size:           8
        .value_kind:     hidden_global_offset_y
      - .offset:         3208
        .size:           8
        .value_kind:     hidden_global_offset_z
      - .offset:         3216
        .size:           2
        .value_kind:     hidden_grid_dims
    .group_segment_fixed_size: 0
    .kernarg_segment_align: 8
    .kernarg_segment_size: 3408
    .language:       OpenCL C
    .language_version:
      - 2
      - 0
    .max_flat_workgroup_size: 512
    .name:           _ZN2at6native12_GLOBAL__N_125multi_tensor_apply_kernelINS1_18TensorListMetadataILi2EEENS1_14UnaryOpFunctorIN3c104HalfELi2ELi1ELi1EEEJNS0_5RsqrtIfEEEEEvT_T0_DpT1_
    .private_segment_fixed_size: 0
    .sgpr_count:     36
    .sgpr_spill_count: 0
    .symbol:         _ZN2at6native12_GLOBAL__N_125multi_tensor_apply_kernelINS1_18TensorListMetadataILi2EEENS1_14UnaryOpFunctorIN3c104HalfELi2ELi1ELi1EEEJNS0_5RsqrtIfEEEEEvT_T0_DpT1_.kd
    .uniform_work_group_size: 1
    .uses_dynamic_stack: false
    .vgpr_count:     30
    .vgpr_spill_count: 0
    .wavefront_size: 64
  - .agpr_count:     0
    .args:
      - .offset:         0
        .size:           3144
        .value_kind:     by_value
      - .offset:         3144
        .size:           1
        .value_kind:     by_value
      - .offset:         3145
        .size:           1
        .value_kind:     by_value
      - .offset:         3152
        .size:           4
        .value_kind:     hidden_block_count_x
      - .offset:         3156
        .size:           4
        .value_kind:     hidden_block_count_y
      - .offset:         3160
        .size:           4
        .value_kind:     hidden_block_count_z
      - .offset:         3164
        .size:           2
        .value_kind:     hidden_group_size_x
      - .offset:         3166
        .size:           2
        .value_kind:     hidden_group_size_y
      - .offset:         3168
        .size:           2
        .value_kind:     hidden_group_size_z
      - .offset:         3170
        .size:           2
        .value_kind:     hidden_remainder_x
      - .offset:         3172
        .size:           2
        .value_kind:     hidden_remainder_y
      - .offset:         3174
        .size:           2
        .value_kind:     hidden_remainder_z
      - .offset:         3192
        .size:           8
        .value_kind:     hidden_global_offset_x
      - .offset:         3200
        .size:           8
        .value_kind:     hidden_global_offset_y
      - .offset:         3208
        .size:           8
        .value_kind:     hidden_global_offset_z
      - .offset:         3216
        .size:           2
        .value_kind:     hidden_grid_dims
    .group_segment_fixed_size: 0
    .kernarg_segment_align: 8
    .kernarg_segment_size: 3408
    .language:       OpenCL C
    .language_version:
      - 2
      - 0
    .max_flat_workgroup_size: 512
    .name:           _ZN2at6native12_GLOBAL__N_125multi_tensor_apply_kernelINS1_18TensorListMetadataILi2EEENS1_14UnaryOpFunctorIN3c108BFloat16ELi2ELi1ELi1EEEJNS0_5RsqrtIfEEEEEvT_T0_DpT1_
    .private_segment_fixed_size: 0
    .sgpr_count:     30
    .sgpr_spill_count: 0
    .symbol:         _ZN2at6native12_GLOBAL__N_125multi_tensor_apply_kernelINS1_18TensorListMetadataILi2EEENS1_14UnaryOpFunctorIN3c108BFloat16ELi2ELi1ELi1EEEJNS0_5RsqrtIfEEEEEvT_T0_DpT1_.kd
    .uniform_work_group_size: 1
    .uses_dynamic_stack: false
    .vgpr_count:     30
    .vgpr_spill_count: 0
    .wavefront_size: 64
  - .agpr_count:     0
    .args:
      - .offset:         0
        .size:           3368
        .value_kind:     by_value
      - .offset:         3368
        .size:           1
        .value_kind:     by_value
      - .offset:         3369
        .size:           1
        .value_kind:     by_value
      - .offset:         3376
        .size:           4
        .value_kind:     hidden_block_count_x
      - .offset:         3380
        .size:           4
        .value_kind:     hidden_block_count_y
      - .offset:         3384
        .size:           4
        .value_kind:     hidden_block_count_z
      - .offset:         3388
        .size:           2
        .value_kind:     hidden_group_size_x
      - .offset:         3390
        .size:           2
        .value_kind:     hidden_group_size_y
      - .offset:         3392
        .size:           2
        .value_kind:     hidden_group_size_z
      - .offset:         3394
        .size:           2
        .value_kind:     hidden_remainder_x
      - .offset:         3396
        .size:           2
        .value_kind:     hidden_remainder_y
      - .offset:         3398
        .size:           2
        .value_kind:     hidden_remainder_z
      - .offset:         3416
        .size:           8
        .value_kind:     hidden_global_offset_x
      - .offset:         3424
        .size:           8
        .value_kind:     hidden_global_offset_y
      - .offset:         3432
        .size:           8
        .value_kind:     hidden_global_offset_z
      - .offset:         3440
        .size:           2
        .value_kind:     hidden_grid_dims
    .group_segment_fixed_size: 0
    .kernarg_segment_align: 8
    .kernarg_segment_size: 3632
    .language:       OpenCL C
    .language_version:
      - 2
      - 0
    .max_flat_workgroup_size: 512
    .name:           _ZN2at6native12_GLOBAL__N_125multi_tensor_apply_kernelINS1_18TensorListMetadataILi1EEENS1_14UnaryOpFunctorIdLi1ELi1ELi0EEEJNS0_5RsqrtIdEEEEEvT_T0_DpT1_
    .private_segment_fixed_size: 0
    .sgpr_count:     35
    .sgpr_spill_count: 0
    .symbol:         _ZN2at6native12_GLOBAL__N_125multi_tensor_apply_kernelINS1_18TensorListMetadataILi1EEENS1_14UnaryOpFunctorIdLi1ELi1ELi0EEEJNS0_5RsqrtIdEEEEEvT_T0_DpT1_.kd
    .uniform_work_group_size: 1
    .uses_dynamic_stack: false
    .vgpr_count:     32
    .vgpr_spill_count: 0
    .wavefront_size: 64
  - .agpr_count:     0
    .args:
      - .offset:         0
        .size:           3368
        .value_kind:     by_value
      - .offset:         3368
        .size:           1
        .value_kind:     by_value
      - .offset:         3369
        .size:           1
        .value_kind:     by_value
      - .offset:         3376
        .size:           4
        .value_kind:     hidden_block_count_x
      - .offset:         3380
        .size:           4
        .value_kind:     hidden_block_count_y
      - .offset:         3384
        .size:           4
        .value_kind:     hidden_block_count_z
      - .offset:         3388
        .size:           2
        .value_kind:     hidden_group_size_x
      - .offset:         3390
        .size:           2
        .value_kind:     hidden_group_size_y
      - .offset:         3392
        .size:           2
        .value_kind:     hidden_group_size_z
      - .offset:         3394
        .size:           2
        .value_kind:     hidden_remainder_x
      - .offset:         3396
        .size:           2
        .value_kind:     hidden_remainder_y
      - .offset:         3398
        .size:           2
        .value_kind:     hidden_remainder_z
      - .offset:         3416
        .size:           8
        .value_kind:     hidden_global_offset_x
      - .offset:         3424
        .size:           8
        .value_kind:     hidden_global_offset_y
      - .offset:         3432
        .size:           8
        .value_kind:     hidden_global_offset_z
      - .offset:         3440
        .size:           2
        .value_kind:     hidden_grid_dims
    .group_segment_fixed_size: 0
    .kernarg_segment_align: 8
    .kernarg_segment_size: 3632
    .language:       OpenCL C
    .language_version:
      - 2
      - 0
    .max_flat_workgroup_size: 512
    .name:           _ZN2at6native12_GLOBAL__N_125multi_tensor_apply_kernelINS1_18TensorListMetadataILi1EEENS1_14UnaryOpFunctorIfLi1ELi1ELi0EEEJNS0_5RsqrtIfEEEEEvT_T0_DpT1_
    .private_segment_fixed_size: 0
    .sgpr_count:     33
    .sgpr_spill_count: 0
    .symbol:         _ZN2at6native12_GLOBAL__N_125multi_tensor_apply_kernelINS1_18TensorListMetadataILi1EEENS1_14UnaryOpFunctorIfLi1ELi1ELi0EEEJNS0_5RsqrtIfEEEEEvT_T0_DpT1_.kd
    .uniform_work_group_size: 1
    .uses_dynamic_stack: false
    .vgpr_count:     22
    .vgpr_spill_count: 0
    .wavefront_size: 64
  - .agpr_count:     0
    .args:
      - .offset:         0
        .size:           3368
        .value_kind:     by_value
      - .offset:         3368
        .size:           1
        .value_kind:     by_value
      - .offset:         3369
        .size:           1
        .value_kind:     by_value
      - .offset:         3376
        .size:           4
        .value_kind:     hidden_block_count_x
      - .offset:         3380
        .size:           4
        .value_kind:     hidden_block_count_y
      - .offset:         3384
        .size:           4
        .value_kind:     hidden_block_count_z
      - .offset:         3388
        .size:           2
        .value_kind:     hidden_group_size_x
      - .offset:         3390
        .size:           2
        .value_kind:     hidden_group_size_y
      - .offset:         3392
        .size:           2
        .value_kind:     hidden_group_size_z
      - .offset:         3394
        .size:           2
        .value_kind:     hidden_remainder_x
      - .offset:         3396
        .size:           2
        .value_kind:     hidden_remainder_y
      - .offset:         3398
        .size:           2
        .value_kind:     hidden_remainder_z
      - .offset:         3416
        .size:           8
        .value_kind:     hidden_global_offset_x
      - .offset:         3424
        .size:           8
        .value_kind:     hidden_global_offset_y
      - .offset:         3432
        .size:           8
        .value_kind:     hidden_global_offset_z
      - .offset:         3440
        .size:           2
        .value_kind:     hidden_grid_dims
    .group_segment_fixed_size: 0
    .kernarg_segment_align: 8
    .kernarg_segment_size: 3632
    .language:       OpenCL C
    .language_version:
      - 2
      - 0
    .max_flat_workgroup_size: 512
    .name:           _ZN2at6native12_GLOBAL__N_125multi_tensor_apply_kernelINS1_18TensorListMetadataILi1EEENS1_14UnaryOpFunctorIN3c107complexIdEELi1ELi1ELi0EEEJNS0_5RsqrtIS8_EEEEEvT_T0_DpT1_
    .private_segment_fixed_size: 0
    .sgpr_count:     58
    .sgpr_spill_count: 0
    .symbol:         _ZN2at6native12_GLOBAL__N_125multi_tensor_apply_kernelINS1_18TensorListMetadataILi1EEENS1_14UnaryOpFunctorIN3c107complexIdEELi1ELi1ELi0EEEJNS0_5RsqrtIS8_EEEEEvT_T0_DpT1_.kd
    .uniform_work_group_size: 1
    .uses_dynamic_stack: false
    .vgpr_count:     44
    .vgpr_spill_count: 0
    .wavefront_size: 64
  - .agpr_count:     0
    .args:
      - .offset:         0
        .size:           3368
        .value_kind:     by_value
      - .offset:         3368
        .size:           1
        .value_kind:     by_value
      - .offset:         3369
        .size:           1
        .value_kind:     by_value
      - .offset:         3376
        .size:           4
        .value_kind:     hidden_block_count_x
      - .offset:         3380
        .size:           4
        .value_kind:     hidden_block_count_y
      - .offset:         3384
        .size:           4
        .value_kind:     hidden_block_count_z
      - .offset:         3388
        .size:           2
        .value_kind:     hidden_group_size_x
      - .offset:         3390
        .size:           2
        .value_kind:     hidden_group_size_y
      - .offset:         3392
        .size:           2
        .value_kind:     hidden_group_size_z
      - .offset:         3394
        .size:           2
        .value_kind:     hidden_remainder_x
      - .offset:         3396
        .size:           2
        .value_kind:     hidden_remainder_y
      - .offset:         3398
        .size:           2
        .value_kind:     hidden_remainder_z
      - .offset:         3416
        .size:           8
        .value_kind:     hidden_global_offset_x
      - .offset:         3424
        .size:           8
        .value_kind:     hidden_global_offset_y
      - .offset:         3432
        .size:           8
        .value_kind:     hidden_global_offset_z
      - .offset:         3440
        .size:           2
        .value_kind:     hidden_grid_dims
    .group_segment_fixed_size: 0
    .kernarg_segment_align: 8
    .kernarg_segment_size: 3632
    .language:       OpenCL C
    .language_version:
      - 2
      - 0
    .max_flat_workgroup_size: 512
    .name:           _ZN2at6native12_GLOBAL__N_125multi_tensor_apply_kernelINS1_18TensorListMetadataILi1EEENS1_14UnaryOpFunctorIN3c107complexIfEELi1ELi1ELi0EEEJNS0_5RsqrtIS8_EEEEEvT_T0_DpT1_
    .private_segment_fixed_size: 0
    .sgpr_count:     57
    .sgpr_spill_count: 0
    .symbol:         _ZN2at6native12_GLOBAL__N_125multi_tensor_apply_kernelINS1_18TensorListMetadataILi1EEENS1_14UnaryOpFunctorIN3c107complexIfEELi1ELi1ELi0EEEJNS0_5RsqrtIS8_EEEEEvT_T0_DpT1_.kd
    .uniform_work_group_size: 1
    .uses_dynamic_stack: false
    .vgpr_count:     27
    .vgpr_spill_count: 0
    .wavefront_size: 64
  - .agpr_count:     0
    .args:
      - .offset:         0
        .size:           3368
        .value_kind:     by_value
      - .offset:         3368
        .size:           1
        .value_kind:     by_value
      - .offset:         3369
        .size:           1
        .value_kind:     by_value
      - .offset:         3376
        .size:           4
        .value_kind:     hidden_block_count_x
      - .offset:         3380
        .size:           4
        .value_kind:     hidden_block_count_y
      - .offset:         3384
        .size:           4
        .value_kind:     hidden_block_count_z
      - .offset:         3388
        .size:           2
        .value_kind:     hidden_group_size_x
      - .offset:         3390
        .size:           2
        .value_kind:     hidden_group_size_y
      - .offset:         3392
        .size:           2
        .value_kind:     hidden_group_size_z
      - .offset:         3394
        .size:           2
        .value_kind:     hidden_remainder_x
      - .offset:         3396
        .size:           2
        .value_kind:     hidden_remainder_y
      - .offset:         3398
        .size:           2
        .value_kind:     hidden_remainder_z
      - .offset:         3416
        .size:           8
        .value_kind:     hidden_global_offset_x
      - .offset:         3424
        .size:           8
        .value_kind:     hidden_global_offset_y
      - .offset:         3432
        .size:           8
        .value_kind:     hidden_global_offset_z
      - .offset:         3440
        .size:           2
        .value_kind:     hidden_grid_dims
    .group_segment_fixed_size: 0
    .kernarg_segment_align: 8
    .kernarg_segment_size: 3632
    .language:       OpenCL C
    .language_version:
      - 2
      - 0
    .max_flat_workgroup_size: 512
    .name:           _ZN2at6native12_GLOBAL__N_125multi_tensor_apply_kernelINS1_18TensorListMetadataILi1EEENS1_14UnaryOpFunctorIN3c104HalfELi1ELi1ELi0EEEJNS0_5RsqrtIfEEEEEvT_T0_DpT1_
    .private_segment_fixed_size: 0
    .sgpr_count:     32
    .sgpr_spill_count: 0
    .symbol:         _ZN2at6native12_GLOBAL__N_125multi_tensor_apply_kernelINS1_18TensorListMetadataILi1EEENS1_14UnaryOpFunctorIN3c104HalfELi1ELi1ELi0EEEJNS0_5RsqrtIfEEEEEvT_T0_DpT1_.kd
    .uniform_work_group_size: 1
    .uses_dynamic_stack: false
    .vgpr_count:     22
    .vgpr_spill_count: 0
    .wavefront_size: 64
  - .agpr_count:     0
    .args:
      - .offset:         0
        .size:           3368
        .value_kind:     by_value
      - .offset:         3368
        .size:           1
        .value_kind:     by_value
      - .offset:         3369
        .size:           1
        .value_kind:     by_value
      - .offset:         3376
        .size:           4
        .value_kind:     hidden_block_count_x
      - .offset:         3380
        .size:           4
        .value_kind:     hidden_block_count_y
      - .offset:         3384
        .size:           4
        .value_kind:     hidden_block_count_z
      - .offset:         3388
        .size:           2
        .value_kind:     hidden_group_size_x
      - .offset:         3390
        .size:           2
        .value_kind:     hidden_group_size_y
      - .offset:         3392
        .size:           2
        .value_kind:     hidden_group_size_z
      - .offset:         3394
        .size:           2
        .value_kind:     hidden_remainder_x
      - .offset:         3396
        .size:           2
        .value_kind:     hidden_remainder_y
      - .offset:         3398
        .size:           2
        .value_kind:     hidden_remainder_z
      - .offset:         3416
        .size:           8
        .value_kind:     hidden_global_offset_x
      - .offset:         3424
        .size:           8
        .value_kind:     hidden_global_offset_y
      - .offset:         3432
        .size:           8
        .value_kind:     hidden_global_offset_z
      - .offset:         3440
        .size:           2
        .value_kind:     hidden_grid_dims
    .group_segment_fixed_size: 0
    .kernarg_segment_align: 8
    .kernarg_segment_size: 3632
    .language:       OpenCL C
    .language_version:
      - 2
      - 0
    .max_flat_workgroup_size: 512
    .name:           _ZN2at6native12_GLOBAL__N_125multi_tensor_apply_kernelINS1_18TensorListMetadataILi1EEENS1_14UnaryOpFunctorIN3c108BFloat16ELi1ELi1ELi0EEEJNS0_5RsqrtIfEEEEEvT_T0_DpT1_
    .private_segment_fixed_size: 0
    .sgpr_count:     33
    .sgpr_spill_count: 0
    .symbol:         _ZN2at6native12_GLOBAL__N_125multi_tensor_apply_kernelINS1_18TensorListMetadataILi1EEENS1_14UnaryOpFunctorIN3c108BFloat16ELi1ELi1ELi0EEEJNS0_5RsqrtIfEEEEEvT_T0_DpT1_.kd
    .uniform_work_group_size: 1
    .uses_dynamic_stack: false
    .vgpr_count:     24
    .vgpr_spill_count: 0
    .wavefront_size: 64
  - .agpr_count:     0
    .args:
      - .offset:         0
        .size:           3144
        .value_kind:     by_value
      - .offset:         3144
        .size:           1
        .value_kind:     by_value
      - .offset:         3145
        .size:           1
        .value_kind:     by_value
      - .offset:         3152
        .size:           4
        .value_kind:     hidden_block_count_x
      - .offset:         3156
        .size:           4
        .value_kind:     hidden_block_count_y
      - .offset:         3160
        .size:           4
        .value_kind:     hidden_block_count_z
      - .offset:         3164
        .size:           2
        .value_kind:     hidden_group_size_x
      - .offset:         3166
        .size:           2
        .value_kind:     hidden_group_size_y
      - .offset:         3168
        .size:           2
        .value_kind:     hidden_group_size_z
      - .offset:         3170
        .size:           2
        .value_kind:     hidden_remainder_x
      - .offset:         3172
        .size:           2
        .value_kind:     hidden_remainder_y
      - .offset:         3174
        .size:           2
        .value_kind:     hidden_remainder_z
      - .offset:         3192
        .size:           8
        .value_kind:     hidden_global_offset_x
      - .offset:         3200
        .size:           8
        .value_kind:     hidden_global_offset_y
      - .offset:         3208
        .size:           8
        .value_kind:     hidden_global_offset_z
      - .offset:         3216
        .size:           2
        .value_kind:     hidden_grid_dims
    .group_segment_fixed_size: 0
    .kernarg_segment_align: 8
    .kernarg_segment_size: 3408
    .language:       OpenCL C
    .language_version:
      - 2
      - 0
    .max_flat_workgroup_size: 512
    .name:           _ZN2at6native12_GLOBAL__N_125multi_tensor_apply_kernelINS1_18TensorListMetadataILi2EEENS1_14UnaryOpFunctorIhLi2ELi1ELi1EEEJSt6negateIhEEEEvT_T0_DpT1_
    .private_segment_fixed_size: 0
    .sgpr_count:     25
    .sgpr_spill_count: 0
    .symbol:         _ZN2at6native12_GLOBAL__N_125multi_tensor_apply_kernelINS1_18TensorListMetadataILi2EEENS1_14UnaryOpFunctorIhLi2ELi1ELi1EEEJSt6negateIhEEEEvT_T0_DpT1_.kd
    .uniform_work_group_size: 1
    .uses_dynamic_stack: false
    .vgpr_count:     32
    .vgpr_spill_count: 0
    .wavefront_size: 64
  - .agpr_count:     0
    .args:
      - .offset:         0
        .size:           3144
        .value_kind:     by_value
      - .offset:         3144
        .size:           1
        .value_kind:     by_value
      - .offset:         3145
        .size:           1
        .value_kind:     by_value
      - .offset:         3152
        .size:           4
        .value_kind:     hidden_block_count_x
      - .offset:         3156
        .size:           4
        .value_kind:     hidden_block_count_y
      - .offset:         3160
        .size:           4
        .value_kind:     hidden_block_count_z
      - .offset:         3164
        .size:           2
        .value_kind:     hidden_group_size_x
      - .offset:         3166
        .size:           2
        .value_kind:     hidden_group_size_y
      - .offset:         3168
        .size:           2
        .value_kind:     hidden_group_size_z
      - .offset:         3170
        .size:           2
        .value_kind:     hidden_remainder_x
      - .offset:         3172
        .size:           2
        .value_kind:     hidden_remainder_y
      - .offset:         3174
        .size:           2
        .value_kind:     hidden_remainder_z
      - .offset:         3192
        .size:           8
        .value_kind:     hidden_global_offset_x
      - .offset:         3200
        .size:           8
        .value_kind:     hidden_global_offset_y
      - .offset:         3208
        .size:           8
        .value_kind:     hidden_global_offset_z
      - .offset:         3216
        .size:           2
        .value_kind:     hidden_grid_dims
    .group_segment_fixed_size: 0
    .kernarg_segment_align: 8
    .kernarg_segment_size: 3408
    .language:       OpenCL C
    .language_version:
      - 2
      - 0
    .max_flat_workgroup_size: 512
    .name:           _ZN2at6native12_GLOBAL__N_125multi_tensor_apply_kernelINS1_18TensorListMetadataILi2EEENS1_14UnaryOpFunctorIaLi2ELi1ELi1EEEJSt6negateIaEEEEvT_T0_DpT1_
    .private_segment_fixed_size: 0
    .sgpr_count:     25
    .sgpr_spill_count: 0
    .symbol:         _ZN2at6native12_GLOBAL__N_125multi_tensor_apply_kernelINS1_18TensorListMetadataILi2EEENS1_14UnaryOpFunctorIaLi2ELi1ELi1EEEJSt6negateIaEEEEvT_T0_DpT1_.kd
    .uniform_work_group_size: 1
    .uses_dynamic_stack: false
    .vgpr_count:     32
    .vgpr_spill_count: 0
    .wavefront_size: 64
  - .agpr_count:     0
    .args:
      - .offset:         0
        .size:           3144
        .value_kind:     by_value
      - .offset:         3144
        .size:           1
        .value_kind:     by_value
      - .offset:         3145
        .size:           1
        .value_kind:     by_value
      - .offset:         3152
        .size:           4
        .value_kind:     hidden_block_count_x
      - .offset:         3156
        .size:           4
        .value_kind:     hidden_block_count_y
      - .offset:         3160
        .size:           4
        .value_kind:     hidden_block_count_z
      - .offset:         3164
        .size:           2
        .value_kind:     hidden_group_size_x
      - .offset:         3166
        .size:           2
        .value_kind:     hidden_group_size_y
      - .offset:         3168
        .size:           2
        .value_kind:     hidden_group_size_z
      - .offset:         3170
        .size:           2
        .value_kind:     hidden_remainder_x
      - .offset:         3172
        .size:           2
        .value_kind:     hidden_remainder_y
      - .offset:         3174
        .size:           2
        .value_kind:     hidden_remainder_z
      - .offset:         3192
        .size:           8
        .value_kind:     hidden_global_offset_x
      - .offset:         3200
        .size:           8
        .value_kind:     hidden_global_offset_y
      - .offset:         3208
        .size:           8
        .value_kind:     hidden_global_offset_z
      - .offset:         3216
        .size:           2
        .value_kind:     hidden_grid_dims
    .group_segment_fixed_size: 0
    .kernarg_segment_align: 8
    .kernarg_segment_size: 3408
    .language:       OpenCL C
    .language_version:
      - 2
      - 0
    .max_flat_workgroup_size: 512
    .name:           _ZN2at6native12_GLOBAL__N_125multi_tensor_apply_kernelINS1_18TensorListMetadataILi2EEENS1_14UnaryOpFunctorIiLi2ELi1ELi1EEEJSt6negateIiEEEEvT_T0_DpT1_
    .private_segment_fixed_size: 0
    .sgpr_count:     26
    .sgpr_spill_count: 0
    .symbol:         _ZN2at6native12_GLOBAL__N_125multi_tensor_apply_kernelINS1_18TensorListMetadataILi2EEENS1_14UnaryOpFunctorIiLi2ELi1ELi1EEEJSt6negateIiEEEEvT_T0_DpT1_.kd
    .uniform_work_group_size: 1
    .uses_dynamic_stack: false
    .vgpr_count:     30
    .vgpr_spill_count: 0
    .wavefront_size: 64
  - .agpr_count:     0
    .args:
      - .offset:         0
        .size:           3144
        .value_kind:     by_value
      - .offset:         3144
        .size:           1
        .value_kind:     by_value
      - .offset:         3145
        .size:           1
        .value_kind:     by_value
      - .offset:         3152
        .size:           4
        .value_kind:     hidden_block_count_x
      - .offset:         3156
        .size:           4
        .value_kind:     hidden_block_count_y
      - .offset:         3160
        .size:           4
        .value_kind:     hidden_block_count_z
      - .offset:         3164
        .size:           2
        .value_kind:     hidden_group_size_x
      - .offset:         3166
        .size:           2
        .value_kind:     hidden_group_size_y
      - .offset:         3168
        .size:           2
        .value_kind:     hidden_group_size_z
      - .offset:         3170
        .size:           2
        .value_kind:     hidden_remainder_x
      - .offset:         3172
        .size:           2
        .value_kind:     hidden_remainder_y
      - .offset:         3174
        .size:           2
        .value_kind:     hidden_remainder_z
      - .offset:         3192
        .size:           8
        .value_kind:     hidden_global_offset_x
      - .offset:         3200
        .size:           8
        .value_kind:     hidden_global_offset_y
      - .offset:         3208
        .size:           8
        .value_kind:     hidden_global_offset_z
      - .offset:         3216
        .size:           2
        .value_kind:     hidden_grid_dims
    .group_segment_fixed_size: 0
    .kernarg_segment_align: 8
    .kernarg_segment_size: 3408
    .language:       OpenCL C
    .language_version:
      - 2
      - 0
    .max_flat_workgroup_size: 512
    .name:           _ZN2at6native12_GLOBAL__N_125multi_tensor_apply_kernelINS1_18TensorListMetadataILi2EEENS1_14UnaryOpFunctorIlLi2ELi1ELi1EEEJSt6negateIlEEEEvT_T0_DpT1_
    .private_segment_fixed_size: 0
    .sgpr_count:     30
    .sgpr_spill_count: 0
    .symbol:         _ZN2at6native12_GLOBAL__N_125multi_tensor_apply_kernelINS1_18TensorListMetadataILi2EEENS1_14UnaryOpFunctorIlLi2ELi1ELi1EEEJSt6negateIlEEEEvT_T0_DpT1_.kd
    .uniform_work_group_size: 1
    .uses_dynamic_stack: false
    .vgpr_count:     34
    .vgpr_spill_count: 0
    .wavefront_size: 64
  - .agpr_count:     0
    .args:
      - .offset:         0
        .size:           3144
        .value_kind:     by_value
      - .offset:         3144
        .size:           1
        .value_kind:     by_value
      - .offset:         3145
        .size:           1
        .value_kind:     by_value
      - .offset:         3152
        .size:           4
        .value_kind:     hidden_block_count_x
      - .offset:         3156
        .size:           4
        .value_kind:     hidden_block_count_y
      - .offset:         3160
        .size:           4
        .value_kind:     hidden_block_count_z
      - .offset:         3164
        .size:           2
        .value_kind:     hidden_group_size_x
      - .offset:         3166
        .size:           2
        .value_kind:     hidden_group_size_y
      - .offset:         3168
        .size:           2
        .value_kind:     hidden_group_size_z
      - .offset:         3170
        .size:           2
        .value_kind:     hidden_remainder_x
      - .offset:         3172
        .size:           2
        .value_kind:     hidden_remainder_y
      - .offset:         3174
        .size:           2
        .value_kind:     hidden_remainder_z
      - .offset:         3192
        .size:           8
        .value_kind:     hidden_global_offset_x
      - .offset:         3200
        .size:           8
        .value_kind:     hidden_global_offset_y
      - .offset:         3208
        .size:           8
        .value_kind:     hidden_global_offset_z
      - .offset:         3216
        .size:           2
        .value_kind:     hidden_grid_dims
    .group_segment_fixed_size: 0
    .kernarg_segment_align: 8
    .kernarg_segment_size: 3408
    .language:       OpenCL C
    .language_version:
      - 2
      - 0
    .max_flat_workgroup_size: 512
    .name:           _ZN2at6native12_GLOBAL__N_125multi_tensor_apply_kernelINS1_18TensorListMetadataILi2EEENS1_14UnaryOpFunctorIsLi2ELi1ELi1EEEJSt6negateIsEEEEvT_T0_DpT1_
    .private_segment_fixed_size: 0
    .sgpr_count:     28
    .sgpr_spill_count: 0
    .symbol:         _ZN2at6native12_GLOBAL__N_125multi_tensor_apply_kernelINS1_18TensorListMetadataILi2EEENS1_14UnaryOpFunctorIsLi2ELi1ELi1EEEJSt6negateIsEEEEvT_T0_DpT1_.kd
    .uniform_work_group_size: 1
    .uses_dynamic_stack: false
    .vgpr_count:     30
    .vgpr_spill_count: 0
    .wavefront_size: 64
  - .agpr_count:     0
    .args:
      - .offset:         0
        .size:           3144
        .value_kind:     by_value
      - .offset:         3144
        .size:           1
        .value_kind:     by_value
      - .offset:         3145
        .size:           1
        .value_kind:     by_value
      - .offset:         3152
        .size:           4
        .value_kind:     hidden_block_count_x
      - .offset:         3156
        .size:           4
        .value_kind:     hidden_block_count_y
      - .offset:         3160
        .size:           4
        .value_kind:     hidden_block_count_z
      - .offset:         3164
        .size:           2
        .value_kind:     hidden_group_size_x
      - .offset:         3166
        .size:           2
        .value_kind:     hidden_group_size_y
      - .offset:         3168
        .size:           2
        .value_kind:     hidden_group_size_z
      - .offset:         3170
        .size:           2
        .value_kind:     hidden_remainder_x
      - .offset:         3172
        .size:           2
        .value_kind:     hidden_remainder_y
      - .offset:         3174
        .size:           2
        .value_kind:     hidden_remainder_z
      - .offset:         3192
        .size:           8
        .value_kind:     hidden_global_offset_x
      - .offset:         3200
        .size:           8
        .value_kind:     hidden_global_offset_y
      - .offset:         3208
        .size:           8
        .value_kind:     hidden_global_offset_z
      - .offset:         3216
        .size:           2
        .value_kind:     hidden_grid_dims
    .group_segment_fixed_size: 0
    .kernarg_segment_align: 8
    .kernarg_segment_size: 3408
    .language:       OpenCL C
    .language_version:
      - 2
      - 0
    .max_flat_workgroup_size: 512
    .name:           _ZN2at6native12_GLOBAL__N_125multi_tensor_apply_kernelINS1_18TensorListMetadataILi2EEENS1_14UnaryOpFunctorIdLi2ELi1ELi1EEEJSt6negateIdEEEEvT_T0_DpT1_
    .private_segment_fixed_size: 0
    .sgpr_count:     30
    .sgpr_spill_count: 0
    .symbol:         _ZN2at6native12_GLOBAL__N_125multi_tensor_apply_kernelINS1_18TensorListMetadataILi2EEENS1_14UnaryOpFunctorIdLi2ELi1ELi1EEEJSt6negateIdEEEEvT_T0_DpT1_.kd
    .uniform_work_group_size: 1
    .uses_dynamic_stack: false
    .vgpr_count:     34
    .vgpr_spill_count: 0
    .wavefront_size: 64
  - .agpr_count:     0
    .args:
      - .offset:         0
        .size:           3144
        .value_kind:     by_value
      - .offset:         3144
        .size:           1
        .value_kind:     by_value
      - .offset:         3145
        .size:           1
        .value_kind:     by_value
      - .offset:         3152
        .size:           4
        .value_kind:     hidden_block_count_x
      - .offset:         3156
        .size:           4
        .value_kind:     hidden_block_count_y
      - .offset:         3160
        .size:           4
        .value_kind:     hidden_block_count_z
      - .offset:         3164
        .size:           2
        .value_kind:     hidden_group_size_x
      - .offset:         3166
        .size:           2
        .value_kind:     hidden_group_size_y
      - .offset:         3168
        .size:           2
        .value_kind:     hidden_group_size_z
      - .offset:         3170
        .size:           2
        .value_kind:     hidden_remainder_x
      - .offset:         3172
        .size:           2
        .value_kind:     hidden_remainder_y
      - .offset:         3174
        .size:           2
        .value_kind:     hidden_remainder_z
      - .offset:         3192
        .size:           8
        .value_kind:     hidden_global_offset_x
      - .offset:         3200
        .size:           8
        .value_kind:     hidden_global_offset_y
      - .offset:         3208
        .size:           8
        .value_kind:     hidden_global_offset_z
      - .offset:         3216
        .size:           2
        .value_kind:     hidden_grid_dims
    .group_segment_fixed_size: 0
    .kernarg_segment_align: 8
    .kernarg_segment_size: 3408
    .language:       OpenCL C
    .language_version:
      - 2
      - 0
    .max_flat_workgroup_size: 512
    .name:           _ZN2at6native12_GLOBAL__N_125multi_tensor_apply_kernelINS1_18TensorListMetadataILi2EEENS1_14UnaryOpFunctorIfLi2ELi1ELi1EEEJSt6negateIfEEEEvT_T0_DpT1_
    .private_segment_fixed_size: 0
    .sgpr_count:     26
    .sgpr_spill_count: 0
    .symbol:         _ZN2at6native12_GLOBAL__N_125multi_tensor_apply_kernelINS1_18TensorListMetadataILi2EEENS1_14UnaryOpFunctorIfLi2ELi1ELi1EEEJSt6negateIfEEEEvT_T0_DpT1_.kd
    .uniform_work_group_size: 1
    .uses_dynamic_stack: false
    .vgpr_count:     30
    .vgpr_spill_count: 0
    .wavefront_size: 64
  - .agpr_count:     0
    .args:
      - .offset:         0
        .size:           3144
        .value_kind:     by_value
      - .offset:         3144
        .size:           1
        .value_kind:     by_value
      - .offset:         3145
        .size:           1
        .value_kind:     by_value
      - .offset:         3152
        .size:           4
        .value_kind:     hidden_block_count_x
      - .offset:         3156
        .size:           4
        .value_kind:     hidden_block_count_y
      - .offset:         3160
        .size:           4
        .value_kind:     hidden_block_count_z
      - .offset:         3164
        .size:           2
        .value_kind:     hidden_group_size_x
      - .offset:         3166
        .size:           2
        .value_kind:     hidden_group_size_y
      - .offset:         3168
        .size:           2
        .value_kind:     hidden_group_size_z
      - .offset:         3170
        .size:           2
        .value_kind:     hidden_remainder_x
      - .offset:         3172
        .size:           2
        .value_kind:     hidden_remainder_y
      - .offset:         3174
        .size:           2
        .value_kind:     hidden_remainder_z
      - .offset:         3192
        .size:           8
        .value_kind:     hidden_global_offset_x
      - .offset:         3200
        .size:           8
        .value_kind:     hidden_global_offset_y
      - .offset:         3208
        .size:           8
        .value_kind:     hidden_global_offset_z
      - .offset:         3216
        .size:           2
        .value_kind:     hidden_grid_dims
    .group_segment_fixed_size: 0
    .kernarg_segment_align: 8
    .kernarg_segment_size: 3408
    .language:       OpenCL C
    .language_version:
      - 2
      - 0
    .max_flat_workgroup_size: 512
    .name:           _ZN2at6native12_GLOBAL__N_125multi_tensor_apply_kernelINS1_18TensorListMetadataILi2EEENS1_14UnaryOpFunctorIN3c107complexIdEELi2ELi1ELi1EEEJSt6negateIS8_EEEEvT_T0_DpT1_
    .private_segment_fixed_size: 0
    .sgpr_count:     32
    .sgpr_spill_count: 0
    .symbol:         _ZN2at6native12_GLOBAL__N_125multi_tensor_apply_kernelINS1_18TensorListMetadataILi2EEENS1_14UnaryOpFunctorIN3c107complexIdEELi2ELi1ELi1EEEJSt6negateIS8_EEEEvT_T0_DpT1_.kd
    .uniform_work_group_size: 1
    .uses_dynamic_stack: false
    .vgpr_count:     36
    .vgpr_spill_count: 0
    .wavefront_size: 64
  - .agpr_count:     0
    .args:
      - .offset:         0
        .size:           3144
        .value_kind:     by_value
      - .offset:         3144
        .size:           1
        .value_kind:     by_value
      - .offset:         3145
        .size:           1
        .value_kind:     by_value
      - .offset:         3152
        .size:           4
        .value_kind:     hidden_block_count_x
      - .offset:         3156
        .size:           4
        .value_kind:     hidden_block_count_y
      - .offset:         3160
        .size:           4
        .value_kind:     hidden_block_count_z
      - .offset:         3164
        .size:           2
        .value_kind:     hidden_group_size_x
      - .offset:         3166
        .size:           2
        .value_kind:     hidden_group_size_y
      - .offset:         3168
        .size:           2
        .value_kind:     hidden_group_size_z
      - .offset:         3170
        .size:           2
        .value_kind:     hidden_remainder_x
      - .offset:         3172
        .size:           2
        .value_kind:     hidden_remainder_y
      - .offset:         3174
        .size:           2
        .value_kind:     hidden_remainder_z
      - .offset:         3192
        .size:           8
        .value_kind:     hidden_global_offset_x
      - .offset:         3200
        .size:           8
        .value_kind:     hidden_global_offset_y
      - .offset:         3208
        .size:           8
        .value_kind:     hidden_global_offset_z
      - .offset:         3216
        .size:           2
        .value_kind:     hidden_grid_dims
    .group_segment_fixed_size: 0
    .kernarg_segment_align: 8
    .kernarg_segment_size: 3408
    .language:       OpenCL C
    .language_version:
      - 2
      - 0
    .max_flat_workgroup_size: 512
    .name:           _ZN2at6native12_GLOBAL__N_125multi_tensor_apply_kernelINS1_18TensorListMetadataILi2EEENS1_14UnaryOpFunctorIN3c107complexIfEELi2ELi1ELi1EEEJSt6negateIS8_EEEEvT_T0_DpT1_
    .private_segment_fixed_size: 0
    .sgpr_count:     30
    .sgpr_spill_count: 0
    .symbol:         _ZN2at6native12_GLOBAL__N_125multi_tensor_apply_kernelINS1_18TensorListMetadataILi2EEENS1_14UnaryOpFunctorIN3c107complexIfEELi2ELi1ELi1EEEJSt6negateIS8_EEEEvT_T0_DpT1_.kd
    .uniform_work_group_size: 1
    .uses_dynamic_stack: false
    .vgpr_count:     34
    .vgpr_spill_count: 0
    .wavefront_size: 64
  - .agpr_count:     0
    .args:
      - .offset:         0
        .size:           3144
        .value_kind:     by_value
      - .offset:         3144
        .size:           1
        .value_kind:     by_value
      - .offset:         3145
        .size:           1
        .value_kind:     by_value
      - .offset:         3152
        .size:           4
        .value_kind:     hidden_block_count_x
      - .offset:         3156
        .size:           4
        .value_kind:     hidden_block_count_y
      - .offset:         3160
        .size:           4
        .value_kind:     hidden_block_count_z
      - .offset:         3164
        .size:           2
        .value_kind:     hidden_group_size_x
      - .offset:         3166
        .size:           2
        .value_kind:     hidden_group_size_y
      - .offset:         3168
        .size:           2
        .value_kind:     hidden_group_size_z
      - .offset:         3170
        .size:           2
        .value_kind:     hidden_remainder_x
      - .offset:         3172
        .size:           2
        .value_kind:     hidden_remainder_y
      - .offset:         3174
        .size:           2
        .value_kind:     hidden_remainder_z
      - .offset:         3192
        .size:           8
        .value_kind:     hidden_global_offset_x
      - .offset:         3200
        .size:           8
        .value_kind:     hidden_global_offset_y
      - .offset:         3208
        .size:           8
        .value_kind:     hidden_global_offset_z
      - .offset:         3216
        .size:           2
        .value_kind:     hidden_grid_dims
    .group_segment_fixed_size: 0
    .kernarg_segment_align: 8
    .kernarg_segment_size: 3408
    .language:       OpenCL C
    .language_version:
      - 2
      - 0
    .max_flat_workgroup_size: 512
    .name:           _ZN2at6native12_GLOBAL__N_125multi_tensor_apply_kernelINS1_18TensorListMetadataILi2EEENS1_14UnaryOpFunctorIN3c104HalfELi2ELi1ELi1EEEJSt6negateIfEEEEvT_T0_DpT1_
    .private_segment_fixed_size: 0
    .sgpr_count:     26
    .sgpr_spill_count: 0
    .symbol:         _ZN2at6native12_GLOBAL__N_125multi_tensor_apply_kernelINS1_18TensorListMetadataILi2EEENS1_14UnaryOpFunctorIN3c104HalfELi2ELi1ELi1EEEJSt6negateIfEEEEvT_T0_DpT1_.kd
    .uniform_work_group_size: 1
    .uses_dynamic_stack: false
    .vgpr_count:     30
    .vgpr_spill_count: 0
    .wavefront_size: 64
  - .agpr_count:     0
    .args:
      - .offset:         0
        .size:           3144
        .value_kind:     by_value
      - .offset:         3144
        .size:           1
        .value_kind:     by_value
      - .offset:         3145
        .size:           1
        .value_kind:     by_value
      - .offset:         3152
        .size:           4
        .value_kind:     hidden_block_count_x
      - .offset:         3156
        .size:           4
        .value_kind:     hidden_block_count_y
      - .offset:         3160
        .size:           4
        .value_kind:     hidden_block_count_z
      - .offset:         3164
        .size:           2
        .value_kind:     hidden_group_size_x
      - .offset:         3166
        .size:           2
        .value_kind:     hidden_group_size_y
      - .offset:         3168
        .size:           2
        .value_kind:     hidden_group_size_z
      - .offset:         3170
        .size:           2
        .value_kind:     hidden_remainder_x
      - .offset:         3172
        .size:           2
        .value_kind:     hidden_remainder_y
      - .offset:         3174
        .size:           2
        .value_kind:     hidden_remainder_z
      - .offset:         3192
        .size:           8
        .value_kind:     hidden_global_offset_x
      - .offset:         3200
        .size:           8
        .value_kind:     hidden_global_offset_y
      - .offset:         3208
        .size:           8
        .value_kind:     hidden_global_offset_z
      - .offset:         3216
        .size:           2
        .value_kind:     hidden_grid_dims
    .group_segment_fixed_size: 0
    .kernarg_segment_align: 8
    .kernarg_segment_size: 3408
    .language:       OpenCL C
    .language_version:
      - 2
      - 0
    .max_flat_workgroup_size: 512
    .name:           _ZN2at6native12_GLOBAL__N_125multi_tensor_apply_kernelINS1_18TensorListMetadataILi2EEENS1_14UnaryOpFunctorIN3c108BFloat16ELi2ELi1ELi1EEEJSt6negateIfEEEEvT_T0_DpT1_
    .private_segment_fixed_size: 0
    .sgpr_count:     27
    .sgpr_spill_count: 0
    .symbol:         _ZN2at6native12_GLOBAL__N_125multi_tensor_apply_kernelINS1_18TensorListMetadataILi2EEENS1_14UnaryOpFunctorIN3c108BFloat16ELi2ELi1ELi1EEEJSt6negateIfEEEEvT_T0_DpT1_.kd
    .uniform_work_group_size: 1
    .uses_dynamic_stack: false
    .vgpr_count:     30
    .vgpr_spill_count: 0
    .wavefront_size: 64
  - .agpr_count:     0
    .args:
      - .offset:         0
        .size:           3368
        .value_kind:     by_value
      - .offset:         3368
        .size:           1
        .value_kind:     by_value
      - .offset:         3369
        .size:           1
        .value_kind:     by_value
      - .offset:         3376
        .size:           4
        .value_kind:     hidden_block_count_x
      - .offset:         3380
        .size:           4
        .value_kind:     hidden_block_count_y
      - .offset:         3384
        .size:           4
        .value_kind:     hidden_block_count_z
      - .offset:         3388
        .size:           2
        .value_kind:     hidden_group_size_x
      - .offset:         3390
        .size:           2
        .value_kind:     hidden_group_size_y
      - .offset:         3392
        .size:           2
        .value_kind:     hidden_group_size_z
      - .offset:         3394
        .size:           2
        .value_kind:     hidden_remainder_x
      - .offset:         3396
        .size:           2
        .value_kind:     hidden_remainder_y
      - .offset:         3398
        .size:           2
        .value_kind:     hidden_remainder_z
      - .offset:         3416
        .size:           8
        .value_kind:     hidden_global_offset_x
      - .offset:         3424
        .size:           8
        .value_kind:     hidden_global_offset_y
      - .offset:         3432
        .size:           8
        .value_kind:     hidden_global_offset_z
      - .offset:         3440
        .size:           2
        .value_kind:     hidden_grid_dims
    .group_segment_fixed_size: 0
    .kernarg_segment_align: 8
    .kernarg_segment_size: 3632
    .language:       OpenCL C
    .language_version:
      - 2
      - 0
    .max_flat_workgroup_size: 512
    .name:           _ZN2at6native12_GLOBAL__N_125multi_tensor_apply_kernelINS1_18TensorListMetadataILi1EEENS1_14UnaryOpFunctorIhLi1ELi1ELi0EEEJSt6negateIhEEEEvT_T0_DpT1_
    .private_segment_fixed_size: 0
    .sgpr_count:     25
    .sgpr_spill_count: 0
    .symbol:         _ZN2at6native12_GLOBAL__N_125multi_tensor_apply_kernelINS1_18TensorListMetadataILi1EEENS1_14UnaryOpFunctorIhLi1ELi1ELi0EEEJSt6negateIhEEEEvT_T0_DpT1_.kd
    .uniform_work_group_size: 1
    .uses_dynamic_stack: false
    .vgpr_count:     26
    .vgpr_spill_count: 0
    .wavefront_size: 64
  - .agpr_count:     0
    .args:
      - .offset:         0
        .size:           3368
        .value_kind:     by_value
      - .offset:         3368
        .size:           1
        .value_kind:     by_value
      - .offset:         3369
        .size:           1
        .value_kind:     by_value
      - .offset:         3376
        .size:           4
        .value_kind:     hidden_block_count_x
      - .offset:         3380
        .size:           4
        .value_kind:     hidden_block_count_y
      - .offset:         3384
        .size:           4
        .value_kind:     hidden_block_count_z
      - .offset:         3388
        .size:           2
        .value_kind:     hidden_group_size_x
      - .offset:         3390
        .size:           2
        .value_kind:     hidden_group_size_y
      - .offset:         3392
        .size:           2
        .value_kind:     hidden_group_size_z
      - .offset:         3394
        .size:           2
        .value_kind:     hidden_remainder_x
      - .offset:         3396
        .size:           2
        .value_kind:     hidden_remainder_y
      - .offset:         3398
        .size:           2
        .value_kind:     hidden_remainder_z
      - .offset:         3416
        .size:           8
        .value_kind:     hidden_global_offset_x
      - .offset:         3424
        .size:           8
        .value_kind:     hidden_global_offset_y
      - .offset:         3432
        .size:           8
        .value_kind:     hidden_global_offset_z
      - .offset:         3440
        .size:           2
        .value_kind:     hidden_grid_dims
    .group_segment_fixed_size: 0
    .kernarg_segment_align: 8
    .kernarg_segment_size: 3632
    .language:       OpenCL C
    .language_version:
      - 2
      - 0
    .max_flat_workgroup_size: 512
    .name:           _ZN2at6native12_GLOBAL__N_125multi_tensor_apply_kernelINS1_18TensorListMetadataILi1EEENS1_14UnaryOpFunctorIaLi1ELi1ELi0EEEJSt6negateIaEEEEvT_T0_DpT1_
    .private_segment_fixed_size: 0
    .sgpr_count:     25
    .sgpr_spill_count: 0
    .symbol:         _ZN2at6native12_GLOBAL__N_125multi_tensor_apply_kernelINS1_18TensorListMetadataILi1EEENS1_14UnaryOpFunctorIaLi1ELi1ELi0EEEJSt6negateIaEEEEvT_T0_DpT1_.kd
    .uniform_work_group_size: 1
    .uses_dynamic_stack: false
    .vgpr_count:     26
    .vgpr_spill_count: 0
    .wavefront_size: 64
  - .agpr_count:     0
    .args:
      - .offset:         0
        .size:           3368
        .value_kind:     by_value
      - .offset:         3368
        .size:           1
        .value_kind:     by_value
      - .offset:         3369
        .size:           1
        .value_kind:     by_value
      - .offset:         3376
        .size:           4
        .value_kind:     hidden_block_count_x
      - .offset:         3380
        .size:           4
        .value_kind:     hidden_block_count_y
      - .offset:         3384
        .size:           4
        .value_kind:     hidden_block_count_z
      - .offset:         3388
        .size:           2
        .value_kind:     hidden_group_size_x
      - .offset:         3390
        .size:           2
        .value_kind:     hidden_group_size_y
      - .offset:         3392
        .size:           2
        .value_kind:     hidden_group_size_z
      - .offset:         3394
        .size:           2
        .value_kind:     hidden_remainder_x
      - .offset:         3396
        .size:           2
        .value_kind:     hidden_remainder_y
      - .offset:         3398
        .size:           2
        .value_kind:     hidden_remainder_z
      - .offset:         3416
        .size:           8
        .value_kind:     hidden_global_offset_x
      - .offset:         3424
        .size:           8
        .value_kind:     hidden_global_offset_y
      - .offset:         3432
        .size:           8
        .value_kind:     hidden_global_offset_z
      - .offset:         3440
        .size:           2
        .value_kind:     hidden_grid_dims
    .group_segment_fixed_size: 0
    .kernarg_segment_align: 8
    .kernarg_segment_size: 3632
    .language:       OpenCL C
    .language_version:
      - 2
      - 0
    .max_flat_workgroup_size: 512
    .name:           _ZN2at6native12_GLOBAL__N_125multi_tensor_apply_kernelINS1_18TensorListMetadataILi1EEENS1_14UnaryOpFunctorIiLi1ELi1ELi0EEEJSt6negateIiEEEEvT_T0_DpT1_
    .private_segment_fixed_size: 0
    .sgpr_count:     32
    .sgpr_spill_count: 0
    .symbol:         _ZN2at6native12_GLOBAL__N_125multi_tensor_apply_kernelINS1_18TensorListMetadataILi1EEENS1_14UnaryOpFunctorIiLi1ELi1ELi0EEEJSt6negateIiEEEEvT_T0_DpT1_.kd
    .uniform_work_group_size: 1
    .uses_dynamic_stack: false
    .vgpr_count:     22
    .vgpr_spill_count: 0
    .wavefront_size: 64
  - .agpr_count:     0
    .args:
      - .offset:         0
        .size:           3368
        .value_kind:     by_value
      - .offset:         3368
        .size:           1
        .value_kind:     by_value
      - .offset:         3369
        .size:           1
        .value_kind:     by_value
      - .offset:         3376
        .size:           4
        .value_kind:     hidden_block_count_x
      - .offset:         3380
        .size:           4
        .value_kind:     hidden_block_count_y
      - .offset:         3384
        .size:           4
        .value_kind:     hidden_block_count_z
      - .offset:         3388
        .size:           2
        .value_kind:     hidden_group_size_x
      - .offset:         3390
        .size:           2
        .value_kind:     hidden_group_size_y
      - .offset:         3392
        .size:           2
        .value_kind:     hidden_group_size_z
      - .offset:         3394
        .size:           2
        .value_kind:     hidden_remainder_x
      - .offset:         3396
        .size:           2
        .value_kind:     hidden_remainder_y
      - .offset:         3398
        .size:           2
        .value_kind:     hidden_remainder_z
      - .offset:         3416
        .size:           8
        .value_kind:     hidden_global_offset_x
      - .offset:         3424
        .size:           8
        .value_kind:     hidden_global_offset_y
      - .offset:         3432
        .size:           8
        .value_kind:     hidden_global_offset_z
      - .offset:         3440
        .size:           2
        .value_kind:     hidden_grid_dims
    .group_segment_fixed_size: 0
    .kernarg_segment_align: 8
    .kernarg_segment_size: 3632
    .language:       OpenCL C
    .language_version:
      - 2
      - 0
    .max_flat_workgroup_size: 512
    .name:           _ZN2at6native12_GLOBAL__N_125multi_tensor_apply_kernelINS1_18TensorListMetadataILi1EEENS1_14UnaryOpFunctorIlLi1ELi1ELi0EEEJSt6negateIlEEEEvT_T0_DpT1_
    .private_segment_fixed_size: 0
    .sgpr_count:     32
    .sgpr_spill_count: 0
    .symbol:         _ZN2at6native12_GLOBAL__N_125multi_tensor_apply_kernelINS1_18TensorListMetadataILi1EEENS1_14UnaryOpFunctorIlLi1ELi1ELi0EEEJSt6negateIlEEEEvT_T0_DpT1_.kd
    .uniform_work_group_size: 1
    .uses_dynamic_stack: false
    .vgpr_count:     24
    .vgpr_spill_count: 0
    .wavefront_size: 64
  - .agpr_count:     0
    .args:
      - .offset:         0
        .size:           3368
        .value_kind:     by_value
      - .offset:         3368
        .size:           1
        .value_kind:     by_value
      - .offset:         3369
        .size:           1
        .value_kind:     by_value
      - .offset:         3376
        .size:           4
        .value_kind:     hidden_block_count_x
      - .offset:         3380
        .size:           4
        .value_kind:     hidden_block_count_y
      - .offset:         3384
        .size:           4
        .value_kind:     hidden_block_count_z
      - .offset:         3388
        .size:           2
        .value_kind:     hidden_group_size_x
      - .offset:         3390
        .size:           2
        .value_kind:     hidden_group_size_y
      - .offset:         3392
        .size:           2
        .value_kind:     hidden_group_size_z
      - .offset:         3394
        .size:           2
        .value_kind:     hidden_remainder_x
      - .offset:         3396
        .size:           2
        .value_kind:     hidden_remainder_y
      - .offset:         3398
        .size:           2
        .value_kind:     hidden_remainder_z
      - .offset:         3416
        .size:           8
        .value_kind:     hidden_global_offset_x
      - .offset:         3424
        .size:           8
        .value_kind:     hidden_global_offset_y
      - .offset:         3432
        .size:           8
        .value_kind:     hidden_global_offset_z
      - .offset:         3440
        .size:           2
        .value_kind:     hidden_grid_dims
    .group_segment_fixed_size: 0
    .kernarg_segment_align: 8
    .kernarg_segment_size: 3632
    .language:       OpenCL C
    .language_version:
      - 2
      - 0
    .max_flat_workgroup_size: 512
    .name:           _ZN2at6native12_GLOBAL__N_125multi_tensor_apply_kernelINS1_18TensorListMetadataILi1EEENS1_14UnaryOpFunctorIsLi1ELi1ELi0EEEJSt6negateIsEEEEvT_T0_DpT1_
    .private_segment_fixed_size: 0
    .sgpr_count:     31
    .sgpr_spill_count: 0
    .symbol:         _ZN2at6native12_GLOBAL__N_125multi_tensor_apply_kernelINS1_18TensorListMetadataILi1EEENS1_14UnaryOpFunctorIsLi1ELi1ELi0EEEJSt6negateIsEEEEvT_T0_DpT1_.kd
    .uniform_work_group_size: 1
    .uses_dynamic_stack: false
    .vgpr_count:     22
    .vgpr_spill_count: 0
    .wavefront_size: 64
  - .agpr_count:     0
    .args:
      - .offset:         0
        .size:           3368
        .value_kind:     by_value
      - .offset:         3368
        .size:           1
        .value_kind:     by_value
      - .offset:         3369
        .size:           1
        .value_kind:     by_value
      - .offset:         3376
        .size:           4
        .value_kind:     hidden_block_count_x
      - .offset:         3380
        .size:           4
        .value_kind:     hidden_block_count_y
      - .offset:         3384
        .size:           4
        .value_kind:     hidden_block_count_z
      - .offset:         3388
        .size:           2
        .value_kind:     hidden_group_size_x
      - .offset:         3390
        .size:           2
        .value_kind:     hidden_group_size_y
      - .offset:         3392
        .size:           2
        .value_kind:     hidden_group_size_z
      - .offset:         3394
        .size:           2
        .value_kind:     hidden_remainder_x
      - .offset:         3396
        .size:           2
        .value_kind:     hidden_remainder_y
      - .offset:         3398
        .size:           2
        .value_kind:     hidden_remainder_z
      - .offset:         3416
        .size:           8
        .value_kind:     hidden_global_offset_x
      - .offset:         3424
        .size:           8
        .value_kind:     hidden_global_offset_y
      - .offset:         3432
        .size:           8
        .value_kind:     hidden_global_offset_z
      - .offset:         3440
        .size:           2
        .value_kind:     hidden_grid_dims
    .group_segment_fixed_size: 0
    .kernarg_segment_align: 8
    .kernarg_segment_size: 3632
    .language:       OpenCL C
    .language_version:
      - 2
      - 0
    .max_flat_workgroup_size: 512
    .name:           _ZN2at6native12_GLOBAL__N_125multi_tensor_apply_kernelINS1_18TensorListMetadataILi1EEENS1_14UnaryOpFunctorIdLi1ELi1ELi0EEEJSt6negateIdEEEEvT_T0_DpT1_
    .private_segment_fixed_size: 0
    .sgpr_count:     32
    .sgpr_spill_count: 0
    .symbol:         _ZN2at6native12_GLOBAL__N_125multi_tensor_apply_kernelINS1_18TensorListMetadataILi1EEENS1_14UnaryOpFunctorIdLi1ELi1ELi0EEEJSt6negateIdEEEEvT_T0_DpT1_.kd
    .uniform_work_group_size: 1
    .uses_dynamic_stack: false
    .vgpr_count:     24
    .vgpr_spill_count: 0
    .wavefront_size: 64
  - .agpr_count:     0
    .args:
      - .offset:         0
        .size:           3368
        .value_kind:     by_value
      - .offset:         3368
        .size:           1
        .value_kind:     by_value
      - .offset:         3369
        .size:           1
        .value_kind:     by_value
      - .offset:         3376
        .size:           4
        .value_kind:     hidden_block_count_x
      - .offset:         3380
        .size:           4
        .value_kind:     hidden_block_count_y
      - .offset:         3384
        .size:           4
        .value_kind:     hidden_block_count_z
      - .offset:         3388
        .size:           2
        .value_kind:     hidden_group_size_x
      - .offset:         3390
        .size:           2
        .value_kind:     hidden_group_size_y
      - .offset:         3392
        .size:           2
        .value_kind:     hidden_group_size_z
      - .offset:         3394
        .size:           2
        .value_kind:     hidden_remainder_x
      - .offset:         3396
        .size:           2
        .value_kind:     hidden_remainder_y
      - .offset:         3398
        .size:           2
        .value_kind:     hidden_remainder_z
      - .offset:         3416
        .size:           8
        .value_kind:     hidden_global_offset_x
      - .offset:         3424
        .size:           8
        .value_kind:     hidden_global_offset_y
      - .offset:         3432
        .size:           8
        .value_kind:     hidden_global_offset_z
      - .offset:         3440
        .size:           2
        .value_kind:     hidden_grid_dims
    .group_segment_fixed_size: 0
    .kernarg_segment_align: 8
    .kernarg_segment_size: 3632
    .language:       OpenCL C
    .language_version:
      - 2
      - 0
    .max_flat_workgroup_size: 512
    .name:           _ZN2at6native12_GLOBAL__N_125multi_tensor_apply_kernelINS1_18TensorListMetadataILi1EEENS1_14UnaryOpFunctorIfLi1ELi1ELi0EEEJSt6negateIfEEEEvT_T0_DpT1_
    .private_segment_fixed_size: 0
    .sgpr_count:     32
    .sgpr_spill_count: 0
    .symbol:         _ZN2at6native12_GLOBAL__N_125multi_tensor_apply_kernelINS1_18TensorListMetadataILi1EEENS1_14UnaryOpFunctorIfLi1ELi1ELi0EEEJSt6negateIfEEEEvT_T0_DpT1_.kd
    .uniform_work_group_size: 1
    .uses_dynamic_stack: false
    .vgpr_count:     22
    .vgpr_spill_count: 0
    .wavefront_size: 64
  - .agpr_count:     0
    .args:
      - .offset:         0
        .size:           3368
        .value_kind:     by_value
      - .offset:         3368
        .size:           1
        .value_kind:     by_value
      - .offset:         3369
        .size:           1
        .value_kind:     by_value
      - .offset:         3376
        .size:           4
        .value_kind:     hidden_block_count_x
      - .offset:         3380
        .size:           4
        .value_kind:     hidden_block_count_y
      - .offset:         3384
        .size:           4
        .value_kind:     hidden_block_count_z
      - .offset:         3388
        .size:           2
        .value_kind:     hidden_group_size_x
      - .offset:         3390
        .size:           2
        .value_kind:     hidden_group_size_y
      - .offset:         3392
        .size:           2
        .value_kind:     hidden_group_size_z
      - .offset:         3394
        .size:           2
        .value_kind:     hidden_remainder_x
      - .offset:         3396
        .size:           2
        .value_kind:     hidden_remainder_y
      - .offset:         3398
        .size:           2
        .value_kind:     hidden_remainder_z
      - .offset:         3416
        .size:           8
        .value_kind:     hidden_global_offset_x
      - .offset:         3424
        .size:           8
        .value_kind:     hidden_global_offset_y
      - .offset:         3432
        .size:           8
        .value_kind:     hidden_global_offset_z
      - .offset:         3440
        .size:           2
        .value_kind:     hidden_grid_dims
    .group_segment_fixed_size: 0
    .kernarg_segment_align: 8
    .kernarg_segment_size: 3632
    .language:       OpenCL C
    .language_version:
      - 2
      - 0
    .max_flat_workgroup_size: 512
    .name:           _ZN2at6native12_GLOBAL__N_125multi_tensor_apply_kernelINS1_18TensorListMetadataILi1EEENS1_14UnaryOpFunctorIN3c107complexIdEELi1ELi1ELi0EEEJSt6negateIS8_EEEEvT_T0_DpT1_
    .private_segment_fixed_size: 0
    .sgpr_count:     30
    .sgpr_spill_count: 0
    .symbol:         _ZN2at6native12_GLOBAL__N_125multi_tensor_apply_kernelINS1_18TensorListMetadataILi1EEENS1_14UnaryOpFunctorIN3c107complexIdEELi1ELi1ELi0EEEJSt6negateIS8_EEEEvT_T0_DpT1_.kd
    .uniform_work_group_size: 1
    .uses_dynamic_stack: false
    .vgpr_count:     32
    .vgpr_spill_count: 0
    .wavefront_size: 64
  - .agpr_count:     0
    .args:
      - .offset:         0
        .size:           3368
        .value_kind:     by_value
      - .offset:         3368
        .size:           1
        .value_kind:     by_value
      - .offset:         3369
        .size:           1
        .value_kind:     by_value
      - .offset:         3376
        .size:           4
        .value_kind:     hidden_block_count_x
      - .offset:         3380
        .size:           4
        .value_kind:     hidden_block_count_y
      - .offset:         3384
        .size:           4
        .value_kind:     hidden_block_count_z
      - .offset:         3388
        .size:           2
        .value_kind:     hidden_group_size_x
      - .offset:         3390
        .size:           2
        .value_kind:     hidden_group_size_y
      - .offset:         3392
        .size:           2
        .value_kind:     hidden_group_size_z
      - .offset:         3394
        .size:           2
        .value_kind:     hidden_remainder_x
      - .offset:         3396
        .size:           2
        .value_kind:     hidden_remainder_y
      - .offset:         3398
        .size:           2
        .value_kind:     hidden_remainder_z
      - .offset:         3416
        .size:           8
        .value_kind:     hidden_global_offset_x
      - .offset:         3424
        .size:           8
        .value_kind:     hidden_global_offset_y
      - .offset:         3432
        .size:           8
        .value_kind:     hidden_global_offset_z
      - .offset:         3440
        .size:           2
        .value_kind:     hidden_grid_dims
    .group_segment_fixed_size: 0
    .kernarg_segment_align: 8
    .kernarg_segment_size: 3632
    .language:       OpenCL C
    .language_version:
      - 2
      - 0
    .max_flat_workgroup_size: 512
    .name:           _ZN2at6native12_GLOBAL__N_125multi_tensor_apply_kernelINS1_18TensorListMetadataILi1EEENS1_14UnaryOpFunctorIN3c107complexIfEELi1ELi1ELi0EEEJSt6negateIS8_EEEEvT_T0_DpT1_
    .private_segment_fixed_size: 0
    .sgpr_count:     32
    .sgpr_spill_count: 0
    .symbol:         _ZN2at6native12_GLOBAL__N_125multi_tensor_apply_kernelINS1_18TensorListMetadataILi1EEENS1_14UnaryOpFunctorIN3c107complexIfEELi1ELi1ELi0EEEJSt6negateIS8_EEEEvT_T0_DpT1_.kd
    .uniform_work_group_size: 1
    .uses_dynamic_stack: false
    .vgpr_count:     22
    .vgpr_spill_count: 0
    .wavefront_size: 64
  - .agpr_count:     0
    .args:
      - .offset:         0
        .size:           3368
        .value_kind:     by_value
      - .offset:         3368
        .size:           1
        .value_kind:     by_value
      - .offset:         3369
        .size:           1
        .value_kind:     by_value
      - .offset:         3376
        .size:           4
        .value_kind:     hidden_block_count_x
      - .offset:         3380
        .size:           4
        .value_kind:     hidden_block_count_y
      - .offset:         3384
        .size:           4
        .value_kind:     hidden_block_count_z
      - .offset:         3388
        .size:           2
        .value_kind:     hidden_group_size_x
      - .offset:         3390
        .size:           2
        .value_kind:     hidden_group_size_y
      - .offset:         3392
        .size:           2
        .value_kind:     hidden_group_size_z
      - .offset:         3394
        .size:           2
        .value_kind:     hidden_remainder_x
      - .offset:         3396
        .size:           2
        .value_kind:     hidden_remainder_y
      - .offset:         3398
        .size:           2
        .value_kind:     hidden_remainder_z
      - .offset:         3416
        .size:           8
        .value_kind:     hidden_global_offset_x
      - .offset:         3424
        .size:           8
        .value_kind:     hidden_global_offset_y
      - .offset:         3432
        .size:           8
        .value_kind:     hidden_global_offset_z
      - .offset:         3440
        .size:           2
        .value_kind:     hidden_grid_dims
    .group_segment_fixed_size: 0
    .kernarg_segment_align: 8
    .kernarg_segment_size: 3632
    .language:       OpenCL C
    .language_version:
      - 2
      - 0
    .max_flat_workgroup_size: 512
    .name:           _ZN2at6native12_GLOBAL__N_125multi_tensor_apply_kernelINS1_18TensorListMetadataILi1EEENS1_14UnaryOpFunctorIN3c104HalfELi1ELi1ELi0EEEJSt6negateIfEEEEvT_T0_DpT1_
    .private_segment_fixed_size: 0
    .sgpr_count:     31
    .sgpr_spill_count: 0
    .symbol:         _ZN2at6native12_GLOBAL__N_125multi_tensor_apply_kernelINS1_18TensorListMetadataILi1EEENS1_14UnaryOpFunctorIN3c104HalfELi1ELi1ELi0EEEJSt6negateIfEEEEvT_T0_DpT1_.kd
    .uniform_work_group_size: 1
    .uses_dynamic_stack: false
    .vgpr_count:     22
    .vgpr_spill_count: 0
    .wavefront_size: 64
  - .agpr_count:     0
    .args:
      - .offset:         0
        .size:           3368
        .value_kind:     by_value
      - .offset:         3368
        .size:           1
        .value_kind:     by_value
      - .offset:         3369
        .size:           1
        .value_kind:     by_value
      - .offset:         3376
        .size:           4
        .value_kind:     hidden_block_count_x
      - .offset:         3380
        .size:           4
        .value_kind:     hidden_block_count_y
      - .offset:         3384
        .size:           4
        .value_kind:     hidden_block_count_z
      - .offset:         3388
        .size:           2
        .value_kind:     hidden_group_size_x
      - .offset:         3390
        .size:           2
        .value_kind:     hidden_group_size_y
      - .offset:         3392
        .size:           2
        .value_kind:     hidden_group_size_z
      - .offset:         3394
        .size:           2
        .value_kind:     hidden_remainder_x
      - .offset:         3396
        .size:           2
        .value_kind:     hidden_remainder_y
      - .offset:         3398
        .size:           2
        .value_kind:     hidden_remainder_z
      - .offset:         3416
        .size:           8
        .value_kind:     hidden_global_offset_x
      - .offset:         3424
        .size:           8
        .value_kind:     hidden_global_offset_y
      - .offset:         3432
        .size:           8
        .value_kind:     hidden_global_offset_z
      - .offset:         3440
        .size:           2
        .value_kind:     hidden_grid_dims
    .group_segment_fixed_size: 0
    .kernarg_segment_align: 8
    .kernarg_segment_size: 3632
    .language:       OpenCL C
    .language_version:
      - 2
      - 0
    .max_flat_workgroup_size: 512
    .name:           _ZN2at6native12_GLOBAL__N_125multi_tensor_apply_kernelINS1_18TensorListMetadataILi1EEENS1_14UnaryOpFunctorIN3c108BFloat16ELi1ELi1ELi0EEEJSt6negateIfEEEEvT_T0_DpT1_
    .private_segment_fixed_size: 0
    .sgpr_count:     32
    .sgpr_spill_count: 0
    .symbol:         _ZN2at6native12_GLOBAL__N_125multi_tensor_apply_kernelINS1_18TensorListMetadataILi1EEENS1_14UnaryOpFunctorIN3c108BFloat16ELi1ELi1ELi0EEEJSt6negateIfEEEEvT_T0_DpT1_.kd
    .uniform_work_group_size: 1
    .uses_dynamic_stack: false
    .vgpr_count:     24
    .vgpr_spill_count: 0
    .wavefront_size: 64
  - .agpr_count:     0
    .args:
      - .offset:         0
        .size:           3144
        .value_kind:     by_value
      - .offset:         3144
        .size:           1
        .value_kind:     by_value
      - .offset:         3145
        .size:           1
        .value_kind:     by_value
      - .offset:         3152
        .size:           4
        .value_kind:     hidden_block_count_x
      - .offset:         3156
        .size:           4
        .value_kind:     hidden_block_count_y
      - .offset:         3160
        .size:           4
        .value_kind:     hidden_block_count_z
      - .offset:         3164
        .size:           2
        .value_kind:     hidden_group_size_x
      - .offset:         3166
        .size:           2
        .value_kind:     hidden_group_size_y
      - .offset:         3168
        .size:           2
        .value_kind:     hidden_group_size_z
      - .offset:         3170
        .size:           2
        .value_kind:     hidden_remainder_x
      - .offset:         3172
        .size:           2
        .value_kind:     hidden_remainder_y
      - .offset:         3174
        .size:           2
        .value_kind:     hidden_remainder_z
      - .offset:         3192
        .size:           8
        .value_kind:     hidden_global_offset_x
      - .offset:         3200
        .size:           8
        .value_kind:     hidden_global_offset_y
      - .offset:         3208
        .size:           8
        .value_kind:     hidden_global_offset_z
      - .offset:         3216
        .size:           2
        .value_kind:     hidden_grid_dims
    .group_segment_fixed_size: 0
    .kernarg_segment_align: 8
    .kernarg_segment_size: 3408
    .language:       OpenCL C
    .language_version:
      - 2
      - 0
    .max_flat_workgroup_size: 512
    .name:           _ZN2at6native12_GLOBAL__N_125multi_tensor_apply_kernelINS1_18TensorListMetadataILi2EEENS1_14UnaryOpFunctorIhLi2ELi1ELi1EEEJNS0_3AbsIhEEEEEvT_T0_DpT1_
    .private_segment_fixed_size: 0
    .sgpr_count:     25
    .sgpr_spill_count: 0
    .symbol:         _ZN2at6native12_GLOBAL__N_125multi_tensor_apply_kernelINS1_18TensorListMetadataILi2EEENS1_14UnaryOpFunctorIhLi2ELi1ELi1EEEJNS0_3AbsIhEEEEEvT_T0_DpT1_.kd
    .uniform_work_group_size: 1
    .uses_dynamic_stack: false
    .vgpr_count:     32
    .vgpr_spill_count: 0
    .wavefront_size: 64
  - .agpr_count:     0
    .args:
      - .offset:         0
        .size:           3144
        .value_kind:     by_value
      - .offset:         3144
        .size:           1
        .value_kind:     by_value
      - .offset:         3145
        .size:           1
        .value_kind:     by_value
      - .offset:         3152
        .size:           4
        .value_kind:     hidden_block_count_x
      - .offset:         3156
        .size:           4
        .value_kind:     hidden_block_count_y
      - .offset:         3160
        .size:           4
        .value_kind:     hidden_block_count_z
      - .offset:         3164
        .size:           2
        .value_kind:     hidden_group_size_x
      - .offset:         3166
        .size:           2
        .value_kind:     hidden_group_size_y
      - .offset:         3168
        .size:           2
        .value_kind:     hidden_group_size_z
      - .offset:         3170
        .size:           2
        .value_kind:     hidden_remainder_x
      - .offset:         3172
        .size:           2
        .value_kind:     hidden_remainder_y
      - .offset:         3174
        .size:           2
        .value_kind:     hidden_remainder_z
      - .offset:         3192
        .size:           8
        .value_kind:     hidden_global_offset_x
      - .offset:         3200
        .size:           8
        .value_kind:     hidden_global_offset_y
      - .offset:         3208
        .size:           8
        .value_kind:     hidden_global_offset_z
      - .offset:         3216
        .size:           2
        .value_kind:     hidden_grid_dims
    .group_segment_fixed_size: 0
    .kernarg_segment_align: 8
    .kernarg_segment_size: 3408
    .language:       OpenCL C
    .language_version:
      - 2
      - 0
    .max_flat_workgroup_size: 512
    .name:           _ZN2at6native12_GLOBAL__N_125multi_tensor_apply_kernelINS1_18TensorListMetadataILi2EEENS1_14UnaryOpFunctorIaLi2ELi1ELi1EEEJNS0_3AbsIaEEEEEvT_T0_DpT1_
    .private_segment_fixed_size: 0
    .sgpr_count:     25
    .sgpr_spill_count: 0
    .symbol:         _ZN2at6native12_GLOBAL__N_125multi_tensor_apply_kernelINS1_18TensorListMetadataILi2EEENS1_14UnaryOpFunctorIaLi2ELi1ELi1EEEJNS0_3AbsIaEEEEEvT_T0_DpT1_.kd
    .uniform_work_group_size: 1
    .uses_dynamic_stack: false
    .vgpr_count:     33
    .vgpr_spill_count: 0
    .wavefront_size: 64
  - .agpr_count:     0
    .args:
      - .offset:         0
        .size:           3144
        .value_kind:     by_value
      - .offset:         3144
        .size:           1
        .value_kind:     by_value
      - .offset:         3145
        .size:           1
        .value_kind:     by_value
      - .offset:         3152
        .size:           4
        .value_kind:     hidden_block_count_x
      - .offset:         3156
        .size:           4
        .value_kind:     hidden_block_count_y
      - .offset:         3160
        .size:           4
        .value_kind:     hidden_block_count_z
      - .offset:         3164
        .size:           2
        .value_kind:     hidden_group_size_x
      - .offset:         3166
        .size:           2
        .value_kind:     hidden_group_size_y
      - .offset:         3168
        .size:           2
        .value_kind:     hidden_group_size_z
      - .offset:         3170
        .size:           2
        .value_kind:     hidden_remainder_x
      - .offset:         3172
        .size:           2
        .value_kind:     hidden_remainder_y
      - .offset:         3174
        .size:           2
        .value_kind:     hidden_remainder_z
      - .offset:         3192
        .size:           8
        .value_kind:     hidden_global_offset_x
      - .offset:         3200
        .size:           8
        .value_kind:     hidden_global_offset_y
      - .offset:         3208
        .size:           8
        .value_kind:     hidden_global_offset_z
      - .offset:         3216
        .size:           2
        .value_kind:     hidden_grid_dims
    .group_segment_fixed_size: 0
    .kernarg_segment_align: 8
    .kernarg_segment_size: 3408
    .language:       OpenCL C
    .language_version:
      - 2
      - 0
    .max_flat_workgroup_size: 512
    .name:           _ZN2at6native12_GLOBAL__N_125multi_tensor_apply_kernelINS1_18TensorListMetadataILi2EEENS1_14UnaryOpFunctorIiLi2ELi1ELi1EEEJNS0_3AbsIiEEEEEvT_T0_DpT1_
    .private_segment_fixed_size: 0
    .sgpr_count:     26
    .sgpr_spill_count: 0
    .symbol:         _ZN2at6native12_GLOBAL__N_125multi_tensor_apply_kernelINS1_18TensorListMetadataILi2EEENS1_14UnaryOpFunctorIiLi2ELi1ELi1EEEJNS0_3AbsIiEEEEEvT_T0_DpT1_.kd
    .uniform_work_group_size: 1
    .uses_dynamic_stack: false
    .vgpr_count:     30
    .vgpr_spill_count: 0
    .wavefront_size: 64
  - .agpr_count:     0
    .args:
      - .offset:         0
        .size:           3144
        .value_kind:     by_value
      - .offset:         3144
        .size:           1
        .value_kind:     by_value
      - .offset:         3145
        .size:           1
        .value_kind:     by_value
      - .offset:         3152
        .size:           4
        .value_kind:     hidden_block_count_x
      - .offset:         3156
        .size:           4
        .value_kind:     hidden_block_count_y
      - .offset:         3160
        .size:           4
        .value_kind:     hidden_block_count_z
      - .offset:         3164
        .size:           2
        .value_kind:     hidden_group_size_x
      - .offset:         3166
        .size:           2
        .value_kind:     hidden_group_size_y
      - .offset:         3168
        .size:           2
        .value_kind:     hidden_group_size_z
      - .offset:         3170
        .size:           2
        .value_kind:     hidden_remainder_x
      - .offset:         3172
        .size:           2
        .value_kind:     hidden_remainder_y
      - .offset:         3174
        .size:           2
        .value_kind:     hidden_remainder_z
      - .offset:         3192
        .size:           8
        .value_kind:     hidden_global_offset_x
      - .offset:         3200
        .size:           8
        .value_kind:     hidden_global_offset_y
      - .offset:         3208
        .size:           8
        .value_kind:     hidden_global_offset_z
      - .offset:         3216
        .size:           2
        .value_kind:     hidden_grid_dims
    .group_segment_fixed_size: 0
    .kernarg_segment_align: 8
    .kernarg_segment_size: 3408
    .language:       OpenCL C
    .language_version:
      - 2
      - 0
    .max_flat_workgroup_size: 512
    .name:           _ZN2at6native12_GLOBAL__N_125multi_tensor_apply_kernelINS1_18TensorListMetadataILi2EEENS1_14UnaryOpFunctorIlLi2ELi1ELi1EEEJNS0_3AbsIlEEEEEvT_T0_DpT1_
    .private_segment_fixed_size: 0
    .sgpr_count:     30
    .sgpr_spill_count: 0
    .symbol:         _ZN2at6native12_GLOBAL__N_125multi_tensor_apply_kernelINS1_18TensorListMetadataILi2EEENS1_14UnaryOpFunctorIlLi2ELi1ELi1EEEJNS0_3AbsIlEEEEEvT_T0_DpT1_.kd
    .uniform_work_group_size: 1
    .uses_dynamic_stack: false
    .vgpr_count:     34
    .vgpr_spill_count: 0
    .wavefront_size: 64
  - .agpr_count:     0
    .args:
      - .offset:         0
        .size:           3144
        .value_kind:     by_value
      - .offset:         3144
        .size:           1
        .value_kind:     by_value
      - .offset:         3145
        .size:           1
        .value_kind:     by_value
      - .offset:         3152
        .size:           4
        .value_kind:     hidden_block_count_x
      - .offset:         3156
        .size:           4
        .value_kind:     hidden_block_count_y
      - .offset:         3160
        .size:           4
        .value_kind:     hidden_block_count_z
      - .offset:         3164
        .size:           2
        .value_kind:     hidden_group_size_x
      - .offset:         3166
        .size:           2
        .value_kind:     hidden_group_size_y
      - .offset:         3168
        .size:           2
        .value_kind:     hidden_group_size_z
      - .offset:         3170
        .size:           2
        .value_kind:     hidden_remainder_x
      - .offset:         3172
        .size:           2
        .value_kind:     hidden_remainder_y
      - .offset:         3174
        .size:           2
        .value_kind:     hidden_remainder_z
      - .offset:         3192
        .size:           8
        .value_kind:     hidden_global_offset_x
      - .offset:         3200
        .size:           8
        .value_kind:     hidden_global_offset_y
      - .offset:         3208
        .size:           8
        .value_kind:     hidden_global_offset_z
      - .offset:         3216
        .size:           2
        .value_kind:     hidden_grid_dims
    .group_segment_fixed_size: 0
    .kernarg_segment_align: 8
    .kernarg_segment_size: 3408
    .language:       OpenCL C
    .language_version:
      - 2
      - 0
    .max_flat_workgroup_size: 512
    .name:           _ZN2at6native12_GLOBAL__N_125multi_tensor_apply_kernelINS1_18TensorListMetadataILi2EEENS1_14UnaryOpFunctorIsLi2ELi1ELi1EEEJNS0_3AbsIsEEEEEvT_T0_DpT1_
    .private_segment_fixed_size: 0
    .sgpr_count:     26
    .sgpr_spill_count: 0
    .symbol:         _ZN2at6native12_GLOBAL__N_125multi_tensor_apply_kernelINS1_18TensorListMetadataILi2EEENS1_14UnaryOpFunctorIsLi2ELi1ELi1EEEJNS0_3AbsIsEEEEEvT_T0_DpT1_.kd
    .uniform_work_group_size: 1
    .uses_dynamic_stack: false
    .vgpr_count:     30
    .vgpr_spill_count: 0
    .wavefront_size: 64
  - .agpr_count:     0
    .args:
      - .offset:         0
        .size:           3144
        .value_kind:     by_value
      - .offset:         3144
        .size:           1
        .value_kind:     by_value
      - .offset:         3145
        .size:           1
        .value_kind:     by_value
      - .offset:         3152
        .size:           4
        .value_kind:     hidden_block_count_x
      - .offset:         3156
        .size:           4
        .value_kind:     hidden_block_count_y
      - .offset:         3160
        .size:           4
        .value_kind:     hidden_block_count_z
      - .offset:         3164
        .size:           2
        .value_kind:     hidden_group_size_x
      - .offset:         3166
        .size:           2
        .value_kind:     hidden_group_size_y
      - .offset:         3168
        .size:           2
        .value_kind:     hidden_group_size_z
      - .offset:         3170
        .size:           2
        .value_kind:     hidden_remainder_x
      - .offset:         3172
        .size:           2
        .value_kind:     hidden_remainder_y
      - .offset:         3174
        .size:           2
        .value_kind:     hidden_remainder_z
      - .offset:         3192
        .size:           8
        .value_kind:     hidden_global_offset_x
      - .offset:         3200
        .size:           8
        .value_kind:     hidden_global_offset_y
      - .offset:         3208
        .size:           8
        .value_kind:     hidden_global_offset_z
      - .offset:         3216
        .size:           2
        .value_kind:     hidden_grid_dims
    .group_segment_fixed_size: 0
    .kernarg_segment_align: 8
    .kernarg_segment_size: 3408
    .language:       OpenCL C
    .language_version:
      - 2
      - 0
    .max_flat_workgroup_size: 512
    .name:           _ZN2at6native12_GLOBAL__N_125multi_tensor_apply_kernelINS1_18TensorListMetadataILi2EEENS1_14UnaryOpFunctorIdLi2ELi1ELi1EEEJNS0_3AbsIdEEEEEvT_T0_DpT1_
    .private_segment_fixed_size: 0
    .sgpr_count:     30
    .sgpr_spill_count: 0
    .symbol:         _ZN2at6native12_GLOBAL__N_125multi_tensor_apply_kernelINS1_18TensorListMetadataILi2EEENS1_14UnaryOpFunctorIdLi2ELi1ELi1EEEJNS0_3AbsIdEEEEEvT_T0_DpT1_.kd
    .uniform_work_group_size: 1
    .uses_dynamic_stack: false
    .vgpr_count:     34
    .vgpr_spill_count: 0
    .wavefront_size: 64
  - .agpr_count:     0
    .args:
      - .offset:         0
        .size:           3144
        .value_kind:     by_value
      - .offset:         3144
        .size:           1
        .value_kind:     by_value
      - .offset:         3145
        .size:           1
        .value_kind:     by_value
      - .offset:         3152
        .size:           4
        .value_kind:     hidden_block_count_x
      - .offset:         3156
        .size:           4
        .value_kind:     hidden_block_count_y
      - .offset:         3160
        .size:           4
        .value_kind:     hidden_block_count_z
      - .offset:         3164
        .size:           2
        .value_kind:     hidden_group_size_x
      - .offset:         3166
        .size:           2
        .value_kind:     hidden_group_size_y
      - .offset:         3168
        .size:           2
        .value_kind:     hidden_group_size_z
      - .offset:         3170
        .size:           2
        .value_kind:     hidden_remainder_x
      - .offset:         3172
        .size:           2
        .value_kind:     hidden_remainder_y
      - .offset:         3174
        .size:           2
        .value_kind:     hidden_remainder_z
      - .offset:         3192
        .size:           8
        .value_kind:     hidden_global_offset_x
      - .offset:         3200
        .size:           8
        .value_kind:     hidden_global_offset_y
      - .offset:         3208
        .size:           8
        .value_kind:     hidden_global_offset_z
      - .offset:         3216
        .size:           2
        .value_kind:     hidden_grid_dims
    .group_segment_fixed_size: 0
    .kernarg_segment_align: 8
    .kernarg_segment_size: 3408
    .language:       OpenCL C
    .language_version:
      - 2
      - 0
    .max_flat_workgroup_size: 512
    .name:           _ZN2at6native12_GLOBAL__N_125multi_tensor_apply_kernelINS1_18TensorListMetadataILi2EEENS1_14UnaryOpFunctorIfLi2ELi1ELi1EEEJNS0_3AbsIfEEEEEvT_T0_DpT1_
    .private_segment_fixed_size: 0
    .sgpr_count:     26
    .sgpr_spill_count: 0
    .symbol:         _ZN2at6native12_GLOBAL__N_125multi_tensor_apply_kernelINS1_18TensorListMetadataILi2EEENS1_14UnaryOpFunctorIfLi2ELi1ELi1EEEJNS0_3AbsIfEEEEEvT_T0_DpT1_.kd
    .uniform_work_group_size: 1
    .uses_dynamic_stack: false
    .vgpr_count:     30
    .vgpr_spill_count: 0
    .wavefront_size: 64
  - .agpr_count:     0
    .args:
      - .offset:         0
        .size:           3144
        .value_kind:     by_value
      - .offset:         3144
        .size:           1
        .value_kind:     by_value
      - .offset:         3145
        .size:           1
        .value_kind:     by_value
      - .offset:         3152
        .size:           4
        .value_kind:     hidden_block_count_x
      - .offset:         3156
        .size:           4
        .value_kind:     hidden_block_count_y
      - .offset:         3160
        .size:           4
        .value_kind:     hidden_block_count_z
      - .offset:         3164
        .size:           2
        .value_kind:     hidden_group_size_x
      - .offset:         3166
        .size:           2
        .value_kind:     hidden_group_size_y
      - .offset:         3168
        .size:           2
        .value_kind:     hidden_group_size_z
      - .offset:         3170
        .size:           2
        .value_kind:     hidden_remainder_x
      - .offset:         3172
        .size:           2
        .value_kind:     hidden_remainder_y
      - .offset:         3174
        .size:           2
        .value_kind:     hidden_remainder_z
      - .offset:         3192
        .size:           8
        .value_kind:     hidden_global_offset_x
      - .offset:         3200
        .size:           8
        .value_kind:     hidden_global_offset_y
      - .offset:         3208
        .size:           8
        .value_kind:     hidden_global_offset_z
      - .offset:         3216
        .size:           2
        .value_kind:     hidden_grid_dims
    .group_segment_fixed_size: 0
    .kernarg_segment_align: 8
    .kernarg_segment_size: 3408
    .language:       OpenCL C
    .language_version:
      - 2
      - 0
    .max_flat_workgroup_size: 512
    .name:           _ZN2at6native12_GLOBAL__N_125multi_tensor_apply_kernelINS1_18TensorListMetadataILi2EEENS1_14UnaryOpFunctorIN3c107complexIdEELi2ELi1ELi1EEEJNS0_3AbsIS8_EEEEEvT_T0_DpT1_
    .private_segment_fixed_size: 0
    .sgpr_count:     54
    .sgpr_spill_count: 0
    .symbol:         _ZN2at6native12_GLOBAL__N_125multi_tensor_apply_kernelINS1_18TensorListMetadataILi2EEENS1_14UnaryOpFunctorIN3c107complexIdEELi2ELi1ELi1EEEJNS0_3AbsIS8_EEEEEvT_T0_DpT1_.kd
    .uniform_work_group_size: 1
    .uses_dynamic_stack: false
    .vgpr_count:     54
    .vgpr_spill_count: 0
    .wavefront_size: 64
  - .agpr_count:     0
    .args:
      - .offset:         0
        .size:           3144
        .value_kind:     by_value
      - .offset:         3144
        .size:           1
        .value_kind:     by_value
      - .offset:         3145
        .size:           1
        .value_kind:     by_value
      - .offset:         3152
        .size:           4
        .value_kind:     hidden_block_count_x
      - .offset:         3156
        .size:           4
        .value_kind:     hidden_block_count_y
      - .offset:         3160
        .size:           4
        .value_kind:     hidden_block_count_z
      - .offset:         3164
        .size:           2
        .value_kind:     hidden_group_size_x
      - .offset:         3166
        .size:           2
        .value_kind:     hidden_group_size_y
      - .offset:         3168
        .size:           2
        .value_kind:     hidden_group_size_z
      - .offset:         3170
        .size:           2
        .value_kind:     hidden_remainder_x
      - .offset:         3172
        .size:           2
        .value_kind:     hidden_remainder_y
      - .offset:         3174
        .size:           2
        .value_kind:     hidden_remainder_z
      - .offset:         3192
        .size:           8
        .value_kind:     hidden_global_offset_x
      - .offset:         3200
        .size:           8
        .value_kind:     hidden_global_offset_y
      - .offset:         3208
        .size:           8
        .value_kind:     hidden_global_offset_z
      - .offset:         3216
        .size:           2
        .value_kind:     hidden_grid_dims
    .group_segment_fixed_size: 0
    .kernarg_segment_align: 8
    .kernarg_segment_size: 3408
    .language:       OpenCL C
    .language_version:
      - 2
      - 0
    .max_flat_workgroup_size: 512
    .name:           _ZN2at6native12_GLOBAL__N_125multi_tensor_apply_kernelINS1_18TensorListMetadataILi2EEENS1_14UnaryOpFunctorIN3c107complexIfEELi2ELi1ELi1EEEJNS0_3AbsIS8_EEEEEvT_T0_DpT1_
    .private_segment_fixed_size: 0
    .sgpr_count:     33
    .sgpr_spill_count: 0
    .symbol:         _ZN2at6native12_GLOBAL__N_125multi_tensor_apply_kernelINS1_18TensorListMetadataILi2EEENS1_14UnaryOpFunctorIN3c107complexIfEELi2ELi1ELi1EEEJNS0_3AbsIS8_EEEEEvT_T0_DpT1_.kd
    .uniform_work_group_size: 1
    .uses_dynamic_stack: false
    .vgpr_count:     36
    .vgpr_spill_count: 0
    .wavefront_size: 64
  - .agpr_count:     0
    .args:
      - .offset:         0
        .size:           3144
        .value_kind:     by_value
      - .offset:         3144
        .size:           1
        .value_kind:     by_value
      - .offset:         3145
        .size:           1
        .value_kind:     by_value
      - .offset:         3152
        .size:           4
        .value_kind:     hidden_block_count_x
      - .offset:         3156
        .size:           4
        .value_kind:     hidden_block_count_y
      - .offset:         3160
        .size:           4
        .value_kind:     hidden_block_count_z
      - .offset:         3164
        .size:           2
        .value_kind:     hidden_group_size_x
      - .offset:         3166
        .size:           2
        .value_kind:     hidden_group_size_y
      - .offset:         3168
        .size:           2
        .value_kind:     hidden_group_size_z
      - .offset:         3170
        .size:           2
        .value_kind:     hidden_remainder_x
      - .offset:         3172
        .size:           2
        .value_kind:     hidden_remainder_y
      - .offset:         3174
        .size:           2
        .value_kind:     hidden_remainder_z
      - .offset:         3192
        .size:           8
        .value_kind:     hidden_global_offset_x
      - .offset:         3200
        .size:           8
        .value_kind:     hidden_global_offset_y
      - .offset:         3208
        .size:           8
        .value_kind:     hidden_global_offset_z
      - .offset:         3216
        .size:           2
        .value_kind:     hidden_grid_dims
    .group_segment_fixed_size: 0
    .kernarg_segment_align: 8
    .kernarg_segment_size: 3408
    .language:       OpenCL C
    .language_version:
      - 2
      - 0
    .max_flat_workgroup_size: 512
    .name:           _ZN2at6native12_GLOBAL__N_125multi_tensor_apply_kernelINS1_18TensorListMetadataILi2EEENS1_14UnaryOpFunctorIN3c104HalfELi2ELi1ELi1EEEJNS0_3AbsIfEEEEEvT_T0_DpT1_
    .private_segment_fixed_size: 0
    .sgpr_count:     26
    .sgpr_spill_count: 0
    .symbol:         _ZN2at6native12_GLOBAL__N_125multi_tensor_apply_kernelINS1_18TensorListMetadataILi2EEENS1_14UnaryOpFunctorIN3c104HalfELi2ELi1ELi1EEEJNS0_3AbsIfEEEEEvT_T0_DpT1_.kd
    .uniform_work_group_size: 1
    .uses_dynamic_stack: false
    .vgpr_count:     30
    .vgpr_spill_count: 0
    .wavefront_size: 64
  - .agpr_count:     0
    .args:
      - .offset:         0
        .size:           3144
        .value_kind:     by_value
      - .offset:         3144
        .size:           1
        .value_kind:     by_value
      - .offset:         3145
        .size:           1
        .value_kind:     by_value
      - .offset:         3152
        .size:           4
        .value_kind:     hidden_block_count_x
      - .offset:         3156
        .size:           4
        .value_kind:     hidden_block_count_y
      - .offset:         3160
        .size:           4
        .value_kind:     hidden_block_count_z
      - .offset:         3164
        .size:           2
        .value_kind:     hidden_group_size_x
      - .offset:         3166
        .size:           2
        .value_kind:     hidden_group_size_y
      - .offset:         3168
        .size:           2
        .value_kind:     hidden_group_size_z
      - .offset:         3170
        .size:           2
        .value_kind:     hidden_remainder_x
      - .offset:         3172
        .size:           2
        .value_kind:     hidden_remainder_y
      - .offset:         3174
        .size:           2
        .value_kind:     hidden_remainder_z
      - .offset:         3192
        .size:           8
        .value_kind:     hidden_global_offset_x
      - .offset:         3200
        .size:           8
        .value_kind:     hidden_global_offset_y
      - .offset:         3208
        .size:           8
        .value_kind:     hidden_global_offset_z
      - .offset:         3216
        .size:           2
        .value_kind:     hidden_grid_dims
    .group_segment_fixed_size: 0
    .kernarg_segment_align: 8
    .kernarg_segment_size: 3408
    .language:       OpenCL C
    .language_version:
      - 2
      - 0
    .max_flat_workgroup_size: 512
    .name:           _ZN2at6native12_GLOBAL__N_125multi_tensor_apply_kernelINS1_18TensorListMetadataILi2EEENS1_14UnaryOpFunctorIN3c108BFloat16ELi2ELi1ELi1EEEJNS0_3AbsIfEEEEEvT_T0_DpT1_
    .private_segment_fixed_size: 0
    .sgpr_count:     27
    .sgpr_spill_count: 0
    .symbol:         _ZN2at6native12_GLOBAL__N_125multi_tensor_apply_kernelINS1_18TensorListMetadataILi2EEENS1_14UnaryOpFunctorIN3c108BFloat16ELi2ELi1ELi1EEEJNS0_3AbsIfEEEEEvT_T0_DpT1_.kd
    .uniform_work_group_size: 1
    .uses_dynamic_stack: false
    .vgpr_count:     30
    .vgpr_spill_count: 0
    .wavefront_size: 64
  - .agpr_count:     0
    .args:
      - .offset:         0
        .size:           3144
        .value_kind:     by_value
      - .offset:         3144
        .size:           1
        .value_kind:     by_value
      - .offset:         3145
        .size:           1
        .value_kind:     by_value
      - .offset:         3152
        .size:           4
        .value_kind:     hidden_block_count_x
      - .offset:         3156
        .size:           4
        .value_kind:     hidden_block_count_y
      - .offset:         3160
        .size:           4
        .value_kind:     hidden_block_count_z
      - .offset:         3164
        .size:           2
        .value_kind:     hidden_group_size_x
      - .offset:         3166
        .size:           2
        .value_kind:     hidden_group_size_y
      - .offset:         3168
        .size:           2
        .value_kind:     hidden_group_size_z
      - .offset:         3170
        .size:           2
        .value_kind:     hidden_remainder_x
      - .offset:         3172
        .size:           2
        .value_kind:     hidden_remainder_y
      - .offset:         3174
        .size:           2
        .value_kind:     hidden_remainder_z
      - .offset:         3192
        .size:           8
        .value_kind:     hidden_global_offset_x
      - .offset:         3200
        .size:           8
        .value_kind:     hidden_global_offset_y
      - .offset:         3208
        .size:           8
        .value_kind:     hidden_global_offset_z
      - .offset:         3216
        .size:           2
        .value_kind:     hidden_grid_dims
    .group_segment_fixed_size: 0
    .kernarg_segment_align: 8
    .kernarg_segment_size: 3408
    .language:       OpenCL C
    .language_version:
      - 2
      - 0
    .max_flat_workgroup_size: 512
    .name:           _ZN2at6native12_GLOBAL__N_125multi_tensor_apply_kernelINS1_18TensorListMetadataILi2EEENS1_14UnaryOpFunctorIbLi2ELi1ELi1EEEJNS0_3AbsIbEEEEEvT_T0_DpT1_
    .private_segment_fixed_size: 0
    .sgpr_count:     25
    .sgpr_spill_count: 0
    .symbol:         _ZN2at6native12_GLOBAL__N_125multi_tensor_apply_kernelINS1_18TensorListMetadataILi2EEENS1_14UnaryOpFunctorIbLi2ELi1ELi1EEEJNS0_3AbsIbEEEEEvT_T0_DpT1_.kd
    .uniform_work_group_size: 1
    .uses_dynamic_stack: false
    .vgpr_count:     32
    .vgpr_spill_count: 0
    .wavefront_size: 64
  - .agpr_count:     0
    .args:
      - .offset:         0
        .size:           3368
        .value_kind:     by_value
      - .offset:         3368
        .size:           1
        .value_kind:     by_value
      - .offset:         3369
        .size:           1
        .value_kind:     by_value
      - .offset:         3376
        .size:           4
        .value_kind:     hidden_block_count_x
      - .offset:         3380
        .size:           4
        .value_kind:     hidden_block_count_y
      - .offset:         3384
        .size:           4
        .value_kind:     hidden_block_count_z
      - .offset:         3388
        .size:           2
        .value_kind:     hidden_group_size_x
      - .offset:         3390
        .size:           2
        .value_kind:     hidden_group_size_y
      - .offset:         3392
        .size:           2
        .value_kind:     hidden_group_size_z
      - .offset:         3394
        .size:           2
        .value_kind:     hidden_remainder_x
      - .offset:         3396
        .size:           2
        .value_kind:     hidden_remainder_y
      - .offset:         3398
        .size:           2
        .value_kind:     hidden_remainder_z
      - .offset:         3416
        .size:           8
        .value_kind:     hidden_global_offset_x
      - .offset:         3424
        .size:           8
        .value_kind:     hidden_global_offset_y
      - .offset:         3432
        .size:           8
        .value_kind:     hidden_global_offset_z
      - .offset:         3440
        .size:           2
        .value_kind:     hidden_grid_dims
    .group_segment_fixed_size: 0
    .kernarg_segment_align: 8
    .kernarg_segment_size: 3632
    .language:       OpenCL C
    .language_version:
      - 2
      - 0
    .max_flat_workgroup_size: 512
    .name:           _ZN2at6native12_GLOBAL__N_125multi_tensor_apply_kernelINS1_18TensorListMetadataILi1EEENS1_14UnaryOpFunctorIhLi1ELi1ELi0EEEJNS0_3AbsIhEEEEEvT_T0_DpT1_
    .private_segment_fixed_size: 0
    .sgpr_count:     20
    .sgpr_spill_count: 0
    .symbol:         _ZN2at6native12_GLOBAL__N_125multi_tensor_apply_kernelINS1_18TensorListMetadataILi1EEENS1_14UnaryOpFunctorIhLi1ELi1ELi0EEEJNS0_3AbsIhEEEEEvT_T0_DpT1_.kd
    .uniform_work_group_size: 1
    .uses_dynamic_stack: false
    .vgpr_count:     26
    .vgpr_spill_count: 0
    .wavefront_size: 64
  - .agpr_count:     0
    .args:
      - .offset:         0
        .size:           3368
        .value_kind:     by_value
      - .offset:         3368
        .size:           1
        .value_kind:     by_value
      - .offset:         3369
        .size:           1
        .value_kind:     by_value
      - .offset:         3376
        .size:           4
        .value_kind:     hidden_block_count_x
      - .offset:         3380
        .size:           4
        .value_kind:     hidden_block_count_y
      - .offset:         3384
        .size:           4
        .value_kind:     hidden_block_count_z
      - .offset:         3388
        .size:           2
        .value_kind:     hidden_group_size_x
      - .offset:         3390
        .size:           2
        .value_kind:     hidden_group_size_y
      - .offset:         3392
        .size:           2
        .value_kind:     hidden_group_size_z
      - .offset:         3394
        .size:           2
        .value_kind:     hidden_remainder_x
      - .offset:         3396
        .size:           2
        .value_kind:     hidden_remainder_y
      - .offset:         3398
        .size:           2
        .value_kind:     hidden_remainder_z
      - .offset:         3416
        .size:           8
        .value_kind:     hidden_global_offset_x
      - .offset:         3424
        .size:           8
        .value_kind:     hidden_global_offset_y
      - .offset:         3432
        .size:           8
        .value_kind:     hidden_global_offset_z
      - .offset:         3440
        .size:           2
        .value_kind:     hidden_grid_dims
    .group_segment_fixed_size: 0
    .kernarg_segment_align: 8
    .kernarg_segment_size: 3632
    .language:       OpenCL C
    .language_version:
      - 2
      - 0
    .max_flat_workgroup_size: 512
    .name:           _ZN2at6native12_GLOBAL__N_125multi_tensor_apply_kernelINS1_18TensorListMetadataILi1EEENS1_14UnaryOpFunctorIaLi1ELi1ELi0EEEJNS0_3AbsIaEEEEEvT_T0_DpT1_
    .private_segment_fixed_size: 0
    .sgpr_count:     25
    .sgpr_spill_count: 0
    .symbol:         _ZN2at6native12_GLOBAL__N_125multi_tensor_apply_kernelINS1_18TensorListMetadataILi1EEENS1_14UnaryOpFunctorIaLi1ELi1ELi0EEEJNS0_3AbsIaEEEEEvT_T0_DpT1_.kd
    .uniform_work_group_size: 1
    .uses_dynamic_stack: false
    .vgpr_count:     27
    .vgpr_spill_count: 0
    .wavefront_size: 64
  - .agpr_count:     0
    .args:
      - .offset:         0
        .size:           3368
        .value_kind:     by_value
      - .offset:         3368
        .size:           1
        .value_kind:     by_value
      - .offset:         3369
        .size:           1
        .value_kind:     by_value
      - .offset:         3376
        .size:           4
        .value_kind:     hidden_block_count_x
      - .offset:         3380
        .size:           4
        .value_kind:     hidden_block_count_y
      - .offset:         3384
        .size:           4
        .value_kind:     hidden_block_count_z
      - .offset:         3388
        .size:           2
        .value_kind:     hidden_group_size_x
      - .offset:         3390
        .size:           2
        .value_kind:     hidden_group_size_y
      - .offset:         3392
        .size:           2
        .value_kind:     hidden_group_size_z
      - .offset:         3394
        .size:           2
        .value_kind:     hidden_remainder_x
      - .offset:         3396
        .size:           2
        .value_kind:     hidden_remainder_y
      - .offset:         3398
        .size:           2
        .value_kind:     hidden_remainder_z
      - .offset:         3416
        .size:           8
        .value_kind:     hidden_global_offset_x
      - .offset:         3424
        .size:           8
        .value_kind:     hidden_global_offset_y
      - .offset:         3432
        .size:           8
        .value_kind:     hidden_global_offset_z
      - .offset:         3440
        .size:           2
        .value_kind:     hidden_grid_dims
    .group_segment_fixed_size: 0
    .kernarg_segment_align: 8
    .kernarg_segment_size: 3632
    .language:       OpenCL C
    .language_version:
      - 2
      - 0
    .max_flat_workgroup_size: 512
    .name:           _ZN2at6native12_GLOBAL__N_125multi_tensor_apply_kernelINS1_18TensorListMetadataILi1EEENS1_14UnaryOpFunctorIiLi1ELi1ELi0EEEJNS0_3AbsIiEEEEEvT_T0_DpT1_
    .private_segment_fixed_size: 0
    .sgpr_count:     32
    .sgpr_spill_count: 0
    .symbol:         _ZN2at6native12_GLOBAL__N_125multi_tensor_apply_kernelINS1_18TensorListMetadataILi1EEENS1_14UnaryOpFunctorIiLi1ELi1ELi0EEEJNS0_3AbsIiEEEEEvT_T0_DpT1_.kd
    .uniform_work_group_size: 1
    .uses_dynamic_stack: false
    .vgpr_count:     22
    .vgpr_spill_count: 0
    .wavefront_size: 64
  - .agpr_count:     0
    .args:
      - .offset:         0
        .size:           3368
        .value_kind:     by_value
      - .offset:         3368
        .size:           1
        .value_kind:     by_value
      - .offset:         3369
        .size:           1
        .value_kind:     by_value
      - .offset:         3376
        .size:           4
        .value_kind:     hidden_block_count_x
      - .offset:         3380
        .size:           4
        .value_kind:     hidden_block_count_y
      - .offset:         3384
        .size:           4
        .value_kind:     hidden_block_count_z
      - .offset:         3388
        .size:           2
        .value_kind:     hidden_group_size_x
      - .offset:         3390
        .size:           2
        .value_kind:     hidden_group_size_y
      - .offset:         3392
        .size:           2
        .value_kind:     hidden_group_size_z
      - .offset:         3394
        .size:           2
        .value_kind:     hidden_remainder_x
      - .offset:         3396
        .size:           2
        .value_kind:     hidden_remainder_y
      - .offset:         3398
        .size:           2
        .value_kind:     hidden_remainder_z
      - .offset:         3416
        .size:           8
        .value_kind:     hidden_global_offset_x
      - .offset:         3424
        .size:           8
        .value_kind:     hidden_global_offset_y
      - .offset:         3432
        .size:           8
        .value_kind:     hidden_global_offset_z
      - .offset:         3440
        .size:           2
        .value_kind:     hidden_grid_dims
    .group_segment_fixed_size: 0
    .kernarg_segment_align: 8
    .kernarg_segment_size: 3632
    .language:       OpenCL C
    .language_version:
      - 2
      - 0
    .max_flat_workgroup_size: 512
    .name:           _ZN2at6native12_GLOBAL__N_125multi_tensor_apply_kernelINS1_18TensorListMetadataILi1EEENS1_14UnaryOpFunctorIlLi1ELi1ELi0EEEJNS0_3AbsIlEEEEEvT_T0_DpT1_
    .private_segment_fixed_size: 0
    .sgpr_count:     32
    .sgpr_spill_count: 0
    .symbol:         _ZN2at6native12_GLOBAL__N_125multi_tensor_apply_kernelINS1_18TensorListMetadataILi1EEENS1_14UnaryOpFunctorIlLi1ELi1ELi0EEEJNS0_3AbsIlEEEEEvT_T0_DpT1_.kd
    .uniform_work_group_size: 1
    .uses_dynamic_stack: false
    .vgpr_count:     24
    .vgpr_spill_count: 0
    .wavefront_size: 64
  - .agpr_count:     0
    .args:
      - .offset:         0
        .size:           3368
        .value_kind:     by_value
      - .offset:         3368
        .size:           1
        .value_kind:     by_value
      - .offset:         3369
        .size:           1
        .value_kind:     by_value
      - .offset:         3376
        .size:           4
        .value_kind:     hidden_block_count_x
      - .offset:         3380
        .size:           4
        .value_kind:     hidden_block_count_y
      - .offset:         3384
        .size:           4
        .value_kind:     hidden_block_count_z
      - .offset:         3388
        .size:           2
        .value_kind:     hidden_group_size_x
      - .offset:         3390
        .size:           2
        .value_kind:     hidden_group_size_y
      - .offset:         3392
        .size:           2
        .value_kind:     hidden_group_size_z
      - .offset:         3394
        .size:           2
        .value_kind:     hidden_remainder_x
      - .offset:         3396
        .size:           2
        .value_kind:     hidden_remainder_y
      - .offset:         3398
        .size:           2
        .value_kind:     hidden_remainder_z
      - .offset:         3416
        .size:           8
        .value_kind:     hidden_global_offset_x
      - .offset:         3424
        .size:           8
        .value_kind:     hidden_global_offset_y
      - .offset:         3432
        .size:           8
        .value_kind:     hidden_global_offset_z
      - .offset:         3440
        .size:           2
        .value_kind:     hidden_grid_dims
    .group_segment_fixed_size: 0
    .kernarg_segment_align: 8
    .kernarg_segment_size: 3632
    .language:       OpenCL C
    .language_version:
      - 2
      - 0
    .max_flat_workgroup_size: 512
    .name:           _ZN2at6native12_GLOBAL__N_125multi_tensor_apply_kernelINS1_18TensorListMetadataILi1EEENS1_14UnaryOpFunctorIsLi1ELi1ELi0EEEJNS0_3AbsIsEEEEEvT_T0_DpT1_
    .private_segment_fixed_size: 0
    .sgpr_count:     31
    .sgpr_spill_count: 0
    .symbol:         _ZN2at6native12_GLOBAL__N_125multi_tensor_apply_kernelINS1_18TensorListMetadataILi1EEENS1_14UnaryOpFunctorIsLi1ELi1ELi0EEEJNS0_3AbsIsEEEEEvT_T0_DpT1_.kd
    .uniform_work_group_size: 1
    .uses_dynamic_stack: false
    .vgpr_count:     22
    .vgpr_spill_count: 0
    .wavefront_size: 64
  - .agpr_count:     0
    .args:
      - .offset:         0
        .size:           3368
        .value_kind:     by_value
      - .offset:         3368
        .size:           1
        .value_kind:     by_value
      - .offset:         3369
        .size:           1
        .value_kind:     by_value
      - .offset:         3376
        .size:           4
        .value_kind:     hidden_block_count_x
      - .offset:         3380
        .size:           4
        .value_kind:     hidden_block_count_y
      - .offset:         3384
        .size:           4
        .value_kind:     hidden_block_count_z
      - .offset:         3388
        .size:           2
        .value_kind:     hidden_group_size_x
      - .offset:         3390
        .size:           2
        .value_kind:     hidden_group_size_y
      - .offset:         3392
        .size:           2
        .value_kind:     hidden_group_size_z
      - .offset:         3394
        .size:           2
        .value_kind:     hidden_remainder_x
      - .offset:         3396
        .size:           2
        .value_kind:     hidden_remainder_y
      - .offset:         3398
        .size:           2
        .value_kind:     hidden_remainder_z
      - .offset:         3416
        .size:           8
        .value_kind:     hidden_global_offset_x
      - .offset:         3424
        .size:           8
        .value_kind:     hidden_global_offset_y
      - .offset:         3432
        .size:           8
        .value_kind:     hidden_global_offset_z
      - .offset:         3440
        .size:           2
        .value_kind:     hidden_grid_dims
    .group_segment_fixed_size: 0
    .kernarg_segment_align: 8
    .kernarg_segment_size: 3632
    .language:       OpenCL C
    .language_version:
      - 2
      - 0
    .max_flat_workgroup_size: 512
    .name:           _ZN2at6native12_GLOBAL__N_125multi_tensor_apply_kernelINS1_18TensorListMetadataILi1EEENS1_14UnaryOpFunctorIdLi1ELi1ELi0EEEJNS0_3AbsIdEEEEEvT_T0_DpT1_
    .private_segment_fixed_size: 0
    .sgpr_count:     32
    .sgpr_spill_count: 0
    .symbol:         _ZN2at6native12_GLOBAL__N_125multi_tensor_apply_kernelINS1_18TensorListMetadataILi1EEENS1_14UnaryOpFunctorIdLi1ELi1ELi0EEEJNS0_3AbsIdEEEEEvT_T0_DpT1_.kd
    .uniform_work_group_size: 1
    .uses_dynamic_stack: false
    .vgpr_count:     24
    .vgpr_spill_count: 0
    .wavefront_size: 64
  - .agpr_count:     0
    .args:
      - .offset:         0
        .size:           3368
        .value_kind:     by_value
      - .offset:         3368
        .size:           1
        .value_kind:     by_value
      - .offset:         3369
        .size:           1
        .value_kind:     by_value
      - .offset:         3376
        .size:           4
        .value_kind:     hidden_block_count_x
      - .offset:         3380
        .size:           4
        .value_kind:     hidden_block_count_y
      - .offset:         3384
        .size:           4
        .value_kind:     hidden_block_count_z
      - .offset:         3388
        .size:           2
        .value_kind:     hidden_group_size_x
      - .offset:         3390
        .size:           2
        .value_kind:     hidden_group_size_y
      - .offset:         3392
        .size:           2
        .value_kind:     hidden_group_size_z
      - .offset:         3394
        .size:           2
        .value_kind:     hidden_remainder_x
      - .offset:         3396
        .size:           2
        .value_kind:     hidden_remainder_y
      - .offset:         3398
        .size:           2
        .value_kind:     hidden_remainder_z
      - .offset:         3416
        .size:           8
        .value_kind:     hidden_global_offset_x
      - .offset:         3424
        .size:           8
        .value_kind:     hidden_global_offset_y
      - .offset:         3432
        .size:           8
        .value_kind:     hidden_global_offset_z
      - .offset:         3440
        .size:           2
        .value_kind:     hidden_grid_dims
    .group_segment_fixed_size: 0
    .kernarg_segment_align: 8
    .kernarg_segment_size: 3632
    .language:       OpenCL C
    .language_version:
      - 2
      - 0
    .max_flat_workgroup_size: 512
    .name:           _ZN2at6native12_GLOBAL__N_125multi_tensor_apply_kernelINS1_18TensorListMetadataILi1EEENS1_14UnaryOpFunctorIfLi1ELi1ELi0EEEJNS0_3AbsIfEEEEEvT_T0_DpT1_
    .private_segment_fixed_size: 0
    .sgpr_count:     32
    .sgpr_spill_count: 0
    .symbol:         _ZN2at6native12_GLOBAL__N_125multi_tensor_apply_kernelINS1_18TensorListMetadataILi1EEENS1_14UnaryOpFunctorIfLi1ELi1ELi0EEEJNS0_3AbsIfEEEEEvT_T0_DpT1_.kd
    .uniform_work_group_size: 1
    .uses_dynamic_stack: false
    .vgpr_count:     22
    .vgpr_spill_count: 0
    .wavefront_size: 64
  - .agpr_count:     0
    .args:
      - .offset:         0
        .size:           3368
        .value_kind:     by_value
      - .offset:         3368
        .size:           1
        .value_kind:     by_value
      - .offset:         3369
        .size:           1
        .value_kind:     by_value
      - .offset:         3376
        .size:           4
        .value_kind:     hidden_block_count_x
      - .offset:         3380
        .size:           4
        .value_kind:     hidden_block_count_y
      - .offset:         3384
        .size:           4
        .value_kind:     hidden_block_count_z
      - .offset:         3388
        .size:           2
        .value_kind:     hidden_group_size_x
      - .offset:         3390
        .size:           2
        .value_kind:     hidden_group_size_y
      - .offset:         3392
        .size:           2
        .value_kind:     hidden_group_size_z
      - .offset:         3394
        .size:           2
        .value_kind:     hidden_remainder_x
      - .offset:         3396
        .size:           2
        .value_kind:     hidden_remainder_y
      - .offset:         3398
        .size:           2
        .value_kind:     hidden_remainder_z
      - .offset:         3416
        .size:           8
        .value_kind:     hidden_global_offset_x
      - .offset:         3424
        .size:           8
        .value_kind:     hidden_global_offset_y
      - .offset:         3432
        .size:           8
        .value_kind:     hidden_global_offset_z
      - .offset:         3440
        .size:           2
        .value_kind:     hidden_grid_dims
    .group_segment_fixed_size: 0
    .kernarg_segment_align: 8
    .kernarg_segment_size: 3632
    .language:       OpenCL C
    .language_version:
      - 2
      - 0
    .max_flat_workgroup_size: 512
    .name:           _ZN2at6native12_GLOBAL__N_125multi_tensor_apply_kernelINS1_18TensorListMetadataILi1EEENS1_14UnaryOpFunctorIN3c107complexIdEELi1ELi1ELi0EEEJNS0_3AbsIS8_EEEEEvT_T0_DpT1_
    .private_segment_fixed_size: 0
    .sgpr_count:     34
    .sgpr_spill_count: 0
    .symbol:         _ZN2at6native12_GLOBAL__N_125multi_tensor_apply_kernelINS1_18TensorListMetadataILi1EEENS1_14UnaryOpFunctorIN3c107complexIdEELi1ELi1ELi0EEEJNS0_3AbsIS8_EEEEEvT_T0_DpT1_.kd
    .uniform_work_group_size: 1
    .uses_dynamic_stack: false
    .vgpr_count:     57
    .vgpr_spill_count: 0
    .wavefront_size: 64
  - .agpr_count:     0
    .args:
      - .offset:         0
        .size:           3368
        .value_kind:     by_value
      - .offset:         3368
        .size:           1
        .value_kind:     by_value
      - .offset:         3369
        .size:           1
        .value_kind:     by_value
      - .offset:         3376
        .size:           4
        .value_kind:     hidden_block_count_x
      - .offset:         3380
        .size:           4
        .value_kind:     hidden_block_count_y
      - .offset:         3384
        .size:           4
        .value_kind:     hidden_block_count_z
      - .offset:         3388
        .size:           2
        .value_kind:     hidden_group_size_x
      - .offset:         3390
        .size:           2
        .value_kind:     hidden_group_size_y
      - .offset:         3392
        .size:           2
        .value_kind:     hidden_group_size_z
      - .offset:         3394
        .size:           2
        .value_kind:     hidden_remainder_x
      - .offset:         3396
        .size:           2
        .value_kind:     hidden_remainder_y
      - .offset:         3398
        .size:           2
        .value_kind:     hidden_remainder_z
      - .offset:         3416
        .size:           8
        .value_kind:     hidden_global_offset_x
      - .offset:         3424
        .size:           8
        .value_kind:     hidden_global_offset_y
      - .offset:         3432
        .size:           8
        .value_kind:     hidden_global_offset_z
      - .offset:         3440
        .size:           2
        .value_kind:     hidden_grid_dims
    .group_segment_fixed_size: 0
    .kernarg_segment_align: 8
    .kernarg_segment_size: 3632
    .language:       OpenCL C
    .language_version:
      - 2
      - 0
    .max_flat_workgroup_size: 512
    .name:           _ZN2at6native12_GLOBAL__N_125multi_tensor_apply_kernelINS1_18TensorListMetadataILi1EEENS1_14UnaryOpFunctorIN3c107complexIfEELi1ELi1ELi0EEEJNS0_3AbsIS8_EEEEEvT_T0_DpT1_
    .private_segment_fixed_size: 0
    .sgpr_count:     31
    .sgpr_spill_count: 0
    .symbol:         _ZN2at6native12_GLOBAL__N_125multi_tensor_apply_kernelINS1_18TensorListMetadataILi1EEENS1_14UnaryOpFunctorIN3c107complexIfEELi1ELi1ELi0EEEJNS0_3AbsIS8_EEEEEvT_T0_DpT1_.kd
    .uniform_work_group_size: 1
    .uses_dynamic_stack: false
    .vgpr_count:     32
    .vgpr_spill_count: 0
    .wavefront_size: 64
  - .agpr_count:     0
    .args:
      - .offset:         0
        .size:           3368
        .value_kind:     by_value
      - .offset:         3368
        .size:           1
        .value_kind:     by_value
      - .offset:         3369
        .size:           1
        .value_kind:     by_value
      - .offset:         3376
        .size:           4
        .value_kind:     hidden_block_count_x
      - .offset:         3380
        .size:           4
        .value_kind:     hidden_block_count_y
      - .offset:         3384
        .size:           4
        .value_kind:     hidden_block_count_z
      - .offset:         3388
        .size:           2
        .value_kind:     hidden_group_size_x
      - .offset:         3390
        .size:           2
        .value_kind:     hidden_group_size_y
      - .offset:         3392
        .size:           2
        .value_kind:     hidden_group_size_z
      - .offset:         3394
        .size:           2
        .value_kind:     hidden_remainder_x
      - .offset:         3396
        .size:           2
        .value_kind:     hidden_remainder_y
      - .offset:         3398
        .size:           2
        .value_kind:     hidden_remainder_z
      - .offset:         3416
        .size:           8
        .value_kind:     hidden_global_offset_x
      - .offset:         3424
        .size:           8
        .value_kind:     hidden_global_offset_y
      - .offset:         3432
        .size:           8
        .value_kind:     hidden_global_offset_z
      - .offset:         3440
        .size:           2
        .value_kind:     hidden_grid_dims
    .group_segment_fixed_size: 0
    .kernarg_segment_align: 8
    .kernarg_segment_size: 3632
    .language:       OpenCL C
    .language_version:
      - 2
      - 0
    .max_flat_workgroup_size: 512
    .name:           _ZN2at6native12_GLOBAL__N_125multi_tensor_apply_kernelINS1_18TensorListMetadataILi1EEENS1_14UnaryOpFunctorIN3c104HalfELi1ELi1ELi0EEEJNS0_3AbsIfEEEEEvT_T0_DpT1_
    .private_segment_fixed_size: 0
    .sgpr_count:     31
    .sgpr_spill_count: 0
    .symbol:         _ZN2at6native12_GLOBAL__N_125multi_tensor_apply_kernelINS1_18TensorListMetadataILi1EEENS1_14UnaryOpFunctorIN3c104HalfELi1ELi1ELi0EEEJNS0_3AbsIfEEEEEvT_T0_DpT1_.kd
    .uniform_work_group_size: 1
    .uses_dynamic_stack: false
    .vgpr_count:     22
    .vgpr_spill_count: 0
    .wavefront_size: 64
  - .agpr_count:     0
    .args:
      - .offset:         0
        .size:           3368
        .value_kind:     by_value
      - .offset:         3368
        .size:           1
        .value_kind:     by_value
      - .offset:         3369
        .size:           1
        .value_kind:     by_value
      - .offset:         3376
        .size:           4
        .value_kind:     hidden_block_count_x
      - .offset:         3380
        .size:           4
        .value_kind:     hidden_block_count_y
      - .offset:         3384
        .size:           4
        .value_kind:     hidden_block_count_z
      - .offset:         3388
        .size:           2
        .value_kind:     hidden_group_size_x
      - .offset:         3390
        .size:           2
        .value_kind:     hidden_group_size_y
      - .offset:         3392
        .size:           2
        .value_kind:     hidden_group_size_z
      - .offset:         3394
        .size:           2
        .value_kind:     hidden_remainder_x
      - .offset:         3396
        .size:           2
        .value_kind:     hidden_remainder_y
      - .offset:         3398
        .size:           2
        .value_kind:     hidden_remainder_z
      - .offset:         3416
        .size:           8
        .value_kind:     hidden_global_offset_x
      - .offset:         3424
        .size:           8
        .value_kind:     hidden_global_offset_y
      - .offset:         3432
        .size:           8
        .value_kind:     hidden_global_offset_z
      - .offset:         3440
        .size:           2
        .value_kind:     hidden_grid_dims
    .group_segment_fixed_size: 0
    .kernarg_segment_align: 8
    .kernarg_segment_size: 3632
    .language:       OpenCL C
    .language_version:
      - 2
      - 0
    .max_flat_workgroup_size: 512
    .name:           _ZN2at6native12_GLOBAL__N_125multi_tensor_apply_kernelINS1_18TensorListMetadataILi1EEENS1_14UnaryOpFunctorIN3c108BFloat16ELi1ELi1ELi0EEEJNS0_3AbsIfEEEEEvT_T0_DpT1_
    .private_segment_fixed_size: 0
    .sgpr_count:     32
    .sgpr_spill_count: 0
    .symbol:         _ZN2at6native12_GLOBAL__N_125multi_tensor_apply_kernelINS1_18TensorListMetadataILi1EEENS1_14UnaryOpFunctorIN3c108BFloat16ELi1ELi1ELi0EEEJNS0_3AbsIfEEEEEvT_T0_DpT1_.kd
    .uniform_work_group_size: 1
    .uses_dynamic_stack: false
    .vgpr_count:     24
    .vgpr_spill_count: 0
    .wavefront_size: 64
  - .agpr_count:     0
    .args:
      - .offset:         0
        .size:           3368
        .value_kind:     by_value
      - .offset:         3368
        .size:           1
        .value_kind:     by_value
      - .offset:         3369
        .size:           1
        .value_kind:     by_value
      - .offset:         3376
        .size:           4
        .value_kind:     hidden_block_count_x
      - .offset:         3380
        .size:           4
        .value_kind:     hidden_block_count_y
      - .offset:         3384
        .size:           4
        .value_kind:     hidden_block_count_z
      - .offset:         3388
        .size:           2
        .value_kind:     hidden_group_size_x
      - .offset:         3390
        .size:           2
        .value_kind:     hidden_group_size_y
      - .offset:         3392
        .size:           2
        .value_kind:     hidden_group_size_z
      - .offset:         3394
        .size:           2
        .value_kind:     hidden_remainder_x
      - .offset:         3396
        .size:           2
        .value_kind:     hidden_remainder_y
      - .offset:         3398
        .size:           2
        .value_kind:     hidden_remainder_z
      - .offset:         3416
        .size:           8
        .value_kind:     hidden_global_offset_x
      - .offset:         3424
        .size:           8
        .value_kind:     hidden_global_offset_y
      - .offset:         3432
        .size:           8
        .value_kind:     hidden_global_offset_z
      - .offset:         3440
        .size:           2
        .value_kind:     hidden_grid_dims
    .group_segment_fixed_size: 0
    .kernarg_segment_align: 8
    .kernarg_segment_size: 3632
    .language:       OpenCL C
    .language_version:
      - 2
      - 0
    .max_flat_workgroup_size: 512
    .name:           _ZN2at6native12_GLOBAL__N_125multi_tensor_apply_kernelINS1_18TensorListMetadataILi1EEENS1_14UnaryOpFunctorIbLi1ELi1ELi0EEEJNS0_3AbsIbEEEEEvT_T0_DpT1_
    .private_segment_fixed_size: 0
    .sgpr_count:     20
    .sgpr_spill_count: 0
    .symbol:         _ZN2at6native12_GLOBAL__N_125multi_tensor_apply_kernelINS1_18TensorListMetadataILi1EEENS1_14UnaryOpFunctorIbLi1ELi1ELi0EEEJNS0_3AbsIbEEEEEvT_T0_DpT1_.kd
    .uniform_work_group_size: 1
    .uses_dynamic_stack: false
    .vgpr_count:     26
    .vgpr_spill_count: 0
    .wavefront_size: 64
  - .agpr_count:     0
    .args:
      - .offset:         0
        .size:           3368
        .value_kind:     by_value
      - .offset:         3368
        .size:           1
        .value_kind:     by_value
      - .offset:         3376
        .size:           4
        .value_kind:     hidden_block_count_x
      - .offset:         3380
        .size:           4
        .value_kind:     hidden_block_count_y
      - .offset:         3384
        .size:           4
        .value_kind:     hidden_block_count_z
      - .offset:         3388
        .size:           2
        .value_kind:     hidden_group_size_x
      - .offset:         3390
        .size:           2
        .value_kind:     hidden_group_size_y
      - .offset:         3392
        .size:           2
        .value_kind:     hidden_group_size_z
      - .offset:         3394
        .size:           2
        .value_kind:     hidden_remainder_x
      - .offset:         3396
        .size:           2
        .value_kind:     hidden_remainder_y
      - .offset:         3398
        .size:           2
        .value_kind:     hidden_remainder_z
      - .offset:         3416
        .size:           8
        .value_kind:     hidden_global_offset_x
      - .offset:         3424
        .size:           8
        .value_kind:     hidden_global_offset_y
      - .offset:         3432
        .size:           8
        .value_kind:     hidden_global_offset_z
      - .offset:         3440
        .size:           2
        .value_kind:     hidden_grid_dims
    .group_segment_fixed_size: 0
    .kernarg_segment_align: 8
    .kernarg_segment_size: 3632
    .language:       OpenCL C
    .language_version:
      - 2
      - 0
    .max_flat_workgroup_size: 512
    .name:           _ZN2at6native12_GLOBAL__N_125multi_tensor_apply_kernelINS1_18TensorListMetadataILi1EEENS1_11ZeroFunctorIhLi1ELi1ELi0EEEJEEEvT_T0_DpT1_
    .private_segment_fixed_size: 0
    .sgpr_count:     22
    .sgpr_spill_count: 0
    .symbol:         _ZN2at6native12_GLOBAL__N_125multi_tensor_apply_kernelINS1_18TensorListMetadataILi1EEENS1_11ZeroFunctorIhLi1ELi1ELi0EEEJEEEvT_T0_DpT1_.kd
    .uniform_work_group_size: 1
    .uses_dynamic_stack: false
    .vgpr_count:     22
    .vgpr_spill_count: 0
    .wavefront_size: 64
  - .agpr_count:     0
    .args:
      - .offset:         0
        .size:           3368
        .value_kind:     by_value
      - .offset:         3368
        .size:           1
        .value_kind:     by_value
      - .offset:         3376
        .size:           4
        .value_kind:     hidden_block_count_x
      - .offset:         3380
        .size:           4
        .value_kind:     hidden_block_count_y
      - .offset:         3384
        .size:           4
        .value_kind:     hidden_block_count_z
      - .offset:         3388
        .size:           2
        .value_kind:     hidden_group_size_x
      - .offset:         3390
        .size:           2
        .value_kind:     hidden_group_size_y
      - .offset:         3392
        .size:           2
        .value_kind:     hidden_group_size_z
      - .offset:         3394
        .size:           2
        .value_kind:     hidden_remainder_x
      - .offset:         3396
        .size:           2
        .value_kind:     hidden_remainder_y
      - .offset:         3398
        .size:           2
        .value_kind:     hidden_remainder_z
      - .offset:         3416
        .size:           8
        .value_kind:     hidden_global_offset_x
      - .offset:         3424
        .size:           8
        .value_kind:     hidden_global_offset_y
      - .offset:         3432
        .size:           8
        .value_kind:     hidden_global_offset_z
      - .offset:         3440
        .size:           2
        .value_kind:     hidden_grid_dims
    .group_segment_fixed_size: 0
    .kernarg_segment_align: 8
    .kernarg_segment_size: 3632
    .language:       OpenCL C
    .language_version:
      - 2
      - 0
    .max_flat_workgroup_size: 512
    .name:           _ZN2at6native12_GLOBAL__N_125multi_tensor_apply_kernelINS1_18TensorListMetadataILi1EEENS1_11ZeroFunctorIaLi1ELi1ELi0EEEJEEEvT_T0_DpT1_
    .private_segment_fixed_size: 0
    .sgpr_count:     22
    .sgpr_spill_count: 0
    .symbol:         _ZN2at6native12_GLOBAL__N_125multi_tensor_apply_kernelINS1_18TensorListMetadataILi1EEENS1_11ZeroFunctorIaLi1ELi1ELi0EEEJEEEvT_T0_DpT1_.kd
    .uniform_work_group_size: 1
    .uses_dynamic_stack: false
    .vgpr_count:     22
    .vgpr_spill_count: 0
    .wavefront_size: 64
  - .agpr_count:     0
    .args:
      - .offset:         0
        .size:           3368
        .value_kind:     by_value
      - .offset:         3368
        .size:           1
        .value_kind:     by_value
      - .offset:         3376
        .size:           4
        .value_kind:     hidden_block_count_x
      - .offset:         3380
        .size:           4
        .value_kind:     hidden_block_count_y
      - .offset:         3384
        .size:           4
        .value_kind:     hidden_block_count_z
      - .offset:         3388
        .size:           2
        .value_kind:     hidden_group_size_x
      - .offset:         3390
        .size:           2
        .value_kind:     hidden_group_size_y
      - .offset:         3392
        .size:           2
        .value_kind:     hidden_group_size_z
      - .offset:         3394
        .size:           2
        .value_kind:     hidden_remainder_x
      - .offset:         3396
        .size:           2
        .value_kind:     hidden_remainder_y
      - .offset:         3398
        .size:           2
        .value_kind:     hidden_remainder_z
      - .offset:         3416
        .size:           8
        .value_kind:     hidden_global_offset_x
      - .offset:         3424
        .size:           8
        .value_kind:     hidden_global_offset_y
      - .offset:         3432
        .size:           8
        .value_kind:     hidden_global_offset_z
      - .offset:         3440
        .size:           2
        .value_kind:     hidden_grid_dims
    .group_segment_fixed_size: 0
    .kernarg_segment_align: 8
    .kernarg_segment_size: 3632
    .language:       OpenCL C
    .language_version:
      - 2
      - 0
    .max_flat_workgroup_size: 512
    .name:           _ZN2at6native12_GLOBAL__N_125multi_tensor_apply_kernelINS1_18TensorListMetadataILi1EEENS1_11ZeroFunctorIiLi1ELi1ELi0EEEJEEEvT_T0_DpT1_
    .private_segment_fixed_size: 0
    .sgpr_count:     27
    .sgpr_spill_count: 0
    .symbol:         _ZN2at6native12_GLOBAL__N_125multi_tensor_apply_kernelINS1_18TensorListMetadataILi1EEENS1_11ZeroFunctorIiLi1ELi1ELi0EEEJEEEvT_T0_DpT1_.kd
    .uniform_work_group_size: 1
    .uses_dynamic_stack: false
    .vgpr_count:     20
    .vgpr_spill_count: 0
    .wavefront_size: 64
  - .agpr_count:     0
    .args:
      - .offset:         0
        .size:           3368
        .value_kind:     by_value
      - .offset:         3368
        .size:           1
        .value_kind:     by_value
      - .offset:         3376
        .size:           4
        .value_kind:     hidden_block_count_x
      - .offset:         3380
        .size:           4
        .value_kind:     hidden_block_count_y
      - .offset:         3384
        .size:           4
        .value_kind:     hidden_block_count_z
      - .offset:         3388
        .size:           2
        .value_kind:     hidden_group_size_x
      - .offset:         3390
        .size:           2
        .value_kind:     hidden_group_size_y
      - .offset:         3392
        .size:           2
        .value_kind:     hidden_group_size_z
      - .offset:         3394
        .size:           2
        .value_kind:     hidden_remainder_x
      - .offset:         3396
        .size:           2
        .value_kind:     hidden_remainder_y
      - .offset:         3398
        .size:           2
        .value_kind:     hidden_remainder_z
      - .offset:         3416
        .size:           8
        .value_kind:     hidden_global_offset_x
      - .offset:         3424
        .size:           8
        .value_kind:     hidden_global_offset_y
      - .offset:         3432
        .size:           8
        .value_kind:     hidden_global_offset_z
      - .offset:         3440
        .size:           2
        .value_kind:     hidden_grid_dims
    .group_segment_fixed_size: 0
    .kernarg_segment_align: 8
    .kernarg_segment_size: 3632
    .language:       OpenCL C
    .language_version:
      - 2
      - 0
    .max_flat_workgroup_size: 512
    .name:           _ZN2at6native12_GLOBAL__N_125multi_tensor_apply_kernelINS1_18TensorListMetadataILi1EEENS1_11ZeroFunctorIlLi1ELi1ELi0EEEJEEEvT_T0_DpT1_
    .private_segment_fixed_size: 0
    .sgpr_count:     27
    .sgpr_spill_count: 0
    .symbol:         _ZN2at6native12_GLOBAL__N_125multi_tensor_apply_kernelINS1_18TensorListMetadataILi1EEENS1_11ZeroFunctorIlLi1ELi1ELi0EEEJEEEvT_T0_DpT1_.kd
    .uniform_work_group_size: 1
    .uses_dynamic_stack: false
    .vgpr_count:     20
    .vgpr_spill_count: 0
    .wavefront_size: 64
  - .agpr_count:     0
    .args:
      - .offset:         0
        .size:           3368
        .value_kind:     by_value
      - .offset:         3368
        .size:           1
        .value_kind:     by_value
      - .offset:         3376
        .size:           4
        .value_kind:     hidden_block_count_x
      - .offset:         3380
        .size:           4
        .value_kind:     hidden_block_count_y
      - .offset:         3384
        .size:           4
        .value_kind:     hidden_block_count_z
      - .offset:         3388
        .size:           2
        .value_kind:     hidden_group_size_x
      - .offset:         3390
        .size:           2
        .value_kind:     hidden_group_size_y
      - .offset:         3392
        .size:           2
        .value_kind:     hidden_group_size_z
      - .offset:         3394
        .size:           2
        .value_kind:     hidden_remainder_x
      - .offset:         3396
        .size:           2
        .value_kind:     hidden_remainder_y
      - .offset:         3398
        .size:           2
        .value_kind:     hidden_remainder_z
      - .offset:         3416
        .size:           8
        .value_kind:     hidden_global_offset_x
      - .offset:         3424
        .size:           8
        .value_kind:     hidden_global_offset_y
      - .offset:         3432
        .size:           8
        .value_kind:     hidden_global_offset_z
      - .offset:         3440
        .size:           2
        .value_kind:     hidden_grid_dims
    .group_segment_fixed_size: 0
    .kernarg_segment_align: 8
    .kernarg_segment_size: 3632
    .language:       OpenCL C
    .language_version:
      - 2
      - 0
    .max_flat_workgroup_size: 512
    .name:           _ZN2at6native12_GLOBAL__N_125multi_tensor_apply_kernelINS1_18TensorListMetadataILi1EEENS1_11ZeroFunctorIsLi1ELi1ELi0EEEJEEEvT_T0_DpT1_
    .private_segment_fixed_size: 0
    .sgpr_count:     25
    .sgpr_spill_count: 0
    .symbol:         _ZN2at6native12_GLOBAL__N_125multi_tensor_apply_kernelINS1_18TensorListMetadataILi1EEENS1_11ZeroFunctorIsLi1ELi1ELi0EEEJEEEvT_T0_DpT1_.kd
    .uniform_work_group_size: 1
    .uses_dynamic_stack: false
    .vgpr_count:     20
    .vgpr_spill_count: 0
    .wavefront_size: 64
  - .agpr_count:     0
    .args:
      - .offset:         0
        .size:           3368
        .value_kind:     by_value
      - .offset:         3368
        .size:           1
        .value_kind:     by_value
      - .offset:         3376
        .size:           4
        .value_kind:     hidden_block_count_x
      - .offset:         3380
        .size:           4
        .value_kind:     hidden_block_count_y
      - .offset:         3384
        .size:           4
        .value_kind:     hidden_block_count_z
      - .offset:         3388
        .size:           2
        .value_kind:     hidden_group_size_x
      - .offset:         3390
        .size:           2
        .value_kind:     hidden_group_size_y
      - .offset:         3392
        .size:           2
        .value_kind:     hidden_group_size_z
      - .offset:         3394
        .size:           2
        .value_kind:     hidden_remainder_x
      - .offset:         3396
        .size:           2
        .value_kind:     hidden_remainder_y
      - .offset:         3398
        .size:           2
        .value_kind:     hidden_remainder_z
      - .offset:         3416
        .size:           8
        .value_kind:     hidden_global_offset_x
      - .offset:         3424
        .size:           8
        .value_kind:     hidden_global_offset_y
      - .offset:         3432
        .size:           8
        .value_kind:     hidden_global_offset_z
      - .offset:         3440
        .size:           2
        .value_kind:     hidden_grid_dims
    .group_segment_fixed_size: 0
    .kernarg_segment_align: 8
    .kernarg_segment_size: 3632
    .language:       OpenCL C
    .language_version:
      - 2
      - 0
    .max_flat_workgroup_size: 512
    .name:           _ZN2at6native12_GLOBAL__N_125multi_tensor_apply_kernelINS1_18TensorListMetadataILi1EEENS1_11ZeroFunctorIdLi1ELi1ELi0EEEJEEEvT_T0_DpT1_
    .private_segment_fixed_size: 0
    .sgpr_count:     27
    .sgpr_spill_count: 0
    .symbol:         _ZN2at6native12_GLOBAL__N_125multi_tensor_apply_kernelINS1_18TensorListMetadataILi1EEENS1_11ZeroFunctorIdLi1ELi1ELi0EEEJEEEvT_T0_DpT1_.kd
    .uniform_work_group_size: 1
    .uses_dynamic_stack: false
    .vgpr_count:     20
    .vgpr_spill_count: 0
    .wavefront_size: 64
  - .agpr_count:     0
    .args:
      - .offset:         0
        .size:           3368
        .value_kind:     by_value
      - .offset:         3368
        .size:           1
        .value_kind:     by_value
      - .offset:         3376
        .size:           4
        .value_kind:     hidden_block_count_x
      - .offset:         3380
        .size:           4
        .value_kind:     hidden_block_count_y
      - .offset:         3384
        .size:           4
        .value_kind:     hidden_block_count_z
      - .offset:         3388
        .size:           2
        .value_kind:     hidden_group_size_x
      - .offset:         3390
        .size:           2
        .value_kind:     hidden_group_size_y
      - .offset:         3392
        .size:           2
        .value_kind:     hidden_group_size_z
      - .offset:         3394
        .size:           2
        .value_kind:     hidden_remainder_x
      - .offset:         3396
        .size:           2
        .value_kind:     hidden_remainder_y
      - .offset:         3398
        .size:           2
        .value_kind:     hidden_remainder_z
      - .offset:         3416
        .size:           8
        .value_kind:     hidden_global_offset_x
      - .offset:         3424
        .size:           8
        .value_kind:     hidden_global_offset_y
      - .offset:         3432
        .size:           8
        .value_kind:     hidden_global_offset_z
      - .offset:         3440
        .size:           2
        .value_kind:     hidden_grid_dims
    .group_segment_fixed_size: 0
    .kernarg_segment_align: 8
    .kernarg_segment_size: 3632
    .language:       OpenCL C
    .language_version:
      - 2
      - 0
    .max_flat_workgroup_size: 512
    .name:           _ZN2at6native12_GLOBAL__N_125multi_tensor_apply_kernelINS1_18TensorListMetadataILi1EEENS1_11ZeroFunctorIfLi1ELi1ELi0EEEJEEEvT_T0_DpT1_
    .private_segment_fixed_size: 0
    .sgpr_count:     27
    .sgpr_spill_count: 0
    .symbol:         _ZN2at6native12_GLOBAL__N_125multi_tensor_apply_kernelINS1_18TensorListMetadataILi1EEENS1_11ZeroFunctorIfLi1ELi1ELi0EEEJEEEvT_T0_DpT1_.kd
    .uniform_work_group_size: 1
    .uses_dynamic_stack: false
    .vgpr_count:     20
    .vgpr_spill_count: 0
    .wavefront_size: 64
  - .agpr_count:     0
    .args:
      - .offset:         0
        .size:           3368
        .value_kind:     by_value
      - .offset:         3368
        .size:           1
        .value_kind:     by_value
      - .offset:         3376
        .size:           4
        .value_kind:     hidden_block_count_x
      - .offset:         3380
        .size:           4
        .value_kind:     hidden_block_count_y
      - .offset:         3384
        .size:           4
        .value_kind:     hidden_block_count_z
      - .offset:         3388
        .size:           2
        .value_kind:     hidden_group_size_x
      - .offset:         3390
        .size:           2
        .value_kind:     hidden_group_size_y
      - .offset:         3392
        .size:           2
        .value_kind:     hidden_group_size_z
      - .offset:         3394
        .size:           2
        .value_kind:     hidden_remainder_x
      - .offset:         3396
        .size:           2
        .value_kind:     hidden_remainder_y
      - .offset:         3398
        .size:           2
        .value_kind:     hidden_remainder_z
      - .offset:         3416
        .size:           8
        .value_kind:     hidden_global_offset_x
      - .offset:         3424
        .size:           8
        .value_kind:     hidden_global_offset_y
      - .offset:         3432
        .size:           8
        .value_kind:     hidden_global_offset_z
      - .offset:         3440
        .size:           2
        .value_kind:     hidden_grid_dims
    .group_segment_fixed_size: 0
    .kernarg_segment_align: 8
    .kernarg_segment_size: 3632
    .language:       OpenCL C
    .language_version:
      - 2
      - 0
    .max_flat_workgroup_size: 512
    .name:           _ZN2at6native12_GLOBAL__N_125multi_tensor_apply_kernelINS1_18TensorListMetadataILi1EEENS1_11ZeroFunctorIN3c107complexIdEELi1ELi1ELi0EEEJEEEvT_T0_DpT1_
    .private_segment_fixed_size: 0
    .sgpr_count:     23
    .sgpr_spill_count: 0
    .symbol:         _ZN2at6native12_GLOBAL__N_125multi_tensor_apply_kernelINS1_18TensorListMetadataILi1EEENS1_11ZeroFunctorIN3c107complexIdEELi1ELi1ELi0EEEJEEEvT_T0_DpT1_.kd
    .uniform_work_group_size: 1
    .uses_dynamic_stack: false
    .vgpr_count:     24
    .vgpr_spill_count: 0
    .wavefront_size: 64
  - .agpr_count:     0
    .args:
      - .offset:         0
        .size:           3368
        .value_kind:     by_value
      - .offset:         3368
        .size:           1
        .value_kind:     by_value
      - .offset:         3376
        .size:           4
        .value_kind:     hidden_block_count_x
      - .offset:         3380
        .size:           4
        .value_kind:     hidden_block_count_y
      - .offset:         3384
        .size:           4
        .value_kind:     hidden_block_count_z
      - .offset:         3388
        .size:           2
        .value_kind:     hidden_group_size_x
      - .offset:         3390
        .size:           2
        .value_kind:     hidden_group_size_y
      - .offset:         3392
        .size:           2
        .value_kind:     hidden_group_size_z
      - .offset:         3394
        .size:           2
        .value_kind:     hidden_remainder_x
      - .offset:         3396
        .size:           2
        .value_kind:     hidden_remainder_y
      - .offset:         3398
        .size:           2
        .value_kind:     hidden_remainder_z
      - .offset:         3416
        .size:           8
        .value_kind:     hidden_global_offset_x
      - .offset:         3424
        .size:           8
        .value_kind:     hidden_global_offset_y
      - .offset:         3432
        .size:           8
        .value_kind:     hidden_global_offset_z
      - .offset:         3440
        .size:           2
        .value_kind:     hidden_grid_dims
    .group_segment_fixed_size: 0
    .kernarg_segment_align: 8
    .kernarg_segment_size: 3632
    .language:       OpenCL C
    .language_version:
      - 2
      - 0
    .max_flat_workgroup_size: 512
    .name:           _ZN2at6native12_GLOBAL__N_125multi_tensor_apply_kernelINS1_18TensorListMetadataILi1EEENS1_11ZeroFunctorIN3c107complexIfEELi1ELi1ELi0EEEJEEEvT_T0_DpT1_
    .private_segment_fixed_size: 0
    .sgpr_count:     27
    .sgpr_spill_count: 0
    .symbol:         _ZN2at6native12_GLOBAL__N_125multi_tensor_apply_kernelINS1_18TensorListMetadataILi1EEENS1_11ZeroFunctorIN3c107complexIfEELi1ELi1ELi0EEEJEEEvT_T0_DpT1_.kd
    .uniform_work_group_size: 1
    .uses_dynamic_stack: false
    .vgpr_count:     20
    .vgpr_spill_count: 0
    .wavefront_size: 64
  - .agpr_count:     0
    .args:
      - .offset:         0
        .size:           3368
        .value_kind:     by_value
      - .offset:         3368
        .size:           1
        .value_kind:     by_value
      - .offset:         3376
        .size:           4
        .value_kind:     hidden_block_count_x
      - .offset:         3380
        .size:           4
        .value_kind:     hidden_block_count_y
      - .offset:         3384
        .size:           4
        .value_kind:     hidden_block_count_z
      - .offset:         3388
        .size:           2
        .value_kind:     hidden_group_size_x
      - .offset:         3390
        .size:           2
        .value_kind:     hidden_group_size_y
      - .offset:         3392
        .size:           2
        .value_kind:     hidden_group_size_z
      - .offset:         3394
        .size:           2
        .value_kind:     hidden_remainder_x
      - .offset:         3396
        .size:           2
        .value_kind:     hidden_remainder_y
      - .offset:         3398
        .size:           2
        .value_kind:     hidden_remainder_z
      - .offset:         3416
        .size:           8
        .value_kind:     hidden_global_offset_x
      - .offset:         3424
        .size:           8
        .value_kind:     hidden_global_offset_y
      - .offset:         3432
        .size:           8
        .value_kind:     hidden_global_offset_z
      - .offset:         3440
        .size:           2
        .value_kind:     hidden_grid_dims
    .group_segment_fixed_size: 0
    .kernarg_segment_align: 8
    .kernarg_segment_size: 3632
    .language:       OpenCL C
    .language_version:
      - 2
      - 0
    .max_flat_workgroup_size: 512
    .name:           _ZN2at6native12_GLOBAL__N_125multi_tensor_apply_kernelINS1_18TensorListMetadataILi1EEENS1_11ZeroFunctorIN3c104HalfELi1ELi1ELi0EEEJEEEvT_T0_DpT1_
    .private_segment_fixed_size: 0
    .sgpr_count:     25
    .sgpr_spill_count: 0
    .symbol:         _ZN2at6native12_GLOBAL__N_125multi_tensor_apply_kernelINS1_18TensorListMetadataILi1EEENS1_11ZeroFunctorIN3c104HalfELi1ELi1ELi0EEEJEEEvT_T0_DpT1_.kd
    .uniform_work_group_size: 1
    .uses_dynamic_stack: false
    .vgpr_count:     20
    .vgpr_spill_count: 0
    .wavefront_size: 64
  - .agpr_count:     0
    .args:
      - .offset:         0
        .size:           3368
        .value_kind:     by_value
      - .offset:         3368
        .size:           1
        .value_kind:     by_value
      - .offset:         3376
        .size:           4
        .value_kind:     hidden_block_count_x
      - .offset:         3380
        .size:           4
        .value_kind:     hidden_block_count_y
      - .offset:         3384
        .size:           4
        .value_kind:     hidden_block_count_z
      - .offset:         3388
        .size:           2
        .value_kind:     hidden_group_size_x
      - .offset:         3390
        .size:           2
        .value_kind:     hidden_group_size_y
      - .offset:         3392
        .size:           2
        .value_kind:     hidden_group_size_z
      - .offset:         3394
        .size:           2
        .value_kind:     hidden_remainder_x
      - .offset:         3396
        .size:           2
        .value_kind:     hidden_remainder_y
      - .offset:         3398
        .size:           2
        .value_kind:     hidden_remainder_z
      - .offset:         3416
        .size:           8
        .value_kind:     hidden_global_offset_x
      - .offset:         3424
        .size:           8
        .value_kind:     hidden_global_offset_y
      - .offset:         3432
        .size:           8
        .value_kind:     hidden_global_offset_z
      - .offset:         3440
        .size:           2
        .value_kind:     hidden_grid_dims
    .group_segment_fixed_size: 0
    .kernarg_segment_align: 8
    .kernarg_segment_size: 3632
    .language:       OpenCL C
    .language_version:
      - 2
      - 0
    .max_flat_workgroup_size: 512
    .name:           _ZN2at6native12_GLOBAL__N_125multi_tensor_apply_kernelINS1_18TensorListMetadataILi1EEENS1_11ZeroFunctorIN3c108BFloat16ELi1ELi1ELi0EEEJEEEvT_T0_DpT1_
    .private_segment_fixed_size: 0
    .sgpr_count:     25
    .sgpr_spill_count: 0
    .symbol:         _ZN2at6native12_GLOBAL__N_125multi_tensor_apply_kernelINS1_18TensorListMetadataILi1EEENS1_11ZeroFunctorIN3c108BFloat16ELi1ELi1ELi0EEEJEEEvT_T0_DpT1_.kd
    .uniform_work_group_size: 1
    .uses_dynamic_stack: false
    .vgpr_count:     20
    .vgpr_spill_count: 0
    .wavefront_size: 64
  - .agpr_count:     0
    .args:
      - .offset:         0
        .size:           3368
        .value_kind:     by_value
      - .offset:         3368
        .size:           1
        .value_kind:     by_value
      - .offset:         3376
        .size:           4
        .value_kind:     hidden_block_count_x
      - .offset:         3380
        .size:           4
        .value_kind:     hidden_block_count_y
      - .offset:         3384
        .size:           4
        .value_kind:     hidden_block_count_z
      - .offset:         3388
        .size:           2
        .value_kind:     hidden_group_size_x
      - .offset:         3390
        .size:           2
        .value_kind:     hidden_group_size_y
      - .offset:         3392
        .size:           2
        .value_kind:     hidden_group_size_z
      - .offset:         3394
        .size:           2
        .value_kind:     hidden_remainder_x
      - .offset:         3396
        .size:           2
        .value_kind:     hidden_remainder_y
      - .offset:         3398
        .size:           2
        .value_kind:     hidden_remainder_z
      - .offset:         3416
        .size:           8
        .value_kind:     hidden_global_offset_x
      - .offset:         3424
        .size:           8
        .value_kind:     hidden_global_offset_y
      - .offset:         3432
        .size:           8
        .value_kind:     hidden_global_offset_z
      - .offset:         3440
        .size:           2
        .value_kind:     hidden_grid_dims
    .group_segment_fixed_size: 0
    .kernarg_segment_align: 8
    .kernarg_segment_size: 3632
    .language:       OpenCL C
    .language_version:
      - 2
      - 0
    .max_flat_workgroup_size: 512
    .name:           _ZN2at6native12_GLOBAL__N_125multi_tensor_apply_kernelINS1_18TensorListMetadataILi1EEENS1_11ZeroFunctorIbLi1ELi1ELi0EEEJEEEvT_T0_DpT1_
    .private_segment_fixed_size: 0
    .sgpr_count:     22
    .sgpr_spill_count: 0
    .symbol:         _ZN2at6native12_GLOBAL__N_125multi_tensor_apply_kernelINS1_18TensorListMetadataILi1EEENS1_11ZeroFunctorIbLi1ELi1ELi0EEEJEEEvT_T0_DpT1_.kd
    .uniform_work_group_size: 1
    .uses_dynamic_stack: false
    .vgpr_count:     22
    .vgpr_spill_count: 0
    .wavefront_size: 64
amdhsa.target:   amdgcn-amd-amdhsa--gfx90a
amdhsa.version:
  - 1
  - 2
...

	.end_amdgpu_metadata
